;; amdgpu-corpus repo=pytorch/pytorch kind=compiled arch=gfx1030 opt=O3
	.amdgcn_target "amdgcn-amd-amdhsa--gfx1030"
	.amdhsa_code_object_version 6
	.text
	.p2align	2                               ; -- Begin function _ZN2at6native25elementwise_kernel_helperILb0EZZZNS0_19digamma_kernel_cudaERNS_18TensorIteratorBaseEENKUlvE_clEvENKUlvE_clEvEUldE_NS0_6memory8policies11unroll_baseILi256ESt5arrayIPcLm2EE23TrivialOffsetCalculatorILi1EjESE_NS7_15LoadWithoutCastENS7_16StoreWithoutCastELi4ELi1EEEEEvT0_T1_
	.type	_ZN2at6native25elementwise_kernel_helperILb0EZZZNS0_19digamma_kernel_cudaERNS_18TensorIteratorBaseEENKUlvE_clEvENKUlvE_clEvEUldE_NS0_6memory8policies11unroll_baseILi256ESt5arrayIPcLm2EE23TrivialOffsetCalculatorILi1EjESE_NS7_15LoadWithoutCastENS7_16StoreWithoutCastELi4ELi1EEEEEvT0_T1_,@function
_ZN2at6native25elementwise_kernel_helperILb0EZZZNS0_19digamma_kernel_cudaERNS_18TensorIteratorBaseEENKUlvE_clEvENKUlvE_clEvEUldE_NS0_6memory8policies11unroll_baseILi256ESt5arrayIPcLm2EE23TrivialOffsetCalculatorILi1EjESE_NS7_15LoadWithoutCastENS7_16StoreWithoutCastELi4ELi1EEEEEvT0_T1_: ; @_ZN2at6native25elementwise_kernel_helperILb0EZZZNS0_19digamma_kernel_cudaERNS_18TensorIteratorBaseEENKUlvE_clEvENKUlvE_clEvEUldE_NS0_6memory8policies11unroll_baseILi256ESt5arrayIPcLm2EE23TrivialOffsetCalculatorILi1EjESE_NS7_15LoadWithoutCastENS7_16StoreWithoutCastELi4ELi1EEEEEvT0_T1_
; %bb.0:
	s_waitcnt vmcnt(0) expcnt(0) lgkmcnt(0)
	v_and_b32_e32 v22, 0x3ff, v31
	s_lshl_b32 s8, s12, 10
	v_mov_b32_e32 v16, 0
	v_mov_b32_e32 v18, 0
	;; [unrolled: 1-line block ×3, first 2 shown]
	v_cmp_lt_i32_e64 s4, v22, v4
	v_or_b32_e32 v5, s8, v22
	v_add_nc_u32_e32 v23, 0x100, v22
	v_mov_b32_e32 v19, 0
	v_mov_b32_e32 v10, v22
	s_and_saveexec_b32 s5, s4
	s_cbranch_execz .LBB0_2
; %bb.1:
	v_mov_b32_e32 v6, 0
	v_add_nc_u32_e32 v10, 0x100, v22
	v_lshlrev_b64 v[6:7], 3, v[5:6]
	v_add_co_u32 v6, vcc_lo, v2, v6
	v_add_co_ci_u32_e64 v7, null, v3, v7, vcc_lo
	flat_load_dwordx2 v[18:19], v[6:7]
.LBB0_2:
	s_or_b32 exec_lo, exec_lo, s5
	s_mov_b32 s5, exec_lo
	v_cmpx_lt_i32_e64 v10, v4
	s_cbranch_execz .LBB0_4
; %bb.3:
	v_add_nc_u32_e32 v6, s8, v10
	v_mov_b32_e32 v7, 0
	v_add_nc_u32_e32 v10, 0x100, v10
	v_lshlrev_b64 v[6:7], 3, v[6:7]
	v_add_co_u32 v6, vcc_lo, v2, v6
	v_add_co_ci_u32_e64 v7, null, v3, v7, vcc_lo
	flat_load_dwordx2 v[16:17], v[6:7]
.LBB0_4:
	s_or_b32 exec_lo, exec_lo, s5
	v_mov_b32_e32 v6, 0
	v_mov_b32_e32 v8, 0
	;; [unrolled: 1-line block ×4, first 2 shown]
	s_mov_b32 s5, exec_lo
	v_cmpx_lt_i32_e64 v10, v4
	s_cbranch_execz .LBB0_6
; %bb.5:
	v_add_nc_u32_e32 v8, s8, v10
	v_mov_b32_e32 v9, 0
	v_add_nc_u32_e32 v10, 0x100, v10
	v_lshlrev_b64 v[8:9], 3, v[8:9]
	v_add_co_u32 v8, vcc_lo, v2, v8
	v_add_co_ci_u32_e64 v9, null, v3, v9, vcc_lo
	flat_load_dwordx2 v[8:9], v[8:9]
.LBB0_6:
	s_or_b32 exec_lo, exec_lo, s5
	s_mov_b32 s5, exec_lo
	v_cmpx_lt_i32_e64 v10, v4
	s_cbranch_execz .LBB0_8
; %bb.7:
	v_add_nc_u32_e32 v6, s8, v10
	v_mov_b32_e32 v7, 0
	v_lshlrev_b64 v[6:7], 3, v[6:7]
	v_add_co_u32 v2, vcc_lo, v2, v6
	v_add_co_ci_u32_e64 v3, null, v3, v7, vcc_lo
	flat_load_dwordx2 v[6:7], v[2:3]
.LBB0_8:
	s_or_b32 exec_lo, exec_lo, s5
	v_mov_b32_e32 v2, 0
	v_mov_b32_e32 v3, v2
	;; [unrolled: 1-line block ×8, first 2 shown]
	s_and_saveexec_b32 s9, s4
	s_cbranch_execz .LBB0_34
; %bb.9:
                                        ; implicit-def: $vgpr2_vgpr3
	s_mov_b32 s5, exec_lo
	s_waitcnt vmcnt(0) lgkmcnt(0)
	v_cmpx_neq_f64_e32 0, v[18:19]
	s_xor_b32 s10, exec_lo, s5
	s_cbranch_execz .LBB0_31
; %bb.10:
	v_mov_b32_e32 v10, 0
	v_mov_b32_e32 v11, 0
	s_mov_b32 s6, -1
	s_mov_b32 s11, exec_lo
	v_cmpx_gt_f64_e32 0, v[18:19]
	s_cbranch_execz .LBB0_18
; %bb.11:
	v_trunc_f64_e32 v[2:3], v[18:19]
	v_mov_b32_e32 v10, 0
	v_mov_b32_e32 v11, 0
	s_mov_b32 s6, 0
	s_mov_b32 s12, exec_lo
	v_cmpx_neq_f64_e32 v[18:19], v[2:3]
	s_cbranch_execz .LBB0_17
; %bb.12:
	v_add_f64 v[2:3], v[18:19], -v[2:3]
	s_mov_b32 s7, 0xc00921fb
	s_mov_b32 s6, 0x54442d18
	v_cmp_neq_f64_e64 vcc_lo, 0x7ff00000, |v[18:19]|
                                        ; implicit-def: $vgpr14
                                        ; implicit-def: $vgpr10_vgpr11
                                        ; implicit-def: $vgpr12_vgpr13
	v_mul_f64 v[2:3], |v[2:3]|, s[6:7]
	v_cndmask_b32_e32 v3, 0x80000000, v3, vcc_lo
	v_cndmask_b32_e32 v2, 0, v2, vcc_lo
	v_cmp_ngt_f64_e64 s5, 0x41d00000, |v[2:3]|
	s_and_saveexec_b32 s7, s5
	s_xor_b32 s5, exec_lo, s7
	s_cbranch_execz .LBB0_14
; %bb.13:
	v_ldexp_f64 v[10:11], |v[2:3]|, 0xffffff80
	v_cmp_le_f64_e64 vcc_lo, 0x7b000000, |v[2:3]|
	v_trig_preop_f64 v[12:13], |v[2:3]|, 0
	v_and_b32_e32 v14, 0x7fffffff, v3
	v_trig_preop_f64 v[30:31], |v[2:3]|, 2
	v_mov_b32_e32 v38, 0
	s_mov_b32 s7, 0x3ff921fb
	s_mov_b32 s14, 0x33145c07
	;; [unrolled: 1-line block ×3, first 2 shown]
	v_cndmask_b32_e32 v11, v14, v11, vcc_lo
	v_cndmask_b32_e32 v10, v2, v10, vcc_lo
	v_trig_preop_f64 v[14:15], |v[2:3]|, 1
	v_mul_f64 v[20:21], v[12:13], v[10:11]
	v_mul_f64 v[36:37], v[30:31], v[10:11]
	;; [unrolled: 1-line block ×3, first 2 shown]
	v_fma_f64 v[12:13], v[12:13], v[10:11], -v[20:21]
	v_fma_f64 v[14:15], v[14:15], v[10:11], -v[24:25]
	;; [unrolled: 1-line block ×3, first 2 shown]
	v_add_f64 v[26:27], v[24:25], v[12:13]
	v_add_f64 v[28:29], v[26:27], -v[24:25]
	v_add_f64 v[34:35], v[20:21], v[26:27]
	v_add_f64 v[32:33], v[26:27], -v[28:29]
	v_add_f64 v[12:13], v[12:13], -v[28:29]
	v_ldexp_f64 v[28:29], v[34:35], -2
	v_add_f64 v[20:21], v[34:35], -v[20:21]
	v_add_f64 v[24:25], v[24:25], -v[32:33]
	v_add_f64 v[32:33], v[36:37], v[14:15]
	v_cmp_neq_f64_e64 vcc_lo, 0x7ff00000, |v[28:29]|
	v_add_f64 v[20:21], v[26:27], -v[20:21]
	v_add_f64 v[12:13], v[12:13], v[24:25]
	v_fract_f64_e32 v[24:25], v[28:29]
	v_add_f64 v[26:27], v[32:33], v[12:13]
	v_ldexp_f64 v[24:25], v[24:25], 2
	v_add_f64 v[28:29], v[20:21], v[26:27]
	v_cndmask_b32_e32 v25, 0, v25, vcc_lo
	v_cndmask_b32_e32 v24, 0, v24, vcc_lo
	v_add_f64 v[48:49], v[26:27], -v[32:33]
	v_add_f64 v[34:35], v[28:29], v[24:25]
	v_add_f64 v[20:21], v[28:29], -v[20:21]
	v_add_f64 v[54:55], v[26:27], -v[48:49]
	;; [unrolled: 1-line block ×3, first 2 shown]
	v_cmp_gt_f64_e32 vcc_lo, 0, v[34:35]
	v_add_f64 v[34:35], v[32:33], -v[36:37]
	v_cndmask_b32_e64 v39, 0, 0x40100000, vcc_lo
	v_add_f64 v[52:53], v[32:33], -v[34:35]
	v_add_f64 v[14:15], v[14:15], -v[34:35]
	;; [unrolled: 1-line block ×3, first 2 shown]
	v_add_f64 v[24:25], v[24:25], v[38:39]
	v_add_f64 v[34:35], v[36:37], -v[52:53]
	v_add_f64 v[12:13], v[12:13], v[32:33]
	v_add_f64 v[50:51], v[28:29], v[24:25]
	v_add_f64 v[14:15], v[14:15], v[34:35]
	v_cvt_i32_f64_e32 v39, v[50:51]
	v_add_f64 v[12:13], v[14:15], v[12:13]
	v_add_f64 v[14:15], v[26:27], -v[20:21]
	v_cvt_f64_i32_e32 v[48:49], v39
	v_add_f64 v[10:11], v[10:11], v[12:13]
	v_add_f64 v[24:25], v[24:25], -v[48:49]
	v_add_f64 v[10:11], v[14:15], v[10:11]
	v_add_f64 v[30:31], v[28:29], v[24:25]
	v_add_f64 v[12:13], v[30:31], -v[24:25]
	v_cmp_le_f64_e32 vcc_lo, 0.5, v[30:31]
	v_add_f64 v[12:13], v[28:29], -v[12:13]
	v_add_co_ci_u32_e64 v14, null, 0, v39, vcc_lo
	v_cndmask_b32_e64 v39, 0, 0x3ff00000, vcc_lo
	v_add_f64 v[10:11], v[10:11], v[12:13]
	v_add_f64 v[12:13], v[30:31], -v[38:39]
	v_add_f64 v[20:21], v[12:13], v[10:11]
	v_mul_f64 v[24:25], v[20:21], s[6:7]
	v_add_f64 v[12:13], v[20:21], -v[12:13]
	v_fma_f64 v[26:27], v[20:21], s[6:7], -v[24:25]
	v_add_f64 v[10:11], v[10:11], -v[12:13]
	v_fma_f64 v[12:13], v[20:21], s[14:15], v[26:27]
	v_fma_f64 v[12:13], v[10:11], s[6:7], v[12:13]
	v_add_f64 v[10:11], v[24:25], v[12:13]
	v_add_f64 v[20:21], v[10:11], -v[24:25]
	v_add_f64 v[12:13], v[12:13], -v[20:21]
.LBB0_14:
	s_andn2_saveexec_b32 s5, s5
	s_cbranch_execz .LBB0_16
; %bb.15:
	s_mov_b32 s6, 0x6dc9c883
	s_mov_b32 s7, 0x3fe45f30
	;; [unrolled: 1-line block ×3, first 2 shown]
	v_mul_f64 v[10:11], |v[2:3]|, s[6:7]
	s_mov_b32 s6, 0x54442d18
	s_mov_b32 s7, 0xbff921fb
	;; [unrolled: 1-line block ×3, first 2 shown]
	v_rndne_f64_e32 v[14:15], v[10:11]
	v_fma_f64 v[10:11], v[14:15], s[6:7], |v[2:3]|
	v_mul_f64 v[12:13], v[14:15], s[14:15]
	s_mov_b32 s6, 0x252049c0
	s_mov_b32 s7, 0xb97b839a
	v_fma_f64 v[24:25], v[14:15], s[14:15], v[10:11]
	v_add_f64 v[20:21], v[10:11], v[12:13]
	s_mov_b32 s15, 0x3c91a626
	v_add_f64 v[10:11], v[10:11], -v[20:21]
	v_add_f64 v[20:21], v[20:21], -v[24:25]
	v_add_f64 v[10:11], v[10:11], v[12:13]
	v_fma_f64 v[12:13], v[14:15], s[14:15], v[12:13]
	v_add_f64 v[10:11], v[20:21], v[10:11]
	v_add_f64 v[10:11], v[10:11], -v[12:13]
	v_fma_f64 v[12:13], v[14:15], s[6:7], v[10:11]
	v_cvt_i32_f64_e32 v14, v[14:15]
	v_add_f64 v[10:11], v[24:25], v[12:13]
	v_add_f64 v[20:21], v[10:11], -v[24:25]
	v_add_f64 v[12:13], v[12:13], -v[20:21]
.LBB0_16:
	s_or_b32 exec_lo, exec_lo, s5
	v_mul_f64 v[20:21], v[10:11], v[10:11]
	v_add_f64 v[24:25], v[12:13], v[12:13]
	s_mov_b32 s14, 0xa9a29f71
	s_mov_b32 s16, 0xc751c08c
	;; [unrolled: 1-line block ×4, first 2 shown]
	v_cmp_class_f64_e64 s5, v[2:3], 0x1f8
	v_and_b32_e32 v14, 1, v14
	v_and_b32_e32 v3, 0x80000000, v3
	v_add_f64 v[18:19], -v[18:19], 1.0
	s_mov_b32 s6, exec_lo
	v_cmp_eq_u32_e32 vcc_lo, 0, v14
	v_fma_f64 v[26:27], v[10:11], v[10:11], -v[20:21]
	v_fma_f64 v[24:25], v[10:11], v[24:25], v[26:27]
	v_add_f64 v[20:21], v[20:21], v[24:25]
	v_fma_f64 v[24:25], v[20:21], s[16:17], s[14:15]
	s_mov_b32 s14, 0x90a8aae0
	s_mov_b32 s15, 0x3f17746f
	v_fma_f64 v[24:25], v[20:21], v[24:25], s[14:15]
	s_mov_b32 s14, 0xa6fbf144
	s_mov_b32 s15, 0xbefbb44d
	;; [unrolled: 3-line block ×13, first 2 shown]
	v_mul_f64 v[20:21], v[20:21], v[24:25]
	v_mul_f64 v[24:25], v[10:11], v[20:21]
	v_add_f64 v[26:27], v[10:11], v[24:25]
	v_fma_f64 v[20:21], v[10:11], v[20:21], -v[24:25]
	v_add_f64 v[10:11], v[26:27], -v[10:11]
	v_add_f64 v[12:13], v[12:13], v[20:21]
	v_add_f64 v[10:11], v[24:25], -v[10:11]
	v_add_f64 v[10:11], v[12:13], v[10:11]
	v_add_f64 v[12:13], v[26:27], v[10:11]
	v_rcp_f64_e32 v[20:21], v[12:13]
	v_fma_f64 v[24:25], -v[12:13], v[20:21], 1.0
	v_fma_f64 v[20:21], v[24:25], v[20:21], v[20:21]
	v_fma_f64 v[24:25], -v[12:13], v[20:21], 1.0
	v_fma_f64 v[20:21], v[24:25], v[20:21], v[20:21]
	v_add_f64 v[24:25], v[12:13], -v[26:27]
	v_mul_f64 v[26:27], v[12:13], v[20:21]
	v_add_f64 v[10:11], v[10:11], -v[24:25]
	v_fma_f64 v[24:25], v[20:21], v[12:13], -v[26:27]
	v_fma_f64 v[10:11], v[20:21], v[10:11], v[24:25]
	v_add_f64 v[24:25], v[26:27], v[10:11]
	v_add_f64 v[28:29], -v[24:25], 1.0
	v_add_f64 v[26:27], v[24:25], -v[26:27]
	v_add_f64 v[30:31], -v[28:29], 1.0
	v_add_f64 v[10:11], v[26:27], -v[10:11]
	v_add_f64 v[24:25], v[30:31], -v[24:25]
	v_add_f64 v[10:11], v[10:11], v[24:25]
	v_add_f64 v[10:11], v[28:29], v[10:11]
	v_mul_f64 v[10:11], v[20:21], v[10:11]
	v_add_f64 v[10:11], v[20:21], v[10:11]
	v_xor_b32_e32 v2, 0x80000000, v11
	v_cndmask_b32_e32 v10, v10, v12, vcc_lo
	v_cndmask_b32_e32 v2, v2, v13, vcc_lo
	v_xor_b32_e32 v3, v2, v3
	v_cndmask_b32_e64 v2, 0, v10, s5
	v_cndmask_b32_e64 v3, 0x7ff80000, v3, s5
	v_div_scale_f64 v[10:11], null, v[2:3], v[2:3], s[14:15]
	v_div_scale_f64 v[20:21], vcc_lo, s[14:15], v[2:3], s[14:15]
	v_rcp_f64_e32 v[12:13], v[10:11]
	v_fma_f64 v[14:15], -v[10:11], v[12:13], 1.0
	v_fma_f64 v[12:13], v[12:13], v[14:15], v[12:13]
	v_fma_f64 v[14:15], -v[10:11], v[12:13], 1.0
	v_fma_f64 v[12:13], v[12:13], v[14:15], v[12:13]
	v_mul_f64 v[14:15], v[20:21], v[12:13]
	v_fma_f64 v[10:11], -v[10:11], v[14:15], v[20:21]
	v_div_fmas_f64 v[10:11], v[10:11], v[12:13], v[14:15]
	v_div_fixup_f64 v[10:11], v[10:11], v[2:3], s[14:15]
.LBB0_17:
	s_or_b32 exec_lo, exec_lo, s12
	s_orn2_b32 s6, s6, exec_lo
.LBB0_18:
	s_or_b32 exec_lo, exec_lo, s11
	v_mov_b32_e32 v2, 0
	v_mov_b32_e32 v3, 0x7ff80000
	s_and_saveexec_b32 s5, s6
	s_cbranch_execz .LBB0_30
; %bb.19:
	s_mov_b32 s6, exec_lo
	v_cmpx_gt_f64_e32 0x40240000, v[18:19]
	s_cbranch_execz .LBB0_23
; %bb.20:
	s_mov_b32 s7, 0
	.p2align	6
.LBB0_21:                               ; =>This Inner Loop Header: Depth=1
	v_div_scale_f64 v[2:3], null, v[18:19], v[18:19], 1.0
	v_div_scale_f64 v[20:21], vcc_lo, 1.0, v[18:19], 1.0
	v_rcp_f64_e32 v[12:13], v[2:3]
	v_fma_f64 v[14:15], -v[2:3], v[12:13], 1.0
	v_fma_f64 v[12:13], v[12:13], v[14:15], v[12:13]
	v_fma_f64 v[14:15], -v[2:3], v[12:13], 1.0
	v_fma_f64 v[12:13], v[12:13], v[14:15], v[12:13]
	v_mul_f64 v[14:15], v[20:21], v[12:13]
	v_fma_f64 v[2:3], -v[2:3], v[14:15], v[20:21]
	v_div_fmas_f64 v[2:3], v[2:3], v[12:13], v[14:15]
	v_div_fixup_f64 v[2:3], v[2:3], v[18:19], 1.0
	v_add_f64 v[18:19], v[18:19], 1.0
	v_add_f64 v[10:11], v[10:11], -v[2:3]
	v_cmp_ngt_f64_e32 vcc_lo, 0x40240000, v[18:19]
	s_or_b32 s7, vcc_lo, s7
	s_andn2_b32 exec_lo, exec_lo, s7
	s_cbranch_execnz .LBB0_21
; %bb.22:
	s_or_b32 exec_lo, exec_lo, s7
.LBB0_23:
	s_or_b32 exec_lo, exec_lo, s6
	s_mov_b32 s6, exec_lo
                                        ; implicit-def: $vgpr2_vgpr3
	v_cmpx_neq_f64_e32 0x40240000, v[18:19]
	s_xor_b32 s6, exec_lo, s6
	s_cbranch_execz .LBB0_27
; %bb.24:
	v_mov_b32_e32 v2, 0
	v_mov_b32_e32 v3, 0
	s_mov_b32 s12, 0x85d8a000
	s_mov_b32 s13, 0x43763457
	s_mov_b32 s7, exec_lo
	v_cmpx_gt_f64_e32 s[12:13], v[18:19]
	s_cbranch_execz .LBB0_26
; %bb.25:
	v_mul_f64 v[2:3], v[18:19], v[18:19]
	s_mov_b32 s12, 0x55555555
	s_mov_b32 s13, 0x3fb55555
	s_mov_b32 s14, 0x95995996
	s_mov_b32 s15, 0xbf959959
	s_mov_b32 s16, 0x10410410
	s_mov_b32 s17, 0x3f704104
	v_div_scale_f64 v[12:13], null, v[2:3], v[2:3], 1.0
	v_rcp_f64_e32 v[14:15], v[12:13]
	v_fma_f64 v[20:21], -v[12:13], v[14:15], 1.0
	v_fma_f64 v[14:15], v[14:15], v[20:21], v[14:15]
	v_fma_f64 v[20:21], -v[12:13], v[14:15], 1.0
	v_fma_f64 v[14:15], v[14:15], v[20:21], v[14:15]
	v_div_scale_f64 v[20:21], vcc_lo, 1.0, v[2:3], 1.0
	v_mul_f64 v[24:25], v[20:21], v[14:15]
	v_fma_f64 v[12:13], -v[12:13], v[24:25], v[20:21]
	v_div_fmas_f64 v[12:13], v[12:13], v[14:15], v[24:25]
	v_div_fixup_f64 v[2:3], v[12:13], v[2:3], 1.0
	v_fma_f64 v[12:13], v[2:3], 0, s[12:13]
	v_fma_f64 v[12:13], v[2:3], v[12:13], s[14:15]
	s_mov_b32 s14, 0xf07c1f08
	s_mov_b32 s15, 0x3f7f07c1
	v_fma_f64 v[12:13], v[2:3], v[12:13], s[14:15]
	s_mov_b32 s15, 0xbf711111
	s_mov_b32 s14, 0x11111111
	v_fma_f64 v[12:13], v[2:3], v[12:13], s[14:15]
	s_mov_b32 s15, 0xbf811111
	v_fma_f64 v[12:13], v[2:3], v[12:13], s[16:17]
	v_fma_f64 v[12:13], v[2:3], v[12:13], s[14:15]
	;; [unrolled: 1-line block ×3, first 2 shown]
	v_mul_f64 v[2:3], v[2:3], v[12:13]
.LBB0_26:
	s_or_b32 exec_lo, exec_lo, s7
	v_frexp_mant_f64_e32 v[12:13], v[18:19]
	s_mov_b32 s13, 0x3fe55555
	s_mov_b32 s12, 0x55555555
	;; [unrolled: 1-line block ×6, first 2 shown]
	v_div_scale_f64 v[34:35], null, v[18:19], v[18:19], -0.5
	v_cmp_gt_f64_e32 vcc_lo, s[12:13], v[12:13]
	s_mov_b32 s12, 0x55555780
	v_rcp_f64_e32 v[38:39], v[34:35]
	v_cndmask_b32_e64 v14, 0, 1, vcc_lo
	v_ldexp_f64 v[12:13], v[12:13], v14
	v_add_f64 v[14:15], v[12:13], 1.0
	v_add_f64 v[26:27], v[12:13], -1.0
	v_rcp_f64_e32 v[20:21], v[14:15]
	v_add_f64 v[28:29], v[14:15], -1.0
	v_add_f64 v[12:13], v[12:13], -v[28:29]
	v_fma_f64 v[24:25], -v[14:15], v[20:21], 1.0
	v_fma_f64 v[20:21], v[24:25], v[20:21], v[20:21]
	v_fma_f64 v[24:25], -v[14:15], v[20:21], 1.0
	v_fma_f64 v[20:21], v[24:25], v[20:21], v[20:21]
	v_mul_f64 v[24:25], v[26:27], v[20:21]
	v_mul_f64 v[30:31], v[14:15], v[24:25]
	v_fma_f64 v[14:15], v[24:25], v[14:15], -v[30:31]
	v_fma_f64 v[12:13], v[24:25], v[12:13], v[14:15]
	v_add_f64 v[14:15], v[30:31], v[12:13]
	v_add_f64 v[28:29], v[26:27], -v[14:15]
	v_add_f64 v[30:31], v[14:15], -v[30:31]
	;; [unrolled: 1-line block ×4, first 2 shown]
	v_frexp_exp_i32_f64_e32 v30, v[18:19]
	v_add_f64 v[14:15], v[26:27], -v[14:15]
	v_add_f64 v[12:13], v[12:13], v[14:15]
	v_add_f64 v[12:13], v[28:29], v[12:13]
	v_mul_f64 v[12:13], v[20:21], v[12:13]
	v_add_f64 v[14:15], v[24:25], v[12:13]
	v_mul_f64 v[20:21], v[14:15], v[14:15]
	v_fma_f64 v[26:27], v[20:21], s[16:17], s[14:15]
	s_mov_b32 s14, 0xd7f4df2e
	s_mov_b32 s15, 0x3fc7474d
	v_mul_f64 v[28:29], v[14:15], v[20:21]
	v_fma_f64 v[26:27], v[20:21], v[26:27], s[14:15]
	s_mov_b32 s14, 0x16291751
	s_mov_b32 s15, 0x3fcc71c0
	v_fma_f64 v[26:27], v[20:21], v[26:27], s[14:15]
	s_mov_b32 s14, 0x9b27acf1
	s_mov_b32 s15, 0x3fd24924
	;; [unrolled: 3-line block ×3, first 2 shown]
	v_fma_f64 v[26:27], v[20:21], v[26:27], s[14:15]
	v_fma_f64 v[20:21], v[20:21], v[26:27], s[12:13]
	v_ldexp_f64 v[26:27], v[14:15], 1
	v_add_f64 v[14:15], v[14:15], -v[24:25]
	s_mov_b32 s12, 0xfefa39ef
	s_mov_b32 s13, 0x3fe62e42
	v_mul_f64 v[20:21], v[28:29], v[20:21]
	v_subrev_co_ci_u32_e64 v28, null, 0, v30, vcc_lo
	v_add_f64 v[12:13], v[12:13], -v[14:15]
	v_cvt_f64_i32_e32 v[28:29], v28
	v_add_f64 v[24:25], v[26:27], v[20:21]
	v_ldexp_f64 v[12:13], v[12:13], 1
	v_mul_f64 v[30:31], v[28:29], s[12:13]
	v_add_f64 v[14:15], v[24:25], -v[26:27]
	v_fma_f64 v[26:27], v[28:29], s[12:13], -v[30:31]
	s_mov_b32 s12, 0x3b39803f
	s_mov_b32 s13, 0x3c7abc9e
	v_add_f64 v[14:15], v[20:21], -v[14:15]
	v_fma_f64 v[20:21], v[28:29], s[12:13], v[26:27]
	v_add_f64 v[12:13], v[12:13], v[14:15]
	v_add_f64 v[14:15], v[30:31], v[20:21]
	;; [unrolled: 1-line block ×3, first 2 shown]
	v_add_f64 v[30:31], v[14:15], -v[30:31]
	v_add_f64 v[28:29], v[14:15], v[26:27]
	v_add_f64 v[24:25], v[26:27], -v[24:25]
	v_add_f64 v[20:21], v[20:21], -v[30:31]
	;; [unrolled: 1-line block ×6, first 2 shown]
	v_fma_f64 v[26:27], -v[34:35], v[38:39], 1.0
	v_add_f64 v[30:31], v[20:21], v[12:13]
	v_add_f64 v[14:15], v[14:15], -v[36:37]
	v_add_f64 v[14:15], v[24:25], v[14:15]
	v_fma_f64 v[24:25], v[38:39], v[26:27], v[38:39]
	v_add_f64 v[26:27], v[30:31], -v[20:21]
	v_div_scale_f64 v[38:39], vcc_lo, -0.5, v[18:19], -0.5
	v_add_f64 v[14:15], v[30:31], v[14:15]
	v_fma_f64 v[32:33], -v[34:35], v[24:25], 1.0
	v_add_f64 v[30:31], v[30:31], -v[26:27]
	v_add_f64 v[12:13], v[12:13], -v[26:27]
	v_add_f64 v[36:37], v[28:29], v[14:15]
	v_fma_f64 v[24:25], v[24:25], v[32:33], v[24:25]
	v_add_f64 v[20:21], v[20:21], -v[30:31]
	v_add_f64 v[26:27], v[36:37], -v[28:29]
	v_mul_f64 v[28:29], v[38:39], v[24:25]
	v_add_f64 v[12:13], v[12:13], v[20:21]
	v_add_f64 v[14:15], v[14:15], -v[26:27]
	v_fma_f64 v[20:21], -v[34:35], v[28:29], v[38:39]
	v_add_f64 v[12:13], v[12:13], v[14:15]
	v_div_fmas_f64 v[14:15], v[20:21], v[24:25], v[28:29]
	v_cmp_class_f64_e64 vcc_lo, v[18:19], 0x204
	v_add_f64 v[12:13], v[36:37], v[12:13]
	v_div_fixup_f64 v[14:15], v[14:15], v[18:19], -0.5
	v_cndmask_b32_e32 v13, v13, v19, vcc_lo
	v_cndmask_b32_e32 v12, v12, v18, vcc_lo
	v_add_f64 v[12:13], v[12:13], v[14:15]
	v_add_f64 v[2:3], v[12:13], -v[2:3]
	v_add_f64 v[2:3], v[10:11], v[2:3]
                                        ; implicit-def: $vgpr10_vgpr11
.LBB0_27:
	s_andn2_saveexec_b32 s6, s6
; %bb.28:
	s_mov_b32 s12, 0xdc85cc95
	s_mov_b32 s13, 0x40020396
	v_add_f64 v[2:3], v[10:11], s[12:13]
; %bb.29:
	s_or_b32 exec_lo, exec_lo, s6
.LBB0_30:
	s_or_b32 exec_lo, exec_lo, s5
                                        ; implicit-def: $vgpr18_vgpr19
.LBB0_31:
	s_andn2_saveexec_b32 s5, s10
; %bb.32:
	v_xor_b32_e32 v2, 0x80000000, v19
	s_mov_b32 s6, 0x7ff00000
	v_bfi_b32 v3, 0x7fffffff, s6, v2
	v_mov_b32_e32 v2, 0
; %bb.33:
	s_or_b32 exec_lo, exec_lo, s5
	v_mov_b32_e32 v14, 0
	v_mov_b32_e32 v15, v14
	;; [unrolled: 1-line block ×6, first 2 shown]
.LBB0_34:
	s_or_b32 exec_lo, exec_lo, s9
	s_mov_b32 s9, exec_lo
	v_cmpx_lt_i32_e64 v23, v4
	s_cbranch_execz .LBB0_60
; %bb.35:
	s_mov_b32 s5, exec_lo
	s_waitcnt vmcnt(0) lgkmcnt(0)
	v_cmpx_neq_f64_e32 0, v[16:17]
	s_xor_b32 s10, exec_lo, s5
                                        ; implicit-def: $vgpr14_vgpr15
	s_cbranch_execz .LBB0_57
; %bb.36:
	v_mov_b32_e32 v18, 0
	v_mov_b32_e32 v19, 0
	s_mov_b32 s6, -1
	s_mov_b32 s11, exec_lo
	v_cmpx_gt_f64_e32 0, v[16:17]
	s_cbranch_execz .LBB0_44
; %bb.37:
	v_trunc_f64_e32 v[14:15], v[16:17]
	v_mov_b32_e32 v18, 0
	v_mov_b32_e32 v19, 0
	s_mov_b32 s6, 0
	s_mov_b32 s12, exec_lo
	v_cmpx_neq_f64_e32 v[16:17], v[14:15]
	s_cbranch_execz .LBB0_43
; %bb.38:
	v_add_f64 v[14:15], v[16:17], -v[14:15]
	s_mov_b32 s7, 0xc00921fb
	s_mov_b32 s6, 0x54442d18
	v_cmp_neq_f64_e64 vcc_lo, 0x7ff00000, |v[16:17]|
                                        ; implicit-def: $vgpr24
                                        ; implicit-def: $vgpr18_vgpr19
                                        ; implicit-def: $vgpr20_vgpr21
	v_mul_f64 v[14:15], |v[14:15]|, s[6:7]
	v_cndmask_b32_e32 v15, 0x80000000, v15, vcc_lo
	v_cndmask_b32_e32 v14, 0, v14, vcc_lo
	v_cmp_ngt_f64_e64 s5, 0x41d00000, |v[14:15]|
	s_and_saveexec_b32 s7, s5
	s_xor_b32 s5, exec_lo, s7
	s_cbranch_execz .LBB0_40
; %bb.39:
	v_ldexp_f64 v[18:19], |v[14:15]|, 0xffffff80
	v_cmp_le_f64_e64 vcc_lo, 0x7b000000, |v[14:15]|
	v_trig_preop_f64 v[20:21], |v[14:15]|, 0
	v_and_b32_e32 v24, 0x7fffffff, v15
	v_trig_preop_f64 v[34:35], |v[14:15]|, 2
	v_mov_b32_e32 v50, 0
	s_mov_b32 s7, 0x3ff921fb
	s_mov_b32 s14, 0x33145c07
	s_mov_b32 s15, 0x3c91a626
	v_cndmask_b32_e32 v19, v24, v19, vcc_lo
	v_cndmask_b32_e32 v18, v14, v18, vcc_lo
	v_trig_preop_f64 v[24:25], |v[14:15]|, 1
	v_mul_f64 v[26:27], v[20:21], v[18:19]
	v_mul_f64 v[48:49], v[34:35], v[18:19]
	;; [unrolled: 1-line block ×3, first 2 shown]
	v_fma_f64 v[20:21], v[20:21], v[18:19], -v[26:27]
	v_fma_f64 v[24:25], v[24:25], v[18:19], -v[28:29]
	;; [unrolled: 1-line block ×3, first 2 shown]
	v_add_f64 v[30:31], v[28:29], v[20:21]
	v_add_f64 v[32:33], v[30:31], -v[28:29]
	v_add_f64 v[38:39], v[26:27], v[30:31]
	v_add_f64 v[36:37], v[30:31], -v[32:33]
	v_add_f64 v[20:21], v[20:21], -v[32:33]
	v_ldexp_f64 v[32:33], v[38:39], -2
	v_add_f64 v[26:27], v[38:39], -v[26:27]
	v_add_f64 v[28:29], v[28:29], -v[36:37]
	v_add_f64 v[36:37], v[48:49], v[24:25]
	v_cmp_neq_f64_e64 vcc_lo, 0x7ff00000, |v[32:33]|
	v_add_f64 v[26:27], v[30:31], -v[26:27]
	v_add_f64 v[20:21], v[20:21], v[28:29]
	v_fract_f64_e32 v[28:29], v[32:33]
	v_add_f64 v[30:31], v[36:37], v[20:21]
	v_ldexp_f64 v[28:29], v[28:29], 2
	v_add_f64 v[32:33], v[26:27], v[30:31]
	v_cndmask_b32_e32 v29, 0, v29, vcc_lo
	v_cndmask_b32_e32 v28, 0, v28, vcc_lo
	v_add_f64 v[38:39], v[32:33], v[28:29]
	v_add_f64 v[26:27], v[32:33], -v[26:27]
	v_cmp_gt_f64_e32 vcc_lo, 0, v[38:39]
	v_add_f64 v[38:39], v[36:37], -v[48:49]
	v_cndmask_b32_e64 v51, 0, 0x40100000, vcc_lo
	v_add_f64 v[64:65], v[36:37], -v[38:39]
	v_add_f64 v[24:25], v[24:25], -v[38:39]
	v_add_f64 v[28:29], v[28:29], v[50:51]
	v_add_f64 v[51:52], v[30:31], -v[36:37]
	v_add_f64 v[38:39], v[48:49], -v[64:65]
	v_add_f64 v[53:54], v[32:33], v[28:29]
	;; [unrolled: 3-line block ×3, first 2 shown]
	v_cvt_i32_f64_e32 v53, v[53:54]
	v_add_f64 v[36:37], v[36:37], -v[66:67]
	v_cvt_f64_i32_e32 v[51:52], v53
	v_add_f64 v[20:21], v[20:21], v[36:37]
	v_add_f64 v[28:29], v[28:29], -v[51:52]
	v_add_f64 v[20:21], v[24:25], v[20:21]
	v_add_f64 v[24:25], v[30:31], -v[26:27]
	v_add_f64 v[34:35], v[32:33], v[28:29]
	v_add_f64 v[18:19], v[18:19], v[20:21]
	v_add_f64 v[20:21], v[34:35], -v[28:29]
	v_cmp_le_f64_e32 vcc_lo, 0.5, v[34:35]
	v_add_f64 v[18:19], v[24:25], v[18:19]
	v_add_f64 v[20:21], v[32:33], -v[20:21]
	v_cndmask_b32_e64 v51, 0, 0x3ff00000, vcc_lo
	v_add_co_ci_u32_e64 v24, null, 0, v53, vcc_lo
	v_add_f64 v[18:19], v[18:19], v[20:21]
	v_add_f64 v[20:21], v[34:35], -v[50:51]
	v_add_f64 v[25:26], v[20:21], v[18:19]
	v_mul_f64 v[27:28], v[25:26], s[6:7]
	v_add_f64 v[20:21], v[25:26], -v[20:21]
	v_fma_f64 v[29:30], v[25:26], s[6:7], -v[27:28]
	v_add_f64 v[18:19], v[18:19], -v[20:21]
	v_fma_f64 v[20:21], v[25:26], s[14:15], v[29:30]
	v_fma_f64 v[20:21], v[18:19], s[6:7], v[20:21]
	v_add_f64 v[18:19], v[27:28], v[20:21]
	v_add_f64 v[25:26], v[18:19], -v[27:28]
	v_add_f64 v[20:21], v[20:21], -v[25:26]
.LBB0_40:
	s_andn2_saveexec_b32 s5, s5
	s_cbranch_execz .LBB0_42
; %bb.41:
	s_mov_b32 s6, 0x6dc9c883
	s_mov_b32 s7, 0x3fe45f30
	;; [unrolled: 1-line block ×3, first 2 shown]
	v_mul_f64 v[18:19], |v[14:15]|, s[6:7]
	s_mov_b32 s6, 0x54442d18
	s_mov_b32 s7, 0xbff921fb
	;; [unrolled: 1-line block ×3, first 2 shown]
	v_rndne_f64_e32 v[24:25], v[18:19]
	v_fma_f64 v[18:19], v[24:25], s[6:7], |v[14:15]|
	v_mul_f64 v[20:21], v[24:25], s[14:15]
	s_mov_b32 s6, 0x252049c0
	s_mov_b32 s7, 0xb97b839a
	v_fma_f64 v[28:29], v[24:25], s[14:15], v[18:19]
	v_add_f64 v[26:27], v[18:19], v[20:21]
	s_mov_b32 s15, 0x3c91a626
	v_add_f64 v[18:19], v[18:19], -v[26:27]
	v_add_f64 v[26:27], v[26:27], -v[28:29]
	v_add_f64 v[18:19], v[18:19], v[20:21]
	v_fma_f64 v[20:21], v[24:25], s[14:15], v[20:21]
	v_add_f64 v[18:19], v[26:27], v[18:19]
	v_add_f64 v[18:19], v[18:19], -v[20:21]
	v_fma_f64 v[20:21], v[24:25], s[6:7], v[18:19]
	v_cvt_i32_f64_e32 v24, v[24:25]
	v_add_f64 v[18:19], v[28:29], v[20:21]
	v_add_f64 v[26:27], v[18:19], -v[28:29]
	v_add_f64 v[20:21], v[20:21], -v[26:27]
.LBB0_42:
	s_or_b32 exec_lo, exec_lo, s5
	v_mul_f64 v[25:26], v[18:19], v[18:19]
	v_add_f64 v[27:28], v[20:21], v[20:21]
	s_mov_b32 s14, 0xa9a29f71
	s_mov_b32 s16, 0xc751c08c
	;; [unrolled: 1-line block ×4, first 2 shown]
	v_cmp_class_f64_e64 s5, v[14:15], 0x1f8
	v_and_b32_e32 v24, 1, v24
	v_and_b32_e32 v15, 0x80000000, v15
	v_add_f64 v[16:17], -v[16:17], 1.0
	s_mov_b32 s6, exec_lo
	v_cmp_eq_u32_e32 vcc_lo, 0, v24
	v_fma_f64 v[29:30], v[18:19], v[18:19], -v[25:26]
	v_fma_f64 v[27:28], v[18:19], v[27:28], v[29:30]
	v_add_f64 v[25:26], v[25:26], v[27:28]
	v_fma_f64 v[27:28], v[25:26], s[16:17], s[14:15]
	s_mov_b32 s14, 0x90a8aae0
	s_mov_b32 s15, 0x3f17746f
	v_fma_f64 v[27:28], v[25:26], v[27:28], s[14:15]
	s_mov_b32 s14, 0xa6fbf144
	s_mov_b32 s15, 0xbefbb44d
	;; [unrolled: 3-line block ×13, first 2 shown]
	v_mul_f64 v[25:26], v[25:26], v[27:28]
	v_mul_f64 v[27:28], v[18:19], v[25:26]
	v_add_f64 v[29:30], v[18:19], v[27:28]
	v_fma_f64 v[25:26], v[18:19], v[25:26], -v[27:28]
	v_add_f64 v[18:19], v[29:30], -v[18:19]
	v_add_f64 v[20:21], v[20:21], v[25:26]
	v_add_f64 v[18:19], v[27:28], -v[18:19]
	v_add_f64 v[18:19], v[20:21], v[18:19]
	v_add_f64 v[20:21], v[29:30], v[18:19]
	v_rcp_f64_e32 v[25:26], v[20:21]
	v_fma_f64 v[27:28], -v[20:21], v[25:26], 1.0
	v_fma_f64 v[25:26], v[27:28], v[25:26], v[25:26]
	v_fma_f64 v[27:28], -v[20:21], v[25:26], 1.0
	v_fma_f64 v[25:26], v[27:28], v[25:26], v[25:26]
	v_add_f64 v[27:28], v[20:21], -v[29:30]
	v_mul_f64 v[29:30], v[20:21], v[25:26]
	v_add_f64 v[18:19], v[18:19], -v[27:28]
	v_fma_f64 v[27:28], v[25:26], v[20:21], -v[29:30]
	v_fma_f64 v[18:19], v[25:26], v[18:19], v[27:28]
	v_add_f64 v[27:28], v[29:30], v[18:19]
	v_add_f64 v[31:32], -v[27:28], 1.0
	v_add_f64 v[29:30], v[27:28], -v[29:30]
	v_add_f64 v[33:34], -v[31:32], 1.0
	v_add_f64 v[18:19], v[29:30], -v[18:19]
	v_add_f64 v[27:28], v[33:34], -v[27:28]
	v_add_f64 v[18:19], v[18:19], v[27:28]
	v_add_f64 v[18:19], v[31:32], v[18:19]
	v_mul_f64 v[18:19], v[25:26], v[18:19]
	v_add_f64 v[18:19], v[25:26], v[18:19]
	v_xor_b32_e32 v14, 0x80000000, v19
	v_cndmask_b32_e32 v18, v18, v20, vcc_lo
	v_cndmask_b32_e32 v14, v14, v21, vcc_lo
	v_xor_b32_e32 v15, v14, v15
	v_cndmask_b32_e64 v14, 0, v18, s5
	v_cndmask_b32_e64 v15, 0x7ff80000, v15, s5
	v_div_scale_f64 v[18:19], null, v[14:15], v[14:15], s[14:15]
	v_div_scale_f64 v[26:27], vcc_lo, s[14:15], v[14:15], s[14:15]
	v_rcp_f64_e32 v[20:21], v[18:19]
	v_fma_f64 v[24:25], -v[18:19], v[20:21], 1.0
	v_fma_f64 v[20:21], v[20:21], v[24:25], v[20:21]
	v_fma_f64 v[24:25], -v[18:19], v[20:21], 1.0
	v_fma_f64 v[20:21], v[20:21], v[24:25], v[20:21]
	v_mul_f64 v[24:25], v[26:27], v[20:21]
	v_fma_f64 v[18:19], -v[18:19], v[24:25], v[26:27]
	v_div_fmas_f64 v[18:19], v[18:19], v[20:21], v[24:25]
	v_div_fixup_f64 v[18:19], v[18:19], v[14:15], s[14:15]
.LBB0_43:
	s_or_b32 exec_lo, exec_lo, s12
	s_orn2_b32 s6, s6, exec_lo
.LBB0_44:
	s_or_b32 exec_lo, exec_lo, s11
	v_mov_b32_e32 v14, 0
	v_mov_b32_e32 v15, 0x7ff80000
	s_and_saveexec_b32 s5, s6
	s_cbranch_execz .LBB0_56
; %bb.45:
	s_mov_b32 s6, exec_lo
	v_cmpx_gt_f64_e32 0x40240000, v[16:17]
	s_cbranch_execz .LBB0_49
; %bb.46:
	s_mov_b32 s7, 0
	.p2align	6
.LBB0_47:                               ; =>This Inner Loop Header: Depth=1
	v_div_scale_f64 v[14:15], null, v[16:17], v[16:17], 1.0
	v_div_scale_f64 v[26:27], vcc_lo, 1.0, v[16:17], 1.0
	v_rcp_f64_e32 v[20:21], v[14:15]
	v_fma_f64 v[24:25], -v[14:15], v[20:21], 1.0
	v_fma_f64 v[20:21], v[20:21], v[24:25], v[20:21]
	v_fma_f64 v[24:25], -v[14:15], v[20:21], 1.0
	v_fma_f64 v[20:21], v[20:21], v[24:25], v[20:21]
	v_mul_f64 v[24:25], v[26:27], v[20:21]
	v_fma_f64 v[14:15], -v[14:15], v[24:25], v[26:27]
	v_div_fmas_f64 v[14:15], v[14:15], v[20:21], v[24:25]
	v_div_fixup_f64 v[14:15], v[14:15], v[16:17], 1.0
	v_add_f64 v[16:17], v[16:17], 1.0
	v_add_f64 v[18:19], v[18:19], -v[14:15]
	v_cmp_ngt_f64_e32 vcc_lo, 0x40240000, v[16:17]
	s_or_b32 s7, vcc_lo, s7
	s_andn2_b32 exec_lo, exec_lo, s7
	s_cbranch_execnz .LBB0_47
; %bb.48:
	s_or_b32 exec_lo, exec_lo, s7
.LBB0_49:
	s_or_b32 exec_lo, exec_lo, s6
	s_mov_b32 s6, exec_lo
	v_cmpx_neq_f64_e32 0x40240000, v[16:17]
	s_xor_b32 s6, exec_lo, s6
                                        ; implicit-def: $vgpr14_vgpr15
	s_cbranch_execz .LBB0_53
; %bb.50:
	v_mov_b32_e32 v14, 0
	v_mov_b32_e32 v15, 0
	s_mov_b32 s12, 0x85d8a000
	s_mov_b32 s13, 0x43763457
	s_mov_b32 s7, exec_lo
	v_cmpx_gt_f64_e32 s[12:13], v[16:17]
	s_cbranch_execz .LBB0_52
; %bb.51:
	v_mul_f64 v[14:15], v[16:17], v[16:17]
	s_mov_b32 s12, 0x55555555
	s_mov_b32 s13, 0x3fb55555
	s_mov_b32 s14, 0x95995996
	s_mov_b32 s15, 0xbf959959
	s_mov_b32 s16, 0x10410410
	s_mov_b32 s17, 0x3f704104
	v_div_scale_f64 v[20:21], null, v[14:15], v[14:15], 1.0
	v_rcp_f64_e32 v[24:25], v[20:21]
	v_fma_f64 v[26:27], -v[20:21], v[24:25], 1.0
	v_fma_f64 v[24:25], v[24:25], v[26:27], v[24:25]
	v_fma_f64 v[26:27], -v[20:21], v[24:25], 1.0
	v_fma_f64 v[24:25], v[24:25], v[26:27], v[24:25]
	v_div_scale_f64 v[26:27], vcc_lo, 1.0, v[14:15], 1.0
	v_mul_f64 v[28:29], v[26:27], v[24:25]
	v_fma_f64 v[20:21], -v[20:21], v[28:29], v[26:27]
	v_div_fmas_f64 v[20:21], v[20:21], v[24:25], v[28:29]
	v_div_fixup_f64 v[14:15], v[20:21], v[14:15], 1.0
	v_fma_f64 v[20:21], v[14:15], 0, s[12:13]
	v_fma_f64 v[20:21], v[14:15], v[20:21], s[14:15]
	s_mov_b32 s14, 0xf07c1f08
	s_mov_b32 s15, 0x3f7f07c1
	v_fma_f64 v[20:21], v[14:15], v[20:21], s[14:15]
	s_mov_b32 s15, 0xbf711111
	s_mov_b32 s14, 0x11111111
	v_fma_f64 v[20:21], v[14:15], v[20:21], s[14:15]
	s_mov_b32 s15, 0xbf811111
	v_fma_f64 v[20:21], v[14:15], v[20:21], s[16:17]
	v_fma_f64 v[20:21], v[14:15], v[20:21], s[14:15]
	;; [unrolled: 1-line block ×3, first 2 shown]
	v_mul_f64 v[14:15], v[14:15], v[20:21]
.LBB0_52:
	s_or_b32 exec_lo, exec_lo, s7
	v_frexp_mant_f64_e32 v[20:21], v[16:17]
	s_mov_b32 s13, 0x3fe55555
	s_mov_b32 s12, 0x55555555
	;; [unrolled: 1-line block ×6, first 2 shown]
	v_div_scale_f64 v[38:39], null, v[16:17], v[16:17], -0.5
	v_cmp_gt_f64_e32 vcc_lo, s[12:13], v[20:21]
	s_mov_b32 s12, 0x55555780
	v_rcp_f64_e32 v[50:51], v[38:39]
	v_cndmask_b32_e64 v24, 0, 1, vcc_lo
	v_ldexp_f64 v[20:21], v[20:21], v24
	v_add_f64 v[24:25], v[20:21], 1.0
	v_add_f64 v[30:31], v[20:21], -1.0
	v_rcp_f64_e32 v[26:27], v[24:25]
	v_add_f64 v[32:33], v[24:25], -1.0
	v_add_f64 v[20:21], v[20:21], -v[32:33]
	v_fma_f64 v[28:29], -v[24:25], v[26:27], 1.0
	v_fma_f64 v[26:27], v[28:29], v[26:27], v[26:27]
	v_fma_f64 v[28:29], -v[24:25], v[26:27], 1.0
	v_fma_f64 v[26:27], v[28:29], v[26:27], v[26:27]
	v_mul_f64 v[28:29], v[30:31], v[26:27]
	v_mul_f64 v[34:35], v[24:25], v[28:29]
	v_fma_f64 v[24:25], v[28:29], v[24:25], -v[34:35]
	v_fma_f64 v[20:21], v[28:29], v[20:21], v[24:25]
	v_add_f64 v[24:25], v[34:35], v[20:21]
	v_add_f64 v[32:33], v[30:31], -v[24:25]
	v_add_f64 v[34:35], v[24:25], -v[34:35]
	;; [unrolled: 1-line block ×4, first 2 shown]
	v_frexp_exp_i32_f64_e32 v34, v[16:17]
	v_add_f64 v[24:25], v[30:31], -v[24:25]
	v_add_f64 v[20:21], v[20:21], v[24:25]
	v_add_f64 v[20:21], v[32:33], v[20:21]
	v_mul_f64 v[20:21], v[26:27], v[20:21]
	v_add_f64 v[24:25], v[28:29], v[20:21]
	v_mul_f64 v[26:27], v[24:25], v[24:25]
	v_fma_f64 v[30:31], v[26:27], s[16:17], s[14:15]
	s_mov_b32 s14, 0xd7f4df2e
	s_mov_b32 s15, 0x3fc7474d
	v_mul_f64 v[32:33], v[24:25], v[26:27]
	v_fma_f64 v[30:31], v[26:27], v[30:31], s[14:15]
	s_mov_b32 s14, 0x16291751
	s_mov_b32 s15, 0x3fcc71c0
	v_fma_f64 v[30:31], v[26:27], v[30:31], s[14:15]
	s_mov_b32 s14, 0x9b27acf1
	s_mov_b32 s15, 0x3fd24924
	;; [unrolled: 3-line block ×3, first 2 shown]
	v_fma_f64 v[30:31], v[26:27], v[30:31], s[14:15]
	v_fma_f64 v[26:27], v[26:27], v[30:31], s[12:13]
	v_ldexp_f64 v[30:31], v[24:25], 1
	v_add_f64 v[24:25], v[24:25], -v[28:29]
	s_mov_b32 s12, 0xfefa39ef
	s_mov_b32 s13, 0x3fe62e42
	v_mul_f64 v[26:27], v[32:33], v[26:27]
	v_subrev_co_ci_u32_e64 v32, null, 0, v34, vcc_lo
	v_add_f64 v[20:21], v[20:21], -v[24:25]
	v_cvt_f64_i32_e32 v[32:33], v32
	v_add_f64 v[28:29], v[30:31], v[26:27]
	v_ldexp_f64 v[20:21], v[20:21], 1
	v_mul_f64 v[34:35], v[32:33], s[12:13]
	v_add_f64 v[24:25], v[28:29], -v[30:31]
	v_fma_f64 v[30:31], v[32:33], s[12:13], -v[34:35]
	s_mov_b32 s12, 0x3b39803f
	s_mov_b32 s13, 0x3c7abc9e
	v_add_f64 v[24:25], v[26:27], -v[24:25]
	v_fma_f64 v[26:27], v[32:33], s[12:13], v[30:31]
	v_add_f64 v[20:21], v[20:21], v[24:25]
	v_add_f64 v[24:25], v[34:35], v[26:27]
	;; [unrolled: 1-line block ×3, first 2 shown]
	v_add_f64 v[34:35], v[24:25], -v[34:35]
	v_add_f64 v[32:33], v[24:25], v[30:31]
	v_add_f64 v[28:29], v[30:31], -v[28:29]
	v_add_f64 v[26:27], v[26:27], -v[34:35]
	;; [unrolled: 1-line block ×6, first 2 shown]
	v_fma_f64 v[30:31], -v[38:39], v[50:51], 1.0
	v_add_f64 v[34:35], v[26:27], v[20:21]
	v_add_f64 v[24:25], v[24:25], -v[48:49]
	v_add_f64 v[24:25], v[28:29], v[24:25]
	v_fma_f64 v[28:29], v[50:51], v[30:31], v[50:51]
	v_add_f64 v[30:31], v[34:35], -v[26:27]
	v_div_scale_f64 v[50:51], vcc_lo, -0.5, v[16:17], -0.5
	v_add_f64 v[24:25], v[34:35], v[24:25]
	v_fma_f64 v[36:37], -v[38:39], v[28:29], 1.0
	v_add_f64 v[34:35], v[34:35], -v[30:31]
	v_add_f64 v[20:21], v[20:21], -v[30:31]
	v_add_f64 v[48:49], v[32:33], v[24:25]
	v_fma_f64 v[28:29], v[28:29], v[36:37], v[28:29]
	v_add_f64 v[26:27], v[26:27], -v[34:35]
	v_add_f64 v[30:31], v[48:49], -v[32:33]
	v_mul_f64 v[32:33], v[50:51], v[28:29]
	v_add_f64 v[20:21], v[20:21], v[26:27]
	v_add_f64 v[24:25], v[24:25], -v[30:31]
	v_fma_f64 v[26:27], -v[38:39], v[32:33], v[50:51]
	v_add_f64 v[20:21], v[20:21], v[24:25]
	v_div_fmas_f64 v[24:25], v[26:27], v[28:29], v[32:33]
	v_cmp_class_f64_e64 vcc_lo, v[16:17], 0x204
	v_add_f64 v[20:21], v[48:49], v[20:21]
	v_div_fixup_f64 v[24:25], v[24:25], v[16:17], -0.5
	v_cndmask_b32_e32 v17, v21, v17, vcc_lo
	v_cndmask_b32_e32 v16, v20, v16, vcc_lo
	v_add_f64 v[16:17], v[16:17], v[24:25]
	v_add_f64 v[14:15], v[16:17], -v[14:15]
	v_add_f64 v[14:15], v[18:19], v[14:15]
                                        ; implicit-def: $vgpr18_vgpr19
.LBB0_53:
	s_andn2_saveexec_b32 s6, s6
; %bb.54:
	s_mov_b32 s12, 0xdc85cc95
	s_mov_b32 s13, 0x40020396
	v_add_f64 v[14:15], v[18:19], s[12:13]
; %bb.55:
	s_or_b32 exec_lo, exec_lo, s6
.LBB0_56:
	s_or_b32 exec_lo, exec_lo, s5
                                        ; implicit-def: $vgpr16_vgpr17
.LBB0_57:
	s_andn2_saveexec_b32 s5, s10
; %bb.58:
	v_xor_b32_e32 v14, 0x80000000, v17
	s_mov_b32 s6, 0x7ff00000
	v_bfi_b32 v15, 0x7fffffff, s6, v14
	v_mov_b32_e32 v14, 0
; %bb.59:
	s_or_b32 exec_lo, exec_lo, s5
.LBB0_60:
	s_or_b32 exec_lo, exec_lo, s9
	s_waitcnt vmcnt(0) lgkmcnt(0)
	v_add_nc_u32_e32 v16, 0x200, v22
	s_mov_b32 s9, exec_lo
	v_cmpx_lt_i32_e64 v16, v4
	s_cbranch_execz .LBB0_86
; %bb.61:
	s_mov_b32 s5, exec_lo
	v_cmpx_neq_f64_e32 0, v[8:9]
	s_xor_b32 s10, exec_lo, s5
                                        ; implicit-def: $vgpr12_vgpr13
	s_cbranch_execz .LBB0_83
; %bb.62:
	v_mov_b32_e32 v16, 0
	v_mov_b32_e32 v17, 0
	s_mov_b32 s6, -1
	s_mov_b32 s11, exec_lo
	v_cmpx_gt_f64_e32 0, v[8:9]
	s_cbranch_execz .LBB0_70
; %bb.63:
	v_trunc_f64_e32 v[12:13], v[8:9]
	v_mov_b32_e32 v16, 0
	v_mov_b32_e32 v17, 0
	s_mov_b32 s6, 0
	s_mov_b32 s12, exec_lo
	v_cmpx_neq_f64_e32 v[8:9], v[12:13]
	s_cbranch_execz .LBB0_69
; %bb.64:
	v_add_f64 v[12:13], v[8:9], -v[12:13]
	s_mov_b32 s7, 0xc00921fb
	s_mov_b32 s6, 0x54442d18
	v_cmp_neq_f64_e64 vcc_lo, 0x7ff00000, |v[8:9]|
                                        ; implicit-def: $vgpr20
                                        ; implicit-def: $vgpr16_vgpr17
                                        ; implicit-def: $vgpr18_vgpr19
	v_mul_f64 v[12:13], |v[12:13]|, s[6:7]
	v_cndmask_b32_e32 v13, 0x80000000, v13, vcc_lo
	v_cndmask_b32_e32 v12, 0, v12, vcc_lo
	v_cmp_ngt_f64_e64 s5, 0x41d00000, |v[12:13]|
	s_and_saveexec_b32 s7, s5
	s_xor_b32 s5, exec_lo, s7
	s_cbranch_execz .LBB0_66
; %bb.65:
	v_ldexp_f64 v[16:17], |v[12:13]|, 0xffffff80
	v_cmp_le_f64_e64 vcc_lo, 0x7b000000, |v[12:13]|
	v_trig_preop_f64 v[18:19], |v[12:13]|, 0
	v_and_b32_e32 v20, 0x7fffffff, v13
	v_trig_preop_f64 v[32:33], |v[12:13]|, 2
	v_mov_b32_e32 v48, 0
	s_mov_b32 s7, 0x3ff921fb
	s_mov_b32 s14, 0x33145c07
	;; [unrolled: 1-line block ×3, first 2 shown]
	v_cndmask_b32_e32 v17, v20, v17, vcc_lo
	v_cndmask_b32_e32 v16, v12, v16, vcc_lo
	v_trig_preop_f64 v[20:21], |v[12:13]|, 1
	v_mul_f64 v[24:25], v[18:19], v[16:17]
	v_mul_f64 v[38:39], v[32:33], v[16:17]
	v_mul_f64 v[26:27], v[20:21], v[16:17]
	v_fma_f64 v[18:19], v[18:19], v[16:17], -v[24:25]
	v_fma_f64 v[20:21], v[20:21], v[16:17], -v[26:27]
	v_fma_f64 v[16:17], v[32:33], v[16:17], -v[38:39]
	v_add_f64 v[28:29], v[26:27], v[18:19]
	v_add_f64 v[30:31], v[28:29], -v[26:27]
	v_add_f64 v[36:37], v[24:25], v[28:29]
	v_add_f64 v[34:35], v[28:29], -v[30:31]
	v_add_f64 v[18:19], v[18:19], -v[30:31]
	v_ldexp_f64 v[30:31], v[36:37], -2
	v_add_f64 v[24:25], v[36:37], -v[24:25]
	v_add_f64 v[26:27], v[26:27], -v[34:35]
	v_add_f64 v[34:35], v[38:39], v[20:21]
	v_cmp_neq_f64_e64 vcc_lo, 0x7ff00000, |v[30:31]|
	v_add_f64 v[24:25], v[28:29], -v[24:25]
	v_add_f64 v[18:19], v[18:19], v[26:27]
	v_fract_f64_e32 v[26:27], v[30:31]
	v_add_f64 v[28:29], v[34:35], v[18:19]
	v_ldexp_f64 v[26:27], v[26:27], 2
	v_add_f64 v[30:31], v[24:25], v[28:29]
	v_cndmask_b32_e32 v27, 0, v27, vcc_lo
	v_cndmask_b32_e32 v26, 0, v26, vcc_lo
	v_add_f64 v[36:37], v[30:31], v[26:27]
	v_add_f64 v[24:25], v[30:31], -v[24:25]
	v_cmp_gt_f64_e32 vcc_lo, 0, v[36:37]
	v_add_f64 v[36:37], v[34:35], -v[38:39]
	v_cndmask_b32_e64 v49, 0, 0x40100000, vcc_lo
	v_add_f64 v[53:54], v[34:35], -v[36:37]
	v_add_f64 v[20:21], v[20:21], -v[36:37]
	v_add_f64 v[26:27], v[26:27], v[48:49]
	v_add_f64 v[49:50], v[28:29], -v[34:35]
	v_add_f64 v[36:37], v[38:39], -v[53:54]
	v_add_f64 v[51:52], v[30:31], v[26:27]
	;; [unrolled: 3-line block ×3, first 2 shown]
	v_cvt_i32_f64_e32 v51, v[51:52]
	v_add_f64 v[34:35], v[34:35], -v[64:65]
	v_cvt_f64_i32_e32 v[49:50], v51
	v_add_f64 v[18:19], v[18:19], v[34:35]
	v_add_f64 v[26:27], v[26:27], -v[49:50]
	v_add_f64 v[18:19], v[20:21], v[18:19]
	v_add_f64 v[20:21], v[28:29], -v[24:25]
	v_add_f64 v[32:33], v[30:31], v[26:27]
	v_add_f64 v[16:17], v[16:17], v[18:19]
	v_add_f64 v[18:19], v[32:33], -v[26:27]
	v_cmp_le_f64_e32 vcc_lo, 0.5, v[32:33]
	v_add_f64 v[16:17], v[20:21], v[16:17]
	v_add_f64 v[18:19], v[30:31], -v[18:19]
	v_cndmask_b32_e64 v49, 0, 0x3ff00000, vcc_lo
	v_add_co_ci_u32_e64 v20, null, 0, v51, vcc_lo
	v_add_f64 v[16:17], v[16:17], v[18:19]
	v_add_f64 v[18:19], v[32:33], -v[48:49]
	v_add_f64 v[24:25], v[18:19], v[16:17]
	v_mul_f64 v[26:27], v[24:25], s[6:7]
	v_add_f64 v[18:19], v[24:25], -v[18:19]
	v_fma_f64 v[28:29], v[24:25], s[6:7], -v[26:27]
	v_add_f64 v[16:17], v[16:17], -v[18:19]
	v_fma_f64 v[18:19], v[24:25], s[14:15], v[28:29]
	v_fma_f64 v[18:19], v[16:17], s[6:7], v[18:19]
	v_add_f64 v[16:17], v[26:27], v[18:19]
	v_add_f64 v[24:25], v[16:17], -v[26:27]
	v_add_f64 v[18:19], v[18:19], -v[24:25]
.LBB0_66:
	s_andn2_saveexec_b32 s5, s5
	s_cbranch_execz .LBB0_68
; %bb.67:
	s_mov_b32 s6, 0x6dc9c883
	s_mov_b32 s7, 0x3fe45f30
	;; [unrolled: 1-line block ×3, first 2 shown]
	v_mul_f64 v[16:17], |v[12:13]|, s[6:7]
	s_mov_b32 s6, 0x54442d18
	s_mov_b32 s7, 0xbff921fb
	;; [unrolled: 1-line block ×3, first 2 shown]
	v_rndne_f64_e32 v[20:21], v[16:17]
	v_fma_f64 v[16:17], v[20:21], s[6:7], |v[12:13]|
	v_mul_f64 v[18:19], v[20:21], s[14:15]
	s_mov_b32 s6, 0x252049c0
	s_mov_b32 s7, 0xb97b839a
	v_fma_f64 v[26:27], v[20:21], s[14:15], v[16:17]
	v_add_f64 v[24:25], v[16:17], v[18:19]
	s_mov_b32 s15, 0x3c91a626
	v_add_f64 v[16:17], v[16:17], -v[24:25]
	v_add_f64 v[24:25], v[24:25], -v[26:27]
	v_add_f64 v[16:17], v[16:17], v[18:19]
	v_fma_f64 v[18:19], v[20:21], s[14:15], v[18:19]
	v_add_f64 v[16:17], v[24:25], v[16:17]
	v_add_f64 v[16:17], v[16:17], -v[18:19]
	v_fma_f64 v[18:19], v[20:21], s[6:7], v[16:17]
	v_cvt_i32_f64_e32 v20, v[20:21]
	v_add_f64 v[16:17], v[26:27], v[18:19]
	v_add_f64 v[24:25], v[16:17], -v[26:27]
	v_add_f64 v[18:19], v[18:19], -v[24:25]
.LBB0_68:
	s_or_b32 exec_lo, exec_lo, s5
	v_mul_f64 v[24:25], v[16:17], v[16:17]
	v_add_f64 v[26:27], v[18:19], v[18:19]
	s_mov_b32 s14, 0xa9a29f71
	s_mov_b32 s16, 0xc751c08c
	s_mov_b32 s15, 0xbf078809
	s_mov_b32 s17, 0x3ef5e089
	v_cmp_class_f64_e64 s5, v[12:13], 0x1f8
	v_and_b32_e32 v20, 1, v20
	v_and_b32_e32 v13, 0x80000000, v13
	v_add_f64 v[8:9], -v[8:9], 1.0
	s_mov_b32 s6, exec_lo
	v_cmp_eq_u32_e32 vcc_lo, 0, v20
	v_fma_f64 v[28:29], v[16:17], v[16:17], -v[24:25]
	v_fma_f64 v[26:27], v[16:17], v[26:27], v[28:29]
	v_add_f64 v[24:25], v[24:25], v[26:27]
	v_fma_f64 v[26:27], v[24:25], s[16:17], s[14:15]
	s_mov_b32 s14, 0x90a8aae0
	s_mov_b32 s15, 0x3f17746f
	v_fma_f64 v[26:27], v[24:25], v[26:27], s[14:15]
	s_mov_b32 s14, 0xa6fbf144
	s_mov_b32 s15, 0xbefbb44d
	;; [unrolled: 3-line block ×13, first 2 shown]
	v_mul_f64 v[24:25], v[24:25], v[26:27]
	v_mul_f64 v[26:27], v[16:17], v[24:25]
	v_add_f64 v[28:29], v[16:17], v[26:27]
	v_fma_f64 v[24:25], v[16:17], v[24:25], -v[26:27]
	v_add_f64 v[16:17], v[28:29], -v[16:17]
	v_add_f64 v[18:19], v[18:19], v[24:25]
	v_add_f64 v[16:17], v[26:27], -v[16:17]
	v_add_f64 v[16:17], v[18:19], v[16:17]
	v_add_f64 v[18:19], v[28:29], v[16:17]
	v_rcp_f64_e32 v[24:25], v[18:19]
	v_fma_f64 v[26:27], -v[18:19], v[24:25], 1.0
	v_fma_f64 v[24:25], v[26:27], v[24:25], v[24:25]
	v_fma_f64 v[26:27], -v[18:19], v[24:25], 1.0
	v_fma_f64 v[24:25], v[26:27], v[24:25], v[24:25]
	v_add_f64 v[26:27], v[18:19], -v[28:29]
	v_mul_f64 v[28:29], v[18:19], v[24:25]
	v_add_f64 v[16:17], v[16:17], -v[26:27]
	v_fma_f64 v[26:27], v[24:25], v[18:19], -v[28:29]
	v_fma_f64 v[16:17], v[24:25], v[16:17], v[26:27]
	v_add_f64 v[26:27], v[28:29], v[16:17]
	v_add_f64 v[30:31], -v[26:27], 1.0
	v_add_f64 v[28:29], v[26:27], -v[28:29]
	v_add_f64 v[32:33], -v[30:31], 1.0
	v_add_f64 v[16:17], v[28:29], -v[16:17]
	v_add_f64 v[26:27], v[32:33], -v[26:27]
	v_add_f64 v[16:17], v[16:17], v[26:27]
	v_add_f64 v[16:17], v[30:31], v[16:17]
	v_mul_f64 v[16:17], v[24:25], v[16:17]
	v_add_f64 v[16:17], v[24:25], v[16:17]
	v_xor_b32_e32 v12, 0x80000000, v17
	v_cndmask_b32_e32 v16, v16, v18, vcc_lo
	v_cndmask_b32_e32 v12, v12, v19, vcc_lo
	v_xor_b32_e32 v13, v12, v13
	v_cndmask_b32_e64 v12, 0, v16, s5
	v_cndmask_b32_e64 v13, 0x7ff80000, v13, s5
	v_div_scale_f64 v[16:17], null, v[12:13], v[12:13], s[14:15]
	v_div_scale_f64 v[24:25], vcc_lo, s[14:15], v[12:13], s[14:15]
	v_rcp_f64_e32 v[18:19], v[16:17]
	v_fma_f64 v[20:21], -v[16:17], v[18:19], 1.0
	v_fma_f64 v[18:19], v[18:19], v[20:21], v[18:19]
	v_fma_f64 v[20:21], -v[16:17], v[18:19], 1.0
	v_fma_f64 v[18:19], v[18:19], v[20:21], v[18:19]
	v_mul_f64 v[20:21], v[24:25], v[18:19]
	v_fma_f64 v[16:17], -v[16:17], v[20:21], v[24:25]
	v_div_fmas_f64 v[16:17], v[16:17], v[18:19], v[20:21]
	v_div_fixup_f64 v[16:17], v[16:17], v[12:13], s[14:15]
.LBB0_69:
	s_or_b32 exec_lo, exec_lo, s12
	s_orn2_b32 s6, s6, exec_lo
.LBB0_70:
	s_or_b32 exec_lo, exec_lo, s11
	v_mov_b32_e32 v12, 0
	v_mov_b32_e32 v13, 0x7ff80000
	s_and_saveexec_b32 s5, s6
	s_cbranch_execz .LBB0_82
; %bb.71:
	s_mov_b32 s6, exec_lo
	v_cmpx_gt_f64_e32 0x40240000, v[8:9]
	s_cbranch_execz .LBB0_75
; %bb.72:
	s_mov_b32 s7, 0
	.p2align	6
.LBB0_73:                               ; =>This Inner Loop Header: Depth=1
	v_div_scale_f64 v[12:13], null, v[8:9], v[8:9], 1.0
	v_div_scale_f64 v[24:25], vcc_lo, 1.0, v[8:9], 1.0
	v_rcp_f64_e32 v[18:19], v[12:13]
	v_fma_f64 v[20:21], -v[12:13], v[18:19], 1.0
	v_fma_f64 v[18:19], v[18:19], v[20:21], v[18:19]
	v_fma_f64 v[20:21], -v[12:13], v[18:19], 1.0
	v_fma_f64 v[18:19], v[18:19], v[20:21], v[18:19]
	v_mul_f64 v[20:21], v[24:25], v[18:19]
	v_fma_f64 v[12:13], -v[12:13], v[20:21], v[24:25]
	v_div_fmas_f64 v[12:13], v[12:13], v[18:19], v[20:21]
	v_div_fixup_f64 v[12:13], v[12:13], v[8:9], 1.0
	v_add_f64 v[8:9], v[8:9], 1.0
	v_add_f64 v[16:17], v[16:17], -v[12:13]
	v_cmp_ngt_f64_e32 vcc_lo, 0x40240000, v[8:9]
	s_or_b32 s7, vcc_lo, s7
	s_andn2_b32 exec_lo, exec_lo, s7
	s_cbranch_execnz .LBB0_73
; %bb.74:
	s_or_b32 exec_lo, exec_lo, s7
.LBB0_75:
	s_or_b32 exec_lo, exec_lo, s6
	s_mov_b32 s6, exec_lo
	v_cmpx_neq_f64_e32 0x40240000, v[8:9]
	s_xor_b32 s6, exec_lo, s6
                                        ; implicit-def: $vgpr12_vgpr13
	s_cbranch_execz .LBB0_79
; %bb.76:
	v_mov_b32_e32 v12, 0
	v_mov_b32_e32 v13, 0
	s_mov_b32 s12, 0x85d8a000
	s_mov_b32 s13, 0x43763457
	s_mov_b32 s7, exec_lo
	v_cmpx_gt_f64_e32 s[12:13], v[8:9]
	s_cbranch_execz .LBB0_78
; %bb.77:
	v_mul_f64 v[12:13], v[8:9], v[8:9]
	s_mov_b32 s12, 0x55555555
	s_mov_b32 s13, 0x3fb55555
	;; [unrolled: 1-line block ×6, first 2 shown]
	v_div_scale_f64 v[18:19], null, v[12:13], v[12:13], 1.0
	v_rcp_f64_e32 v[20:21], v[18:19]
	v_fma_f64 v[24:25], -v[18:19], v[20:21], 1.0
	v_fma_f64 v[20:21], v[20:21], v[24:25], v[20:21]
	v_fma_f64 v[24:25], -v[18:19], v[20:21], 1.0
	v_fma_f64 v[20:21], v[20:21], v[24:25], v[20:21]
	v_div_scale_f64 v[24:25], vcc_lo, 1.0, v[12:13], 1.0
	v_mul_f64 v[26:27], v[24:25], v[20:21]
	v_fma_f64 v[18:19], -v[18:19], v[26:27], v[24:25]
	v_div_fmas_f64 v[18:19], v[18:19], v[20:21], v[26:27]
	v_div_fixup_f64 v[12:13], v[18:19], v[12:13], 1.0
	v_fma_f64 v[18:19], v[12:13], 0, s[12:13]
	v_fma_f64 v[18:19], v[12:13], v[18:19], s[14:15]
	s_mov_b32 s14, 0xf07c1f08
	s_mov_b32 s15, 0x3f7f07c1
	v_fma_f64 v[18:19], v[12:13], v[18:19], s[14:15]
	s_mov_b32 s15, 0xbf711111
	s_mov_b32 s14, 0x11111111
	v_fma_f64 v[18:19], v[12:13], v[18:19], s[14:15]
	s_mov_b32 s15, 0xbf811111
	v_fma_f64 v[18:19], v[12:13], v[18:19], s[16:17]
	v_fma_f64 v[18:19], v[12:13], v[18:19], s[14:15]
	;; [unrolled: 1-line block ×3, first 2 shown]
	v_mul_f64 v[12:13], v[12:13], v[18:19]
.LBB0_78:
	s_or_b32 exec_lo, exec_lo, s7
	v_frexp_mant_f64_e32 v[18:19], v[8:9]
	s_mov_b32 s13, 0x3fe55555
	s_mov_b32 s12, 0x55555555
	;; [unrolled: 1-line block ×6, first 2 shown]
	v_div_scale_f64 v[36:37], null, v[8:9], v[8:9], -0.5
	v_cmp_gt_f64_e32 vcc_lo, s[12:13], v[18:19]
	s_mov_b32 s12, 0x55555780
	v_rcp_f64_e32 v[48:49], v[36:37]
	v_cndmask_b32_e64 v20, 0, 1, vcc_lo
	v_ldexp_f64 v[18:19], v[18:19], v20
	v_add_f64 v[20:21], v[18:19], 1.0
	v_add_f64 v[28:29], v[18:19], -1.0
	v_rcp_f64_e32 v[24:25], v[20:21]
	v_add_f64 v[30:31], v[20:21], -1.0
	v_add_f64 v[18:19], v[18:19], -v[30:31]
	v_fma_f64 v[26:27], -v[20:21], v[24:25], 1.0
	v_fma_f64 v[24:25], v[26:27], v[24:25], v[24:25]
	v_fma_f64 v[26:27], -v[20:21], v[24:25], 1.0
	v_fma_f64 v[24:25], v[26:27], v[24:25], v[24:25]
	v_mul_f64 v[26:27], v[28:29], v[24:25]
	v_mul_f64 v[32:33], v[20:21], v[26:27]
	v_fma_f64 v[20:21], v[26:27], v[20:21], -v[32:33]
	v_fma_f64 v[18:19], v[26:27], v[18:19], v[20:21]
	v_add_f64 v[20:21], v[32:33], v[18:19]
	v_add_f64 v[30:31], v[28:29], -v[20:21]
	v_add_f64 v[32:33], v[20:21], -v[32:33]
	;; [unrolled: 1-line block ×4, first 2 shown]
	v_frexp_exp_i32_f64_e32 v32, v[8:9]
	v_add_f64 v[20:21], v[28:29], -v[20:21]
	v_add_f64 v[18:19], v[18:19], v[20:21]
	v_add_f64 v[18:19], v[30:31], v[18:19]
	v_mul_f64 v[18:19], v[24:25], v[18:19]
	v_add_f64 v[20:21], v[26:27], v[18:19]
	v_mul_f64 v[24:25], v[20:21], v[20:21]
	v_fma_f64 v[28:29], v[24:25], s[16:17], s[14:15]
	s_mov_b32 s14, 0xd7f4df2e
	s_mov_b32 s15, 0x3fc7474d
	v_mul_f64 v[30:31], v[20:21], v[24:25]
	v_fma_f64 v[28:29], v[24:25], v[28:29], s[14:15]
	s_mov_b32 s14, 0x16291751
	s_mov_b32 s15, 0x3fcc71c0
	v_fma_f64 v[28:29], v[24:25], v[28:29], s[14:15]
	s_mov_b32 s14, 0x9b27acf1
	s_mov_b32 s15, 0x3fd24924
	;; [unrolled: 3-line block ×3, first 2 shown]
	v_fma_f64 v[28:29], v[24:25], v[28:29], s[14:15]
	v_fma_f64 v[24:25], v[24:25], v[28:29], s[12:13]
	v_ldexp_f64 v[28:29], v[20:21], 1
	v_add_f64 v[20:21], v[20:21], -v[26:27]
	s_mov_b32 s12, 0xfefa39ef
	s_mov_b32 s13, 0x3fe62e42
	v_mul_f64 v[24:25], v[30:31], v[24:25]
	v_subrev_co_ci_u32_e64 v30, null, 0, v32, vcc_lo
	v_add_f64 v[18:19], v[18:19], -v[20:21]
	v_cvt_f64_i32_e32 v[30:31], v30
	v_add_f64 v[26:27], v[28:29], v[24:25]
	v_ldexp_f64 v[18:19], v[18:19], 1
	v_mul_f64 v[32:33], v[30:31], s[12:13]
	v_add_f64 v[20:21], v[26:27], -v[28:29]
	v_fma_f64 v[28:29], v[30:31], s[12:13], -v[32:33]
	s_mov_b32 s12, 0x3b39803f
	s_mov_b32 s13, 0x3c7abc9e
	v_add_f64 v[20:21], v[24:25], -v[20:21]
	v_fma_f64 v[24:25], v[30:31], s[12:13], v[28:29]
	v_add_f64 v[18:19], v[18:19], v[20:21]
	v_add_f64 v[20:21], v[32:33], v[24:25]
	;; [unrolled: 1-line block ×3, first 2 shown]
	v_add_f64 v[32:33], v[20:21], -v[32:33]
	v_add_f64 v[30:31], v[20:21], v[28:29]
	v_add_f64 v[26:27], v[28:29], -v[26:27]
	v_add_f64 v[24:25], v[24:25], -v[32:33]
	;; [unrolled: 1-line block ×6, first 2 shown]
	v_fma_f64 v[28:29], -v[36:37], v[48:49], 1.0
	v_add_f64 v[32:33], v[24:25], v[18:19]
	v_add_f64 v[20:21], v[20:21], -v[38:39]
	v_add_f64 v[20:21], v[26:27], v[20:21]
	v_fma_f64 v[26:27], v[48:49], v[28:29], v[48:49]
	v_add_f64 v[28:29], v[32:33], -v[24:25]
	v_div_scale_f64 v[48:49], vcc_lo, -0.5, v[8:9], -0.5
	v_add_f64 v[20:21], v[32:33], v[20:21]
	v_fma_f64 v[34:35], -v[36:37], v[26:27], 1.0
	v_add_f64 v[32:33], v[32:33], -v[28:29]
	v_add_f64 v[18:19], v[18:19], -v[28:29]
	v_add_f64 v[38:39], v[30:31], v[20:21]
	v_fma_f64 v[26:27], v[26:27], v[34:35], v[26:27]
	v_add_f64 v[24:25], v[24:25], -v[32:33]
	v_add_f64 v[28:29], v[38:39], -v[30:31]
	v_mul_f64 v[30:31], v[48:49], v[26:27]
	v_add_f64 v[18:19], v[18:19], v[24:25]
	v_add_f64 v[20:21], v[20:21], -v[28:29]
	v_fma_f64 v[24:25], -v[36:37], v[30:31], v[48:49]
	v_add_f64 v[18:19], v[18:19], v[20:21]
	v_div_fmas_f64 v[20:21], v[24:25], v[26:27], v[30:31]
	v_cmp_class_f64_e64 vcc_lo, v[8:9], 0x204
	v_add_f64 v[18:19], v[38:39], v[18:19]
	v_div_fixup_f64 v[20:21], v[20:21], v[8:9], -0.5
	v_cndmask_b32_e32 v9, v19, v9, vcc_lo
	v_cndmask_b32_e32 v8, v18, v8, vcc_lo
	v_add_f64 v[8:9], v[8:9], v[20:21]
	v_add_f64 v[8:9], v[8:9], -v[12:13]
	v_add_f64 v[12:13], v[16:17], v[8:9]
                                        ; implicit-def: $vgpr16_vgpr17
.LBB0_79:
	s_andn2_saveexec_b32 s6, s6
; %bb.80:
	s_mov_b32 s12, 0xdc85cc95
	s_mov_b32 s13, 0x40020396
	v_add_f64 v[12:13], v[16:17], s[12:13]
; %bb.81:
	s_or_b32 exec_lo, exec_lo, s6
.LBB0_82:
	s_or_b32 exec_lo, exec_lo, s5
                                        ; implicit-def: $vgpr8_vgpr9
.LBB0_83:
	s_andn2_saveexec_b32 s5, s10
; %bb.84:
	v_xor_b32_e32 v8, 0x80000000, v9
	s_mov_b32 s6, 0x7ff00000
	v_mov_b32_e32 v12, 0
	v_bfi_b32 v13, 0x7fffffff, s6, v8
; %bb.85:
	s_or_b32 exec_lo, exec_lo, s5
.LBB0_86:
	s_or_b32 exec_lo, exec_lo, s9
	v_add_nc_u32_e32 v8, 0x300, v22
	s_mov_b32 s9, exec_lo
	v_cmpx_lt_i32_e64 v8, v4
	s_cbranch_execnz .LBB0_92
; %bb.87:
	s_or_b32 exec_lo, exec_lo, s9
	s_and_saveexec_b32 s5, s4
	s_xor_b32 s4, exec_lo, s5
	s_cbranch_execnz .LBB0_117
.LBB0_88:
	s_or_b32 exec_lo, exec_lo, s4
	s_mov_b32 s4, exec_lo
	v_cmpx_lt_i32_e64 v22, v4
	s_cbranch_execnz .LBB0_118
.LBB0_89:
	s_or_b32 exec_lo, exec_lo, s4
	s_mov_b32 s4, exec_lo
	v_cmpx_lt_i32_e64 v22, v4
	s_cbranch_execnz .LBB0_119
.LBB0_90:
	s_or_b32 exec_lo, exec_lo, s4
	s_mov_b32 s4, exec_lo
	v_cmpx_lt_i32_e64 v22, v4
	s_cbranch_execnz .LBB0_120
.LBB0_91:
	s_or_b32 exec_lo, exec_lo, s4
	s_waitcnt lgkmcnt(0)
	s_setpc_b64 s[30:31]
.LBB0_92:
	s_mov_b32 s5, exec_lo
	v_cmpx_neq_f64_e32 0, v[6:7]
	s_xor_b32 s10, exec_lo, s5
                                        ; implicit-def: $vgpr10_vgpr11
	s_cbranch_execz .LBB0_114
; %bb.93:
	v_mov_b32_e32 v8, 0
	v_mov_b32_e32 v9, 0
	s_mov_b32 s6, -1
	s_mov_b32 s11, exec_lo
	v_cmpx_gt_f64_e32 0, v[6:7]
	s_cbranch_execz .LBB0_101
; %bb.94:
	v_trunc_f64_e32 v[10:11], v[6:7]
	v_mov_b32_e32 v8, 0
	v_mov_b32_e32 v9, 0
	s_mov_b32 s6, 0
	s_mov_b32 s12, exec_lo
	v_cmpx_neq_f64_e32 v[6:7], v[10:11]
	s_cbranch_execz .LBB0_100
; %bb.95:
	v_add_f64 v[8:9], v[6:7], -v[10:11]
	s_mov_b32 s7, 0xc00921fb
	s_mov_b32 s6, 0x54442d18
	v_cmp_neq_f64_e64 vcc_lo, 0x7ff00000, |v[6:7]|
                                        ; implicit-def: $vgpr18
                                        ; implicit-def: $vgpr10_vgpr11
                                        ; implicit-def: $vgpr16_vgpr17
	v_mul_f64 v[8:9], |v[8:9]|, s[6:7]
	v_cndmask_b32_e32 v9, 0x80000000, v9, vcc_lo
	v_cndmask_b32_e32 v8, 0, v8, vcc_lo
	v_cmp_ngt_f64_e64 s5, 0x41d00000, |v[8:9]|
	s_and_saveexec_b32 s7, s5
	s_xor_b32 s5, exec_lo, s7
	s_cbranch_execz .LBB0_97
; %bb.96:
	v_ldexp_f64 v[10:11], |v[8:9]|, 0xffffff80
	v_cmp_le_f64_e64 vcc_lo, 0x7b000000, |v[8:9]|
	v_trig_preop_f64 v[16:17], |v[8:9]|, 0
	v_and_b32_e32 v18, 0x7fffffff, v9
	v_trig_preop_f64 v[30:31], |v[8:9]|, 2
	v_mov_b32_e32 v38, 0
	s_mov_b32 s7, 0x3ff921fb
	s_mov_b32 s14, 0x33145c07
	;; [unrolled: 1-line block ×3, first 2 shown]
	v_cndmask_b32_e32 v11, v18, v11, vcc_lo
	v_cndmask_b32_e32 v10, v8, v10, vcc_lo
	v_trig_preop_f64 v[18:19], |v[8:9]|, 1
	v_mul_f64 v[20:21], v[16:17], v[10:11]
	v_mul_f64 v[36:37], v[30:31], v[10:11]
	;; [unrolled: 1-line block ×3, first 2 shown]
	v_fma_f64 v[16:17], v[16:17], v[10:11], -v[20:21]
	v_fma_f64 v[18:19], v[18:19], v[10:11], -v[24:25]
	;; [unrolled: 1-line block ×3, first 2 shown]
	v_add_f64 v[26:27], v[24:25], v[16:17]
	v_add_f64 v[28:29], v[26:27], -v[24:25]
	v_add_f64 v[34:35], v[20:21], v[26:27]
	v_add_f64 v[32:33], v[26:27], -v[28:29]
	v_add_f64 v[16:17], v[16:17], -v[28:29]
	v_ldexp_f64 v[28:29], v[34:35], -2
	v_add_f64 v[20:21], v[34:35], -v[20:21]
	v_add_f64 v[24:25], v[24:25], -v[32:33]
	v_add_f64 v[32:33], v[36:37], v[18:19]
	v_cmp_neq_f64_e64 vcc_lo, 0x7ff00000, |v[28:29]|
	v_add_f64 v[20:21], v[26:27], -v[20:21]
	v_add_f64 v[16:17], v[16:17], v[24:25]
	v_fract_f64_e32 v[24:25], v[28:29]
	v_add_f64 v[26:27], v[32:33], v[16:17]
	v_ldexp_f64 v[24:25], v[24:25], 2
	v_add_f64 v[28:29], v[20:21], v[26:27]
	v_cndmask_b32_e32 v25, 0, v25, vcc_lo
	v_cndmask_b32_e32 v24, 0, v24, vcc_lo
	v_add_f64 v[48:49], v[26:27], -v[32:33]
	v_add_f64 v[34:35], v[28:29], v[24:25]
	v_add_f64 v[20:21], v[28:29], -v[20:21]
	v_add_f64 v[54:55], v[26:27], -v[48:49]
	;; [unrolled: 1-line block ×3, first 2 shown]
	v_cmp_gt_f64_e32 vcc_lo, 0, v[34:35]
	v_add_f64 v[34:35], v[32:33], -v[36:37]
	v_cndmask_b32_e64 v39, 0, 0x40100000, vcc_lo
	v_add_f64 v[52:53], v[32:33], -v[34:35]
	v_add_f64 v[18:19], v[18:19], -v[34:35]
	;; [unrolled: 1-line block ×3, first 2 shown]
	v_add_f64 v[24:25], v[24:25], v[38:39]
	v_add_f64 v[34:35], v[36:37], -v[52:53]
	v_add_f64 v[16:17], v[16:17], v[32:33]
	v_add_f64 v[50:51], v[28:29], v[24:25]
	;; [unrolled: 1-line block ×3, first 2 shown]
	v_cvt_i32_f64_e32 v39, v[50:51]
	v_add_f64 v[16:17], v[18:19], v[16:17]
	v_add_f64 v[18:19], v[26:27], -v[20:21]
	v_cvt_f64_i32_e32 v[48:49], v39
	v_add_f64 v[10:11], v[10:11], v[16:17]
	v_add_f64 v[24:25], v[24:25], -v[48:49]
	v_add_f64 v[10:11], v[18:19], v[10:11]
	v_add_f64 v[30:31], v[28:29], v[24:25]
	v_add_f64 v[16:17], v[30:31], -v[24:25]
	v_cmp_le_f64_e32 vcc_lo, 0.5, v[30:31]
	v_add_f64 v[16:17], v[28:29], -v[16:17]
	v_add_co_ci_u32_e64 v18, null, 0, v39, vcc_lo
	v_cndmask_b32_e64 v39, 0, 0x3ff00000, vcc_lo
	v_add_f64 v[10:11], v[10:11], v[16:17]
	v_add_f64 v[16:17], v[30:31], -v[38:39]
	v_add_f64 v[19:20], v[16:17], v[10:11]
	v_mul_f64 v[24:25], v[19:20], s[6:7]
	v_add_f64 v[16:17], v[19:20], -v[16:17]
	v_fma_f64 v[26:27], v[19:20], s[6:7], -v[24:25]
	v_add_f64 v[10:11], v[10:11], -v[16:17]
	v_fma_f64 v[16:17], v[19:20], s[14:15], v[26:27]
	v_fma_f64 v[16:17], v[10:11], s[6:7], v[16:17]
	v_add_f64 v[10:11], v[24:25], v[16:17]
	v_add_f64 v[19:20], v[10:11], -v[24:25]
	v_add_f64 v[16:17], v[16:17], -v[19:20]
.LBB0_97:
	s_andn2_saveexec_b32 s5, s5
	s_cbranch_execz .LBB0_99
; %bb.98:
	s_mov_b32 s6, 0x6dc9c883
	s_mov_b32 s7, 0x3fe45f30
	;; [unrolled: 1-line block ×3, first 2 shown]
	v_mul_f64 v[10:11], |v[8:9]|, s[6:7]
	s_mov_b32 s6, 0x54442d18
	s_mov_b32 s7, 0xbff921fb
	;; [unrolled: 1-line block ×3, first 2 shown]
	v_rndne_f64_e32 v[18:19], v[10:11]
	v_fma_f64 v[10:11], v[18:19], s[6:7], |v[8:9]|
	v_mul_f64 v[16:17], v[18:19], s[14:15]
	s_mov_b32 s6, 0x252049c0
	s_mov_b32 s7, 0xb97b839a
	v_fma_f64 v[24:25], v[18:19], s[14:15], v[10:11]
	v_add_f64 v[20:21], v[10:11], v[16:17]
	s_mov_b32 s15, 0x3c91a626
	v_add_f64 v[10:11], v[10:11], -v[20:21]
	v_add_f64 v[20:21], v[20:21], -v[24:25]
	v_add_f64 v[10:11], v[10:11], v[16:17]
	v_fma_f64 v[16:17], v[18:19], s[14:15], v[16:17]
	v_add_f64 v[10:11], v[20:21], v[10:11]
	v_add_f64 v[10:11], v[10:11], -v[16:17]
	v_fma_f64 v[16:17], v[18:19], s[6:7], v[10:11]
	v_cvt_i32_f64_e32 v18, v[18:19]
	v_add_f64 v[10:11], v[24:25], v[16:17]
	v_add_f64 v[20:21], v[10:11], -v[24:25]
	v_add_f64 v[16:17], v[16:17], -v[20:21]
.LBB0_99:
	s_or_b32 exec_lo, exec_lo, s5
	v_mul_f64 v[19:20], v[10:11], v[10:11]
	v_add_f64 v[24:25], v[16:17], v[16:17]
	s_mov_b32 s14, 0xa9a29f71
	s_mov_b32 s16, 0xc751c08c
	;; [unrolled: 1-line block ×4, first 2 shown]
	v_cmp_class_f64_e64 s5, v[8:9], 0x1f8
	v_and_b32_e32 v18, 1, v18
	v_and_b32_e32 v9, 0x80000000, v9
	v_add_f64 v[6:7], -v[6:7], 1.0
	s_mov_b32 s6, exec_lo
	v_cmp_eq_u32_e32 vcc_lo, 0, v18
	v_fma_f64 v[26:27], v[10:11], v[10:11], -v[19:20]
	v_fma_f64 v[24:25], v[10:11], v[24:25], v[26:27]
	v_add_f64 v[19:20], v[19:20], v[24:25]
	v_fma_f64 v[24:25], v[19:20], s[16:17], s[14:15]
	s_mov_b32 s14, 0x90a8aae0
	s_mov_b32 s15, 0x3f17746f
	v_fma_f64 v[24:25], v[19:20], v[24:25], s[14:15]
	s_mov_b32 s14, 0xa6fbf144
	s_mov_b32 s15, 0xbefbb44d
	;; [unrolled: 3-line block ×13, first 2 shown]
	v_mul_f64 v[19:20], v[19:20], v[24:25]
	v_mul_f64 v[24:25], v[10:11], v[19:20]
	v_add_f64 v[26:27], v[10:11], v[24:25]
	v_fma_f64 v[19:20], v[10:11], v[19:20], -v[24:25]
	v_add_f64 v[10:11], v[26:27], -v[10:11]
	v_add_f64 v[16:17], v[16:17], v[19:20]
	v_add_f64 v[10:11], v[24:25], -v[10:11]
	v_add_f64 v[10:11], v[16:17], v[10:11]
	v_add_f64 v[16:17], v[26:27], v[10:11]
	v_rcp_f64_e32 v[19:20], v[16:17]
	v_fma_f64 v[24:25], -v[16:17], v[19:20], 1.0
	v_fma_f64 v[19:20], v[24:25], v[19:20], v[19:20]
	v_fma_f64 v[24:25], -v[16:17], v[19:20], 1.0
	v_fma_f64 v[19:20], v[24:25], v[19:20], v[19:20]
	v_add_f64 v[24:25], v[16:17], -v[26:27]
	v_mul_f64 v[26:27], v[16:17], v[19:20]
	v_add_f64 v[10:11], v[10:11], -v[24:25]
	v_fma_f64 v[24:25], v[19:20], v[16:17], -v[26:27]
	v_fma_f64 v[10:11], v[19:20], v[10:11], v[24:25]
	v_add_f64 v[24:25], v[26:27], v[10:11]
	v_add_f64 v[28:29], -v[24:25], 1.0
	v_add_f64 v[26:27], v[24:25], -v[26:27]
	v_add_f64 v[30:31], -v[28:29], 1.0
	v_add_f64 v[10:11], v[26:27], -v[10:11]
	v_add_f64 v[24:25], v[30:31], -v[24:25]
	v_add_f64 v[10:11], v[10:11], v[24:25]
	v_add_f64 v[10:11], v[28:29], v[10:11]
	v_mul_f64 v[10:11], v[19:20], v[10:11]
	v_add_f64 v[10:11], v[19:20], v[10:11]
	v_xor_b32_e32 v8, 0x80000000, v11
	v_cndmask_b32_e32 v10, v10, v16, vcc_lo
	v_cndmask_b32_e32 v8, v8, v17, vcc_lo
	v_xor_b32_e32 v9, v8, v9
	v_cndmask_b32_e64 v8, 0, v10, s5
	v_cndmask_b32_e64 v9, 0x7ff80000, v9, s5
	v_div_scale_f64 v[10:11], null, v[8:9], v[8:9], s[14:15]
	v_div_scale_f64 v[20:21], vcc_lo, s[14:15], v[8:9], s[14:15]
	v_rcp_f64_e32 v[16:17], v[10:11]
	v_fma_f64 v[18:19], -v[10:11], v[16:17], 1.0
	v_fma_f64 v[16:17], v[16:17], v[18:19], v[16:17]
	v_fma_f64 v[18:19], -v[10:11], v[16:17], 1.0
	v_fma_f64 v[16:17], v[16:17], v[18:19], v[16:17]
	v_mul_f64 v[18:19], v[20:21], v[16:17]
	v_fma_f64 v[10:11], -v[10:11], v[18:19], v[20:21]
	v_div_fmas_f64 v[10:11], v[10:11], v[16:17], v[18:19]
	v_div_fixup_f64 v[8:9], v[10:11], v[8:9], s[14:15]
.LBB0_100:
	s_or_b32 exec_lo, exec_lo, s12
	s_orn2_b32 s6, s6, exec_lo
.LBB0_101:
	s_or_b32 exec_lo, exec_lo, s11
	v_mov_b32_e32 v10, 0
	v_mov_b32_e32 v11, 0x7ff80000
	s_and_saveexec_b32 s5, s6
	s_cbranch_execz .LBB0_113
; %bb.102:
	s_mov_b32 s6, exec_lo
	v_cmpx_gt_f64_e32 0x40240000, v[6:7]
	s_cbranch_execz .LBB0_106
; %bb.103:
	s_mov_b32 s7, 0
	.p2align	6
.LBB0_104:                              ; =>This Inner Loop Header: Depth=1
	v_div_scale_f64 v[10:11], null, v[6:7], v[6:7], 1.0
	v_div_scale_f64 v[20:21], vcc_lo, 1.0, v[6:7], 1.0
	v_rcp_f64_e32 v[16:17], v[10:11]
	v_fma_f64 v[18:19], -v[10:11], v[16:17], 1.0
	v_fma_f64 v[16:17], v[16:17], v[18:19], v[16:17]
	v_fma_f64 v[18:19], -v[10:11], v[16:17], 1.0
	v_fma_f64 v[16:17], v[16:17], v[18:19], v[16:17]
	v_mul_f64 v[18:19], v[20:21], v[16:17]
	v_fma_f64 v[10:11], -v[10:11], v[18:19], v[20:21]
	v_div_fmas_f64 v[10:11], v[10:11], v[16:17], v[18:19]
	v_div_fixup_f64 v[10:11], v[10:11], v[6:7], 1.0
	v_add_f64 v[6:7], v[6:7], 1.0
	v_add_f64 v[8:9], v[8:9], -v[10:11]
	v_cmp_ngt_f64_e32 vcc_lo, 0x40240000, v[6:7]
	s_or_b32 s7, vcc_lo, s7
	s_andn2_b32 exec_lo, exec_lo, s7
	s_cbranch_execnz .LBB0_104
; %bb.105:
	s_or_b32 exec_lo, exec_lo, s7
.LBB0_106:
	s_or_b32 exec_lo, exec_lo, s6
	s_mov_b32 s6, exec_lo
	v_cmpx_neq_f64_e32 0x40240000, v[6:7]
	s_xor_b32 s6, exec_lo, s6
                                        ; implicit-def: $vgpr10_vgpr11
	s_cbranch_execz .LBB0_110
; %bb.107:
	v_mov_b32_e32 v10, 0
	v_mov_b32_e32 v11, 0
	s_mov_b32 s12, 0x85d8a000
	s_mov_b32 s13, 0x43763457
	s_mov_b32 s7, exec_lo
	v_cmpx_gt_f64_e32 s[12:13], v[6:7]
	s_cbranch_execz .LBB0_109
; %bb.108:
	v_mul_f64 v[10:11], v[6:7], v[6:7]
	s_mov_b32 s12, 0x55555555
	s_mov_b32 s13, 0x3fb55555
	;; [unrolled: 1-line block ×6, first 2 shown]
	v_div_scale_f64 v[16:17], null, v[10:11], v[10:11], 1.0
	v_rcp_f64_e32 v[18:19], v[16:17]
	v_fma_f64 v[20:21], -v[16:17], v[18:19], 1.0
	v_fma_f64 v[18:19], v[18:19], v[20:21], v[18:19]
	v_fma_f64 v[20:21], -v[16:17], v[18:19], 1.0
	v_fma_f64 v[18:19], v[18:19], v[20:21], v[18:19]
	v_div_scale_f64 v[20:21], vcc_lo, 1.0, v[10:11], 1.0
	v_mul_f64 v[24:25], v[20:21], v[18:19]
	v_fma_f64 v[16:17], -v[16:17], v[24:25], v[20:21]
	v_div_fmas_f64 v[16:17], v[16:17], v[18:19], v[24:25]
	v_div_fixup_f64 v[10:11], v[16:17], v[10:11], 1.0
	v_fma_f64 v[16:17], v[10:11], 0, s[12:13]
	v_fma_f64 v[16:17], v[10:11], v[16:17], s[14:15]
	s_mov_b32 s14, 0xf07c1f08
	s_mov_b32 s15, 0x3f7f07c1
	v_fma_f64 v[16:17], v[10:11], v[16:17], s[14:15]
	s_mov_b32 s15, 0xbf711111
	s_mov_b32 s14, 0x11111111
	v_fma_f64 v[16:17], v[10:11], v[16:17], s[14:15]
	s_mov_b32 s15, 0xbf811111
	v_fma_f64 v[16:17], v[10:11], v[16:17], s[16:17]
	v_fma_f64 v[16:17], v[10:11], v[16:17], s[14:15]
	;; [unrolled: 1-line block ×3, first 2 shown]
	v_mul_f64 v[10:11], v[10:11], v[16:17]
.LBB0_109:
	s_or_b32 exec_lo, exec_lo, s7
	v_frexp_mant_f64_e32 v[16:17], v[6:7]
	s_mov_b32 s13, 0x3fe55555
	s_mov_b32 s12, 0x55555555
	;; [unrolled: 1-line block ×6, first 2 shown]
	v_div_scale_f64 v[34:35], null, v[6:7], v[6:7], -0.5
	v_cmp_gt_f64_e32 vcc_lo, s[12:13], v[16:17]
	s_mov_b32 s12, 0x55555780
	v_rcp_f64_e32 v[38:39], v[34:35]
	v_cndmask_b32_e64 v18, 0, 1, vcc_lo
	v_ldexp_f64 v[16:17], v[16:17], v18
	v_add_f64 v[18:19], v[16:17], 1.0
	v_add_f64 v[26:27], v[16:17], -1.0
	v_rcp_f64_e32 v[20:21], v[18:19]
	v_add_f64 v[28:29], v[18:19], -1.0
	v_add_f64 v[16:17], v[16:17], -v[28:29]
	v_fma_f64 v[24:25], -v[18:19], v[20:21], 1.0
	v_fma_f64 v[20:21], v[24:25], v[20:21], v[20:21]
	v_fma_f64 v[24:25], -v[18:19], v[20:21], 1.0
	v_fma_f64 v[20:21], v[24:25], v[20:21], v[20:21]
	v_mul_f64 v[24:25], v[26:27], v[20:21]
	v_mul_f64 v[30:31], v[18:19], v[24:25]
	v_fma_f64 v[18:19], v[24:25], v[18:19], -v[30:31]
	v_fma_f64 v[16:17], v[24:25], v[16:17], v[18:19]
	v_add_f64 v[18:19], v[30:31], v[16:17]
	v_add_f64 v[28:29], v[26:27], -v[18:19]
	v_add_f64 v[30:31], v[18:19], -v[30:31]
	;; [unrolled: 1-line block ×4, first 2 shown]
	v_frexp_exp_i32_f64_e32 v30, v[6:7]
	v_add_f64 v[18:19], v[26:27], -v[18:19]
	v_add_f64 v[16:17], v[16:17], v[18:19]
	v_add_f64 v[16:17], v[28:29], v[16:17]
	v_mul_f64 v[16:17], v[20:21], v[16:17]
	v_add_f64 v[18:19], v[24:25], v[16:17]
	v_mul_f64 v[20:21], v[18:19], v[18:19]
	v_fma_f64 v[26:27], v[20:21], s[16:17], s[14:15]
	s_mov_b32 s14, 0xd7f4df2e
	s_mov_b32 s15, 0x3fc7474d
	v_mul_f64 v[28:29], v[18:19], v[20:21]
	v_fma_f64 v[26:27], v[20:21], v[26:27], s[14:15]
	s_mov_b32 s14, 0x16291751
	s_mov_b32 s15, 0x3fcc71c0
	v_fma_f64 v[26:27], v[20:21], v[26:27], s[14:15]
	s_mov_b32 s14, 0x9b27acf1
	s_mov_b32 s15, 0x3fd24924
	;; [unrolled: 3-line block ×3, first 2 shown]
	v_fma_f64 v[26:27], v[20:21], v[26:27], s[14:15]
	v_fma_f64 v[20:21], v[20:21], v[26:27], s[12:13]
	v_ldexp_f64 v[26:27], v[18:19], 1
	v_add_f64 v[18:19], v[18:19], -v[24:25]
	s_mov_b32 s12, 0xfefa39ef
	s_mov_b32 s13, 0x3fe62e42
	v_mul_f64 v[20:21], v[28:29], v[20:21]
	v_subrev_co_ci_u32_e64 v28, null, 0, v30, vcc_lo
	v_add_f64 v[16:17], v[16:17], -v[18:19]
	v_cvt_f64_i32_e32 v[28:29], v28
	v_add_f64 v[24:25], v[26:27], v[20:21]
	v_ldexp_f64 v[16:17], v[16:17], 1
	v_mul_f64 v[30:31], v[28:29], s[12:13]
	v_add_f64 v[18:19], v[24:25], -v[26:27]
	v_fma_f64 v[26:27], v[28:29], s[12:13], -v[30:31]
	s_mov_b32 s12, 0x3b39803f
	s_mov_b32 s13, 0x3c7abc9e
	v_add_f64 v[18:19], v[20:21], -v[18:19]
	v_fma_f64 v[20:21], v[28:29], s[12:13], v[26:27]
	v_add_f64 v[16:17], v[16:17], v[18:19]
	v_add_f64 v[18:19], v[30:31], v[20:21]
	v_add_f64 v[26:27], v[24:25], v[16:17]
	v_add_f64 v[30:31], v[18:19], -v[30:31]
	v_add_f64 v[28:29], v[18:19], v[26:27]
	v_add_f64 v[24:25], v[26:27], -v[24:25]
	v_add_f64 v[20:21], v[20:21], -v[30:31]
	;; [unrolled: 1-line block ×6, first 2 shown]
	v_fma_f64 v[26:27], -v[34:35], v[38:39], 1.0
	v_add_f64 v[30:31], v[20:21], v[16:17]
	v_add_f64 v[18:19], v[18:19], -v[36:37]
	v_add_f64 v[18:19], v[24:25], v[18:19]
	v_fma_f64 v[24:25], v[38:39], v[26:27], v[38:39]
	v_add_f64 v[26:27], v[30:31], -v[20:21]
	v_div_scale_f64 v[38:39], vcc_lo, -0.5, v[6:7], -0.5
	v_add_f64 v[18:19], v[30:31], v[18:19]
	v_fma_f64 v[32:33], -v[34:35], v[24:25], 1.0
	v_add_f64 v[30:31], v[30:31], -v[26:27]
	v_add_f64 v[16:17], v[16:17], -v[26:27]
	v_add_f64 v[36:37], v[28:29], v[18:19]
	v_fma_f64 v[24:25], v[24:25], v[32:33], v[24:25]
	v_add_f64 v[20:21], v[20:21], -v[30:31]
	v_add_f64 v[26:27], v[36:37], -v[28:29]
	v_mul_f64 v[28:29], v[38:39], v[24:25]
	v_add_f64 v[16:17], v[16:17], v[20:21]
	v_add_f64 v[18:19], v[18:19], -v[26:27]
	v_fma_f64 v[20:21], -v[34:35], v[28:29], v[38:39]
	v_add_f64 v[16:17], v[16:17], v[18:19]
	v_div_fmas_f64 v[18:19], v[20:21], v[24:25], v[28:29]
	v_cmp_class_f64_e64 vcc_lo, v[6:7], 0x204
	v_add_f64 v[16:17], v[36:37], v[16:17]
	v_div_fixup_f64 v[18:19], v[18:19], v[6:7], -0.5
	v_cndmask_b32_e32 v7, v17, v7, vcc_lo
	v_cndmask_b32_e32 v6, v16, v6, vcc_lo
	v_add_f64 v[6:7], v[6:7], v[18:19]
	v_add_f64 v[6:7], v[6:7], -v[10:11]
	v_add_f64 v[10:11], v[8:9], v[6:7]
                                        ; implicit-def: $vgpr8_vgpr9
.LBB0_110:
	s_andn2_saveexec_b32 s6, s6
; %bb.111:
	s_mov_b32 s12, 0xdc85cc95
	s_mov_b32 s13, 0x40020396
	v_add_f64 v[10:11], v[8:9], s[12:13]
; %bb.112:
	s_or_b32 exec_lo, exec_lo, s6
.LBB0_113:
	s_or_b32 exec_lo, exec_lo, s5
                                        ; implicit-def: $vgpr6_vgpr7
.LBB0_114:
	s_andn2_saveexec_b32 s5, s10
; %bb.115:
	v_xor_b32_e32 v6, 0x80000000, v7
	s_mov_b32 s6, 0x7ff00000
	v_mov_b32_e32 v10, 0
	v_bfi_b32 v11, 0x7fffffff, s6, v6
; %bb.116:
	s_or_b32 exec_lo, exec_lo, s5
	s_or_b32 exec_lo, exec_lo, s9
	s_and_saveexec_b32 s5, s4
	s_xor_b32 s4, exec_lo, s5
	s_cbranch_execz .LBB0_88
.LBB0_117:
	v_mov_b32_e32 v6, 0
	v_mov_b32_e32 v22, v23
	v_lshlrev_b64 v[5:6], 3, v[5:6]
	v_add_co_u32 v5, vcc_lo, v0, v5
	v_add_co_ci_u32_e64 v6, null, v1, v6, vcc_lo
	flat_store_dwordx2 v[5:6], v[2:3]
	s_or_b32 exec_lo, exec_lo, s4
	s_mov_b32 s4, exec_lo
	v_cmpx_lt_i32_e64 v22, v4
	s_cbranch_execz .LBB0_89
.LBB0_118:
	v_add_nc_u32_e32 v2, s8, v22
	v_mov_b32_e32 v3, 0
	v_add_nc_u32_e32 v22, 0x100, v22
	v_lshlrev_b64 v[2:3], 3, v[2:3]
	v_add_co_u32 v2, vcc_lo, v0, v2
	v_add_co_ci_u32_e64 v3, null, v1, v3, vcc_lo
	flat_store_dwordx2 v[2:3], v[14:15]
	s_or_b32 exec_lo, exec_lo, s4
	s_mov_b32 s4, exec_lo
	v_cmpx_lt_i32_e64 v22, v4
	s_cbranch_execz .LBB0_90
.LBB0_119:
	v_add_nc_u32_e32 v2, s8, v22
	v_mov_b32_e32 v3, 0
	v_add_nc_u32_e32 v22, 0x100, v22
	v_lshlrev_b64 v[2:3], 3, v[2:3]
	v_add_co_u32 v2, vcc_lo, v0, v2
	v_add_co_ci_u32_e64 v3, null, v1, v3, vcc_lo
	flat_store_dwordx2 v[2:3], v[12:13]
	s_or_b32 exec_lo, exec_lo, s4
	s_mov_b32 s4, exec_lo
	v_cmpx_lt_i32_e64 v22, v4
	s_cbranch_execz .LBB0_91
.LBB0_120:
	v_add_nc_u32_e32 v2, s8, v22
	v_mov_b32_e32 v3, 0
	v_lshlrev_b64 v[2:3], 3, v[2:3]
	v_add_co_u32 v0, vcc_lo, v0, v2
	v_add_co_ci_u32_e64 v1, null, v1, v3, vcc_lo
	flat_store_dwordx2 v[0:1], v[10:11]
	s_or_b32 exec_lo, exec_lo, s4
	s_waitcnt lgkmcnt(0)
	s_setpc_b64 s[30:31]
.Lfunc_end0:
	.size	_ZN2at6native25elementwise_kernel_helperILb0EZZZNS0_19digamma_kernel_cudaERNS_18TensorIteratorBaseEENKUlvE_clEvENKUlvE_clEvEUldE_NS0_6memory8policies11unroll_baseILi256ESt5arrayIPcLm2EE23TrivialOffsetCalculatorILi1EjESE_NS7_15LoadWithoutCastENS7_16StoreWithoutCastELi4ELi1EEEEEvT0_T1_, .Lfunc_end0-_ZN2at6native25elementwise_kernel_helperILb0EZZZNS0_19digamma_kernel_cudaERNS_18TensorIteratorBaseEENKUlvE_clEvENKUlvE_clEvEUldE_NS0_6memory8policies11unroll_baseILi256ESt5arrayIPcLm2EE23TrivialOffsetCalculatorILi1EjESE_NS7_15LoadWithoutCastENS7_16StoreWithoutCastELi4ELi1EEEEEvT0_T1_
                                        ; -- End function
	.set .L_ZN2at6native25elementwise_kernel_helperILb0EZZZNS0_19digamma_kernel_cudaERNS_18TensorIteratorBaseEENKUlvE_clEvENKUlvE_clEvEUldE_NS0_6memory8policies11unroll_baseILi256ESt5arrayIPcLm2EE23TrivialOffsetCalculatorILi1EjESE_NS7_15LoadWithoutCastENS7_16StoreWithoutCastELi4ELi1EEEEEvT0_T1_.num_vgpr, 68
	.set .L_ZN2at6native25elementwise_kernel_helperILb0EZZZNS0_19digamma_kernel_cudaERNS_18TensorIteratorBaseEENKUlvE_clEvENKUlvE_clEvEUldE_NS0_6memory8policies11unroll_baseILi256ESt5arrayIPcLm2EE23TrivialOffsetCalculatorILi1EjESE_NS7_15LoadWithoutCastENS7_16StoreWithoutCastELi4ELi1EEEEEvT0_T1_.num_agpr, 0
	.set .L_ZN2at6native25elementwise_kernel_helperILb0EZZZNS0_19digamma_kernel_cudaERNS_18TensorIteratorBaseEENKUlvE_clEvENKUlvE_clEvEUldE_NS0_6memory8policies11unroll_baseILi256ESt5arrayIPcLm2EE23TrivialOffsetCalculatorILi1EjESE_NS7_15LoadWithoutCastENS7_16StoreWithoutCastELi4ELi1EEEEEvT0_T1_.numbered_sgpr, 32
	.set .L_ZN2at6native25elementwise_kernel_helperILb0EZZZNS0_19digamma_kernel_cudaERNS_18TensorIteratorBaseEENKUlvE_clEvENKUlvE_clEvEUldE_NS0_6memory8policies11unroll_baseILi256ESt5arrayIPcLm2EE23TrivialOffsetCalculatorILi1EjESE_NS7_15LoadWithoutCastENS7_16StoreWithoutCastELi4ELi1EEEEEvT0_T1_.num_named_barrier, 0
	.set .L_ZN2at6native25elementwise_kernel_helperILb0EZZZNS0_19digamma_kernel_cudaERNS_18TensorIteratorBaseEENKUlvE_clEvENKUlvE_clEvEUldE_NS0_6memory8policies11unroll_baseILi256ESt5arrayIPcLm2EE23TrivialOffsetCalculatorILi1EjESE_NS7_15LoadWithoutCastENS7_16StoreWithoutCastELi4ELi1EEEEEvT0_T1_.private_seg_size, 0
	.set .L_ZN2at6native25elementwise_kernel_helperILb0EZZZNS0_19digamma_kernel_cudaERNS_18TensorIteratorBaseEENKUlvE_clEvENKUlvE_clEvEUldE_NS0_6memory8policies11unroll_baseILi256ESt5arrayIPcLm2EE23TrivialOffsetCalculatorILi1EjESE_NS7_15LoadWithoutCastENS7_16StoreWithoutCastELi4ELi1EEEEEvT0_T1_.uses_vcc, 1
	.set .L_ZN2at6native25elementwise_kernel_helperILb0EZZZNS0_19digamma_kernel_cudaERNS_18TensorIteratorBaseEENKUlvE_clEvENKUlvE_clEvEUldE_NS0_6memory8policies11unroll_baseILi256ESt5arrayIPcLm2EE23TrivialOffsetCalculatorILi1EjESE_NS7_15LoadWithoutCastENS7_16StoreWithoutCastELi4ELi1EEEEEvT0_T1_.uses_flat_scratch, 0
	.set .L_ZN2at6native25elementwise_kernel_helperILb0EZZZNS0_19digamma_kernel_cudaERNS_18TensorIteratorBaseEENKUlvE_clEvENKUlvE_clEvEUldE_NS0_6memory8policies11unroll_baseILi256ESt5arrayIPcLm2EE23TrivialOffsetCalculatorILi1EjESE_NS7_15LoadWithoutCastENS7_16StoreWithoutCastELi4ELi1EEEEEvT0_T1_.has_dyn_sized_stack, 0
	.set .L_ZN2at6native25elementwise_kernel_helperILb0EZZZNS0_19digamma_kernel_cudaERNS_18TensorIteratorBaseEENKUlvE_clEvENKUlvE_clEvEUldE_NS0_6memory8policies11unroll_baseILi256ESt5arrayIPcLm2EE23TrivialOffsetCalculatorILi1EjESE_NS7_15LoadWithoutCastENS7_16StoreWithoutCastELi4ELi1EEEEEvT0_T1_.has_recursion, 0
	.set .L_ZN2at6native25elementwise_kernel_helperILb0EZZZNS0_19digamma_kernel_cudaERNS_18TensorIteratorBaseEENKUlvE_clEvENKUlvE_clEvEUldE_NS0_6memory8policies11unroll_baseILi256ESt5arrayIPcLm2EE23TrivialOffsetCalculatorILi1EjESE_NS7_15LoadWithoutCastENS7_16StoreWithoutCastELi4ELi1EEEEEvT0_T1_.has_indirect_call, 0
	.section	.AMDGPU.csdata,"",@progbits
; Function info:
; codeLenInByte = 13464
; TotalNumSgprs: 34
; NumVgprs: 68
; ScratchSize: 0
; MemoryBound: 0
	.text
	.p2align	2                               ; -- Begin function _ZN2at6native25elementwise_kernel_helperILb0EZZZNS0_19digamma_kernel_cudaERNS_18TensorIteratorBaseEENKUlvE_clEvENKUlvE_clEvEUldE_NS0_6memory8policies10vectorizedILi4ESt5arrayIPcLm2EELi4EEEEEvT0_T1_
	.type	_ZN2at6native25elementwise_kernel_helperILb0EZZZNS0_19digamma_kernel_cudaERNS_18TensorIteratorBaseEENKUlvE_clEvENKUlvE_clEvEUldE_NS0_6memory8policies10vectorizedILi4ESt5arrayIPcLm2EELi4EEEEEvT0_T1_,@function
_ZN2at6native25elementwise_kernel_helperILb0EZZZNS0_19digamma_kernel_cudaERNS_18TensorIteratorBaseEENKUlvE_clEvENKUlvE_clEvEUldE_NS0_6memory8policies10vectorizedILi4ESt5arrayIPcLm2EELi4EEEEEvT0_T1_: ; @_ZN2at6native25elementwise_kernel_helperILb0EZZZNS0_19digamma_kernel_cudaERNS_18TensorIteratorBaseEENKUlvE_clEvENKUlvE_clEvEUldE_NS0_6memory8policies10vectorizedILi4ESt5arrayIPcLm2EELi4EEEEEvT0_T1_
; %bb.0:
	s_waitcnt vmcnt(0) expcnt(0) lgkmcnt(0)
	s_lshl_b32 s4, s12, 10
	v_and_b32_e32 v4, 0x3ff, v31
	s_ashr_i32 s5, s4, 31
                                        ; implicit-def: $vgpr6_vgpr7
	s_lshl_b64 s[6:7], s[4:5], 3
	s_mov_b32 s4, exec_lo
	v_lshlrev_b32_e32 v16, 5, v4
	v_add_co_u32 v2, vcc_lo, v2, s6
	v_add_co_ci_u32_e64 v3, null, s7, v3, vcc_lo
	v_add_co_u32 v2, vcc_lo, v2, v16
	v_add_co_ci_u32_e64 v3, null, 0, v3, vcc_lo
	s_clause 0x1
	flat_load_dwordx4 v[8:11], v[2:3]
	flat_load_dwordx4 v[2:5], v[2:3] offset:16
	s_waitcnt vmcnt(1) lgkmcnt(1)
	v_cmpx_neq_f64_e32 0, v[8:9]
	s_xor_b32 s8, exec_lo, s4
	s_cbranch_execz .LBB1_22
; %bb.1:
	v_mov_b32_e32 v12, 0
	v_mov_b32_e32 v13, 0
	s_mov_b32 s5, -1
	s_mov_b32 s9, exec_lo
	v_cmpx_gt_f64_e32 0, v[8:9]
	s_cbranch_execz .LBB1_9
; %bb.2:
	v_trunc_f64_e32 v[6:7], v[8:9]
	v_mov_b32_e32 v12, 0
	v_mov_b32_e32 v13, 0
	s_mov_b32 s5, 0
	s_mov_b32 s10, exec_lo
	v_cmpx_neq_f64_e32 v[8:9], v[6:7]
	s_cbranch_execz .LBB1_8
; %bb.3:
	v_add_f64 v[6:7], v[8:9], -v[6:7]
	s_mov_b32 s5, 0xc00921fb
	s_mov_b32 s4, 0x54442d18
	v_cmp_neq_f64_e64 vcc_lo, 0x7ff00000, |v[8:9]|
	s_mov_b32 s11, exec_lo
                                        ; implicit-def: $vgpr17
                                        ; implicit-def: $vgpr12_vgpr13
                                        ; implicit-def: $vgpr14_vgpr15
	v_mul_f64 v[6:7], |v[6:7]|, s[4:5]
	v_cndmask_b32_e32 v7, 0x80000000, v7, vcc_lo
	v_cndmask_b32_e32 v6, 0, v6, vcc_lo
	v_cmpx_ngt_f64_e64 0x41d00000, |v[6:7]|
	s_xor_b32 s11, exec_lo, s11
	s_cbranch_execz .LBB1_5
; %bb.4:
	v_ldexp_f64 v[12:13], |v[6:7]|, 0xffffff80
	v_cmp_le_f64_e64 vcc_lo, 0x7b000000, |v[6:7]|
	v_trig_preop_f64 v[14:15], |v[6:7]|, 0
	v_and_b32_e32 v17, 0x7fffffff, v7
	v_trig_preop_f64 v[27:28], |v[6:7]|, 2
	v_mov_b32_e32 v35, 0
	s_mov_b32 s5, 0x3ff921fb
	s_mov_b32 s12, 0x33145c07
	;; [unrolled: 1-line block ×3, first 2 shown]
	v_cndmask_b32_e32 v13, v17, v13, vcc_lo
	v_cndmask_b32_e32 v12, v6, v12, vcc_lo
	v_trig_preop_f64 v[17:18], |v[6:7]|, 1
	v_mul_f64 v[19:20], v[14:15], v[12:13]
	v_mul_f64 v[33:34], v[27:28], v[12:13]
	;; [unrolled: 1-line block ×3, first 2 shown]
	v_fma_f64 v[14:15], v[14:15], v[12:13], -v[19:20]
	v_fma_f64 v[17:18], v[17:18], v[12:13], -v[21:22]
	v_fma_f64 v[12:13], v[27:28], v[12:13], -v[33:34]
	v_add_f64 v[23:24], v[21:22], v[14:15]
	v_add_f64 v[25:26], v[23:24], -v[21:22]
	v_add_f64 v[31:32], v[19:20], v[23:24]
	v_add_f64 v[29:30], v[23:24], -v[25:26]
	v_add_f64 v[14:15], v[14:15], -v[25:26]
	v_ldexp_f64 v[25:26], v[31:32], -2
	v_add_f64 v[19:20], v[31:32], -v[19:20]
	v_add_f64 v[21:22], v[21:22], -v[29:30]
	v_add_f64 v[29:30], v[33:34], v[17:18]
	v_cmp_neq_f64_e64 vcc_lo, 0x7ff00000, |v[25:26]|
	v_add_f64 v[19:20], v[23:24], -v[19:20]
	v_add_f64 v[14:15], v[14:15], v[21:22]
	v_fract_f64_e32 v[21:22], v[25:26]
	v_add_f64 v[23:24], v[29:30], v[14:15]
	v_ldexp_f64 v[21:22], v[21:22], 2
	v_add_f64 v[25:26], v[19:20], v[23:24]
	v_cndmask_b32_e32 v22, 0, v22, vcc_lo
	v_cndmask_b32_e32 v21, 0, v21, vcc_lo
	v_add_f64 v[31:32], v[25:26], v[21:22]
	v_add_f64 v[19:20], v[25:26], -v[19:20]
	v_cmp_gt_f64_e32 vcc_lo, 0, v[31:32]
	v_add_f64 v[31:32], v[29:30], -v[33:34]
	v_cndmask_b32_e64 v36, 0, 0x40100000, vcc_lo
	v_add_f64 v[48:49], v[29:30], -v[31:32]
	v_add_f64 v[17:18], v[17:18], -v[31:32]
	v_add_f64 v[21:22], v[21:22], v[35:36]
	v_add_f64 v[36:37], v[23:24], -v[29:30]
	v_add_f64 v[31:32], v[33:34], -v[48:49]
	v_add_f64 v[38:39], v[25:26], v[21:22]
	;; [unrolled: 3-line block ×3, first 2 shown]
	v_cvt_i32_f64_e32 v38, v[38:39]
	v_add_f64 v[29:30], v[29:30], -v[50:51]
	v_cvt_f64_i32_e32 v[36:37], v38
	v_add_f64 v[14:15], v[14:15], v[29:30]
	v_add_f64 v[21:22], v[21:22], -v[36:37]
	v_add_f64 v[14:15], v[17:18], v[14:15]
	v_add_f64 v[17:18], v[23:24], -v[19:20]
	v_add_f64 v[27:28], v[25:26], v[21:22]
	v_add_f64 v[12:13], v[12:13], v[14:15]
	v_add_f64 v[14:15], v[27:28], -v[21:22]
	v_cmp_le_f64_e32 vcc_lo, 0.5, v[27:28]
	v_add_f64 v[12:13], v[17:18], v[12:13]
	v_add_f64 v[14:15], v[25:26], -v[14:15]
	v_cndmask_b32_e64 v36, 0, 0x3ff00000, vcc_lo
	v_add_co_ci_u32_e64 v17, null, 0, v38, vcc_lo
	v_add_f64 v[12:13], v[12:13], v[14:15]
	v_add_f64 v[14:15], v[27:28], -v[35:36]
	v_add_f64 v[18:19], v[14:15], v[12:13]
	v_mul_f64 v[20:21], v[18:19], s[4:5]
	v_add_f64 v[14:15], v[18:19], -v[14:15]
	v_fma_f64 v[22:23], v[18:19], s[4:5], -v[20:21]
	v_add_f64 v[12:13], v[12:13], -v[14:15]
	v_fma_f64 v[14:15], v[18:19], s[12:13], v[22:23]
	v_fma_f64 v[14:15], v[12:13], s[4:5], v[14:15]
	v_add_f64 v[12:13], v[20:21], v[14:15]
	v_add_f64 v[18:19], v[12:13], -v[20:21]
	v_add_f64 v[14:15], v[14:15], -v[18:19]
.LBB1_5:
	s_andn2_saveexec_b32 s4, s11
	s_cbranch_execz .LBB1_7
; %bb.6:
	s_mov_b32 s12, 0x6dc9c883
	s_mov_b32 s13, 0x3fe45f30
	;; [unrolled: 1-line block ×3, first 2 shown]
	v_mul_f64 v[12:13], |v[6:7]|, s[12:13]
	s_mov_b32 s12, 0x54442d18
	s_mov_b32 s13, 0xbff921fb
	;; [unrolled: 1-line block ×3, first 2 shown]
	v_rndne_f64_e32 v[17:18], v[12:13]
	v_fma_f64 v[12:13], v[17:18], s[12:13], |v[6:7]|
	v_mul_f64 v[14:15], v[17:18], s[14:15]
	s_mov_b32 s12, 0x252049c0
	s_mov_b32 s13, 0xb97b839a
	v_fma_f64 v[21:22], v[17:18], s[14:15], v[12:13]
	v_add_f64 v[19:20], v[12:13], v[14:15]
	s_mov_b32 s15, 0x3c91a626
	v_add_f64 v[12:13], v[12:13], -v[19:20]
	v_add_f64 v[19:20], v[19:20], -v[21:22]
	v_add_f64 v[12:13], v[12:13], v[14:15]
	v_fma_f64 v[14:15], v[17:18], s[14:15], v[14:15]
	v_add_f64 v[12:13], v[19:20], v[12:13]
	v_add_f64 v[12:13], v[12:13], -v[14:15]
	v_fma_f64 v[14:15], v[17:18], s[12:13], v[12:13]
	v_cvt_i32_f64_e32 v17, v[17:18]
	v_add_f64 v[12:13], v[21:22], v[14:15]
	v_add_f64 v[19:20], v[12:13], -v[21:22]
	v_add_f64 v[14:15], v[14:15], -v[19:20]
.LBB1_7:
	s_or_b32 exec_lo, exec_lo, s4
	v_mul_f64 v[18:19], v[12:13], v[12:13]
	v_add_f64 v[20:21], v[14:15], v[14:15]
	s_mov_b32 s12, 0xa9a29f71
	s_mov_b32 s14, 0xc751c08c
	s_mov_b32 s13, 0xbf078809
	s_mov_b32 s15, 0x3ef5e089
	v_cmp_class_f64_e64 s4, v[6:7], 0x1f8
	v_and_b32_e32 v17, 1, v17
	v_and_b32_e32 v7, 0x80000000, v7
	v_add_f64 v[8:9], -v[8:9], 1.0
	s_mov_b32 s5, exec_lo
	v_cmp_eq_u32_e32 vcc_lo, 0, v17
	v_fma_f64 v[22:23], v[12:13], v[12:13], -v[18:19]
	v_fma_f64 v[20:21], v[12:13], v[20:21], v[22:23]
	v_add_f64 v[18:19], v[18:19], v[20:21]
	v_fma_f64 v[20:21], v[18:19], s[14:15], s[12:13]
	s_mov_b32 s12, 0x90a8aae0
	s_mov_b32 s13, 0x3f17746f
	v_fma_f64 v[20:21], v[18:19], v[20:21], s[12:13]
	s_mov_b32 s12, 0xa6fbf144
	s_mov_b32 s13, 0xbefbb44d
	;; [unrolled: 3-line block ×13, first 2 shown]
	v_mul_f64 v[18:19], v[18:19], v[20:21]
	v_mul_f64 v[20:21], v[12:13], v[18:19]
	v_add_f64 v[22:23], v[12:13], v[20:21]
	v_fma_f64 v[18:19], v[12:13], v[18:19], -v[20:21]
	v_add_f64 v[12:13], v[22:23], -v[12:13]
	v_add_f64 v[14:15], v[14:15], v[18:19]
	v_add_f64 v[12:13], v[20:21], -v[12:13]
	v_add_f64 v[12:13], v[14:15], v[12:13]
	v_add_f64 v[14:15], v[22:23], v[12:13]
	v_rcp_f64_e32 v[18:19], v[14:15]
	v_fma_f64 v[20:21], -v[14:15], v[18:19], 1.0
	v_fma_f64 v[18:19], v[20:21], v[18:19], v[18:19]
	v_fma_f64 v[20:21], -v[14:15], v[18:19], 1.0
	v_fma_f64 v[18:19], v[20:21], v[18:19], v[18:19]
	v_add_f64 v[20:21], v[14:15], -v[22:23]
	v_mul_f64 v[22:23], v[14:15], v[18:19]
	v_add_f64 v[12:13], v[12:13], -v[20:21]
	v_fma_f64 v[20:21], v[18:19], v[14:15], -v[22:23]
	v_fma_f64 v[12:13], v[18:19], v[12:13], v[20:21]
	v_add_f64 v[20:21], v[22:23], v[12:13]
	v_add_f64 v[24:25], -v[20:21], 1.0
	v_add_f64 v[22:23], v[20:21], -v[22:23]
	v_add_f64 v[26:27], -v[24:25], 1.0
	v_add_f64 v[12:13], v[22:23], -v[12:13]
	v_add_f64 v[20:21], v[26:27], -v[20:21]
	v_add_f64 v[12:13], v[12:13], v[20:21]
	v_add_f64 v[12:13], v[24:25], v[12:13]
	v_mul_f64 v[12:13], v[18:19], v[12:13]
	v_add_f64 v[12:13], v[18:19], v[12:13]
	v_xor_b32_e32 v6, 0x80000000, v13
	v_cndmask_b32_e32 v12, v12, v14, vcc_lo
	v_cndmask_b32_e32 v6, v6, v15, vcc_lo
	v_xor_b32_e32 v7, v6, v7
	v_cndmask_b32_e64 v6, 0, v12, s4
	v_cndmask_b32_e64 v7, 0x7ff80000, v7, s4
	v_div_scale_f64 v[12:13], null, v[6:7], v[6:7], s[12:13]
	v_div_scale_f64 v[19:20], vcc_lo, s[12:13], v[6:7], s[12:13]
	v_rcp_f64_e32 v[14:15], v[12:13]
	v_fma_f64 v[17:18], -v[12:13], v[14:15], 1.0
	v_fma_f64 v[14:15], v[14:15], v[17:18], v[14:15]
	v_fma_f64 v[17:18], -v[12:13], v[14:15], 1.0
	v_fma_f64 v[14:15], v[14:15], v[17:18], v[14:15]
	v_mul_f64 v[17:18], v[19:20], v[14:15]
	v_fma_f64 v[12:13], -v[12:13], v[17:18], v[19:20]
	v_div_fmas_f64 v[12:13], v[12:13], v[14:15], v[17:18]
	v_div_fixup_f64 v[12:13], v[12:13], v[6:7], s[12:13]
.LBB1_8:
	s_or_b32 exec_lo, exec_lo, s10
	s_orn2_b32 s5, s5, exec_lo
.LBB1_9:
	s_or_b32 exec_lo, exec_lo, s9
	v_mov_b32_e32 v6, 0
	v_mov_b32_e32 v7, 0x7ff80000
	s_and_saveexec_b32 s4, s5
	s_cbranch_execz .LBB1_21
; %bb.10:
	s_mov_b32 s5, exec_lo
	v_cmpx_gt_f64_e32 0x40240000, v[8:9]
	s_cbranch_execz .LBB1_14
; %bb.11:
	s_mov_b32 s9, 0
	.p2align	6
.LBB1_12:                               ; =>This Inner Loop Header: Depth=1
	v_div_scale_f64 v[6:7], null, v[8:9], v[8:9], 1.0
	v_div_scale_f64 v[19:20], vcc_lo, 1.0, v[8:9], 1.0
	v_rcp_f64_e32 v[14:15], v[6:7]
	v_fma_f64 v[17:18], -v[6:7], v[14:15], 1.0
	v_fma_f64 v[14:15], v[14:15], v[17:18], v[14:15]
	v_fma_f64 v[17:18], -v[6:7], v[14:15], 1.0
	v_fma_f64 v[14:15], v[14:15], v[17:18], v[14:15]
	v_mul_f64 v[17:18], v[19:20], v[14:15]
	v_fma_f64 v[6:7], -v[6:7], v[17:18], v[19:20]
	v_div_fmas_f64 v[6:7], v[6:7], v[14:15], v[17:18]
	v_div_fixup_f64 v[6:7], v[6:7], v[8:9], 1.0
	v_add_f64 v[8:9], v[8:9], 1.0
	v_add_f64 v[12:13], v[12:13], -v[6:7]
	v_cmp_ngt_f64_e32 vcc_lo, 0x40240000, v[8:9]
	s_or_b32 s9, vcc_lo, s9
	s_andn2_b32 exec_lo, exec_lo, s9
	s_cbranch_execnz .LBB1_12
; %bb.13:
	s_or_b32 exec_lo, exec_lo, s9
.LBB1_14:
	s_or_b32 exec_lo, exec_lo, s5
	s_mov_b32 s5, exec_lo
                                        ; implicit-def: $vgpr6_vgpr7
	v_cmpx_neq_f64_e32 0x40240000, v[8:9]
	s_xor_b32 s5, exec_lo, s5
	s_cbranch_execz .LBB1_18
; %bb.15:
	v_mov_b32_e32 v6, 0
	v_mov_b32_e32 v7, 0
	s_mov_b32 s10, 0x85d8a000
	s_mov_b32 s11, 0x43763457
	s_mov_b32 s9, exec_lo
	v_cmpx_gt_f64_e32 s[10:11], v[8:9]
	s_cbranch_execz .LBB1_17
; %bb.16:
	v_mul_f64 v[6:7], v[8:9], v[8:9]
	s_mov_b32 s10, 0x55555555
	s_mov_b32 s11, 0x3fb55555
	;; [unrolled: 1-line block ×6, first 2 shown]
	v_div_scale_f64 v[14:15], null, v[6:7], v[6:7], 1.0
	v_rcp_f64_e32 v[17:18], v[14:15]
	v_fma_f64 v[19:20], -v[14:15], v[17:18], 1.0
	v_fma_f64 v[17:18], v[17:18], v[19:20], v[17:18]
	v_fma_f64 v[19:20], -v[14:15], v[17:18], 1.0
	v_fma_f64 v[17:18], v[17:18], v[19:20], v[17:18]
	v_div_scale_f64 v[19:20], vcc_lo, 1.0, v[6:7], 1.0
	v_mul_f64 v[21:22], v[19:20], v[17:18]
	v_fma_f64 v[14:15], -v[14:15], v[21:22], v[19:20]
	v_div_fmas_f64 v[14:15], v[14:15], v[17:18], v[21:22]
	v_div_fixup_f64 v[6:7], v[14:15], v[6:7], 1.0
	v_fma_f64 v[14:15], v[6:7], 0, s[10:11]
	v_fma_f64 v[14:15], v[6:7], v[14:15], s[12:13]
	s_mov_b32 s12, 0xf07c1f08
	s_mov_b32 s13, 0x3f7f07c1
	v_fma_f64 v[14:15], v[6:7], v[14:15], s[12:13]
	s_mov_b32 s13, 0xbf711111
	s_mov_b32 s12, 0x11111111
	v_fma_f64 v[14:15], v[6:7], v[14:15], s[12:13]
	s_mov_b32 s13, 0xbf811111
	v_fma_f64 v[14:15], v[6:7], v[14:15], s[14:15]
	v_fma_f64 v[14:15], v[6:7], v[14:15], s[12:13]
	v_fma_f64 v[14:15], v[6:7], v[14:15], s[10:11]
	v_mul_f64 v[6:7], v[6:7], v[14:15]
.LBB1_17:
	s_or_b32 exec_lo, exec_lo, s9
	v_frexp_mant_f64_e32 v[14:15], v[8:9]
	s_mov_b32 s11, 0x3fe55555
	s_mov_b32 s10, 0x55555555
	;; [unrolled: 1-line block ×6, first 2 shown]
	v_div_scale_f64 v[31:32], null, v[8:9], v[8:9], -0.5
	v_cmp_gt_f64_e32 vcc_lo, s[10:11], v[14:15]
	s_mov_b32 s10, 0x55555780
	v_rcp_f64_e32 v[35:36], v[31:32]
	v_cndmask_b32_e64 v17, 0, 1, vcc_lo
	v_ldexp_f64 v[14:15], v[14:15], v17
	v_add_f64 v[17:18], v[14:15], 1.0
	v_add_f64 v[23:24], v[14:15], -1.0
	v_rcp_f64_e32 v[19:20], v[17:18]
	v_add_f64 v[25:26], v[17:18], -1.0
	v_add_f64 v[14:15], v[14:15], -v[25:26]
	v_fma_f64 v[21:22], -v[17:18], v[19:20], 1.0
	v_fma_f64 v[19:20], v[21:22], v[19:20], v[19:20]
	v_fma_f64 v[21:22], -v[17:18], v[19:20], 1.0
	v_fma_f64 v[19:20], v[21:22], v[19:20], v[19:20]
	v_mul_f64 v[21:22], v[23:24], v[19:20]
	v_mul_f64 v[27:28], v[17:18], v[21:22]
	v_fma_f64 v[17:18], v[21:22], v[17:18], -v[27:28]
	v_fma_f64 v[14:15], v[21:22], v[14:15], v[17:18]
	v_add_f64 v[17:18], v[27:28], v[14:15]
	v_add_f64 v[25:26], v[23:24], -v[17:18]
	v_add_f64 v[27:28], v[17:18], -v[27:28]
	;; [unrolled: 1-line block ×4, first 2 shown]
	v_frexp_exp_i32_f64_e32 v27, v[8:9]
	v_add_f64 v[17:18], v[23:24], -v[17:18]
	v_add_f64 v[14:15], v[14:15], v[17:18]
	v_add_f64 v[14:15], v[25:26], v[14:15]
	v_mul_f64 v[14:15], v[19:20], v[14:15]
	v_add_f64 v[17:18], v[21:22], v[14:15]
	v_mul_f64 v[19:20], v[17:18], v[17:18]
	v_fma_f64 v[23:24], v[19:20], s[14:15], s[12:13]
	s_mov_b32 s12, 0xd7f4df2e
	s_mov_b32 s13, 0x3fc7474d
	v_mul_f64 v[25:26], v[17:18], v[19:20]
	v_fma_f64 v[23:24], v[19:20], v[23:24], s[12:13]
	s_mov_b32 s12, 0x16291751
	s_mov_b32 s13, 0x3fcc71c0
	v_fma_f64 v[23:24], v[19:20], v[23:24], s[12:13]
	s_mov_b32 s12, 0x9b27acf1
	s_mov_b32 s13, 0x3fd24924
	;; [unrolled: 3-line block ×3, first 2 shown]
	v_fma_f64 v[23:24], v[19:20], v[23:24], s[12:13]
	v_fma_f64 v[19:20], v[19:20], v[23:24], s[10:11]
	v_ldexp_f64 v[23:24], v[17:18], 1
	v_add_f64 v[17:18], v[17:18], -v[21:22]
	s_mov_b32 s10, 0xfefa39ef
	s_mov_b32 s11, 0x3fe62e42
	v_mul_f64 v[19:20], v[25:26], v[19:20]
	v_subrev_co_ci_u32_e64 v25, null, 0, v27, vcc_lo
	v_add_f64 v[14:15], v[14:15], -v[17:18]
	v_cvt_f64_i32_e32 v[25:26], v25
	v_add_f64 v[21:22], v[23:24], v[19:20]
	v_ldexp_f64 v[14:15], v[14:15], 1
	v_mul_f64 v[27:28], v[25:26], s[10:11]
	v_add_f64 v[17:18], v[21:22], -v[23:24]
	v_fma_f64 v[23:24], v[25:26], s[10:11], -v[27:28]
	s_mov_b32 s10, 0x3b39803f
	s_mov_b32 s11, 0x3c7abc9e
	v_add_f64 v[17:18], v[19:20], -v[17:18]
	v_fma_f64 v[19:20], v[25:26], s[10:11], v[23:24]
	v_add_f64 v[14:15], v[14:15], v[17:18]
	v_add_f64 v[17:18], v[27:28], v[19:20]
	;; [unrolled: 1-line block ×3, first 2 shown]
	v_add_f64 v[27:28], v[17:18], -v[27:28]
	v_add_f64 v[25:26], v[17:18], v[23:24]
	v_add_f64 v[21:22], v[23:24], -v[21:22]
	v_add_f64 v[19:20], v[19:20], -v[27:28]
	;; [unrolled: 1-line block ×6, first 2 shown]
	v_fma_f64 v[23:24], -v[31:32], v[35:36], 1.0
	v_add_f64 v[27:28], v[19:20], v[14:15]
	v_add_f64 v[17:18], v[17:18], -v[33:34]
	v_add_f64 v[17:18], v[21:22], v[17:18]
	v_fma_f64 v[21:22], v[35:36], v[23:24], v[35:36]
	v_add_f64 v[23:24], v[27:28], -v[19:20]
	v_div_scale_f64 v[35:36], vcc_lo, -0.5, v[8:9], -0.5
	v_add_f64 v[17:18], v[27:28], v[17:18]
	v_fma_f64 v[29:30], -v[31:32], v[21:22], 1.0
	v_add_f64 v[27:28], v[27:28], -v[23:24]
	v_add_f64 v[14:15], v[14:15], -v[23:24]
	v_add_f64 v[33:34], v[25:26], v[17:18]
	v_fma_f64 v[21:22], v[21:22], v[29:30], v[21:22]
	v_add_f64 v[19:20], v[19:20], -v[27:28]
	v_add_f64 v[23:24], v[33:34], -v[25:26]
	v_mul_f64 v[25:26], v[35:36], v[21:22]
	v_add_f64 v[14:15], v[14:15], v[19:20]
	v_add_f64 v[17:18], v[17:18], -v[23:24]
	v_fma_f64 v[19:20], -v[31:32], v[25:26], v[35:36]
	v_add_f64 v[14:15], v[14:15], v[17:18]
	v_div_fmas_f64 v[17:18], v[19:20], v[21:22], v[25:26]
	v_cmp_class_f64_e64 vcc_lo, v[8:9], 0x204
	v_add_f64 v[14:15], v[33:34], v[14:15]
	v_div_fixup_f64 v[17:18], v[17:18], v[8:9], -0.5
	v_cndmask_b32_e32 v9, v15, v9, vcc_lo
	v_cndmask_b32_e32 v8, v14, v8, vcc_lo
	v_add_f64 v[8:9], v[8:9], v[17:18]
	v_add_f64 v[6:7], v[8:9], -v[6:7]
	v_add_f64 v[6:7], v[12:13], v[6:7]
                                        ; implicit-def: $vgpr12_vgpr13
.LBB1_18:
	s_andn2_saveexec_b32 s5, s5
; %bb.19:
	s_mov_b32 s10, 0xdc85cc95
	s_mov_b32 s11, 0x40020396
	v_add_f64 v[6:7], v[12:13], s[10:11]
; %bb.20:
	s_or_b32 exec_lo, exec_lo, s5
.LBB1_21:
	s_or_b32 exec_lo, exec_lo, s4
.LBB1_22:
	s_andn2_saveexec_b32 s4, s8
; %bb.23:
	v_xor_b32_e32 v6, 0x80000000, v9
	s_mov_b32 s5, 0x7ff00000
	v_bfi_b32 v7, 0x7fffffff, s5, v6
	v_mov_b32_e32 v6, 0
; %bb.24:
	s_or_b32 exec_lo, exec_lo, s4
	s_mov_b32 s4, exec_lo
	v_cmpx_neq_f64_e32 0, v[10:11]
	s_xor_b32 s8, exec_lo, s4
	s_cbranch_execz .LBB1_46
; %bb.25:
	v_mov_b32_e32 v12, 0
	v_mov_b32_e32 v13, 0
	s_mov_b32 s5, -1
	s_mov_b32 s9, exec_lo
	v_cmpx_gt_f64_e32 0, v[10:11]
	s_cbranch_execz .LBB1_33
; %bb.26:
	v_trunc_f64_e32 v[8:9], v[10:11]
	v_mov_b32_e32 v12, 0
	v_mov_b32_e32 v13, 0
	s_mov_b32 s5, 0
	s_mov_b32 s10, exec_lo
	v_cmpx_neq_f64_e32 v[10:11], v[8:9]
	s_cbranch_execz .LBB1_32
; %bb.27:
	v_add_f64 v[8:9], v[10:11], -v[8:9]
	s_mov_b32 s5, 0xc00921fb
	s_mov_b32 s4, 0x54442d18
	v_cmp_neq_f64_e64 vcc_lo, 0x7ff00000, |v[10:11]|
	s_mov_b32 s11, exec_lo
                                        ; implicit-def: $vgpr17
                                        ; implicit-def: $vgpr12_vgpr13
                                        ; implicit-def: $vgpr14_vgpr15
	v_mul_f64 v[8:9], |v[8:9]|, s[4:5]
	v_cndmask_b32_e32 v9, 0x80000000, v9, vcc_lo
	v_cndmask_b32_e32 v8, 0, v8, vcc_lo
	v_cmpx_ngt_f64_e64 0x41d00000, |v[8:9]|
	s_xor_b32 s11, exec_lo, s11
	s_cbranch_execz .LBB1_29
; %bb.28:
	v_ldexp_f64 v[12:13], |v[8:9]|, 0xffffff80
	v_cmp_le_f64_e64 vcc_lo, 0x7b000000, |v[8:9]|
	v_trig_preop_f64 v[14:15], |v[8:9]|, 0
	v_and_b32_e32 v17, 0x7fffffff, v9
	v_trig_preop_f64 v[27:28], |v[8:9]|, 2
	v_mov_b32_e32 v35, 0
	s_mov_b32 s5, 0x3ff921fb
	s_mov_b32 s12, 0x33145c07
	;; [unrolled: 1-line block ×3, first 2 shown]
	v_cndmask_b32_e32 v13, v17, v13, vcc_lo
	v_cndmask_b32_e32 v12, v8, v12, vcc_lo
	v_trig_preop_f64 v[17:18], |v[8:9]|, 1
	v_mul_f64 v[19:20], v[14:15], v[12:13]
	v_mul_f64 v[33:34], v[27:28], v[12:13]
	;; [unrolled: 1-line block ×3, first 2 shown]
	v_fma_f64 v[14:15], v[14:15], v[12:13], -v[19:20]
	v_fma_f64 v[17:18], v[17:18], v[12:13], -v[21:22]
	;; [unrolled: 1-line block ×3, first 2 shown]
	v_add_f64 v[23:24], v[21:22], v[14:15]
	v_add_f64 v[25:26], v[23:24], -v[21:22]
	v_add_f64 v[31:32], v[19:20], v[23:24]
	v_add_f64 v[29:30], v[23:24], -v[25:26]
	v_add_f64 v[14:15], v[14:15], -v[25:26]
	v_ldexp_f64 v[25:26], v[31:32], -2
	v_add_f64 v[19:20], v[31:32], -v[19:20]
	v_add_f64 v[21:22], v[21:22], -v[29:30]
	v_add_f64 v[29:30], v[33:34], v[17:18]
	v_cmp_neq_f64_e64 vcc_lo, 0x7ff00000, |v[25:26]|
	v_add_f64 v[19:20], v[23:24], -v[19:20]
	v_add_f64 v[14:15], v[14:15], v[21:22]
	v_fract_f64_e32 v[21:22], v[25:26]
	v_add_f64 v[23:24], v[29:30], v[14:15]
	v_ldexp_f64 v[21:22], v[21:22], 2
	v_add_f64 v[25:26], v[19:20], v[23:24]
	v_cndmask_b32_e32 v22, 0, v22, vcc_lo
	v_cndmask_b32_e32 v21, 0, v21, vcc_lo
	v_add_f64 v[31:32], v[25:26], v[21:22]
	v_add_f64 v[19:20], v[25:26], -v[19:20]
	v_cmp_gt_f64_e32 vcc_lo, 0, v[31:32]
	v_add_f64 v[31:32], v[29:30], -v[33:34]
	v_cndmask_b32_e64 v36, 0, 0x40100000, vcc_lo
	v_add_f64 v[48:49], v[29:30], -v[31:32]
	v_add_f64 v[17:18], v[17:18], -v[31:32]
	v_add_f64 v[21:22], v[21:22], v[35:36]
	v_add_f64 v[36:37], v[23:24], -v[29:30]
	v_add_f64 v[31:32], v[33:34], -v[48:49]
	v_add_f64 v[38:39], v[25:26], v[21:22]
	;; [unrolled: 3-line block ×3, first 2 shown]
	v_cvt_i32_f64_e32 v38, v[38:39]
	v_add_f64 v[29:30], v[29:30], -v[50:51]
	v_cvt_f64_i32_e32 v[36:37], v38
	v_add_f64 v[14:15], v[14:15], v[29:30]
	v_add_f64 v[21:22], v[21:22], -v[36:37]
	v_add_f64 v[14:15], v[17:18], v[14:15]
	v_add_f64 v[17:18], v[23:24], -v[19:20]
	v_add_f64 v[27:28], v[25:26], v[21:22]
	v_add_f64 v[12:13], v[12:13], v[14:15]
	v_add_f64 v[14:15], v[27:28], -v[21:22]
	v_cmp_le_f64_e32 vcc_lo, 0.5, v[27:28]
	v_add_f64 v[12:13], v[17:18], v[12:13]
	v_add_f64 v[14:15], v[25:26], -v[14:15]
	v_cndmask_b32_e64 v36, 0, 0x3ff00000, vcc_lo
	v_add_co_ci_u32_e64 v17, null, 0, v38, vcc_lo
	v_add_f64 v[12:13], v[12:13], v[14:15]
	v_add_f64 v[14:15], v[27:28], -v[35:36]
	v_add_f64 v[18:19], v[14:15], v[12:13]
	v_mul_f64 v[20:21], v[18:19], s[4:5]
	v_add_f64 v[14:15], v[18:19], -v[14:15]
	v_fma_f64 v[22:23], v[18:19], s[4:5], -v[20:21]
	v_add_f64 v[12:13], v[12:13], -v[14:15]
	v_fma_f64 v[14:15], v[18:19], s[12:13], v[22:23]
	v_fma_f64 v[14:15], v[12:13], s[4:5], v[14:15]
	v_add_f64 v[12:13], v[20:21], v[14:15]
	v_add_f64 v[18:19], v[12:13], -v[20:21]
	v_add_f64 v[14:15], v[14:15], -v[18:19]
.LBB1_29:
	s_andn2_saveexec_b32 s4, s11
	s_cbranch_execz .LBB1_31
; %bb.30:
	s_mov_b32 s12, 0x6dc9c883
	s_mov_b32 s13, 0x3fe45f30
	;; [unrolled: 1-line block ×3, first 2 shown]
	v_mul_f64 v[12:13], |v[8:9]|, s[12:13]
	s_mov_b32 s12, 0x54442d18
	s_mov_b32 s13, 0xbff921fb
	;; [unrolled: 1-line block ×3, first 2 shown]
	v_rndne_f64_e32 v[17:18], v[12:13]
	v_fma_f64 v[12:13], v[17:18], s[12:13], |v[8:9]|
	v_mul_f64 v[14:15], v[17:18], s[14:15]
	s_mov_b32 s12, 0x252049c0
	s_mov_b32 s13, 0xb97b839a
	v_fma_f64 v[21:22], v[17:18], s[14:15], v[12:13]
	v_add_f64 v[19:20], v[12:13], v[14:15]
	s_mov_b32 s15, 0x3c91a626
	v_add_f64 v[12:13], v[12:13], -v[19:20]
	v_add_f64 v[19:20], v[19:20], -v[21:22]
	v_add_f64 v[12:13], v[12:13], v[14:15]
	v_fma_f64 v[14:15], v[17:18], s[14:15], v[14:15]
	v_add_f64 v[12:13], v[19:20], v[12:13]
	v_add_f64 v[12:13], v[12:13], -v[14:15]
	v_fma_f64 v[14:15], v[17:18], s[12:13], v[12:13]
	v_cvt_i32_f64_e32 v17, v[17:18]
	v_add_f64 v[12:13], v[21:22], v[14:15]
	v_add_f64 v[19:20], v[12:13], -v[21:22]
	v_add_f64 v[14:15], v[14:15], -v[19:20]
.LBB1_31:
	s_or_b32 exec_lo, exec_lo, s4
	v_mul_f64 v[18:19], v[12:13], v[12:13]
	v_add_f64 v[20:21], v[14:15], v[14:15]
	s_mov_b32 s12, 0xa9a29f71
	s_mov_b32 s14, 0xc751c08c
	;; [unrolled: 1-line block ×4, first 2 shown]
	v_cmp_class_f64_e64 s4, v[8:9], 0x1f8
	v_and_b32_e32 v17, 1, v17
	v_and_b32_e32 v9, 0x80000000, v9
	v_add_f64 v[10:11], -v[10:11], 1.0
	s_mov_b32 s5, exec_lo
	v_cmp_eq_u32_e32 vcc_lo, 0, v17
	v_fma_f64 v[22:23], v[12:13], v[12:13], -v[18:19]
	v_fma_f64 v[20:21], v[12:13], v[20:21], v[22:23]
	v_add_f64 v[18:19], v[18:19], v[20:21]
	v_fma_f64 v[20:21], v[18:19], s[14:15], s[12:13]
	s_mov_b32 s12, 0x90a8aae0
	s_mov_b32 s13, 0x3f17746f
	v_fma_f64 v[20:21], v[18:19], v[20:21], s[12:13]
	s_mov_b32 s12, 0xa6fbf144
	s_mov_b32 s13, 0xbefbb44d
	;; [unrolled: 3-line block ×13, first 2 shown]
	v_mul_f64 v[18:19], v[18:19], v[20:21]
	v_mul_f64 v[20:21], v[12:13], v[18:19]
	v_add_f64 v[22:23], v[12:13], v[20:21]
	v_fma_f64 v[18:19], v[12:13], v[18:19], -v[20:21]
	v_add_f64 v[12:13], v[22:23], -v[12:13]
	v_add_f64 v[14:15], v[14:15], v[18:19]
	v_add_f64 v[12:13], v[20:21], -v[12:13]
	v_add_f64 v[12:13], v[14:15], v[12:13]
	v_add_f64 v[14:15], v[22:23], v[12:13]
	v_rcp_f64_e32 v[18:19], v[14:15]
	v_fma_f64 v[20:21], -v[14:15], v[18:19], 1.0
	v_fma_f64 v[18:19], v[20:21], v[18:19], v[18:19]
	v_fma_f64 v[20:21], -v[14:15], v[18:19], 1.0
	v_fma_f64 v[18:19], v[20:21], v[18:19], v[18:19]
	v_add_f64 v[20:21], v[14:15], -v[22:23]
	v_mul_f64 v[22:23], v[14:15], v[18:19]
	v_add_f64 v[12:13], v[12:13], -v[20:21]
	v_fma_f64 v[20:21], v[18:19], v[14:15], -v[22:23]
	v_fma_f64 v[12:13], v[18:19], v[12:13], v[20:21]
	v_add_f64 v[20:21], v[22:23], v[12:13]
	v_add_f64 v[24:25], -v[20:21], 1.0
	v_add_f64 v[22:23], v[20:21], -v[22:23]
	v_add_f64 v[26:27], -v[24:25], 1.0
	v_add_f64 v[12:13], v[22:23], -v[12:13]
	v_add_f64 v[20:21], v[26:27], -v[20:21]
	v_add_f64 v[12:13], v[12:13], v[20:21]
	v_add_f64 v[12:13], v[24:25], v[12:13]
	v_mul_f64 v[12:13], v[18:19], v[12:13]
	v_add_f64 v[12:13], v[18:19], v[12:13]
	v_xor_b32_e32 v8, 0x80000000, v13
	v_cndmask_b32_e32 v12, v12, v14, vcc_lo
	v_cndmask_b32_e32 v8, v8, v15, vcc_lo
	v_xor_b32_e32 v9, v8, v9
	v_cndmask_b32_e64 v8, 0, v12, s4
	v_cndmask_b32_e64 v9, 0x7ff80000, v9, s4
	v_div_scale_f64 v[12:13], null, v[8:9], v[8:9], s[12:13]
	v_div_scale_f64 v[19:20], vcc_lo, s[12:13], v[8:9], s[12:13]
	v_rcp_f64_e32 v[14:15], v[12:13]
	v_fma_f64 v[17:18], -v[12:13], v[14:15], 1.0
	v_fma_f64 v[14:15], v[14:15], v[17:18], v[14:15]
	v_fma_f64 v[17:18], -v[12:13], v[14:15], 1.0
	v_fma_f64 v[14:15], v[14:15], v[17:18], v[14:15]
	v_mul_f64 v[17:18], v[19:20], v[14:15]
	v_fma_f64 v[12:13], -v[12:13], v[17:18], v[19:20]
	v_div_fmas_f64 v[12:13], v[12:13], v[14:15], v[17:18]
	v_div_fixup_f64 v[12:13], v[12:13], v[8:9], s[12:13]
.LBB1_32:
	s_or_b32 exec_lo, exec_lo, s10
	s_orn2_b32 s5, s5, exec_lo
.LBB1_33:
	s_or_b32 exec_lo, exec_lo, s9
	v_mov_b32_e32 v8, 0
	v_mov_b32_e32 v9, 0x7ff80000
	s_and_saveexec_b32 s4, s5
	s_cbranch_execz .LBB1_45
; %bb.34:
	s_mov_b32 s5, exec_lo
	v_cmpx_gt_f64_e32 0x40240000, v[10:11]
	s_cbranch_execz .LBB1_38
; %bb.35:
	s_mov_b32 s9, 0
	.p2align	6
.LBB1_36:                               ; =>This Inner Loop Header: Depth=1
	v_div_scale_f64 v[8:9], null, v[10:11], v[10:11], 1.0
	v_div_scale_f64 v[19:20], vcc_lo, 1.0, v[10:11], 1.0
	v_rcp_f64_e32 v[14:15], v[8:9]
	v_fma_f64 v[17:18], -v[8:9], v[14:15], 1.0
	v_fma_f64 v[14:15], v[14:15], v[17:18], v[14:15]
	v_fma_f64 v[17:18], -v[8:9], v[14:15], 1.0
	v_fma_f64 v[14:15], v[14:15], v[17:18], v[14:15]
	v_mul_f64 v[17:18], v[19:20], v[14:15]
	v_fma_f64 v[8:9], -v[8:9], v[17:18], v[19:20]
	v_div_fmas_f64 v[8:9], v[8:9], v[14:15], v[17:18]
	v_div_fixup_f64 v[8:9], v[8:9], v[10:11], 1.0
	v_add_f64 v[10:11], v[10:11], 1.0
	v_add_f64 v[12:13], v[12:13], -v[8:9]
	v_cmp_ngt_f64_e32 vcc_lo, 0x40240000, v[10:11]
	s_or_b32 s9, vcc_lo, s9
	s_andn2_b32 exec_lo, exec_lo, s9
	s_cbranch_execnz .LBB1_36
; %bb.37:
	s_or_b32 exec_lo, exec_lo, s9
.LBB1_38:
	s_or_b32 exec_lo, exec_lo, s5
	s_mov_b32 s5, exec_lo
	v_cmpx_neq_f64_e32 0x40240000, v[10:11]
	s_xor_b32 s5, exec_lo, s5
	s_cbranch_execz .LBB1_42
; %bb.39:
	v_mov_b32_e32 v8, 0
	v_mov_b32_e32 v9, 0
	s_mov_b32 s10, 0x85d8a000
	s_mov_b32 s11, 0x43763457
	s_mov_b32 s9, exec_lo
	v_cmpx_gt_f64_e32 s[10:11], v[10:11]
	s_cbranch_execz .LBB1_41
; %bb.40:
	v_mul_f64 v[8:9], v[10:11], v[10:11]
	s_mov_b32 s10, 0x55555555
	s_mov_b32 s11, 0x3fb55555
	;; [unrolled: 1-line block ×6, first 2 shown]
	v_div_scale_f64 v[14:15], null, v[8:9], v[8:9], 1.0
	v_rcp_f64_e32 v[17:18], v[14:15]
	v_fma_f64 v[19:20], -v[14:15], v[17:18], 1.0
	v_fma_f64 v[17:18], v[17:18], v[19:20], v[17:18]
	v_fma_f64 v[19:20], -v[14:15], v[17:18], 1.0
	v_fma_f64 v[17:18], v[17:18], v[19:20], v[17:18]
	v_div_scale_f64 v[19:20], vcc_lo, 1.0, v[8:9], 1.0
	v_mul_f64 v[21:22], v[19:20], v[17:18]
	v_fma_f64 v[14:15], -v[14:15], v[21:22], v[19:20]
	v_div_fmas_f64 v[14:15], v[14:15], v[17:18], v[21:22]
	v_div_fixup_f64 v[8:9], v[14:15], v[8:9], 1.0
	v_fma_f64 v[14:15], v[8:9], 0, s[10:11]
	v_fma_f64 v[14:15], v[8:9], v[14:15], s[12:13]
	s_mov_b32 s12, 0xf07c1f08
	s_mov_b32 s13, 0x3f7f07c1
	v_fma_f64 v[14:15], v[8:9], v[14:15], s[12:13]
	s_mov_b32 s13, 0xbf711111
	s_mov_b32 s12, 0x11111111
	v_fma_f64 v[14:15], v[8:9], v[14:15], s[12:13]
	s_mov_b32 s13, 0xbf811111
	v_fma_f64 v[14:15], v[8:9], v[14:15], s[14:15]
	v_fma_f64 v[14:15], v[8:9], v[14:15], s[12:13]
	;; [unrolled: 1-line block ×3, first 2 shown]
	v_mul_f64 v[8:9], v[8:9], v[14:15]
.LBB1_41:
	s_or_b32 exec_lo, exec_lo, s9
	v_frexp_mant_f64_e32 v[14:15], v[10:11]
	s_mov_b32 s11, 0x3fe55555
	s_mov_b32 s10, 0x55555555
	;; [unrolled: 1-line block ×6, first 2 shown]
	v_div_scale_f64 v[31:32], null, v[10:11], v[10:11], -0.5
	v_cmp_gt_f64_e32 vcc_lo, s[10:11], v[14:15]
	s_mov_b32 s10, 0x55555780
	v_rcp_f64_e32 v[35:36], v[31:32]
	v_cndmask_b32_e64 v17, 0, 1, vcc_lo
	v_ldexp_f64 v[14:15], v[14:15], v17
	v_add_f64 v[17:18], v[14:15], 1.0
	v_add_f64 v[23:24], v[14:15], -1.0
	v_rcp_f64_e32 v[19:20], v[17:18]
	v_add_f64 v[25:26], v[17:18], -1.0
	v_add_f64 v[14:15], v[14:15], -v[25:26]
	v_fma_f64 v[21:22], -v[17:18], v[19:20], 1.0
	v_fma_f64 v[19:20], v[21:22], v[19:20], v[19:20]
	v_fma_f64 v[21:22], -v[17:18], v[19:20], 1.0
	v_fma_f64 v[19:20], v[21:22], v[19:20], v[19:20]
	v_mul_f64 v[21:22], v[23:24], v[19:20]
	v_mul_f64 v[27:28], v[17:18], v[21:22]
	v_fma_f64 v[17:18], v[21:22], v[17:18], -v[27:28]
	v_fma_f64 v[14:15], v[21:22], v[14:15], v[17:18]
	v_add_f64 v[17:18], v[27:28], v[14:15]
	v_add_f64 v[25:26], v[23:24], -v[17:18]
	v_add_f64 v[27:28], v[17:18], -v[27:28]
	v_add_f64 v[23:24], v[23:24], -v[25:26]
	v_add_f64 v[14:15], v[27:28], -v[14:15]
	v_frexp_exp_i32_f64_e32 v27, v[10:11]
	v_add_f64 v[17:18], v[23:24], -v[17:18]
	v_add_f64 v[14:15], v[14:15], v[17:18]
	v_add_f64 v[14:15], v[25:26], v[14:15]
	v_mul_f64 v[14:15], v[19:20], v[14:15]
	v_add_f64 v[17:18], v[21:22], v[14:15]
	v_mul_f64 v[19:20], v[17:18], v[17:18]
	v_fma_f64 v[23:24], v[19:20], s[14:15], s[12:13]
	s_mov_b32 s12, 0xd7f4df2e
	s_mov_b32 s13, 0x3fc7474d
	v_mul_f64 v[25:26], v[17:18], v[19:20]
	v_fma_f64 v[23:24], v[19:20], v[23:24], s[12:13]
	s_mov_b32 s12, 0x16291751
	s_mov_b32 s13, 0x3fcc71c0
	v_fma_f64 v[23:24], v[19:20], v[23:24], s[12:13]
	s_mov_b32 s12, 0x9b27acf1
	s_mov_b32 s13, 0x3fd24924
	;; [unrolled: 3-line block ×3, first 2 shown]
	v_fma_f64 v[23:24], v[19:20], v[23:24], s[12:13]
	v_fma_f64 v[19:20], v[19:20], v[23:24], s[10:11]
	v_ldexp_f64 v[23:24], v[17:18], 1
	v_add_f64 v[17:18], v[17:18], -v[21:22]
	s_mov_b32 s10, 0xfefa39ef
	s_mov_b32 s11, 0x3fe62e42
	v_mul_f64 v[19:20], v[25:26], v[19:20]
	v_subrev_co_ci_u32_e64 v25, null, 0, v27, vcc_lo
	v_add_f64 v[14:15], v[14:15], -v[17:18]
	v_cvt_f64_i32_e32 v[25:26], v25
	v_add_f64 v[21:22], v[23:24], v[19:20]
	v_ldexp_f64 v[14:15], v[14:15], 1
	v_mul_f64 v[27:28], v[25:26], s[10:11]
	v_add_f64 v[17:18], v[21:22], -v[23:24]
	v_fma_f64 v[23:24], v[25:26], s[10:11], -v[27:28]
	s_mov_b32 s10, 0x3b39803f
	s_mov_b32 s11, 0x3c7abc9e
	v_add_f64 v[17:18], v[19:20], -v[17:18]
	v_fma_f64 v[19:20], v[25:26], s[10:11], v[23:24]
	v_add_f64 v[14:15], v[14:15], v[17:18]
	v_add_f64 v[17:18], v[27:28], v[19:20]
	;; [unrolled: 1-line block ×3, first 2 shown]
	v_add_f64 v[27:28], v[17:18], -v[27:28]
	v_add_f64 v[25:26], v[17:18], v[23:24]
	v_add_f64 v[21:22], v[23:24], -v[21:22]
	v_add_f64 v[19:20], v[19:20], -v[27:28]
	;; [unrolled: 1-line block ×6, first 2 shown]
	v_fma_f64 v[23:24], -v[31:32], v[35:36], 1.0
	v_add_f64 v[27:28], v[19:20], v[14:15]
	v_add_f64 v[17:18], v[17:18], -v[33:34]
	v_add_f64 v[17:18], v[21:22], v[17:18]
	v_fma_f64 v[21:22], v[35:36], v[23:24], v[35:36]
	v_add_f64 v[23:24], v[27:28], -v[19:20]
	v_div_scale_f64 v[35:36], vcc_lo, -0.5, v[10:11], -0.5
	v_add_f64 v[17:18], v[27:28], v[17:18]
	v_fma_f64 v[29:30], -v[31:32], v[21:22], 1.0
	v_add_f64 v[27:28], v[27:28], -v[23:24]
	v_add_f64 v[14:15], v[14:15], -v[23:24]
	v_add_f64 v[33:34], v[25:26], v[17:18]
	v_fma_f64 v[21:22], v[21:22], v[29:30], v[21:22]
	v_add_f64 v[19:20], v[19:20], -v[27:28]
	v_add_f64 v[23:24], v[33:34], -v[25:26]
	v_mul_f64 v[25:26], v[35:36], v[21:22]
	v_add_f64 v[14:15], v[14:15], v[19:20]
	v_add_f64 v[17:18], v[17:18], -v[23:24]
	v_fma_f64 v[19:20], -v[31:32], v[25:26], v[35:36]
	v_add_f64 v[14:15], v[14:15], v[17:18]
	v_div_fmas_f64 v[17:18], v[19:20], v[21:22], v[25:26]
	v_cmp_class_f64_e64 vcc_lo, v[10:11], 0x204
	v_add_f64 v[14:15], v[33:34], v[14:15]
	v_div_fixup_f64 v[17:18], v[17:18], v[10:11], -0.5
	v_cndmask_b32_e32 v11, v15, v11, vcc_lo
	v_cndmask_b32_e32 v10, v14, v10, vcc_lo
	v_add_f64 v[10:11], v[10:11], v[17:18]
	v_add_f64 v[8:9], v[10:11], -v[8:9]
	v_add_f64 v[8:9], v[12:13], v[8:9]
                                        ; implicit-def: $vgpr12_vgpr13
.LBB1_42:
	s_andn2_saveexec_b32 s5, s5
; %bb.43:
	s_mov_b32 s10, 0xdc85cc95
	s_mov_b32 s11, 0x40020396
	v_add_f64 v[8:9], v[12:13], s[10:11]
; %bb.44:
	s_or_b32 exec_lo, exec_lo, s5
.LBB1_45:
	s_or_b32 exec_lo, exec_lo, s4
                                        ; implicit-def: $vgpr10_vgpr11
.LBB1_46:
	s_andn2_saveexec_b32 s4, s8
; %bb.47:
	v_xor_b32_e32 v8, 0x80000000, v11
	s_mov_b32 s5, 0x7ff00000
	v_bfi_b32 v9, 0x7fffffff, s5, v8
	v_mov_b32_e32 v8, 0
; %bb.48:
	s_or_b32 exec_lo, exec_lo, s4
                                        ; implicit-def: $vgpr10_vgpr11
	s_mov_b32 s4, exec_lo
	s_waitcnt vmcnt(0) lgkmcnt(0)
	v_cmpx_neq_f64_e32 0, v[2:3]
	s_xor_b32 s8, exec_lo, s4
	s_cbranch_execz .LBB1_70
; %bb.49:
	v_mov_b32_e32 v12, 0
	v_mov_b32_e32 v13, 0
	s_mov_b32 s5, -1
	s_mov_b32 s9, exec_lo
	v_cmpx_gt_f64_e32 0, v[2:3]
	s_cbranch_execz .LBB1_57
; %bb.50:
	v_trunc_f64_e32 v[10:11], v[2:3]
	v_mov_b32_e32 v12, 0
	v_mov_b32_e32 v13, 0
	s_mov_b32 s5, 0
	s_mov_b32 s10, exec_lo
	v_cmpx_neq_f64_e32 v[2:3], v[10:11]
	s_cbranch_execz .LBB1_56
; %bb.51:
	v_add_f64 v[10:11], v[2:3], -v[10:11]
	s_mov_b32 s5, 0xc00921fb
	s_mov_b32 s4, 0x54442d18
	v_cmp_neq_f64_e64 vcc_lo, 0x7ff00000, |v[2:3]|
	s_mov_b32 s11, exec_lo
                                        ; implicit-def: $vgpr17
                                        ; implicit-def: $vgpr12_vgpr13
                                        ; implicit-def: $vgpr14_vgpr15
	v_mul_f64 v[10:11], |v[10:11]|, s[4:5]
	v_cndmask_b32_e32 v11, 0x80000000, v11, vcc_lo
	v_cndmask_b32_e32 v10, 0, v10, vcc_lo
	v_cmpx_ngt_f64_e64 0x41d00000, |v[10:11]|
	s_xor_b32 s11, exec_lo, s11
	s_cbranch_execz .LBB1_53
; %bb.52:
	v_ldexp_f64 v[12:13], |v[10:11]|, 0xffffff80
	v_cmp_le_f64_e64 vcc_lo, 0x7b000000, |v[10:11]|
	v_trig_preop_f64 v[14:15], |v[10:11]|, 0
	v_and_b32_e32 v17, 0x7fffffff, v11
	v_trig_preop_f64 v[27:28], |v[10:11]|, 2
	v_mov_b32_e32 v35, 0
	s_mov_b32 s5, 0x3ff921fb
	s_mov_b32 s12, 0x33145c07
	s_mov_b32 s13, 0x3c91a626
	v_cndmask_b32_e32 v13, v17, v13, vcc_lo
	v_cndmask_b32_e32 v12, v10, v12, vcc_lo
	v_trig_preop_f64 v[17:18], |v[10:11]|, 1
	v_mul_f64 v[19:20], v[14:15], v[12:13]
	v_mul_f64 v[33:34], v[27:28], v[12:13]
	;; [unrolled: 1-line block ×3, first 2 shown]
	v_fma_f64 v[14:15], v[14:15], v[12:13], -v[19:20]
	v_fma_f64 v[17:18], v[17:18], v[12:13], -v[21:22]
	;; [unrolled: 1-line block ×3, first 2 shown]
	v_add_f64 v[23:24], v[21:22], v[14:15]
	v_add_f64 v[25:26], v[23:24], -v[21:22]
	v_add_f64 v[31:32], v[19:20], v[23:24]
	v_add_f64 v[29:30], v[23:24], -v[25:26]
	v_add_f64 v[14:15], v[14:15], -v[25:26]
	v_ldexp_f64 v[25:26], v[31:32], -2
	v_add_f64 v[19:20], v[31:32], -v[19:20]
	v_add_f64 v[21:22], v[21:22], -v[29:30]
	v_add_f64 v[29:30], v[33:34], v[17:18]
	v_cmp_neq_f64_e64 vcc_lo, 0x7ff00000, |v[25:26]|
	v_add_f64 v[19:20], v[23:24], -v[19:20]
	v_add_f64 v[14:15], v[14:15], v[21:22]
	v_fract_f64_e32 v[21:22], v[25:26]
	v_add_f64 v[23:24], v[29:30], v[14:15]
	v_ldexp_f64 v[21:22], v[21:22], 2
	v_add_f64 v[25:26], v[19:20], v[23:24]
	v_cndmask_b32_e32 v22, 0, v22, vcc_lo
	v_cndmask_b32_e32 v21, 0, v21, vcc_lo
	v_add_f64 v[31:32], v[25:26], v[21:22]
	v_add_f64 v[19:20], v[25:26], -v[19:20]
	v_cmp_gt_f64_e32 vcc_lo, 0, v[31:32]
	v_add_f64 v[31:32], v[29:30], -v[33:34]
	v_cndmask_b32_e64 v36, 0, 0x40100000, vcc_lo
	v_add_f64 v[48:49], v[29:30], -v[31:32]
	v_add_f64 v[17:18], v[17:18], -v[31:32]
	v_add_f64 v[21:22], v[21:22], v[35:36]
	v_add_f64 v[36:37], v[23:24], -v[29:30]
	v_add_f64 v[31:32], v[33:34], -v[48:49]
	v_add_f64 v[38:39], v[25:26], v[21:22]
	;; [unrolled: 3-line block ×3, first 2 shown]
	v_cvt_i32_f64_e32 v38, v[38:39]
	v_add_f64 v[29:30], v[29:30], -v[50:51]
	v_cvt_f64_i32_e32 v[36:37], v38
	v_add_f64 v[14:15], v[14:15], v[29:30]
	v_add_f64 v[21:22], v[21:22], -v[36:37]
	v_add_f64 v[14:15], v[17:18], v[14:15]
	v_add_f64 v[17:18], v[23:24], -v[19:20]
	v_add_f64 v[27:28], v[25:26], v[21:22]
	v_add_f64 v[12:13], v[12:13], v[14:15]
	v_add_f64 v[14:15], v[27:28], -v[21:22]
	v_cmp_le_f64_e32 vcc_lo, 0.5, v[27:28]
	v_add_f64 v[12:13], v[17:18], v[12:13]
	v_add_f64 v[14:15], v[25:26], -v[14:15]
	v_cndmask_b32_e64 v36, 0, 0x3ff00000, vcc_lo
	v_add_co_ci_u32_e64 v17, null, 0, v38, vcc_lo
	v_add_f64 v[12:13], v[12:13], v[14:15]
	v_add_f64 v[14:15], v[27:28], -v[35:36]
	v_add_f64 v[18:19], v[14:15], v[12:13]
	v_mul_f64 v[20:21], v[18:19], s[4:5]
	v_add_f64 v[14:15], v[18:19], -v[14:15]
	v_fma_f64 v[22:23], v[18:19], s[4:5], -v[20:21]
	v_add_f64 v[12:13], v[12:13], -v[14:15]
	v_fma_f64 v[14:15], v[18:19], s[12:13], v[22:23]
	v_fma_f64 v[14:15], v[12:13], s[4:5], v[14:15]
	v_add_f64 v[12:13], v[20:21], v[14:15]
	v_add_f64 v[18:19], v[12:13], -v[20:21]
	v_add_f64 v[14:15], v[14:15], -v[18:19]
.LBB1_53:
	s_andn2_saveexec_b32 s4, s11
	s_cbranch_execz .LBB1_55
; %bb.54:
	s_mov_b32 s12, 0x6dc9c883
	s_mov_b32 s13, 0x3fe45f30
	;; [unrolled: 1-line block ×3, first 2 shown]
	v_mul_f64 v[12:13], |v[10:11]|, s[12:13]
	s_mov_b32 s12, 0x54442d18
	s_mov_b32 s13, 0xbff921fb
	;; [unrolled: 1-line block ×3, first 2 shown]
	v_rndne_f64_e32 v[17:18], v[12:13]
	v_fma_f64 v[12:13], v[17:18], s[12:13], |v[10:11]|
	v_mul_f64 v[14:15], v[17:18], s[14:15]
	s_mov_b32 s12, 0x252049c0
	s_mov_b32 s13, 0xb97b839a
	v_fma_f64 v[21:22], v[17:18], s[14:15], v[12:13]
	v_add_f64 v[19:20], v[12:13], v[14:15]
	s_mov_b32 s15, 0x3c91a626
	v_add_f64 v[12:13], v[12:13], -v[19:20]
	v_add_f64 v[19:20], v[19:20], -v[21:22]
	v_add_f64 v[12:13], v[12:13], v[14:15]
	v_fma_f64 v[14:15], v[17:18], s[14:15], v[14:15]
	v_add_f64 v[12:13], v[19:20], v[12:13]
	v_add_f64 v[12:13], v[12:13], -v[14:15]
	v_fma_f64 v[14:15], v[17:18], s[12:13], v[12:13]
	v_cvt_i32_f64_e32 v17, v[17:18]
	v_add_f64 v[12:13], v[21:22], v[14:15]
	v_add_f64 v[19:20], v[12:13], -v[21:22]
	v_add_f64 v[14:15], v[14:15], -v[19:20]
.LBB1_55:
	s_or_b32 exec_lo, exec_lo, s4
	v_mul_f64 v[18:19], v[12:13], v[12:13]
	v_add_f64 v[20:21], v[14:15], v[14:15]
	s_mov_b32 s12, 0xa9a29f71
	s_mov_b32 s14, 0xc751c08c
	;; [unrolled: 1-line block ×4, first 2 shown]
	v_cmp_class_f64_e64 s4, v[10:11], 0x1f8
	v_and_b32_e32 v17, 1, v17
	v_and_b32_e32 v11, 0x80000000, v11
	v_add_f64 v[2:3], -v[2:3], 1.0
	s_mov_b32 s5, exec_lo
	v_cmp_eq_u32_e32 vcc_lo, 0, v17
	v_fma_f64 v[22:23], v[12:13], v[12:13], -v[18:19]
	v_fma_f64 v[20:21], v[12:13], v[20:21], v[22:23]
	v_add_f64 v[18:19], v[18:19], v[20:21]
	v_fma_f64 v[20:21], v[18:19], s[14:15], s[12:13]
	s_mov_b32 s12, 0x90a8aae0
	s_mov_b32 s13, 0x3f17746f
	v_fma_f64 v[20:21], v[18:19], v[20:21], s[12:13]
	s_mov_b32 s12, 0xa6fbf144
	s_mov_b32 s13, 0xbefbb44d
	;; [unrolled: 3-line block ×13, first 2 shown]
	v_mul_f64 v[18:19], v[18:19], v[20:21]
	v_mul_f64 v[20:21], v[12:13], v[18:19]
	v_add_f64 v[22:23], v[12:13], v[20:21]
	v_fma_f64 v[18:19], v[12:13], v[18:19], -v[20:21]
	v_add_f64 v[12:13], v[22:23], -v[12:13]
	v_add_f64 v[14:15], v[14:15], v[18:19]
	v_add_f64 v[12:13], v[20:21], -v[12:13]
	v_add_f64 v[12:13], v[14:15], v[12:13]
	v_add_f64 v[14:15], v[22:23], v[12:13]
	v_rcp_f64_e32 v[18:19], v[14:15]
	v_fma_f64 v[20:21], -v[14:15], v[18:19], 1.0
	v_fma_f64 v[18:19], v[20:21], v[18:19], v[18:19]
	v_fma_f64 v[20:21], -v[14:15], v[18:19], 1.0
	v_fma_f64 v[18:19], v[20:21], v[18:19], v[18:19]
	v_add_f64 v[20:21], v[14:15], -v[22:23]
	v_mul_f64 v[22:23], v[14:15], v[18:19]
	v_add_f64 v[12:13], v[12:13], -v[20:21]
	v_fma_f64 v[20:21], v[18:19], v[14:15], -v[22:23]
	v_fma_f64 v[12:13], v[18:19], v[12:13], v[20:21]
	v_add_f64 v[20:21], v[22:23], v[12:13]
	v_add_f64 v[24:25], -v[20:21], 1.0
	v_add_f64 v[22:23], v[20:21], -v[22:23]
	v_add_f64 v[26:27], -v[24:25], 1.0
	v_add_f64 v[12:13], v[22:23], -v[12:13]
	v_add_f64 v[20:21], v[26:27], -v[20:21]
	v_add_f64 v[12:13], v[12:13], v[20:21]
	v_add_f64 v[12:13], v[24:25], v[12:13]
	v_mul_f64 v[12:13], v[18:19], v[12:13]
	v_add_f64 v[12:13], v[18:19], v[12:13]
	v_xor_b32_e32 v10, 0x80000000, v13
	v_cndmask_b32_e32 v12, v12, v14, vcc_lo
	v_cndmask_b32_e32 v10, v10, v15, vcc_lo
	v_xor_b32_e32 v11, v10, v11
	v_cndmask_b32_e64 v10, 0, v12, s4
	v_cndmask_b32_e64 v11, 0x7ff80000, v11, s4
	v_div_scale_f64 v[12:13], null, v[10:11], v[10:11], s[12:13]
	v_div_scale_f64 v[19:20], vcc_lo, s[12:13], v[10:11], s[12:13]
	v_rcp_f64_e32 v[14:15], v[12:13]
	v_fma_f64 v[17:18], -v[12:13], v[14:15], 1.0
	v_fma_f64 v[14:15], v[14:15], v[17:18], v[14:15]
	v_fma_f64 v[17:18], -v[12:13], v[14:15], 1.0
	v_fma_f64 v[14:15], v[14:15], v[17:18], v[14:15]
	v_mul_f64 v[17:18], v[19:20], v[14:15]
	v_fma_f64 v[12:13], -v[12:13], v[17:18], v[19:20]
	v_div_fmas_f64 v[12:13], v[12:13], v[14:15], v[17:18]
	v_div_fixup_f64 v[12:13], v[12:13], v[10:11], s[12:13]
.LBB1_56:
	s_or_b32 exec_lo, exec_lo, s10
	s_orn2_b32 s5, s5, exec_lo
.LBB1_57:
	s_or_b32 exec_lo, exec_lo, s9
	v_mov_b32_e32 v10, 0
	v_mov_b32_e32 v11, 0x7ff80000
	s_and_saveexec_b32 s4, s5
	s_cbranch_execz .LBB1_69
; %bb.58:
	s_mov_b32 s5, exec_lo
	v_cmpx_gt_f64_e32 0x40240000, v[2:3]
	s_cbranch_execz .LBB1_62
; %bb.59:
	s_mov_b32 s9, 0
	.p2align	6
.LBB1_60:                               ; =>This Inner Loop Header: Depth=1
	v_div_scale_f64 v[10:11], null, v[2:3], v[2:3], 1.0
	v_div_scale_f64 v[19:20], vcc_lo, 1.0, v[2:3], 1.0
	v_rcp_f64_e32 v[14:15], v[10:11]
	v_fma_f64 v[17:18], -v[10:11], v[14:15], 1.0
	v_fma_f64 v[14:15], v[14:15], v[17:18], v[14:15]
	v_fma_f64 v[17:18], -v[10:11], v[14:15], 1.0
	v_fma_f64 v[14:15], v[14:15], v[17:18], v[14:15]
	v_mul_f64 v[17:18], v[19:20], v[14:15]
	v_fma_f64 v[10:11], -v[10:11], v[17:18], v[19:20]
	v_div_fmas_f64 v[10:11], v[10:11], v[14:15], v[17:18]
	v_div_fixup_f64 v[10:11], v[10:11], v[2:3], 1.0
	v_add_f64 v[2:3], v[2:3], 1.0
	v_add_f64 v[12:13], v[12:13], -v[10:11]
	v_cmp_ngt_f64_e32 vcc_lo, 0x40240000, v[2:3]
	s_or_b32 s9, vcc_lo, s9
	s_andn2_b32 exec_lo, exec_lo, s9
	s_cbranch_execnz .LBB1_60
; %bb.61:
	s_or_b32 exec_lo, exec_lo, s9
.LBB1_62:
	s_or_b32 exec_lo, exec_lo, s5
	s_mov_b32 s5, exec_lo
                                        ; implicit-def: $vgpr10_vgpr11
	v_cmpx_neq_f64_e32 0x40240000, v[2:3]
	s_xor_b32 s5, exec_lo, s5
	s_cbranch_execz .LBB1_66
; %bb.63:
	v_mov_b32_e32 v10, 0
	v_mov_b32_e32 v11, 0
	s_mov_b32 s10, 0x85d8a000
	s_mov_b32 s11, 0x43763457
	s_mov_b32 s9, exec_lo
	v_cmpx_gt_f64_e32 s[10:11], v[2:3]
	s_cbranch_execz .LBB1_65
; %bb.64:
	v_mul_f64 v[10:11], v[2:3], v[2:3]
	s_mov_b32 s10, 0x55555555
	s_mov_b32 s11, 0x3fb55555
	;; [unrolled: 1-line block ×6, first 2 shown]
	v_div_scale_f64 v[14:15], null, v[10:11], v[10:11], 1.0
	v_rcp_f64_e32 v[17:18], v[14:15]
	v_fma_f64 v[19:20], -v[14:15], v[17:18], 1.0
	v_fma_f64 v[17:18], v[17:18], v[19:20], v[17:18]
	v_fma_f64 v[19:20], -v[14:15], v[17:18], 1.0
	v_fma_f64 v[17:18], v[17:18], v[19:20], v[17:18]
	v_div_scale_f64 v[19:20], vcc_lo, 1.0, v[10:11], 1.0
	v_mul_f64 v[21:22], v[19:20], v[17:18]
	v_fma_f64 v[14:15], -v[14:15], v[21:22], v[19:20]
	v_div_fmas_f64 v[14:15], v[14:15], v[17:18], v[21:22]
	v_div_fixup_f64 v[10:11], v[14:15], v[10:11], 1.0
	v_fma_f64 v[14:15], v[10:11], 0, s[10:11]
	v_fma_f64 v[14:15], v[10:11], v[14:15], s[12:13]
	s_mov_b32 s12, 0xf07c1f08
	s_mov_b32 s13, 0x3f7f07c1
	v_fma_f64 v[14:15], v[10:11], v[14:15], s[12:13]
	s_mov_b32 s13, 0xbf711111
	s_mov_b32 s12, 0x11111111
	v_fma_f64 v[14:15], v[10:11], v[14:15], s[12:13]
	s_mov_b32 s13, 0xbf811111
	v_fma_f64 v[14:15], v[10:11], v[14:15], s[14:15]
	v_fma_f64 v[14:15], v[10:11], v[14:15], s[12:13]
	v_fma_f64 v[14:15], v[10:11], v[14:15], s[10:11]
	v_mul_f64 v[10:11], v[10:11], v[14:15]
.LBB1_65:
	s_or_b32 exec_lo, exec_lo, s9
	v_frexp_mant_f64_e32 v[14:15], v[2:3]
	s_mov_b32 s11, 0x3fe55555
	s_mov_b32 s10, 0x55555555
	;; [unrolled: 1-line block ×6, first 2 shown]
	v_div_scale_f64 v[31:32], null, v[2:3], v[2:3], -0.5
	v_cmp_gt_f64_e32 vcc_lo, s[10:11], v[14:15]
	s_mov_b32 s10, 0x55555780
	v_rcp_f64_e32 v[35:36], v[31:32]
	v_cndmask_b32_e64 v17, 0, 1, vcc_lo
	v_ldexp_f64 v[14:15], v[14:15], v17
	v_add_f64 v[17:18], v[14:15], 1.0
	v_add_f64 v[23:24], v[14:15], -1.0
	v_rcp_f64_e32 v[19:20], v[17:18]
	v_add_f64 v[25:26], v[17:18], -1.0
	v_add_f64 v[14:15], v[14:15], -v[25:26]
	v_fma_f64 v[21:22], -v[17:18], v[19:20], 1.0
	v_fma_f64 v[19:20], v[21:22], v[19:20], v[19:20]
	v_fma_f64 v[21:22], -v[17:18], v[19:20], 1.0
	v_fma_f64 v[19:20], v[21:22], v[19:20], v[19:20]
	v_mul_f64 v[21:22], v[23:24], v[19:20]
	v_mul_f64 v[27:28], v[17:18], v[21:22]
	v_fma_f64 v[17:18], v[21:22], v[17:18], -v[27:28]
	v_fma_f64 v[14:15], v[21:22], v[14:15], v[17:18]
	v_add_f64 v[17:18], v[27:28], v[14:15]
	v_add_f64 v[25:26], v[23:24], -v[17:18]
	v_add_f64 v[27:28], v[17:18], -v[27:28]
	;; [unrolled: 1-line block ×4, first 2 shown]
	v_frexp_exp_i32_f64_e32 v27, v[2:3]
	v_add_f64 v[17:18], v[23:24], -v[17:18]
	v_add_f64 v[14:15], v[14:15], v[17:18]
	v_add_f64 v[14:15], v[25:26], v[14:15]
	v_mul_f64 v[14:15], v[19:20], v[14:15]
	v_add_f64 v[17:18], v[21:22], v[14:15]
	v_mul_f64 v[19:20], v[17:18], v[17:18]
	v_fma_f64 v[23:24], v[19:20], s[14:15], s[12:13]
	s_mov_b32 s12, 0xd7f4df2e
	s_mov_b32 s13, 0x3fc7474d
	v_mul_f64 v[25:26], v[17:18], v[19:20]
	v_fma_f64 v[23:24], v[19:20], v[23:24], s[12:13]
	s_mov_b32 s12, 0x16291751
	s_mov_b32 s13, 0x3fcc71c0
	v_fma_f64 v[23:24], v[19:20], v[23:24], s[12:13]
	s_mov_b32 s12, 0x9b27acf1
	s_mov_b32 s13, 0x3fd24924
	;; [unrolled: 3-line block ×3, first 2 shown]
	v_fma_f64 v[23:24], v[19:20], v[23:24], s[12:13]
	v_fma_f64 v[19:20], v[19:20], v[23:24], s[10:11]
	v_ldexp_f64 v[23:24], v[17:18], 1
	v_add_f64 v[17:18], v[17:18], -v[21:22]
	s_mov_b32 s10, 0xfefa39ef
	s_mov_b32 s11, 0x3fe62e42
	v_mul_f64 v[19:20], v[25:26], v[19:20]
	v_subrev_co_ci_u32_e64 v25, null, 0, v27, vcc_lo
	v_add_f64 v[14:15], v[14:15], -v[17:18]
	v_cvt_f64_i32_e32 v[25:26], v25
	v_add_f64 v[21:22], v[23:24], v[19:20]
	v_ldexp_f64 v[14:15], v[14:15], 1
	v_mul_f64 v[27:28], v[25:26], s[10:11]
	v_add_f64 v[17:18], v[21:22], -v[23:24]
	v_fma_f64 v[23:24], v[25:26], s[10:11], -v[27:28]
	s_mov_b32 s10, 0x3b39803f
	s_mov_b32 s11, 0x3c7abc9e
	v_add_f64 v[17:18], v[19:20], -v[17:18]
	v_fma_f64 v[19:20], v[25:26], s[10:11], v[23:24]
	v_add_f64 v[14:15], v[14:15], v[17:18]
	v_add_f64 v[17:18], v[27:28], v[19:20]
	v_add_f64 v[23:24], v[21:22], v[14:15]
	v_add_f64 v[27:28], v[17:18], -v[27:28]
	v_add_f64 v[25:26], v[17:18], v[23:24]
	v_add_f64 v[21:22], v[23:24], -v[21:22]
	v_add_f64 v[19:20], v[19:20], -v[27:28]
	;; [unrolled: 1-line block ×6, first 2 shown]
	v_fma_f64 v[23:24], -v[31:32], v[35:36], 1.0
	v_add_f64 v[27:28], v[19:20], v[14:15]
	v_add_f64 v[17:18], v[17:18], -v[33:34]
	v_add_f64 v[17:18], v[21:22], v[17:18]
	v_fma_f64 v[21:22], v[35:36], v[23:24], v[35:36]
	v_add_f64 v[23:24], v[27:28], -v[19:20]
	v_div_scale_f64 v[35:36], vcc_lo, -0.5, v[2:3], -0.5
	v_add_f64 v[17:18], v[27:28], v[17:18]
	v_fma_f64 v[29:30], -v[31:32], v[21:22], 1.0
	v_add_f64 v[27:28], v[27:28], -v[23:24]
	v_add_f64 v[14:15], v[14:15], -v[23:24]
	v_add_f64 v[33:34], v[25:26], v[17:18]
	v_fma_f64 v[21:22], v[21:22], v[29:30], v[21:22]
	v_add_f64 v[19:20], v[19:20], -v[27:28]
	v_add_f64 v[23:24], v[33:34], -v[25:26]
	v_mul_f64 v[25:26], v[35:36], v[21:22]
	v_add_f64 v[14:15], v[14:15], v[19:20]
	v_add_f64 v[17:18], v[17:18], -v[23:24]
	v_fma_f64 v[19:20], -v[31:32], v[25:26], v[35:36]
	v_add_f64 v[14:15], v[14:15], v[17:18]
	v_div_fmas_f64 v[17:18], v[19:20], v[21:22], v[25:26]
	v_cmp_class_f64_e64 vcc_lo, v[2:3], 0x204
	v_add_f64 v[14:15], v[33:34], v[14:15]
	v_div_fixup_f64 v[17:18], v[17:18], v[2:3], -0.5
	v_cndmask_b32_e32 v3, v15, v3, vcc_lo
	v_cndmask_b32_e32 v2, v14, v2, vcc_lo
	v_add_f64 v[2:3], v[2:3], v[17:18]
	v_add_f64 v[2:3], v[2:3], -v[10:11]
	v_add_f64 v[10:11], v[12:13], v[2:3]
                                        ; implicit-def: $vgpr12_vgpr13
.LBB1_66:
	s_andn2_saveexec_b32 s5, s5
; %bb.67:
	s_mov_b32 s10, 0xdc85cc95
	s_mov_b32 s11, 0x40020396
	v_add_f64 v[10:11], v[12:13], s[10:11]
; %bb.68:
	s_or_b32 exec_lo, exec_lo, s5
.LBB1_69:
	s_or_b32 exec_lo, exec_lo, s4
.LBB1_70:
	s_andn2_saveexec_b32 s4, s8
; %bb.71:
	v_xor_b32_e32 v2, 0x80000000, v3
	s_mov_b32 s5, 0x7ff00000
	v_mov_b32_e32 v10, 0
	v_bfi_b32 v11, 0x7fffffff, s5, v2
; %bb.72:
	s_or_b32 exec_lo, exec_lo, s4
	s_mov_b32 s4, exec_lo
	v_cmpx_neq_f64_e32 0, v[4:5]
	s_xor_b32 s8, exec_lo, s4
	s_cbranch_execz .LBB1_94
; %bb.73:
	v_mov_b32_e32 v2, 0
	v_mov_b32_e32 v3, 0
	s_mov_b32 s5, -1
	s_mov_b32 s9, exec_lo
	v_cmpx_gt_f64_e32 0, v[4:5]
	s_cbranch_execz .LBB1_81
; %bb.74:
	v_trunc_f64_e32 v[12:13], v[4:5]
	v_mov_b32_e32 v2, 0
	v_mov_b32_e32 v3, 0
	s_mov_b32 s5, 0
	s_mov_b32 s10, exec_lo
	v_cmpx_neq_f64_e32 v[4:5], v[12:13]
	s_cbranch_execz .LBB1_80
; %bb.75:
	v_add_f64 v[2:3], v[4:5], -v[12:13]
	s_mov_b32 s5, 0xc00921fb
	s_mov_b32 s4, 0x54442d18
	v_cmp_neq_f64_e64 vcc_lo, 0x7ff00000, |v[4:5]|
	s_mov_b32 s11, exec_lo
                                        ; implicit-def: $vgpr17
                                        ; implicit-def: $vgpr12_vgpr13
                                        ; implicit-def: $vgpr14_vgpr15
	v_mul_f64 v[2:3], |v[2:3]|, s[4:5]
	v_cndmask_b32_e32 v3, 0x80000000, v3, vcc_lo
	v_cndmask_b32_e32 v2, 0, v2, vcc_lo
	v_cmpx_ngt_f64_e64 0x41d00000, |v[2:3]|
	s_xor_b32 s11, exec_lo, s11
	s_cbranch_execz .LBB1_77
; %bb.76:
	v_ldexp_f64 v[12:13], |v[2:3]|, 0xffffff80
	v_cmp_le_f64_e64 vcc_lo, 0x7b000000, |v[2:3]|
	v_trig_preop_f64 v[14:15], |v[2:3]|, 0
	v_and_b32_e32 v17, 0x7fffffff, v3
	v_trig_preop_f64 v[27:28], |v[2:3]|, 2
	v_mov_b32_e32 v35, 0
	s_mov_b32 s5, 0x3ff921fb
	s_mov_b32 s12, 0x33145c07
	;; [unrolled: 1-line block ×3, first 2 shown]
	v_cndmask_b32_e32 v13, v17, v13, vcc_lo
	v_cndmask_b32_e32 v12, v2, v12, vcc_lo
	v_trig_preop_f64 v[17:18], |v[2:3]|, 1
	v_mul_f64 v[19:20], v[14:15], v[12:13]
	v_mul_f64 v[33:34], v[27:28], v[12:13]
	;; [unrolled: 1-line block ×3, first 2 shown]
	v_fma_f64 v[14:15], v[14:15], v[12:13], -v[19:20]
	v_fma_f64 v[17:18], v[17:18], v[12:13], -v[21:22]
	v_fma_f64 v[12:13], v[27:28], v[12:13], -v[33:34]
	v_add_f64 v[23:24], v[21:22], v[14:15]
	v_add_f64 v[25:26], v[23:24], -v[21:22]
	v_add_f64 v[31:32], v[19:20], v[23:24]
	v_add_f64 v[29:30], v[23:24], -v[25:26]
	v_add_f64 v[14:15], v[14:15], -v[25:26]
	v_ldexp_f64 v[25:26], v[31:32], -2
	v_add_f64 v[19:20], v[31:32], -v[19:20]
	v_add_f64 v[21:22], v[21:22], -v[29:30]
	v_add_f64 v[29:30], v[33:34], v[17:18]
	v_cmp_neq_f64_e64 vcc_lo, 0x7ff00000, |v[25:26]|
	v_add_f64 v[19:20], v[23:24], -v[19:20]
	v_add_f64 v[14:15], v[14:15], v[21:22]
	v_fract_f64_e32 v[21:22], v[25:26]
	v_add_f64 v[23:24], v[29:30], v[14:15]
	v_ldexp_f64 v[21:22], v[21:22], 2
	v_add_f64 v[25:26], v[19:20], v[23:24]
	v_cndmask_b32_e32 v22, 0, v22, vcc_lo
	v_cndmask_b32_e32 v21, 0, v21, vcc_lo
	v_add_f64 v[31:32], v[25:26], v[21:22]
	v_add_f64 v[19:20], v[25:26], -v[19:20]
	v_cmp_gt_f64_e32 vcc_lo, 0, v[31:32]
	v_add_f64 v[31:32], v[29:30], -v[33:34]
	v_cndmask_b32_e64 v36, 0, 0x40100000, vcc_lo
	v_add_f64 v[48:49], v[29:30], -v[31:32]
	v_add_f64 v[17:18], v[17:18], -v[31:32]
	v_add_f64 v[21:22], v[21:22], v[35:36]
	v_add_f64 v[36:37], v[23:24], -v[29:30]
	v_add_f64 v[31:32], v[33:34], -v[48:49]
	v_add_f64 v[38:39], v[25:26], v[21:22]
	;; [unrolled: 3-line block ×3, first 2 shown]
	v_cvt_i32_f64_e32 v38, v[38:39]
	v_add_f64 v[29:30], v[29:30], -v[50:51]
	v_cvt_f64_i32_e32 v[36:37], v38
	v_add_f64 v[14:15], v[14:15], v[29:30]
	v_add_f64 v[21:22], v[21:22], -v[36:37]
	v_add_f64 v[14:15], v[17:18], v[14:15]
	v_add_f64 v[17:18], v[23:24], -v[19:20]
	v_add_f64 v[27:28], v[25:26], v[21:22]
	v_add_f64 v[12:13], v[12:13], v[14:15]
	v_add_f64 v[14:15], v[27:28], -v[21:22]
	v_cmp_le_f64_e32 vcc_lo, 0.5, v[27:28]
	v_add_f64 v[12:13], v[17:18], v[12:13]
	v_add_f64 v[14:15], v[25:26], -v[14:15]
	v_cndmask_b32_e64 v36, 0, 0x3ff00000, vcc_lo
	v_add_co_ci_u32_e64 v17, null, 0, v38, vcc_lo
	v_add_f64 v[12:13], v[12:13], v[14:15]
	v_add_f64 v[14:15], v[27:28], -v[35:36]
	v_add_f64 v[18:19], v[14:15], v[12:13]
	v_mul_f64 v[20:21], v[18:19], s[4:5]
	v_add_f64 v[14:15], v[18:19], -v[14:15]
	v_fma_f64 v[22:23], v[18:19], s[4:5], -v[20:21]
	v_add_f64 v[12:13], v[12:13], -v[14:15]
	v_fma_f64 v[14:15], v[18:19], s[12:13], v[22:23]
	v_fma_f64 v[14:15], v[12:13], s[4:5], v[14:15]
	v_add_f64 v[12:13], v[20:21], v[14:15]
	v_add_f64 v[18:19], v[12:13], -v[20:21]
	v_add_f64 v[14:15], v[14:15], -v[18:19]
.LBB1_77:
	s_andn2_saveexec_b32 s4, s11
	s_cbranch_execz .LBB1_79
; %bb.78:
	s_mov_b32 s12, 0x6dc9c883
	s_mov_b32 s13, 0x3fe45f30
	;; [unrolled: 1-line block ×3, first 2 shown]
	v_mul_f64 v[12:13], |v[2:3]|, s[12:13]
	s_mov_b32 s12, 0x54442d18
	s_mov_b32 s13, 0xbff921fb
	;; [unrolled: 1-line block ×3, first 2 shown]
	v_rndne_f64_e32 v[17:18], v[12:13]
	v_fma_f64 v[12:13], v[17:18], s[12:13], |v[2:3]|
	v_mul_f64 v[14:15], v[17:18], s[14:15]
	s_mov_b32 s12, 0x252049c0
	s_mov_b32 s13, 0xb97b839a
	v_fma_f64 v[21:22], v[17:18], s[14:15], v[12:13]
	v_add_f64 v[19:20], v[12:13], v[14:15]
	s_mov_b32 s15, 0x3c91a626
	v_add_f64 v[12:13], v[12:13], -v[19:20]
	v_add_f64 v[19:20], v[19:20], -v[21:22]
	v_add_f64 v[12:13], v[12:13], v[14:15]
	v_fma_f64 v[14:15], v[17:18], s[14:15], v[14:15]
	v_add_f64 v[12:13], v[19:20], v[12:13]
	v_add_f64 v[12:13], v[12:13], -v[14:15]
	v_fma_f64 v[14:15], v[17:18], s[12:13], v[12:13]
	v_cvt_i32_f64_e32 v17, v[17:18]
	v_add_f64 v[12:13], v[21:22], v[14:15]
	v_add_f64 v[19:20], v[12:13], -v[21:22]
	v_add_f64 v[14:15], v[14:15], -v[19:20]
.LBB1_79:
	s_or_b32 exec_lo, exec_lo, s4
	v_mul_f64 v[18:19], v[12:13], v[12:13]
	v_add_f64 v[20:21], v[14:15], v[14:15]
	s_mov_b32 s12, 0xa9a29f71
	s_mov_b32 s14, 0xc751c08c
	;; [unrolled: 1-line block ×4, first 2 shown]
	v_cmp_class_f64_e64 s4, v[2:3], 0x1f8
	v_and_b32_e32 v17, 1, v17
	v_and_b32_e32 v3, 0x80000000, v3
	v_add_f64 v[4:5], -v[4:5], 1.0
	s_mov_b32 s5, exec_lo
	v_cmp_eq_u32_e32 vcc_lo, 0, v17
	v_fma_f64 v[22:23], v[12:13], v[12:13], -v[18:19]
	v_fma_f64 v[20:21], v[12:13], v[20:21], v[22:23]
	v_add_f64 v[18:19], v[18:19], v[20:21]
	v_fma_f64 v[20:21], v[18:19], s[14:15], s[12:13]
	s_mov_b32 s12, 0x90a8aae0
	s_mov_b32 s13, 0x3f17746f
	v_fma_f64 v[20:21], v[18:19], v[20:21], s[12:13]
	s_mov_b32 s12, 0xa6fbf144
	s_mov_b32 s13, 0xbefbb44d
	;; [unrolled: 3-line block ×13, first 2 shown]
	v_mul_f64 v[18:19], v[18:19], v[20:21]
	v_mul_f64 v[20:21], v[12:13], v[18:19]
	v_add_f64 v[22:23], v[12:13], v[20:21]
	v_fma_f64 v[18:19], v[12:13], v[18:19], -v[20:21]
	v_add_f64 v[12:13], v[22:23], -v[12:13]
	v_add_f64 v[14:15], v[14:15], v[18:19]
	v_add_f64 v[12:13], v[20:21], -v[12:13]
	v_add_f64 v[12:13], v[14:15], v[12:13]
	v_add_f64 v[14:15], v[22:23], v[12:13]
	v_rcp_f64_e32 v[18:19], v[14:15]
	v_fma_f64 v[20:21], -v[14:15], v[18:19], 1.0
	v_fma_f64 v[18:19], v[20:21], v[18:19], v[18:19]
	v_fma_f64 v[20:21], -v[14:15], v[18:19], 1.0
	v_fma_f64 v[18:19], v[20:21], v[18:19], v[18:19]
	v_add_f64 v[20:21], v[14:15], -v[22:23]
	v_mul_f64 v[22:23], v[14:15], v[18:19]
	v_add_f64 v[12:13], v[12:13], -v[20:21]
	v_fma_f64 v[20:21], v[18:19], v[14:15], -v[22:23]
	v_fma_f64 v[12:13], v[18:19], v[12:13], v[20:21]
	v_add_f64 v[20:21], v[22:23], v[12:13]
	v_add_f64 v[24:25], -v[20:21], 1.0
	v_add_f64 v[22:23], v[20:21], -v[22:23]
	v_add_f64 v[26:27], -v[24:25], 1.0
	v_add_f64 v[12:13], v[22:23], -v[12:13]
	v_add_f64 v[20:21], v[26:27], -v[20:21]
	v_add_f64 v[12:13], v[12:13], v[20:21]
	v_add_f64 v[12:13], v[24:25], v[12:13]
	v_mul_f64 v[12:13], v[18:19], v[12:13]
	v_add_f64 v[12:13], v[18:19], v[12:13]
	v_xor_b32_e32 v2, 0x80000000, v13
	v_cndmask_b32_e32 v12, v12, v14, vcc_lo
	v_cndmask_b32_e32 v2, v2, v15, vcc_lo
	v_xor_b32_e32 v3, v2, v3
	v_cndmask_b32_e64 v2, 0, v12, s4
	v_cndmask_b32_e64 v3, 0x7ff80000, v3, s4
	v_div_scale_f64 v[12:13], null, v[2:3], v[2:3], s[12:13]
	v_div_scale_f64 v[19:20], vcc_lo, s[12:13], v[2:3], s[12:13]
	v_rcp_f64_e32 v[14:15], v[12:13]
	v_fma_f64 v[17:18], -v[12:13], v[14:15], 1.0
	v_fma_f64 v[14:15], v[14:15], v[17:18], v[14:15]
	v_fma_f64 v[17:18], -v[12:13], v[14:15], 1.0
	v_fma_f64 v[14:15], v[14:15], v[17:18], v[14:15]
	v_mul_f64 v[17:18], v[19:20], v[14:15]
	v_fma_f64 v[12:13], -v[12:13], v[17:18], v[19:20]
	v_div_fmas_f64 v[12:13], v[12:13], v[14:15], v[17:18]
	v_div_fixup_f64 v[2:3], v[12:13], v[2:3], s[12:13]
.LBB1_80:
	s_or_b32 exec_lo, exec_lo, s10
	s_orn2_b32 s5, s5, exec_lo
.LBB1_81:
	s_or_b32 exec_lo, exec_lo, s9
	v_mov_b32_e32 v12, 0
	v_mov_b32_e32 v13, 0x7ff80000
	s_and_saveexec_b32 s4, s5
	s_cbranch_execz .LBB1_93
; %bb.82:
	s_mov_b32 s5, exec_lo
	v_cmpx_gt_f64_e32 0x40240000, v[4:5]
	s_cbranch_execz .LBB1_86
; %bb.83:
	s_mov_b32 s9, 0
	.p2align	6
.LBB1_84:                               ; =>This Inner Loop Header: Depth=1
	v_div_scale_f64 v[12:13], null, v[4:5], v[4:5], 1.0
	v_div_scale_f64 v[19:20], vcc_lo, 1.0, v[4:5], 1.0
	v_rcp_f64_e32 v[14:15], v[12:13]
	v_fma_f64 v[17:18], -v[12:13], v[14:15], 1.0
	v_fma_f64 v[14:15], v[14:15], v[17:18], v[14:15]
	v_fma_f64 v[17:18], -v[12:13], v[14:15], 1.0
	v_fma_f64 v[14:15], v[14:15], v[17:18], v[14:15]
	v_mul_f64 v[17:18], v[19:20], v[14:15]
	v_fma_f64 v[12:13], -v[12:13], v[17:18], v[19:20]
	v_div_fmas_f64 v[12:13], v[12:13], v[14:15], v[17:18]
	v_div_fixup_f64 v[12:13], v[12:13], v[4:5], 1.0
	v_add_f64 v[4:5], v[4:5], 1.0
	v_add_f64 v[2:3], v[2:3], -v[12:13]
	v_cmp_ngt_f64_e32 vcc_lo, 0x40240000, v[4:5]
	s_or_b32 s9, vcc_lo, s9
	s_andn2_b32 exec_lo, exec_lo, s9
	s_cbranch_execnz .LBB1_84
; %bb.85:
	s_or_b32 exec_lo, exec_lo, s9
.LBB1_86:
	s_or_b32 exec_lo, exec_lo, s5
	s_mov_b32 s5, exec_lo
	v_cmpx_neq_f64_e32 0x40240000, v[4:5]
	s_xor_b32 s5, exec_lo, s5
	s_cbranch_execz .LBB1_90
; %bb.87:
	v_mov_b32_e32 v12, 0
	v_mov_b32_e32 v13, 0
	s_mov_b32 s10, 0x85d8a000
	s_mov_b32 s11, 0x43763457
	s_mov_b32 s9, exec_lo
	v_cmpx_gt_f64_e32 s[10:11], v[4:5]
	s_cbranch_execz .LBB1_89
; %bb.88:
	v_mul_f64 v[12:13], v[4:5], v[4:5]
	s_mov_b32 s10, 0x55555555
	s_mov_b32 s11, 0x3fb55555
	;; [unrolled: 1-line block ×6, first 2 shown]
	v_div_scale_f64 v[14:15], null, v[12:13], v[12:13], 1.0
	v_rcp_f64_e32 v[17:18], v[14:15]
	v_fma_f64 v[19:20], -v[14:15], v[17:18], 1.0
	v_fma_f64 v[17:18], v[17:18], v[19:20], v[17:18]
	v_fma_f64 v[19:20], -v[14:15], v[17:18], 1.0
	v_fma_f64 v[17:18], v[17:18], v[19:20], v[17:18]
	v_div_scale_f64 v[19:20], vcc_lo, 1.0, v[12:13], 1.0
	v_mul_f64 v[21:22], v[19:20], v[17:18]
	v_fma_f64 v[14:15], -v[14:15], v[21:22], v[19:20]
	v_div_fmas_f64 v[14:15], v[14:15], v[17:18], v[21:22]
	v_div_fixup_f64 v[12:13], v[14:15], v[12:13], 1.0
	v_fma_f64 v[14:15], v[12:13], 0, s[10:11]
	v_fma_f64 v[14:15], v[12:13], v[14:15], s[12:13]
	s_mov_b32 s12, 0xf07c1f08
	s_mov_b32 s13, 0x3f7f07c1
	v_fma_f64 v[14:15], v[12:13], v[14:15], s[12:13]
	s_mov_b32 s13, 0xbf711111
	s_mov_b32 s12, 0x11111111
	v_fma_f64 v[14:15], v[12:13], v[14:15], s[12:13]
	s_mov_b32 s13, 0xbf811111
	v_fma_f64 v[14:15], v[12:13], v[14:15], s[14:15]
	v_fma_f64 v[14:15], v[12:13], v[14:15], s[12:13]
	;; [unrolled: 1-line block ×3, first 2 shown]
	v_mul_f64 v[12:13], v[12:13], v[14:15]
.LBB1_89:
	s_or_b32 exec_lo, exec_lo, s9
	v_frexp_mant_f64_e32 v[14:15], v[4:5]
	s_mov_b32 s11, 0x3fe55555
	s_mov_b32 s10, 0x55555555
	;; [unrolled: 1-line block ×6, first 2 shown]
	v_div_scale_f64 v[31:32], null, v[4:5], v[4:5], -0.5
	v_cmp_gt_f64_e32 vcc_lo, s[10:11], v[14:15]
	s_mov_b32 s10, 0x55555780
	v_rcp_f64_e32 v[35:36], v[31:32]
	v_cndmask_b32_e64 v17, 0, 1, vcc_lo
	v_ldexp_f64 v[14:15], v[14:15], v17
	v_add_f64 v[17:18], v[14:15], 1.0
	v_add_f64 v[23:24], v[14:15], -1.0
	v_rcp_f64_e32 v[19:20], v[17:18]
	v_add_f64 v[25:26], v[17:18], -1.0
	v_add_f64 v[14:15], v[14:15], -v[25:26]
	v_fma_f64 v[21:22], -v[17:18], v[19:20], 1.0
	v_fma_f64 v[19:20], v[21:22], v[19:20], v[19:20]
	v_fma_f64 v[21:22], -v[17:18], v[19:20], 1.0
	v_fma_f64 v[19:20], v[21:22], v[19:20], v[19:20]
	v_mul_f64 v[21:22], v[23:24], v[19:20]
	v_mul_f64 v[27:28], v[17:18], v[21:22]
	v_fma_f64 v[17:18], v[21:22], v[17:18], -v[27:28]
	v_fma_f64 v[14:15], v[21:22], v[14:15], v[17:18]
	v_add_f64 v[17:18], v[27:28], v[14:15]
	v_add_f64 v[25:26], v[23:24], -v[17:18]
	v_add_f64 v[27:28], v[17:18], -v[27:28]
	;; [unrolled: 1-line block ×4, first 2 shown]
	v_frexp_exp_i32_f64_e32 v27, v[4:5]
	v_add_f64 v[17:18], v[23:24], -v[17:18]
	v_add_f64 v[14:15], v[14:15], v[17:18]
	v_add_f64 v[14:15], v[25:26], v[14:15]
	v_mul_f64 v[14:15], v[19:20], v[14:15]
	v_add_f64 v[17:18], v[21:22], v[14:15]
	v_mul_f64 v[19:20], v[17:18], v[17:18]
	v_fma_f64 v[23:24], v[19:20], s[14:15], s[12:13]
	s_mov_b32 s12, 0xd7f4df2e
	s_mov_b32 s13, 0x3fc7474d
	v_mul_f64 v[25:26], v[17:18], v[19:20]
	v_fma_f64 v[23:24], v[19:20], v[23:24], s[12:13]
	s_mov_b32 s12, 0x16291751
	s_mov_b32 s13, 0x3fcc71c0
	v_fma_f64 v[23:24], v[19:20], v[23:24], s[12:13]
	s_mov_b32 s12, 0x9b27acf1
	s_mov_b32 s13, 0x3fd24924
	;; [unrolled: 3-line block ×3, first 2 shown]
	v_fma_f64 v[23:24], v[19:20], v[23:24], s[12:13]
	v_fma_f64 v[19:20], v[19:20], v[23:24], s[10:11]
	v_ldexp_f64 v[23:24], v[17:18], 1
	v_add_f64 v[17:18], v[17:18], -v[21:22]
	s_mov_b32 s10, 0xfefa39ef
	s_mov_b32 s11, 0x3fe62e42
	v_mul_f64 v[19:20], v[25:26], v[19:20]
	v_subrev_co_ci_u32_e64 v25, null, 0, v27, vcc_lo
	v_add_f64 v[14:15], v[14:15], -v[17:18]
	v_cvt_f64_i32_e32 v[25:26], v25
	v_add_f64 v[21:22], v[23:24], v[19:20]
	v_ldexp_f64 v[14:15], v[14:15], 1
	v_mul_f64 v[27:28], v[25:26], s[10:11]
	v_add_f64 v[17:18], v[21:22], -v[23:24]
	v_fma_f64 v[23:24], v[25:26], s[10:11], -v[27:28]
	s_mov_b32 s10, 0x3b39803f
	s_mov_b32 s11, 0x3c7abc9e
	v_add_f64 v[17:18], v[19:20], -v[17:18]
	v_fma_f64 v[19:20], v[25:26], s[10:11], v[23:24]
	v_add_f64 v[14:15], v[14:15], v[17:18]
	v_add_f64 v[17:18], v[27:28], v[19:20]
	;; [unrolled: 1-line block ×3, first 2 shown]
	v_add_f64 v[27:28], v[17:18], -v[27:28]
	v_add_f64 v[25:26], v[17:18], v[23:24]
	v_add_f64 v[21:22], v[23:24], -v[21:22]
	v_add_f64 v[19:20], v[19:20], -v[27:28]
	;; [unrolled: 1-line block ×6, first 2 shown]
	v_fma_f64 v[23:24], -v[31:32], v[35:36], 1.0
	v_add_f64 v[27:28], v[19:20], v[14:15]
	v_add_f64 v[17:18], v[17:18], -v[33:34]
	v_add_f64 v[17:18], v[21:22], v[17:18]
	v_fma_f64 v[21:22], v[35:36], v[23:24], v[35:36]
	v_add_f64 v[23:24], v[27:28], -v[19:20]
	v_div_scale_f64 v[35:36], vcc_lo, -0.5, v[4:5], -0.5
	v_add_f64 v[17:18], v[27:28], v[17:18]
	v_fma_f64 v[29:30], -v[31:32], v[21:22], 1.0
	v_add_f64 v[27:28], v[27:28], -v[23:24]
	v_add_f64 v[14:15], v[14:15], -v[23:24]
	v_add_f64 v[33:34], v[25:26], v[17:18]
	v_fma_f64 v[21:22], v[21:22], v[29:30], v[21:22]
	v_add_f64 v[19:20], v[19:20], -v[27:28]
	v_add_f64 v[23:24], v[33:34], -v[25:26]
	v_mul_f64 v[25:26], v[35:36], v[21:22]
	v_add_f64 v[14:15], v[14:15], v[19:20]
	v_add_f64 v[17:18], v[17:18], -v[23:24]
	v_fma_f64 v[19:20], -v[31:32], v[25:26], v[35:36]
	v_add_f64 v[14:15], v[14:15], v[17:18]
	v_div_fmas_f64 v[17:18], v[19:20], v[21:22], v[25:26]
	v_cmp_class_f64_e64 vcc_lo, v[4:5], 0x204
	v_add_f64 v[14:15], v[33:34], v[14:15]
	v_div_fixup_f64 v[17:18], v[17:18], v[4:5], -0.5
	v_cndmask_b32_e32 v5, v15, v5, vcc_lo
	v_cndmask_b32_e32 v4, v14, v4, vcc_lo
	v_add_f64 v[4:5], v[4:5], v[17:18]
	v_add_f64 v[4:5], v[4:5], -v[12:13]
	v_add_f64 v[12:13], v[2:3], v[4:5]
                                        ; implicit-def: $vgpr2_vgpr3
.LBB1_90:
	s_andn2_saveexec_b32 s5, s5
; %bb.91:
	s_mov_b32 s10, 0xdc85cc95
	s_mov_b32 s11, 0x40020396
	v_add_f64 v[12:13], v[2:3], s[10:11]
; %bb.92:
	s_or_b32 exec_lo, exec_lo, s5
.LBB1_93:
	s_or_b32 exec_lo, exec_lo, s4
                                        ; implicit-def: $vgpr4_vgpr5
.LBB1_94:
	s_andn2_saveexec_b32 s4, s8
; %bb.95:
	v_xor_b32_e32 v2, 0x80000000, v5
	s_mov_b32 s5, 0x7ff00000
	v_mov_b32_e32 v12, 0
	v_bfi_b32 v13, 0x7fffffff, s5, v2
; %bb.96:
	s_or_b32 exec_lo, exec_lo, s4
	v_add_co_u32 v0, vcc_lo, v0, s6
	v_add_co_ci_u32_e64 v1, null, s7, v1, vcc_lo
	v_add_co_u32 v0, vcc_lo, v0, v16
	v_add_co_ci_u32_e64 v1, null, 0, v1, vcc_lo
	flat_store_dwordx4 v[0:1], v[6:9]
	flat_store_dwordx4 v[0:1], v[10:13] offset:16
	s_waitcnt lgkmcnt(0)
	s_setpc_b64 s[30:31]
.Lfunc_end1:
	.size	_ZN2at6native25elementwise_kernel_helperILb0EZZZNS0_19digamma_kernel_cudaERNS_18TensorIteratorBaseEENKUlvE_clEvENKUlvE_clEvEUldE_NS0_6memory8policies10vectorizedILi4ESt5arrayIPcLm2EELi4EEEEEvT0_T1_, .Lfunc_end1-_ZN2at6native25elementwise_kernel_helperILb0EZZZNS0_19digamma_kernel_cudaERNS_18TensorIteratorBaseEENKUlvE_clEvENKUlvE_clEvEUldE_NS0_6memory8policies10vectorizedILi4ESt5arrayIPcLm2EELi4EEEEEvT0_T1_
                                        ; -- End function
	.set .L_ZN2at6native25elementwise_kernel_helperILb0EZZZNS0_19digamma_kernel_cudaERNS_18TensorIteratorBaseEENKUlvE_clEvENKUlvE_clEvEUldE_NS0_6memory8policies10vectorizedILi4ESt5arrayIPcLm2EELi4EEEEEvT0_T1_.num_vgpr, 52
	.set .L_ZN2at6native25elementwise_kernel_helperILb0EZZZNS0_19digamma_kernel_cudaERNS_18TensorIteratorBaseEENKUlvE_clEvENKUlvE_clEvEUldE_NS0_6memory8policies10vectorizedILi4ESt5arrayIPcLm2EELi4EEEEEvT0_T1_.num_agpr, 0
	.set .L_ZN2at6native25elementwise_kernel_helperILb0EZZZNS0_19digamma_kernel_cudaERNS_18TensorIteratorBaseEENKUlvE_clEvENKUlvE_clEvEUldE_NS0_6memory8policies10vectorizedILi4ESt5arrayIPcLm2EELi4EEEEEvT0_T1_.numbered_sgpr, 32
	.set .L_ZN2at6native25elementwise_kernel_helperILb0EZZZNS0_19digamma_kernel_cudaERNS_18TensorIteratorBaseEENKUlvE_clEvENKUlvE_clEvEUldE_NS0_6memory8policies10vectorizedILi4ESt5arrayIPcLm2EELi4EEEEEvT0_T1_.num_named_barrier, 0
	.set .L_ZN2at6native25elementwise_kernel_helperILb0EZZZNS0_19digamma_kernel_cudaERNS_18TensorIteratorBaseEENKUlvE_clEvENKUlvE_clEvEUldE_NS0_6memory8policies10vectorizedILi4ESt5arrayIPcLm2EELi4EEEEEvT0_T1_.private_seg_size, 0
	.set .L_ZN2at6native25elementwise_kernel_helperILb0EZZZNS0_19digamma_kernel_cudaERNS_18TensorIteratorBaseEENKUlvE_clEvENKUlvE_clEvEUldE_NS0_6memory8policies10vectorizedILi4ESt5arrayIPcLm2EELi4EEEEEvT0_T1_.uses_vcc, 1
	.set .L_ZN2at6native25elementwise_kernel_helperILb0EZZZNS0_19digamma_kernel_cudaERNS_18TensorIteratorBaseEENKUlvE_clEvENKUlvE_clEvEUldE_NS0_6memory8policies10vectorizedILi4ESt5arrayIPcLm2EELi4EEEEEvT0_T1_.uses_flat_scratch, 1
	.set .L_ZN2at6native25elementwise_kernel_helperILb0EZZZNS0_19digamma_kernel_cudaERNS_18TensorIteratorBaseEENKUlvE_clEvENKUlvE_clEvEUldE_NS0_6memory8policies10vectorizedILi4ESt5arrayIPcLm2EELi4EEEEEvT0_T1_.has_dyn_sized_stack, 0
	.set .L_ZN2at6native25elementwise_kernel_helperILb0EZZZNS0_19digamma_kernel_cudaERNS_18TensorIteratorBaseEENKUlvE_clEvENKUlvE_clEvEUldE_NS0_6memory8policies10vectorizedILi4ESt5arrayIPcLm2EELi4EEEEEvT0_T1_.has_recursion, 0
	.set .L_ZN2at6native25elementwise_kernel_helperILb0EZZZNS0_19digamma_kernel_cudaERNS_18TensorIteratorBaseEENKUlvE_clEvENKUlvE_clEvEUldE_NS0_6memory8policies10vectorizedILi4ESt5arrayIPcLm2EELi4EEEEEvT0_T1_.has_indirect_call, 0
	.section	.AMDGPU.csdata,"",@progbits
; Function info:
; codeLenInByte = 12936
; TotalNumSgprs: 34
; NumVgprs: 52
; ScratchSize: 0
; MemoryBound: 0
	.section	.text._ZN2at6native29vectorized_elementwise_kernelILi16EZZZNS0_19digamma_kernel_cudaERNS_18TensorIteratorBaseEENKUlvE_clEvENKUlvE_clEvEUldE_St5arrayIPcLm2EEEEviT0_T1_,"axG",@progbits,_ZN2at6native29vectorized_elementwise_kernelILi16EZZZNS0_19digamma_kernel_cudaERNS_18TensorIteratorBaseEENKUlvE_clEvENKUlvE_clEvEUldE_St5arrayIPcLm2EEEEviT0_T1_,comdat
	.globl	_ZN2at6native29vectorized_elementwise_kernelILi16EZZZNS0_19digamma_kernel_cudaERNS_18TensorIteratorBaseEENKUlvE_clEvENKUlvE_clEvEUldE_St5arrayIPcLm2EEEEviT0_T1_ ; -- Begin function _ZN2at6native29vectorized_elementwise_kernelILi16EZZZNS0_19digamma_kernel_cudaERNS_18TensorIteratorBaseEENKUlvE_clEvENKUlvE_clEvEUldE_St5arrayIPcLm2EEEEviT0_T1_
	.p2align	8
	.type	_ZN2at6native29vectorized_elementwise_kernelILi16EZZZNS0_19digamma_kernel_cudaERNS_18TensorIteratorBaseEENKUlvE_clEvENKUlvE_clEvEUldE_St5arrayIPcLm2EEEEviT0_T1_,@function
_ZN2at6native29vectorized_elementwise_kernelILi16EZZZNS0_19digamma_kernel_cudaERNS_18TensorIteratorBaseEENKUlvE_clEvENKUlvE_clEvEUldE_St5arrayIPcLm2EEEEviT0_T1_: ; @_ZN2at6native29vectorized_elementwise_kernelILi16EZZZNS0_19digamma_kernel_cudaERNS_18TensorIteratorBaseEENKUlvE_clEvENKUlvE_clEvEUldE_St5arrayIPcLm2EEEEviT0_T1_
; %bb.0:
	s_mov_b32 s16, s6
	s_clause 0x1
	s_load_dword s6, s[4:5], 0x0
	s_load_dwordx4 s[20:23], s[4:5], 0x8
	s_add_u32 s0, s0, s7
	s_addc_u32 s1, s1, 0
	s_lshl_b32 s4, s16, 10
	v_mov_b32_e32 v40, v0
	s_mov_b32 s32, 0
	s_waitcnt lgkmcnt(0)
	s_sub_i32 s17, s6, s4
	s_mov_b32 s4, -1
	s_cmpk_gt_i32 s17, 0x3ff
	s_cbranch_scc1 .LBB2_3
; %bb.1:
	s_andn2_b32 vcc_lo, exec_lo, s4
	s_cbranch_vccz .LBB2_4
.LBB2_2:
	s_endpgm
.LBB2_3:
	v_mov_b32_e32 v31, v40
	v_mov_b32_e32 v0, s20
	;; [unrolled: 1-line block ×5, first 2 shown]
	s_getpc_b64 s[4:5]
	s_add_u32 s4, s4, _ZN2at6native25elementwise_kernel_helperILb0EZZZNS0_19digamma_kernel_cudaERNS_18TensorIteratorBaseEENKUlvE_clEvENKUlvE_clEvEUldE_NS0_6memory8policies10vectorizedILi4ESt5arrayIPcLm2EELi4EEEEEvT0_T1_@rel32@lo+4
	s_addc_u32 s5, s5, _ZN2at6native25elementwise_kernel_helperILb0EZZZNS0_19digamma_kernel_cudaERNS_18TensorIteratorBaseEENKUlvE_clEvENKUlvE_clEvEUldE_NS0_6memory8policies10vectorizedILi4ESt5arrayIPcLm2EELi4EEEEEvT0_T1_@rel32@hi+12
	s_mov_b32 s12, s16
	s_swappc_b64 s[30:31], s[4:5]
	s_cbranch_execnz .LBB2_2
.LBB2_4:
	v_mov_b32_e32 v31, v40
	v_mov_b32_e32 v0, s20
	v_mov_b32_e32 v1, s21
	v_mov_b32_e32 v2, s22
	v_mov_b32_e32 v3, s23
	v_mov_b32_e32 v4, s17
	s_getpc_b64 s[4:5]
	s_add_u32 s4, s4, _ZN2at6native25elementwise_kernel_helperILb0EZZZNS0_19digamma_kernel_cudaERNS_18TensorIteratorBaseEENKUlvE_clEvENKUlvE_clEvEUldE_NS0_6memory8policies11unroll_baseILi256ESt5arrayIPcLm2EE23TrivialOffsetCalculatorILi1EjESE_NS7_15LoadWithoutCastENS7_16StoreWithoutCastELi4ELi1EEEEEvT0_T1_@rel32@lo+4
	s_addc_u32 s5, s5, _ZN2at6native25elementwise_kernel_helperILb0EZZZNS0_19digamma_kernel_cudaERNS_18TensorIteratorBaseEENKUlvE_clEvENKUlvE_clEvEUldE_NS0_6memory8policies11unroll_baseILi256ESt5arrayIPcLm2EE23TrivialOffsetCalculatorILi1EjESE_NS7_15LoadWithoutCastENS7_16StoreWithoutCastELi4ELi1EEEEEvT0_T1_@rel32@hi+12
	s_mov_b32 s12, s16
	s_swappc_b64 s[30:31], s[4:5]
	s_endpgm
	.section	.rodata,"a",@progbits
	.p2align	6, 0x0
	.amdhsa_kernel _ZN2at6native29vectorized_elementwise_kernelILi16EZZZNS0_19digamma_kernel_cudaERNS_18TensorIteratorBaseEENKUlvE_clEvENKUlvE_clEvEUldE_St5arrayIPcLm2EEEEviT0_T1_
		.amdhsa_group_segment_fixed_size 0
		.amdhsa_private_segment_fixed_size 0
		.amdhsa_kernarg_size 24
		.amdhsa_user_sgpr_count 6
		.amdhsa_user_sgpr_private_segment_buffer 1
		.amdhsa_user_sgpr_dispatch_ptr 0
		.amdhsa_user_sgpr_queue_ptr 0
		.amdhsa_user_sgpr_kernarg_segment_ptr 1
		.amdhsa_user_sgpr_dispatch_id 0
		.amdhsa_user_sgpr_flat_scratch_init 0
		.amdhsa_user_sgpr_private_segment_size 0
		.amdhsa_wavefront_size32 1
		.amdhsa_uses_dynamic_stack 0
		.amdhsa_system_sgpr_private_segment_wavefront_offset 0
		.amdhsa_system_sgpr_workgroup_id_x 1
		.amdhsa_system_sgpr_workgroup_id_y 0
		.amdhsa_system_sgpr_workgroup_id_z 0
		.amdhsa_system_sgpr_workgroup_info 0
		.amdhsa_system_vgpr_workitem_id 0
		.amdhsa_next_free_vgpr 68
		.amdhsa_next_free_sgpr 33
		.amdhsa_reserve_vcc 1
		.amdhsa_reserve_flat_scratch 1
		.amdhsa_float_round_mode_32 0
		.amdhsa_float_round_mode_16_64 0
		.amdhsa_float_denorm_mode_32 3
		.amdhsa_float_denorm_mode_16_64 3
		.amdhsa_dx10_clamp 1
		.amdhsa_ieee_mode 1
		.amdhsa_fp16_overflow 0
		.amdhsa_workgroup_processor_mode 1
		.amdhsa_memory_ordered 1
		.amdhsa_forward_progress 1
		.amdhsa_shared_vgpr_count 0
		.amdhsa_exception_fp_ieee_invalid_op 0
		.amdhsa_exception_fp_denorm_src 0
		.amdhsa_exception_fp_ieee_div_zero 0
		.amdhsa_exception_fp_ieee_overflow 0
		.amdhsa_exception_fp_ieee_underflow 0
		.amdhsa_exception_fp_ieee_inexact 0
		.amdhsa_exception_int_div_zero 0
	.end_amdhsa_kernel
	.section	.text._ZN2at6native29vectorized_elementwise_kernelILi16EZZZNS0_19digamma_kernel_cudaERNS_18TensorIteratorBaseEENKUlvE_clEvENKUlvE_clEvEUldE_St5arrayIPcLm2EEEEviT0_T1_,"axG",@progbits,_ZN2at6native29vectorized_elementwise_kernelILi16EZZZNS0_19digamma_kernel_cudaERNS_18TensorIteratorBaseEENKUlvE_clEvENKUlvE_clEvEUldE_St5arrayIPcLm2EEEEviT0_T1_,comdat
.Lfunc_end2:
	.size	_ZN2at6native29vectorized_elementwise_kernelILi16EZZZNS0_19digamma_kernel_cudaERNS_18TensorIteratorBaseEENKUlvE_clEvENKUlvE_clEvEUldE_St5arrayIPcLm2EEEEviT0_T1_, .Lfunc_end2-_ZN2at6native29vectorized_elementwise_kernelILi16EZZZNS0_19digamma_kernel_cudaERNS_18TensorIteratorBaseEENKUlvE_clEvENKUlvE_clEvEUldE_St5arrayIPcLm2EEEEviT0_T1_
                                        ; -- End function
	.set _ZN2at6native29vectorized_elementwise_kernelILi16EZZZNS0_19digamma_kernel_cudaERNS_18TensorIteratorBaseEENKUlvE_clEvENKUlvE_clEvEUldE_St5arrayIPcLm2EEEEviT0_T1_.num_vgpr, max(41, .L_ZN2at6native25elementwise_kernel_helperILb0EZZZNS0_19digamma_kernel_cudaERNS_18TensorIteratorBaseEENKUlvE_clEvENKUlvE_clEvEUldE_NS0_6memory8policies10vectorizedILi4ESt5arrayIPcLm2EELi4EEEEEvT0_T1_.num_vgpr, .L_ZN2at6native25elementwise_kernel_helperILb0EZZZNS0_19digamma_kernel_cudaERNS_18TensorIteratorBaseEENKUlvE_clEvENKUlvE_clEvEUldE_NS0_6memory8policies11unroll_baseILi256ESt5arrayIPcLm2EE23TrivialOffsetCalculatorILi1EjESE_NS7_15LoadWithoutCastENS7_16StoreWithoutCastELi4ELi1EEEEEvT0_T1_.num_vgpr)
	.set _ZN2at6native29vectorized_elementwise_kernelILi16EZZZNS0_19digamma_kernel_cudaERNS_18TensorIteratorBaseEENKUlvE_clEvENKUlvE_clEvEUldE_St5arrayIPcLm2EEEEviT0_T1_.num_agpr, max(0, .L_ZN2at6native25elementwise_kernel_helperILb0EZZZNS0_19digamma_kernel_cudaERNS_18TensorIteratorBaseEENKUlvE_clEvENKUlvE_clEvEUldE_NS0_6memory8policies10vectorizedILi4ESt5arrayIPcLm2EELi4EEEEEvT0_T1_.num_agpr, .L_ZN2at6native25elementwise_kernel_helperILb0EZZZNS0_19digamma_kernel_cudaERNS_18TensorIteratorBaseEENKUlvE_clEvENKUlvE_clEvEUldE_NS0_6memory8policies11unroll_baseILi256ESt5arrayIPcLm2EE23TrivialOffsetCalculatorILi1EjESE_NS7_15LoadWithoutCastENS7_16StoreWithoutCastELi4ELi1EEEEEvT0_T1_.num_agpr)
	.set _ZN2at6native29vectorized_elementwise_kernelILi16EZZZNS0_19digamma_kernel_cudaERNS_18TensorIteratorBaseEENKUlvE_clEvENKUlvE_clEvEUldE_St5arrayIPcLm2EEEEviT0_T1_.numbered_sgpr, max(33, .L_ZN2at6native25elementwise_kernel_helperILb0EZZZNS0_19digamma_kernel_cudaERNS_18TensorIteratorBaseEENKUlvE_clEvENKUlvE_clEvEUldE_NS0_6memory8policies10vectorizedILi4ESt5arrayIPcLm2EELi4EEEEEvT0_T1_.numbered_sgpr, .L_ZN2at6native25elementwise_kernel_helperILb0EZZZNS0_19digamma_kernel_cudaERNS_18TensorIteratorBaseEENKUlvE_clEvENKUlvE_clEvEUldE_NS0_6memory8policies11unroll_baseILi256ESt5arrayIPcLm2EE23TrivialOffsetCalculatorILi1EjESE_NS7_15LoadWithoutCastENS7_16StoreWithoutCastELi4ELi1EEEEEvT0_T1_.numbered_sgpr)
	.set _ZN2at6native29vectorized_elementwise_kernelILi16EZZZNS0_19digamma_kernel_cudaERNS_18TensorIteratorBaseEENKUlvE_clEvENKUlvE_clEvEUldE_St5arrayIPcLm2EEEEviT0_T1_.num_named_barrier, max(0, .L_ZN2at6native25elementwise_kernel_helperILb0EZZZNS0_19digamma_kernel_cudaERNS_18TensorIteratorBaseEENKUlvE_clEvENKUlvE_clEvEUldE_NS0_6memory8policies10vectorizedILi4ESt5arrayIPcLm2EELi4EEEEEvT0_T1_.num_named_barrier, .L_ZN2at6native25elementwise_kernel_helperILb0EZZZNS0_19digamma_kernel_cudaERNS_18TensorIteratorBaseEENKUlvE_clEvENKUlvE_clEvEUldE_NS0_6memory8policies11unroll_baseILi256ESt5arrayIPcLm2EE23TrivialOffsetCalculatorILi1EjESE_NS7_15LoadWithoutCastENS7_16StoreWithoutCastELi4ELi1EEEEEvT0_T1_.num_named_barrier)
	.set _ZN2at6native29vectorized_elementwise_kernelILi16EZZZNS0_19digamma_kernel_cudaERNS_18TensorIteratorBaseEENKUlvE_clEvENKUlvE_clEvEUldE_St5arrayIPcLm2EEEEviT0_T1_.private_seg_size, 0+max(.L_ZN2at6native25elementwise_kernel_helperILb0EZZZNS0_19digamma_kernel_cudaERNS_18TensorIteratorBaseEENKUlvE_clEvENKUlvE_clEvEUldE_NS0_6memory8policies10vectorizedILi4ESt5arrayIPcLm2EELi4EEEEEvT0_T1_.private_seg_size, .L_ZN2at6native25elementwise_kernel_helperILb0EZZZNS0_19digamma_kernel_cudaERNS_18TensorIteratorBaseEENKUlvE_clEvENKUlvE_clEvEUldE_NS0_6memory8policies11unroll_baseILi256ESt5arrayIPcLm2EE23TrivialOffsetCalculatorILi1EjESE_NS7_15LoadWithoutCastENS7_16StoreWithoutCastELi4ELi1EEEEEvT0_T1_.private_seg_size)
	.set _ZN2at6native29vectorized_elementwise_kernelILi16EZZZNS0_19digamma_kernel_cudaERNS_18TensorIteratorBaseEENKUlvE_clEvENKUlvE_clEvEUldE_St5arrayIPcLm2EEEEviT0_T1_.uses_vcc, or(1, .L_ZN2at6native25elementwise_kernel_helperILb0EZZZNS0_19digamma_kernel_cudaERNS_18TensorIteratorBaseEENKUlvE_clEvENKUlvE_clEvEUldE_NS0_6memory8policies10vectorizedILi4ESt5arrayIPcLm2EELi4EEEEEvT0_T1_.uses_vcc, .L_ZN2at6native25elementwise_kernel_helperILb0EZZZNS0_19digamma_kernel_cudaERNS_18TensorIteratorBaseEENKUlvE_clEvENKUlvE_clEvEUldE_NS0_6memory8policies11unroll_baseILi256ESt5arrayIPcLm2EE23TrivialOffsetCalculatorILi1EjESE_NS7_15LoadWithoutCastENS7_16StoreWithoutCastELi4ELi1EEEEEvT0_T1_.uses_vcc)
	.set _ZN2at6native29vectorized_elementwise_kernelILi16EZZZNS0_19digamma_kernel_cudaERNS_18TensorIteratorBaseEENKUlvE_clEvENKUlvE_clEvEUldE_St5arrayIPcLm2EEEEviT0_T1_.uses_flat_scratch, or(0, .L_ZN2at6native25elementwise_kernel_helperILb0EZZZNS0_19digamma_kernel_cudaERNS_18TensorIteratorBaseEENKUlvE_clEvENKUlvE_clEvEUldE_NS0_6memory8policies10vectorizedILi4ESt5arrayIPcLm2EELi4EEEEEvT0_T1_.uses_flat_scratch, .L_ZN2at6native25elementwise_kernel_helperILb0EZZZNS0_19digamma_kernel_cudaERNS_18TensorIteratorBaseEENKUlvE_clEvENKUlvE_clEvEUldE_NS0_6memory8policies11unroll_baseILi256ESt5arrayIPcLm2EE23TrivialOffsetCalculatorILi1EjESE_NS7_15LoadWithoutCastENS7_16StoreWithoutCastELi4ELi1EEEEEvT0_T1_.uses_flat_scratch)
	.set _ZN2at6native29vectorized_elementwise_kernelILi16EZZZNS0_19digamma_kernel_cudaERNS_18TensorIteratorBaseEENKUlvE_clEvENKUlvE_clEvEUldE_St5arrayIPcLm2EEEEviT0_T1_.has_dyn_sized_stack, or(0, .L_ZN2at6native25elementwise_kernel_helperILb0EZZZNS0_19digamma_kernel_cudaERNS_18TensorIteratorBaseEENKUlvE_clEvENKUlvE_clEvEUldE_NS0_6memory8policies10vectorizedILi4ESt5arrayIPcLm2EELi4EEEEEvT0_T1_.has_dyn_sized_stack, .L_ZN2at6native25elementwise_kernel_helperILb0EZZZNS0_19digamma_kernel_cudaERNS_18TensorIteratorBaseEENKUlvE_clEvENKUlvE_clEvEUldE_NS0_6memory8policies11unroll_baseILi256ESt5arrayIPcLm2EE23TrivialOffsetCalculatorILi1EjESE_NS7_15LoadWithoutCastENS7_16StoreWithoutCastELi4ELi1EEEEEvT0_T1_.has_dyn_sized_stack)
	.set _ZN2at6native29vectorized_elementwise_kernelILi16EZZZNS0_19digamma_kernel_cudaERNS_18TensorIteratorBaseEENKUlvE_clEvENKUlvE_clEvEUldE_St5arrayIPcLm2EEEEviT0_T1_.has_recursion, or(0, .L_ZN2at6native25elementwise_kernel_helperILb0EZZZNS0_19digamma_kernel_cudaERNS_18TensorIteratorBaseEENKUlvE_clEvENKUlvE_clEvEUldE_NS0_6memory8policies10vectorizedILi4ESt5arrayIPcLm2EELi4EEEEEvT0_T1_.has_recursion, .L_ZN2at6native25elementwise_kernel_helperILb0EZZZNS0_19digamma_kernel_cudaERNS_18TensorIteratorBaseEENKUlvE_clEvENKUlvE_clEvEUldE_NS0_6memory8policies11unroll_baseILi256ESt5arrayIPcLm2EE23TrivialOffsetCalculatorILi1EjESE_NS7_15LoadWithoutCastENS7_16StoreWithoutCastELi4ELi1EEEEEvT0_T1_.has_recursion)
	.set _ZN2at6native29vectorized_elementwise_kernelILi16EZZZNS0_19digamma_kernel_cudaERNS_18TensorIteratorBaseEENKUlvE_clEvENKUlvE_clEvEUldE_St5arrayIPcLm2EEEEviT0_T1_.has_indirect_call, or(0, .L_ZN2at6native25elementwise_kernel_helperILb0EZZZNS0_19digamma_kernel_cudaERNS_18TensorIteratorBaseEENKUlvE_clEvENKUlvE_clEvEUldE_NS0_6memory8policies10vectorizedILi4ESt5arrayIPcLm2EELi4EEEEEvT0_T1_.has_indirect_call, .L_ZN2at6native25elementwise_kernel_helperILb0EZZZNS0_19digamma_kernel_cudaERNS_18TensorIteratorBaseEENKUlvE_clEvENKUlvE_clEvEUldE_NS0_6memory8policies11unroll_baseILi256ESt5arrayIPcLm2EE23TrivialOffsetCalculatorILi1EjESE_NS7_15LoadWithoutCastENS7_16StoreWithoutCastELi4ELi1EEEEEvT0_T1_.has_indirect_call)
	.section	.AMDGPU.csdata,"",@progbits
; Kernel info:
; codeLenInByte = 184
; TotalNumSgprs: 35
; NumVgprs: 68
; ScratchSize: 0
; MemoryBound: 0
; FloatMode: 240
; IeeeMode: 1
; LDSByteSize: 0 bytes/workgroup (compile time only)
; SGPRBlocks: 0
; VGPRBlocks: 8
; NumSGPRsForWavesPerEU: 35
; NumVGPRsForWavesPerEU: 68
; Occupancy: 12
; WaveLimiterHint : 0
; COMPUTE_PGM_RSRC2:SCRATCH_EN: 0
; COMPUTE_PGM_RSRC2:USER_SGPR: 6
; COMPUTE_PGM_RSRC2:TRAP_HANDLER: 0
; COMPUTE_PGM_RSRC2:TGID_X_EN: 1
; COMPUTE_PGM_RSRC2:TGID_Y_EN: 0
; COMPUTE_PGM_RSRC2:TGID_Z_EN: 0
; COMPUTE_PGM_RSRC2:TIDIG_COMP_CNT: 0
	.section	.text._ZN2at6native29vectorized_elementwise_kernelILi8EZZZNS0_19digamma_kernel_cudaERNS_18TensorIteratorBaseEENKUlvE_clEvENKUlvE_clEvEUldE_St5arrayIPcLm2EEEEviT0_T1_,"axG",@progbits,_ZN2at6native29vectorized_elementwise_kernelILi8EZZZNS0_19digamma_kernel_cudaERNS_18TensorIteratorBaseEENKUlvE_clEvENKUlvE_clEvEUldE_St5arrayIPcLm2EEEEviT0_T1_,comdat
	.globl	_ZN2at6native29vectorized_elementwise_kernelILi8EZZZNS0_19digamma_kernel_cudaERNS_18TensorIteratorBaseEENKUlvE_clEvENKUlvE_clEvEUldE_St5arrayIPcLm2EEEEviT0_T1_ ; -- Begin function _ZN2at6native29vectorized_elementwise_kernelILi8EZZZNS0_19digamma_kernel_cudaERNS_18TensorIteratorBaseEENKUlvE_clEvENKUlvE_clEvEUldE_St5arrayIPcLm2EEEEviT0_T1_
	.p2align	8
	.type	_ZN2at6native29vectorized_elementwise_kernelILi8EZZZNS0_19digamma_kernel_cudaERNS_18TensorIteratorBaseEENKUlvE_clEvENKUlvE_clEvEUldE_St5arrayIPcLm2EEEEviT0_T1_,@function
_ZN2at6native29vectorized_elementwise_kernelILi8EZZZNS0_19digamma_kernel_cudaERNS_18TensorIteratorBaseEENKUlvE_clEvENKUlvE_clEvEUldE_St5arrayIPcLm2EEEEviT0_T1_: ; @_ZN2at6native29vectorized_elementwise_kernelILi8EZZZNS0_19digamma_kernel_cudaERNS_18TensorIteratorBaseEENKUlvE_clEvENKUlvE_clEvEUldE_St5arrayIPcLm2EEEEviT0_T1_
; %bb.0:
	s_mov_b32 s16, s6
	s_clause 0x1
	s_load_dword s6, s[4:5], 0x0
	s_load_dwordx4 s[20:23], s[4:5], 0x8
	s_add_u32 s0, s0, s7
	s_addc_u32 s1, s1, 0
	s_lshl_b32 s4, s16, 10
	v_mov_b32_e32 v40, v0
	s_mov_b32 s32, 0
	s_waitcnt lgkmcnt(0)
	s_sub_i32 s17, s6, s4
	s_mov_b32 s4, -1
	s_cmpk_gt_i32 s17, 0x3ff
	s_cbranch_scc1 .LBB3_3
; %bb.1:
	s_andn2_b32 vcc_lo, exec_lo, s4
	s_cbranch_vccz .LBB3_4
.LBB3_2:
	s_endpgm
.LBB3_3:
	v_mov_b32_e32 v31, v40
	v_mov_b32_e32 v0, s20
	;; [unrolled: 1-line block ×5, first 2 shown]
	s_getpc_b64 s[4:5]
	s_add_u32 s4, s4, _ZN2at6native25elementwise_kernel_helperILb0EZZZNS0_19digamma_kernel_cudaERNS_18TensorIteratorBaseEENKUlvE_clEvENKUlvE_clEvEUldE_NS0_6memory8policies10vectorizedILi4ESt5arrayIPcLm2EELi4EEEEEvT0_T1_@rel32@lo+4
	s_addc_u32 s5, s5, _ZN2at6native25elementwise_kernel_helperILb0EZZZNS0_19digamma_kernel_cudaERNS_18TensorIteratorBaseEENKUlvE_clEvENKUlvE_clEvEUldE_NS0_6memory8policies10vectorizedILi4ESt5arrayIPcLm2EELi4EEEEEvT0_T1_@rel32@hi+12
	s_mov_b32 s12, s16
	s_swappc_b64 s[30:31], s[4:5]
	s_cbranch_execnz .LBB3_2
.LBB3_4:
	v_mov_b32_e32 v31, v40
	v_mov_b32_e32 v0, s20
	;; [unrolled: 1-line block ×6, first 2 shown]
	s_getpc_b64 s[4:5]
	s_add_u32 s4, s4, _ZN2at6native25elementwise_kernel_helperILb0EZZZNS0_19digamma_kernel_cudaERNS_18TensorIteratorBaseEENKUlvE_clEvENKUlvE_clEvEUldE_NS0_6memory8policies11unroll_baseILi256ESt5arrayIPcLm2EE23TrivialOffsetCalculatorILi1EjESE_NS7_15LoadWithoutCastENS7_16StoreWithoutCastELi4ELi1EEEEEvT0_T1_@rel32@lo+4
	s_addc_u32 s5, s5, _ZN2at6native25elementwise_kernel_helperILb0EZZZNS0_19digamma_kernel_cudaERNS_18TensorIteratorBaseEENKUlvE_clEvENKUlvE_clEvEUldE_NS0_6memory8policies11unroll_baseILi256ESt5arrayIPcLm2EE23TrivialOffsetCalculatorILi1EjESE_NS7_15LoadWithoutCastENS7_16StoreWithoutCastELi4ELi1EEEEEvT0_T1_@rel32@hi+12
	s_mov_b32 s12, s16
	s_swappc_b64 s[30:31], s[4:5]
	s_endpgm
	.section	.rodata,"a",@progbits
	.p2align	6, 0x0
	.amdhsa_kernel _ZN2at6native29vectorized_elementwise_kernelILi8EZZZNS0_19digamma_kernel_cudaERNS_18TensorIteratorBaseEENKUlvE_clEvENKUlvE_clEvEUldE_St5arrayIPcLm2EEEEviT0_T1_
		.amdhsa_group_segment_fixed_size 0
		.amdhsa_private_segment_fixed_size 0
		.amdhsa_kernarg_size 24
		.amdhsa_user_sgpr_count 6
		.amdhsa_user_sgpr_private_segment_buffer 1
		.amdhsa_user_sgpr_dispatch_ptr 0
		.amdhsa_user_sgpr_queue_ptr 0
		.amdhsa_user_sgpr_kernarg_segment_ptr 1
		.amdhsa_user_sgpr_dispatch_id 0
		.amdhsa_user_sgpr_flat_scratch_init 0
		.amdhsa_user_sgpr_private_segment_size 0
		.amdhsa_wavefront_size32 1
		.amdhsa_uses_dynamic_stack 0
		.amdhsa_system_sgpr_private_segment_wavefront_offset 0
		.amdhsa_system_sgpr_workgroup_id_x 1
		.amdhsa_system_sgpr_workgroup_id_y 0
		.amdhsa_system_sgpr_workgroup_id_z 0
		.amdhsa_system_sgpr_workgroup_info 0
		.amdhsa_system_vgpr_workitem_id 0
		.amdhsa_next_free_vgpr 68
		.amdhsa_next_free_sgpr 33
		.amdhsa_reserve_vcc 1
		.amdhsa_reserve_flat_scratch 1
		.amdhsa_float_round_mode_32 0
		.amdhsa_float_round_mode_16_64 0
		.amdhsa_float_denorm_mode_32 3
		.amdhsa_float_denorm_mode_16_64 3
		.amdhsa_dx10_clamp 1
		.amdhsa_ieee_mode 1
		.amdhsa_fp16_overflow 0
		.amdhsa_workgroup_processor_mode 1
		.amdhsa_memory_ordered 1
		.amdhsa_forward_progress 1
		.amdhsa_shared_vgpr_count 0
		.amdhsa_exception_fp_ieee_invalid_op 0
		.amdhsa_exception_fp_denorm_src 0
		.amdhsa_exception_fp_ieee_div_zero 0
		.amdhsa_exception_fp_ieee_overflow 0
		.amdhsa_exception_fp_ieee_underflow 0
		.amdhsa_exception_fp_ieee_inexact 0
		.amdhsa_exception_int_div_zero 0
	.end_amdhsa_kernel
	.section	.text._ZN2at6native29vectorized_elementwise_kernelILi8EZZZNS0_19digamma_kernel_cudaERNS_18TensorIteratorBaseEENKUlvE_clEvENKUlvE_clEvEUldE_St5arrayIPcLm2EEEEviT0_T1_,"axG",@progbits,_ZN2at6native29vectorized_elementwise_kernelILi8EZZZNS0_19digamma_kernel_cudaERNS_18TensorIteratorBaseEENKUlvE_clEvENKUlvE_clEvEUldE_St5arrayIPcLm2EEEEviT0_T1_,comdat
.Lfunc_end3:
	.size	_ZN2at6native29vectorized_elementwise_kernelILi8EZZZNS0_19digamma_kernel_cudaERNS_18TensorIteratorBaseEENKUlvE_clEvENKUlvE_clEvEUldE_St5arrayIPcLm2EEEEviT0_T1_, .Lfunc_end3-_ZN2at6native29vectorized_elementwise_kernelILi8EZZZNS0_19digamma_kernel_cudaERNS_18TensorIteratorBaseEENKUlvE_clEvENKUlvE_clEvEUldE_St5arrayIPcLm2EEEEviT0_T1_
                                        ; -- End function
	.set _ZN2at6native29vectorized_elementwise_kernelILi8EZZZNS0_19digamma_kernel_cudaERNS_18TensorIteratorBaseEENKUlvE_clEvENKUlvE_clEvEUldE_St5arrayIPcLm2EEEEviT0_T1_.num_vgpr, max(41, .L_ZN2at6native25elementwise_kernel_helperILb0EZZZNS0_19digamma_kernel_cudaERNS_18TensorIteratorBaseEENKUlvE_clEvENKUlvE_clEvEUldE_NS0_6memory8policies10vectorizedILi4ESt5arrayIPcLm2EELi4EEEEEvT0_T1_.num_vgpr, .L_ZN2at6native25elementwise_kernel_helperILb0EZZZNS0_19digamma_kernel_cudaERNS_18TensorIteratorBaseEENKUlvE_clEvENKUlvE_clEvEUldE_NS0_6memory8policies11unroll_baseILi256ESt5arrayIPcLm2EE23TrivialOffsetCalculatorILi1EjESE_NS7_15LoadWithoutCastENS7_16StoreWithoutCastELi4ELi1EEEEEvT0_T1_.num_vgpr)
	.set _ZN2at6native29vectorized_elementwise_kernelILi8EZZZNS0_19digamma_kernel_cudaERNS_18TensorIteratorBaseEENKUlvE_clEvENKUlvE_clEvEUldE_St5arrayIPcLm2EEEEviT0_T1_.num_agpr, max(0, .L_ZN2at6native25elementwise_kernel_helperILb0EZZZNS0_19digamma_kernel_cudaERNS_18TensorIteratorBaseEENKUlvE_clEvENKUlvE_clEvEUldE_NS0_6memory8policies10vectorizedILi4ESt5arrayIPcLm2EELi4EEEEEvT0_T1_.num_agpr, .L_ZN2at6native25elementwise_kernel_helperILb0EZZZNS0_19digamma_kernel_cudaERNS_18TensorIteratorBaseEENKUlvE_clEvENKUlvE_clEvEUldE_NS0_6memory8policies11unroll_baseILi256ESt5arrayIPcLm2EE23TrivialOffsetCalculatorILi1EjESE_NS7_15LoadWithoutCastENS7_16StoreWithoutCastELi4ELi1EEEEEvT0_T1_.num_agpr)
	.set _ZN2at6native29vectorized_elementwise_kernelILi8EZZZNS0_19digamma_kernel_cudaERNS_18TensorIteratorBaseEENKUlvE_clEvENKUlvE_clEvEUldE_St5arrayIPcLm2EEEEviT0_T1_.numbered_sgpr, max(33, .L_ZN2at6native25elementwise_kernel_helperILb0EZZZNS0_19digamma_kernel_cudaERNS_18TensorIteratorBaseEENKUlvE_clEvENKUlvE_clEvEUldE_NS0_6memory8policies10vectorizedILi4ESt5arrayIPcLm2EELi4EEEEEvT0_T1_.numbered_sgpr, .L_ZN2at6native25elementwise_kernel_helperILb0EZZZNS0_19digamma_kernel_cudaERNS_18TensorIteratorBaseEENKUlvE_clEvENKUlvE_clEvEUldE_NS0_6memory8policies11unroll_baseILi256ESt5arrayIPcLm2EE23TrivialOffsetCalculatorILi1EjESE_NS7_15LoadWithoutCastENS7_16StoreWithoutCastELi4ELi1EEEEEvT0_T1_.numbered_sgpr)
	.set _ZN2at6native29vectorized_elementwise_kernelILi8EZZZNS0_19digamma_kernel_cudaERNS_18TensorIteratorBaseEENKUlvE_clEvENKUlvE_clEvEUldE_St5arrayIPcLm2EEEEviT0_T1_.num_named_barrier, max(0, .L_ZN2at6native25elementwise_kernel_helperILb0EZZZNS0_19digamma_kernel_cudaERNS_18TensorIteratorBaseEENKUlvE_clEvENKUlvE_clEvEUldE_NS0_6memory8policies10vectorizedILi4ESt5arrayIPcLm2EELi4EEEEEvT0_T1_.num_named_barrier, .L_ZN2at6native25elementwise_kernel_helperILb0EZZZNS0_19digamma_kernel_cudaERNS_18TensorIteratorBaseEENKUlvE_clEvENKUlvE_clEvEUldE_NS0_6memory8policies11unroll_baseILi256ESt5arrayIPcLm2EE23TrivialOffsetCalculatorILi1EjESE_NS7_15LoadWithoutCastENS7_16StoreWithoutCastELi4ELi1EEEEEvT0_T1_.num_named_barrier)
	.set _ZN2at6native29vectorized_elementwise_kernelILi8EZZZNS0_19digamma_kernel_cudaERNS_18TensorIteratorBaseEENKUlvE_clEvENKUlvE_clEvEUldE_St5arrayIPcLm2EEEEviT0_T1_.private_seg_size, 0+max(.L_ZN2at6native25elementwise_kernel_helperILb0EZZZNS0_19digamma_kernel_cudaERNS_18TensorIteratorBaseEENKUlvE_clEvENKUlvE_clEvEUldE_NS0_6memory8policies10vectorizedILi4ESt5arrayIPcLm2EELi4EEEEEvT0_T1_.private_seg_size, .L_ZN2at6native25elementwise_kernel_helperILb0EZZZNS0_19digamma_kernel_cudaERNS_18TensorIteratorBaseEENKUlvE_clEvENKUlvE_clEvEUldE_NS0_6memory8policies11unroll_baseILi256ESt5arrayIPcLm2EE23TrivialOffsetCalculatorILi1EjESE_NS7_15LoadWithoutCastENS7_16StoreWithoutCastELi4ELi1EEEEEvT0_T1_.private_seg_size)
	.set _ZN2at6native29vectorized_elementwise_kernelILi8EZZZNS0_19digamma_kernel_cudaERNS_18TensorIteratorBaseEENKUlvE_clEvENKUlvE_clEvEUldE_St5arrayIPcLm2EEEEviT0_T1_.uses_vcc, or(1, .L_ZN2at6native25elementwise_kernel_helperILb0EZZZNS0_19digamma_kernel_cudaERNS_18TensorIteratorBaseEENKUlvE_clEvENKUlvE_clEvEUldE_NS0_6memory8policies10vectorizedILi4ESt5arrayIPcLm2EELi4EEEEEvT0_T1_.uses_vcc, .L_ZN2at6native25elementwise_kernel_helperILb0EZZZNS0_19digamma_kernel_cudaERNS_18TensorIteratorBaseEENKUlvE_clEvENKUlvE_clEvEUldE_NS0_6memory8policies11unroll_baseILi256ESt5arrayIPcLm2EE23TrivialOffsetCalculatorILi1EjESE_NS7_15LoadWithoutCastENS7_16StoreWithoutCastELi4ELi1EEEEEvT0_T1_.uses_vcc)
	.set _ZN2at6native29vectorized_elementwise_kernelILi8EZZZNS0_19digamma_kernel_cudaERNS_18TensorIteratorBaseEENKUlvE_clEvENKUlvE_clEvEUldE_St5arrayIPcLm2EEEEviT0_T1_.uses_flat_scratch, or(0, .L_ZN2at6native25elementwise_kernel_helperILb0EZZZNS0_19digamma_kernel_cudaERNS_18TensorIteratorBaseEENKUlvE_clEvENKUlvE_clEvEUldE_NS0_6memory8policies10vectorizedILi4ESt5arrayIPcLm2EELi4EEEEEvT0_T1_.uses_flat_scratch, .L_ZN2at6native25elementwise_kernel_helperILb0EZZZNS0_19digamma_kernel_cudaERNS_18TensorIteratorBaseEENKUlvE_clEvENKUlvE_clEvEUldE_NS0_6memory8policies11unroll_baseILi256ESt5arrayIPcLm2EE23TrivialOffsetCalculatorILi1EjESE_NS7_15LoadWithoutCastENS7_16StoreWithoutCastELi4ELi1EEEEEvT0_T1_.uses_flat_scratch)
	.set _ZN2at6native29vectorized_elementwise_kernelILi8EZZZNS0_19digamma_kernel_cudaERNS_18TensorIteratorBaseEENKUlvE_clEvENKUlvE_clEvEUldE_St5arrayIPcLm2EEEEviT0_T1_.has_dyn_sized_stack, or(0, .L_ZN2at6native25elementwise_kernel_helperILb0EZZZNS0_19digamma_kernel_cudaERNS_18TensorIteratorBaseEENKUlvE_clEvENKUlvE_clEvEUldE_NS0_6memory8policies10vectorizedILi4ESt5arrayIPcLm2EELi4EEEEEvT0_T1_.has_dyn_sized_stack, .L_ZN2at6native25elementwise_kernel_helperILb0EZZZNS0_19digamma_kernel_cudaERNS_18TensorIteratorBaseEENKUlvE_clEvENKUlvE_clEvEUldE_NS0_6memory8policies11unroll_baseILi256ESt5arrayIPcLm2EE23TrivialOffsetCalculatorILi1EjESE_NS7_15LoadWithoutCastENS7_16StoreWithoutCastELi4ELi1EEEEEvT0_T1_.has_dyn_sized_stack)
	.set _ZN2at6native29vectorized_elementwise_kernelILi8EZZZNS0_19digamma_kernel_cudaERNS_18TensorIteratorBaseEENKUlvE_clEvENKUlvE_clEvEUldE_St5arrayIPcLm2EEEEviT0_T1_.has_recursion, or(0, .L_ZN2at6native25elementwise_kernel_helperILb0EZZZNS0_19digamma_kernel_cudaERNS_18TensorIteratorBaseEENKUlvE_clEvENKUlvE_clEvEUldE_NS0_6memory8policies10vectorizedILi4ESt5arrayIPcLm2EELi4EEEEEvT0_T1_.has_recursion, .L_ZN2at6native25elementwise_kernel_helperILb0EZZZNS0_19digamma_kernel_cudaERNS_18TensorIteratorBaseEENKUlvE_clEvENKUlvE_clEvEUldE_NS0_6memory8policies11unroll_baseILi256ESt5arrayIPcLm2EE23TrivialOffsetCalculatorILi1EjESE_NS7_15LoadWithoutCastENS7_16StoreWithoutCastELi4ELi1EEEEEvT0_T1_.has_recursion)
	.set _ZN2at6native29vectorized_elementwise_kernelILi8EZZZNS0_19digamma_kernel_cudaERNS_18TensorIteratorBaseEENKUlvE_clEvENKUlvE_clEvEUldE_St5arrayIPcLm2EEEEviT0_T1_.has_indirect_call, or(0, .L_ZN2at6native25elementwise_kernel_helperILb0EZZZNS0_19digamma_kernel_cudaERNS_18TensorIteratorBaseEENKUlvE_clEvENKUlvE_clEvEUldE_NS0_6memory8policies10vectorizedILi4ESt5arrayIPcLm2EELi4EEEEEvT0_T1_.has_indirect_call, .L_ZN2at6native25elementwise_kernel_helperILb0EZZZNS0_19digamma_kernel_cudaERNS_18TensorIteratorBaseEENKUlvE_clEvENKUlvE_clEvEUldE_NS0_6memory8policies11unroll_baseILi256ESt5arrayIPcLm2EE23TrivialOffsetCalculatorILi1EjESE_NS7_15LoadWithoutCastENS7_16StoreWithoutCastELi4ELi1EEEEEvT0_T1_.has_indirect_call)
	.section	.AMDGPU.csdata,"",@progbits
; Kernel info:
; codeLenInByte = 184
; TotalNumSgprs: 35
; NumVgprs: 68
; ScratchSize: 0
; MemoryBound: 0
; FloatMode: 240
; IeeeMode: 1
; LDSByteSize: 0 bytes/workgroup (compile time only)
; SGPRBlocks: 0
; VGPRBlocks: 8
; NumSGPRsForWavesPerEU: 35
; NumVGPRsForWavesPerEU: 68
; Occupancy: 12
; WaveLimiterHint : 0
; COMPUTE_PGM_RSRC2:SCRATCH_EN: 0
; COMPUTE_PGM_RSRC2:USER_SGPR: 6
; COMPUTE_PGM_RSRC2:TRAP_HANDLER: 0
; COMPUTE_PGM_RSRC2:TGID_X_EN: 1
; COMPUTE_PGM_RSRC2:TGID_Y_EN: 0
; COMPUTE_PGM_RSRC2:TGID_Z_EN: 0
; COMPUTE_PGM_RSRC2:TIDIG_COMP_CNT: 0
	.section	.text._ZN2at6native29vectorized_elementwise_kernelILi4EZZZNS0_19digamma_kernel_cudaERNS_18TensorIteratorBaseEENKUlvE_clEvENKUlvE_clEvEUldE_St5arrayIPcLm2EEEEviT0_T1_,"axG",@progbits,_ZN2at6native29vectorized_elementwise_kernelILi4EZZZNS0_19digamma_kernel_cudaERNS_18TensorIteratorBaseEENKUlvE_clEvENKUlvE_clEvEUldE_St5arrayIPcLm2EEEEviT0_T1_,comdat
	.globl	_ZN2at6native29vectorized_elementwise_kernelILi4EZZZNS0_19digamma_kernel_cudaERNS_18TensorIteratorBaseEENKUlvE_clEvENKUlvE_clEvEUldE_St5arrayIPcLm2EEEEviT0_T1_ ; -- Begin function _ZN2at6native29vectorized_elementwise_kernelILi4EZZZNS0_19digamma_kernel_cudaERNS_18TensorIteratorBaseEENKUlvE_clEvENKUlvE_clEvEUldE_St5arrayIPcLm2EEEEviT0_T1_
	.p2align	8
	.type	_ZN2at6native29vectorized_elementwise_kernelILi4EZZZNS0_19digamma_kernel_cudaERNS_18TensorIteratorBaseEENKUlvE_clEvENKUlvE_clEvEUldE_St5arrayIPcLm2EEEEviT0_T1_,@function
_ZN2at6native29vectorized_elementwise_kernelILi4EZZZNS0_19digamma_kernel_cudaERNS_18TensorIteratorBaseEENKUlvE_clEvENKUlvE_clEvEUldE_St5arrayIPcLm2EEEEviT0_T1_: ; @_ZN2at6native29vectorized_elementwise_kernelILi4EZZZNS0_19digamma_kernel_cudaERNS_18TensorIteratorBaseEENKUlvE_clEvENKUlvE_clEvEUldE_St5arrayIPcLm2EEEEviT0_T1_
; %bb.0:
	s_mov_b32 s16, s6
	s_clause 0x1
	s_load_dword s6, s[4:5], 0x0
	s_load_dwordx4 s[20:23], s[4:5], 0x8
	s_add_u32 s0, s0, s7
	s_addc_u32 s1, s1, 0
	s_lshl_b32 s4, s16, 10
	v_mov_b32_e32 v40, v0
	s_mov_b32 s32, 0
	s_waitcnt lgkmcnt(0)
	s_sub_i32 s17, s6, s4
	s_mov_b32 s4, -1
	s_cmpk_gt_i32 s17, 0x3ff
	s_cbranch_scc1 .LBB4_3
; %bb.1:
	s_andn2_b32 vcc_lo, exec_lo, s4
	s_cbranch_vccz .LBB4_4
.LBB4_2:
	s_endpgm
.LBB4_3:
	v_mov_b32_e32 v31, v40
	v_mov_b32_e32 v0, s20
	;; [unrolled: 1-line block ×5, first 2 shown]
	s_getpc_b64 s[4:5]
	s_add_u32 s4, s4, _ZN2at6native25elementwise_kernel_helperILb0EZZZNS0_19digamma_kernel_cudaERNS_18TensorIteratorBaseEENKUlvE_clEvENKUlvE_clEvEUldE_NS0_6memory8policies10vectorizedILi4ESt5arrayIPcLm2EELi4EEEEEvT0_T1_@rel32@lo+4
	s_addc_u32 s5, s5, _ZN2at6native25elementwise_kernel_helperILb0EZZZNS0_19digamma_kernel_cudaERNS_18TensorIteratorBaseEENKUlvE_clEvENKUlvE_clEvEUldE_NS0_6memory8policies10vectorizedILi4ESt5arrayIPcLm2EELi4EEEEEvT0_T1_@rel32@hi+12
	s_mov_b32 s12, s16
	s_swappc_b64 s[30:31], s[4:5]
	s_cbranch_execnz .LBB4_2
.LBB4_4:
	v_mov_b32_e32 v31, v40
	v_mov_b32_e32 v0, s20
	;; [unrolled: 1-line block ×6, first 2 shown]
	s_getpc_b64 s[4:5]
	s_add_u32 s4, s4, _ZN2at6native25elementwise_kernel_helperILb0EZZZNS0_19digamma_kernel_cudaERNS_18TensorIteratorBaseEENKUlvE_clEvENKUlvE_clEvEUldE_NS0_6memory8policies11unroll_baseILi256ESt5arrayIPcLm2EE23TrivialOffsetCalculatorILi1EjESE_NS7_15LoadWithoutCastENS7_16StoreWithoutCastELi4ELi1EEEEEvT0_T1_@rel32@lo+4
	s_addc_u32 s5, s5, _ZN2at6native25elementwise_kernel_helperILb0EZZZNS0_19digamma_kernel_cudaERNS_18TensorIteratorBaseEENKUlvE_clEvENKUlvE_clEvEUldE_NS0_6memory8policies11unroll_baseILi256ESt5arrayIPcLm2EE23TrivialOffsetCalculatorILi1EjESE_NS7_15LoadWithoutCastENS7_16StoreWithoutCastELi4ELi1EEEEEvT0_T1_@rel32@hi+12
	s_mov_b32 s12, s16
	s_swappc_b64 s[30:31], s[4:5]
	s_endpgm
	.section	.rodata,"a",@progbits
	.p2align	6, 0x0
	.amdhsa_kernel _ZN2at6native29vectorized_elementwise_kernelILi4EZZZNS0_19digamma_kernel_cudaERNS_18TensorIteratorBaseEENKUlvE_clEvENKUlvE_clEvEUldE_St5arrayIPcLm2EEEEviT0_T1_
		.amdhsa_group_segment_fixed_size 0
		.amdhsa_private_segment_fixed_size 0
		.amdhsa_kernarg_size 24
		.amdhsa_user_sgpr_count 6
		.amdhsa_user_sgpr_private_segment_buffer 1
		.amdhsa_user_sgpr_dispatch_ptr 0
		.amdhsa_user_sgpr_queue_ptr 0
		.amdhsa_user_sgpr_kernarg_segment_ptr 1
		.amdhsa_user_sgpr_dispatch_id 0
		.amdhsa_user_sgpr_flat_scratch_init 0
		.amdhsa_user_sgpr_private_segment_size 0
		.amdhsa_wavefront_size32 1
		.amdhsa_uses_dynamic_stack 0
		.amdhsa_system_sgpr_private_segment_wavefront_offset 0
		.amdhsa_system_sgpr_workgroup_id_x 1
		.amdhsa_system_sgpr_workgroup_id_y 0
		.amdhsa_system_sgpr_workgroup_id_z 0
		.amdhsa_system_sgpr_workgroup_info 0
		.amdhsa_system_vgpr_workitem_id 0
		.amdhsa_next_free_vgpr 68
		.amdhsa_next_free_sgpr 33
		.amdhsa_reserve_vcc 1
		.amdhsa_reserve_flat_scratch 1
		.amdhsa_float_round_mode_32 0
		.amdhsa_float_round_mode_16_64 0
		.amdhsa_float_denorm_mode_32 3
		.amdhsa_float_denorm_mode_16_64 3
		.amdhsa_dx10_clamp 1
		.amdhsa_ieee_mode 1
		.amdhsa_fp16_overflow 0
		.amdhsa_workgroup_processor_mode 1
		.amdhsa_memory_ordered 1
		.amdhsa_forward_progress 1
		.amdhsa_shared_vgpr_count 0
		.amdhsa_exception_fp_ieee_invalid_op 0
		.amdhsa_exception_fp_denorm_src 0
		.amdhsa_exception_fp_ieee_div_zero 0
		.amdhsa_exception_fp_ieee_overflow 0
		.amdhsa_exception_fp_ieee_underflow 0
		.amdhsa_exception_fp_ieee_inexact 0
		.amdhsa_exception_int_div_zero 0
	.end_amdhsa_kernel
	.section	.text._ZN2at6native29vectorized_elementwise_kernelILi4EZZZNS0_19digamma_kernel_cudaERNS_18TensorIteratorBaseEENKUlvE_clEvENKUlvE_clEvEUldE_St5arrayIPcLm2EEEEviT0_T1_,"axG",@progbits,_ZN2at6native29vectorized_elementwise_kernelILi4EZZZNS0_19digamma_kernel_cudaERNS_18TensorIteratorBaseEENKUlvE_clEvENKUlvE_clEvEUldE_St5arrayIPcLm2EEEEviT0_T1_,comdat
.Lfunc_end4:
	.size	_ZN2at6native29vectorized_elementwise_kernelILi4EZZZNS0_19digamma_kernel_cudaERNS_18TensorIteratorBaseEENKUlvE_clEvENKUlvE_clEvEUldE_St5arrayIPcLm2EEEEviT0_T1_, .Lfunc_end4-_ZN2at6native29vectorized_elementwise_kernelILi4EZZZNS0_19digamma_kernel_cudaERNS_18TensorIteratorBaseEENKUlvE_clEvENKUlvE_clEvEUldE_St5arrayIPcLm2EEEEviT0_T1_
                                        ; -- End function
	.set _ZN2at6native29vectorized_elementwise_kernelILi4EZZZNS0_19digamma_kernel_cudaERNS_18TensorIteratorBaseEENKUlvE_clEvENKUlvE_clEvEUldE_St5arrayIPcLm2EEEEviT0_T1_.num_vgpr, max(41, .L_ZN2at6native25elementwise_kernel_helperILb0EZZZNS0_19digamma_kernel_cudaERNS_18TensorIteratorBaseEENKUlvE_clEvENKUlvE_clEvEUldE_NS0_6memory8policies10vectorizedILi4ESt5arrayIPcLm2EELi4EEEEEvT0_T1_.num_vgpr, .L_ZN2at6native25elementwise_kernel_helperILb0EZZZNS0_19digamma_kernel_cudaERNS_18TensorIteratorBaseEENKUlvE_clEvENKUlvE_clEvEUldE_NS0_6memory8policies11unroll_baseILi256ESt5arrayIPcLm2EE23TrivialOffsetCalculatorILi1EjESE_NS7_15LoadWithoutCastENS7_16StoreWithoutCastELi4ELi1EEEEEvT0_T1_.num_vgpr)
	.set _ZN2at6native29vectorized_elementwise_kernelILi4EZZZNS0_19digamma_kernel_cudaERNS_18TensorIteratorBaseEENKUlvE_clEvENKUlvE_clEvEUldE_St5arrayIPcLm2EEEEviT0_T1_.num_agpr, max(0, .L_ZN2at6native25elementwise_kernel_helperILb0EZZZNS0_19digamma_kernel_cudaERNS_18TensorIteratorBaseEENKUlvE_clEvENKUlvE_clEvEUldE_NS0_6memory8policies10vectorizedILi4ESt5arrayIPcLm2EELi4EEEEEvT0_T1_.num_agpr, .L_ZN2at6native25elementwise_kernel_helperILb0EZZZNS0_19digamma_kernel_cudaERNS_18TensorIteratorBaseEENKUlvE_clEvENKUlvE_clEvEUldE_NS0_6memory8policies11unroll_baseILi256ESt5arrayIPcLm2EE23TrivialOffsetCalculatorILi1EjESE_NS7_15LoadWithoutCastENS7_16StoreWithoutCastELi4ELi1EEEEEvT0_T1_.num_agpr)
	.set _ZN2at6native29vectorized_elementwise_kernelILi4EZZZNS0_19digamma_kernel_cudaERNS_18TensorIteratorBaseEENKUlvE_clEvENKUlvE_clEvEUldE_St5arrayIPcLm2EEEEviT0_T1_.numbered_sgpr, max(33, .L_ZN2at6native25elementwise_kernel_helperILb0EZZZNS0_19digamma_kernel_cudaERNS_18TensorIteratorBaseEENKUlvE_clEvENKUlvE_clEvEUldE_NS0_6memory8policies10vectorizedILi4ESt5arrayIPcLm2EELi4EEEEEvT0_T1_.numbered_sgpr, .L_ZN2at6native25elementwise_kernel_helperILb0EZZZNS0_19digamma_kernel_cudaERNS_18TensorIteratorBaseEENKUlvE_clEvENKUlvE_clEvEUldE_NS0_6memory8policies11unroll_baseILi256ESt5arrayIPcLm2EE23TrivialOffsetCalculatorILi1EjESE_NS7_15LoadWithoutCastENS7_16StoreWithoutCastELi4ELi1EEEEEvT0_T1_.numbered_sgpr)
	.set _ZN2at6native29vectorized_elementwise_kernelILi4EZZZNS0_19digamma_kernel_cudaERNS_18TensorIteratorBaseEENKUlvE_clEvENKUlvE_clEvEUldE_St5arrayIPcLm2EEEEviT0_T1_.num_named_barrier, max(0, .L_ZN2at6native25elementwise_kernel_helperILb0EZZZNS0_19digamma_kernel_cudaERNS_18TensorIteratorBaseEENKUlvE_clEvENKUlvE_clEvEUldE_NS0_6memory8policies10vectorizedILi4ESt5arrayIPcLm2EELi4EEEEEvT0_T1_.num_named_barrier, .L_ZN2at6native25elementwise_kernel_helperILb0EZZZNS0_19digamma_kernel_cudaERNS_18TensorIteratorBaseEENKUlvE_clEvENKUlvE_clEvEUldE_NS0_6memory8policies11unroll_baseILi256ESt5arrayIPcLm2EE23TrivialOffsetCalculatorILi1EjESE_NS7_15LoadWithoutCastENS7_16StoreWithoutCastELi4ELi1EEEEEvT0_T1_.num_named_barrier)
	.set _ZN2at6native29vectorized_elementwise_kernelILi4EZZZNS0_19digamma_kernel_cudaERNS_18TensorIteratorBaseEENKUlvE_clEvENKUlvE_clEvEUldE_St5arrayIPcLm2EEEEviT0_T1_.private_seg_size, 0+max(.L_ZN2at6native25elementwise_kernel_helperILb0EZZZNS0_19digamma_kernel_cudaERNS_18TensorIteratorBaseEENKUlvE_clEvENKUlvE_clEvEUldE_NS0_6memory8policies10vectorizedILi4ESt5arrayIPcLm2EELi4EEEEEvT0_T1_.private_seg_size, .L_ZN2at6native25elementwise_kernel_helperILb0EZZZNS0_19digamma_kernel_cudaERNS_18TensorIteratorBaseEENKUlvE_clEvENKUlvE_clEvEUldE_NS0_6memory8policies11unroll_baseILi256ESt5arrayIPcLm2EE23TrivialOffsetCalculatorILi1EjESE_NS7_15LoadWithoutCastENS7_16StoreWithoutCastELi4ELi1EEEEEvT0_T1_.private_seg_size)
	.set _ZN2at6native29vectorized_elementwise_kernelILi4EZZZNS0_19digamma_kernel_cudaERNS_18TensorIteratorBaseEENKUlvE_clEvENKUlvE_clEvEUldE_St5arrayIPcLm2EEEEviT0_T1_.uses_vcc, or(1, .L_ZN2at6native25elementwise_kernel_helperILb0EZZZNS0_19digamma_kernel_cudaERNS_18TensorIteratorBaseEENKUlvE_clEvENKUlvE_clEvEUldE_NS0_6memory8policies10vectorizedILi4ESt5arrayIPcLm2EELi4EEEEEvT0_T1_.uses_vcc, .L_ZN2at6native25elementwise_kernel_helperILb0EZZZNS0_19digamma_kernel_cudaERNS_18TensorIteratorBaseEENKUlvE_clEvENKUlvE_clEvEUldE_NS0_6memory8policies11unroll_baseILi256ESt5arrayIPcLm2EE23TrivialOffsetCalculatorILi1EjESE_NS7_15LoadWithoutCastENS7_16StoreWithoutCastELi4ELi1EEEEEvT0_T1_.uses_vcc)
	.set _ZN2at6native29vectorized_elementwise_kernelILi4EZZZNS0_19digamma_kernel_cudaERNS_18TensorIteratorBaseEENKUlvE_clEvENKUlvE_clEvEUldE_St5arrayIPcLm2EEEEviT0_T1_.uses_flat_scratch, or(0, .L_ZN2at6native25elementwise_kernel_helperILb0EZZZNS0_19digamma_kernel_cudaERNS_18TensorIteratorBaseEENKUlvE_clEvENKUlvE_clEvEUldE_NS0_6memory8policies10vectorizedILi4ESt5arrayIPcLm2EELi4EEEEEvT0_T1_.uses_flat_scratch, .L_ZN2at6native25elementwise_kernel_helperILb0EZZZNS0_19digamma_kernel_cudaERNS_18TensorIteratorBaseEENKUlvE_clEvENKUlvE_clEvEUldE_NS0_6memory8policies11unroll_baseILi256ESt5arrayIPcLm2EE23TrivialOffsetCalculatorILi1EjESE_NS7_15LoadWithoutCastENS7_16StoreWithoutCastELi4ELi1EEEEEvT0_T1_.uses_flat_scratch)
	.set _ZN2at6native29vectorized_elementwise_kernelILi4EZZZNS0_19digamma_kernel_cudaERNS_18TensorIteratorBaseEENKUlvE_clEvENKUlvE_clEvEUldE_St5arrayIPcLm2EEEEviT0_T1_.has_dyn_sized_stack, or(0, .L_ZN2at6native25elementwise_kernel_helperILb0EZZZNS0_19digamma_kernel_cudaERNS_18TensorIteratorBaseEENKUlvE_clEvENKUlvE_clEvEUldE_NS0_6memory8policies10vectorizedILi4ESt5arrayIPcLm2EELi4EEEEEvT0_T1_.has_dyn_sized_stack, .L_ZN2at6native25elementwise_kernel_helperILb0EZZZNS0_19digamma_kernel_cudaERNS_18TensorIteratorBaseEENKUlvE_clEvENKUlvE_clEvEUldE_NS0_6memory8policies11unroll_baseILi256ESt5arrayIPcLm2EE23TrivialOffsetCalculatorILi1EjESE_NS7_15LoadWithoutCastENS7_16StoreWithoutCastELi4ELi1EEEEEvT0_T1_.has_dyn_sized_stack)
	.set _ZN2at6native29vectorized_elementwise_kernelILi4EZZZNS0_19digamma_kernel_cudaERNS_18TensorIteratorBaseEENKUlvE_clEvENKUlvE_clEvEUldE_St5arrayIPcLm2EEEEviT0_T1_.has_recursion, or(0, .L_ZN2at6native25elementwise_kernel_helperILb0EZZZNS0_19digamma_kernel_cudaERNS_18TensorIteratorBaseEENKUlvE_clEvENKUlvE_clEvEUldE_NS0_6memory8policies10vectorizedILi4ESt5arrayIPcLm2EELi4EEEEEvT0_T1_.has_recursion, .L_ZN2at6native25elementwise_kernel_helperILb0EZZZNS0_19digamma_kernel_cudaERNS_18TensorIteratorBaseEENKUlvE_clEvENKUlvE_clEvEUldE_NS0_6memory8policies11unroll_baseILi256ESt5arrayIPcLm2EE23TrivialOffsetCalculatorILi1EjESE_NS7_15LoadWithoutCastENS7_16StoreWithoutCastELi4ELi1EEEEEvT0_T1_.has_recursion)
	.set _ZN2at6native29vectorized_elementwise_kernelILi4EZZZNS0_19digamma_kernel_cudaERNS_18TensorIteratorBaseEENKUlvE_clEvENKUlvE_clEvEUldE_St5arrayIPcLm2EEEEviT0_T1_.has_indirect_call, or(0, .L_ZN2at6native25elementwise_kernel_helperILb0EZZZNS0_19digamma_kernel_cudaERNS_18TensorIteratorBaseEENKUlvE_clEvENKUlvE_clEvEUldE_NS0_6memory8policies10vectorizedILi4ESt5arrayIPcLm2EELi4EEEEEvT0_T1_.has_indirect_call, .L_ZN2at6native25elementwise_kernel_helperILb0EZZZNS0_19digamma_kernel_cudaERNS_18TensorIteratorBaseEENKUlvE_clEvENKUlvE_clEvEUldE_NS0_6memory8policies11unroll_baseILi256ESt5arrayIPcLm2EE23TrivialOffsetCalculatorILi1EjESE_NS7_15LoadWithoutCastENS7_16StoreWithoutCastELi4ELi1EEEEEvT0_T1_.has_indirect_call)
	.section	.AMDGPU.csdata,"",@progbits
; Kernel info:
; codeLenInByte = 184
; TotalNumSgprs: 35
; NumVgprs: 68
; ScratchSize: 0
; MemoryBound: 0
; FloatMode: 240
; IeeeMode: 1
; LDSByteSize: 0 bytes/workgroup (compile time only)
; SGPRBlocks: 0
; VGPRBlocks: 8
; NumSGPRsForWavesPerEU: 35
; NumVGPRsForWavesPerEU: 68
; Occupancy: 12
; WaveLimiterHint : 0
; COMPUTE_PGM_RSRC2:SCRATCH_EN: 0
; COMPUTE_PGM_RSRC2:USER_SGPR: 6
; COMPUTE_PGM_RSRC2:TRAP_HANDLER: 0
; COMPUTE_PGM_RSRC2:TGID_X_EN: 1
; COMPUTE_PGM_RSRC2:TGID_Y_EN: 0
; COMPUTE_PGM_RSRC2:TGID_Z_EN: 0
; COMPUTE_PGM_RSRC2:TIDIG_COMP_CNT: 0
	.section	.text._ZN2at6native29vectorized_elementwise_kernelILi2EZZZNS0_19digamma_kernel_cudaERNS_18TensorIteratorBaseEENKUlvE_clEvENKUlvE_clEvEUldE_St5arrayIPcLm2EEEEviT0_T1_,"axG",@progbits,_ZN2at6native29vectorized_elementwise_kernelILi2EZZZNS0_19digamma_kernel_cudaERNS_18TensorIteratorBaseEENKUlvE_clEvENKUlvE_clEvEUldE_St5arrayIPcLm2EEEEviT0_T1_,comdat
	.globl	_ZN2at6native29vectorized_elementwise_kernelILi2EZZZNS0_19digamma_kernel_cudaERNS_18TensorIteratorBaseEENKUlvE_clEvENKUlvE_clEvEUldE_St5arrayIPcLm2EEEEviT0_T1_ ; -- Begin function _ZN2at6native29vectorized_elementwise_kernelILi2EZZZNS0_19digamma_kernel_cudaERNS_18TensorIteratorBaseEENKUlvE_clEvENKUlvE_clEvEUldE_St5arrayIPcLm2EEEEviT0_T1_
	.p2align	8
	.type	_ZN2at6native29vectorized_elementwise_kernelILi2EZZZNS0_19digamma_kernel_cudaERNS_18TensorIteratorBaseEENKUlvE_clEvENKUlvE_clEvEUldE_St5arrayIPcLm2EEEEviT0_T1_,@function
_ZN2at6native29vectorized_elementwise_kernelILi2EZZZNS0_19digamma_kernel_cudaERNS_18TensorIteratorBaseEENKUlvE_clEvENKUlvE_clEvEUldE_St5arrayIPcLm2EEEEviT0_T1_: ; @_ZN2at6native29vectorized_elementwise_kernelILi2EZZZNS0_19digamma_kernel_cudaERNS_18TensorIteratorBaseEENKUlvE_clEvENKUlvE_clEvEUldE_St5arrayIPcLm2EEEEviT0_T1_
; %bb.0:
	s_add_u32 s0, s0, s7
	s_clause 0x1
	s_load_dword s7, s[4:5], 0x0
	s_load_dwordx4 s[8:11], s[4:5], 0x8
	s_addc_u32 s1, s1, 0
	s_lshl_b32 s4, s6, 10
	s_mov_b32 s5, -1
	s_mov_b32 s32, 0
	s_waitcnt lgkmcnt(0)
	s_sub_i32 s7, s7, s4
	s_cmpk_gt_i32 s7, 0x3ff
	s_cbranch_scc1 .LBB5_3
; %bb.1:
	s_and_b32 vcc_lo, exec_lo, s5
	s_cbranch_vccnz .LBB5_100
.LBB5_2:
	s_endpgm
.LBB5_3:
	s_ashr_i32 s5, s4, 31
	v_lshlrev_b32_e32 v15, 4, v0
	s_lshl_b64 s[12:13], s[4:5], 3
                                        ; implicit-def: $vgpr5_vgpr6
	s_add_u32 s4, s10, s12
	s_addc_u32 s5, s11, s13
	global_load_dwordx4 v[7:10], v15, s[4:5]
	v_add_co_u32 v1, s4, s4, v15
	v_add_co_ci_u32_e64 v2, null, s5, 0, s4
	s_mov_b32 s4, exec_lo
	v_add_co_u32 v1, vcc_lo, 0x1000, v1
	v_add_co_ci_u32_e64 v2, null, 0, v2, vcc_lo
	global_load_dwordx4 v[1:4], v[1:2], off
	s_waitcnt vmcnt(1)
	v_cmpx_neq_f64_e32 0, v[7:8]
	s_xor_b32 s14, exec_lo, s4
	s_cbranch_execz .LBB5_25
; %bb.4:
	v_mov_b32_e32 v11, 0
	v_mov_b32_e32 v12, 0
	s_mov_b32 s5, -1
	s_mov_b32 s15, exec_lo
	v_cmpx_gt_f64_e32 0, v[7:8]
	s_cbranch_execz .LBB5_12
; %bb.5:
	v_trunc_f64_e32 v[5:6], v[7:8]
	v_mov_b32_e32 v11, 0
	v_mov_b32_e32 v12, 0
	s_mov_b32 s5, 0
	s_mov_b32 s16, exec_lo
	v_cmpx_neq_f64_e32 v[7:8], v[5:6]
	s_cbranch_execz .LBB5_11
; %bb.6:
	v_add_f64 v[5:6], v[7:8], -v[5:6]
	s_mov_b32 s5, 0xc00921fb
	s_mov_b32 s4, 0x54442d18
	v_cmp_neq_f64_e64 vcc_lo, 0x7ff00000, |v[7:8]|
	s_mov_b32 s17, exec_lo
                                        ; implicit-def: $vgpr16
                                        ; implicit-def: $vgpr11_vgpr12
                                        ; implicit-def: $vgpr13_vgpr14
	v_mul_f64 v[5:6], |v[5:6]|, s[4:5]
	v_cndmask_b32_e32 v6, 0x80000000, v6, vcc_lo
	v_cndmask_b32_e32 v5, 0, v5, vcc_lo
	v_cmpx_ngt_f64_e64 0x41d00000, |v[5:6]|
	s_xor_b32 s17, exec_lo, s17
	s_cbranch_execz .LBB5_8
; %bb.7:
	v_ldexp_f64 v[11:12], |v[5:6]|, 0xffffff80
	v_cmp_le_f64_e64 vcc_lo, 0x7b000000, |v[5:6]|
	v_trig_preop_f64 v[13:14], |v[5:6]|, 0
	v_and_b32_e32 v16, 0x7fffffff, v6
	v_trig_preop_f64 v[26:27], |v[5:6]|, 2
	v_mov_b32_e32 v34, 0
	s_mov_b32 s5, 0x3ff921fb
	s_mov_b32 s18, 0x33145c07
	;; [unrolled: 1-line block ×3, first 2 shown]
	v_cndmask_b32_e32 v12, v16, v12, vcc_lo
	v_cndmask_b32_e32 v11, v5, v11, vcc_lo
	v_trig_preop_f64 v[16:17], |v[5:6]|, 1
	v_mul_f64 v[18:19], v[13:14], v[11:12]
	v_mul_f64 v[32:33], v[26:27], v[11:12]
	;; [unrolled: 1-line block ×3, first 2 shown]
	v_fma_f64 v[13:14], v[13:14], v[11:12], -v[18:19]
	v_fma_f64 v[16:17], v[16:17], v[11:12], -v[20:21]
	;; [unrolled: 1-line block ×3, first 2 shown]
	v_add_f64 v[22:23], v[20:21], v[13:14]
	v_add_f64 v[24:25], v[22:23], -v[20:21]
	v_add_f64 v[30:31], v[18:19], v[22:23]
	v_add_f64 v[28:29], v[22:23], -v[24:25]
	v_add_f64 v[13:14], v[13:14], -v[24:25]
	v_ldexp_f64 v[24:25], v[30:31], -2
	v_add_f64 v[18:19], v[30:31], -v[18:19]
	v_add_f64 v[20:21], v[20:21], -v[28:29]
	v_add_f64 v[28:29], v[32:33], v[16:17]
	v_cmp_neq_f64_e64 vcc_lo, 0x7ff00000, |v[24:25]|
	v_add_f64 v[18:19], v[22:23], -v[18:19]
	v_add_f64 v[13:14], v[13:14], v[20:21]
	v_fract_f64_e32 v[20:21], v[24:25]
	v_add_f64 v[22:23], v[28:29], v[13:14]
	v_ldexp_f64 v[20:21], v[20:21], 2
	v_add_f64 v[24:25], v[18:19], v[22:23]
	v_cndmask_b32_e32 v21, 0, v21, vcc_lo
	v_cndmask_b32_e32 v20, 0, v20, vcc_lo
	v_add_f64 v[30:31], v[24:25], v[20:21]
	v_add_f64 v[18:19], v[24:25], -v[18:19]
	v_cmp_gt_f64_e32 vcc_lo, 0, v[30:31]
	v_add_f64 v[30:31], v[28:29], -v[32:33]
	v_cndmask_b32_e64 v35, 0, 0x40100000, vcc_lo
	v_add_f64 v[39:40], v[28:29], -v[30:31]
	v_add_f64 v[16:17], v[16:17], -v[30:31]
	v_add_f64 v[20:21], v[20:21], v[34:35]
	v_add_f64 v[35:36], v[22:23], -v[28:29]
	v_add_f64 v[30:31], v[32:33], -v[39:40]
	v_add_f64 v[37:38], v[24:25], v[20:21]
	;; [unrolled: 3-line block ×3, first 2 shown]
	v_cvt_i32_f64_e32 v37, v[37:38]
	v_add_f64 v[28:29], v[28:29], -v[41:42]
	v_cvt_f64_i32_e32 v[35:36], v37
	v_add_f64 v[13:14], v[13:14], v[28:29]
	v_add_f64 v[20:21], v[20:21], -v[35:36]
	v_add_f64 v[13:14], v[16:17], v[13:14]
	v_add_f64 v[16:17], v[22:23], -v[18:19]
	v_add_f64 v[26:27], v[24:25], v[20:21]
	v_add_f64 v[11:12], v[11:12], v[13:14]
	v_add_f64 v[13:14], v[26:27], -v[20:21]
	v_cmp_le_f64_e32 vcc_lo, 0.5, v[26:27]
	v_add_f64 v[11:12], v[16:17], v[11:12]
	v_add_f64 v[13:14], v[24:25], -v[13:14]
	v_cndmask_b32_e64 v35, 0, 0x3ff00000, vcc_lo
	v_add_co_ci_u32_e64 v16, null, 0, v37, vcc_lo
	v_add_f64 v[11:12], v[11:12], v[13:14]
	v_add_f64 v[13:14], v[26:27], -v[34:35]
	v_add_f64 v[17:18], v[13:14], v[11:12]
	v_mul_f64 v[19:20], v[17:18], s[4:5]
	v_add_f64 v[13:14], v[17:18], -v[13:14]
	v_fma_f64 v[21:22], v[17:18], s[4:5], -v[19:20]
	v_add_f64 v[11:12], v[11:12], -v[13:14]
	v_fma_f64 v[13:14], v[17:18], s[18:19], v[21:22]
	v_fma_f64 v[13:14], v[11:12], s[4:5], v[13:14]
	v_add_f64 v[11:12], v[19:20], v[13:14]
	v_add_f64 v[17:18], v[11:12], -v[19:20]
	v_add_f64 v[13:14], v[13:14], -v[17:18]
.LBB5_8:
	s_andn2_saveexec_b32 s4, s17
	s_cbranch_execz .LBB5_10
; %bb.9:
	s_mov_b32 s18, 0x6dc9c883
	s_mov_b32 s19, 0x3fe45f30
	;; [unrolled: 1-line block ×3, first 2 shown]
	v_mul_f64 v[11:12], |v[5:6]|, s[18:19]
	s_mov_b32 s18, 0x54442d18
	s_mov_b32 s19, 0xbff921fb
	;; [unrolled: 1-line block ×3, first 2 shown]
	v_rndne_f64_e32 v[16:17], v[11:12]
	v_fma_f64 v[11:12], v[16:17], s[18:19], |v[5:6]|
	v_mul_f64 v[13:14], v[16:17], s[20:21]
	s_mov_b32 s18, 0x252049c0
	s_mov_b32 s19, 0xb97b839a
	v_fma_f64 v[20:21], v[16:17], s[20:21], v[11:12]
	v_add_f64 v[18:19], v[11:12], v[13:14]
	s_mov_b32 s21, 0x3c91a626
	v_add_f64 v[11:12], v[11:12], -v[18:19]
	v_add_f64 v[18:19], v[18:19], -v[20:21]
	v_add_f64 v[11:12], v[11:12], v[13:14]
	v_fma_f64 v[13:14], v[16:17], s[20:21], v[13:14]
	v_add_f64 v[11:12], v[18:19], v[11:12]
	v_add_f64 v[11:12], v[11:12], -v[13:14]
	v_fma_f64 v[13:14], v[16:17], s[18:19], v[11:12]
	v_cvt_i32_f64_e32 v16, v[16:17]
	v_add_f64 v[11:12], v[20:21], v[13:14]
	v_add_f64 v[18:19], v[11:12], -v[20:21]
	v_add_f64 v[13:14], v[13:14], -v[18:19]
.LBB5_10:
	s_or_b32 exec_lo, exec_lo, s4
	v_mul_f64 v[17:18], v[11:12], v[11:12]
	v_add_f64 v[19:20], v[13:14], v[13:14]
	s_mov_b32 s18, 0xa9a29f71
	s_mov_b32 s20, 0xc751c08c
	;; [unrolled: 1-line block ×4, first 2 shown]
	v_cmp_class_f64_e64 s4, v[5:6], 0x1f8
	v_and_b32_e32 v16, 1, v16
	v_and_b32_e32 v6, 0x80000000, v6
	v_add_f64 v[7:8], -v[7:8], 1.0
	s_mov_b32 s5, exec_lo
	v_cmp_eq_u32_e32 vcc_lo, 0, v16
	v_fma_f64 v[21:22], v[11:12], v[11:12], -v[17:18]
	v_fma_f64 v[19:20], v[11:12], v[19:20], v[21:22]
	v_add_f64 v[17:18], v[17:18], v[19:20]
	v_fma_f64 v[19:20], v[17:18], s[20:21], s[18:19]
	s_mov_b32 s18, 0x90a8aae0
	s_mov_b32 s19, 0x3f17746f
	v_fma_f64 v[19:20], v[17:18], v[19:20], s[18:19]
	s_mov_b32 s18, 0xa6fbf144
	s_mov_b32 s19, 0xbefbb44d
	;; [unrolled: 3-line block ×13, first 2 shown]
	v_mul_f64 v[17:18], v[17:18], v[19:20]
	v_mul_f64 v[19:20], v[11:12], v[17:18]
	v_add_f64 v[21:22], v[11:12], v[19:20]
	v_fma_f64 v[17:18], v[11:12], v[17:18], -v[19:20]
	v_add_f64 v[11:12], v[21:22], -v[11:12]
	v_add_f64 v[13:14], v[13:14], v[17:18]
	v_add_f64 v[11:12], v[19:20], -v[11:12]
	v_add_f64 v[11:12], v[13:14], v[11:12]
	v_add_f64 v[13:14], v[21:22], v[11:12]
	v_rcp_f64_e32 v[17:18], v[13:14]
	v_fma_f64 v[19:20], -v[13:14], v[17:18], 1.0
	v_fma_f64 v[17:18], v[19:20], v[17:18], v[17:18]
	v_fma_f64 v[19:20], -v[13:14], v[17:18], 1.0
	v_fma_f64 v[17:18], v[19:20], v[17:18], v[17:18]
	v_add_f64 v[19:20], v[13:14], -v[21:22]
	v_mul_f64 v[21:22], v[13:14], v[17:18]
	v_add_f64 v[11:12], v[11:12], -v[19:20]
	v_fma_f64 v[19:20], v[17:18], v[13:14], -v[21:22]
	v_fma_f64 v[11:12], v[17:18], v[11:12], v[19:20]
	v_add_f64 v[19:20], v[21:22], v[11:12]
	v_add_f64 v[23:24], -v[19:20], 1.0
	v_add_f64 v[21:22], v[19:20], -v[21:22]
	v_add_f64 v[25:26], -v[23:24], 1.0
	v_add_f64 v[11:12], v[21:22], -v[11:12]
	v_add_f64 v[19:20], v[25:26], -v[19:20]
	v_add_f64 v[11:12], v[11:12], v[19:20]
	v_add_f64 v[11:12], v[23:24], v[11:12]
	v_mul_f64 v[11:12], v[17:18], v[11:12]
	v_add_f64 v[11:12], v[17:18], v[11:12]
	v_xor_b32_e32 v5, 0x80000000, v12
	v_cndmask_b32_e32 v11, v11, v13, vcc_lo
	v_cndmask_b32_e32 v5, v5, v14, vcc_lo
	v_xor_b32_e32 v6, v5, v6
	v_cndmask_b32_e64 v5, 0, v11, s4
	v_cndmask_b32_e64 v6, 0x7ff80000, v6, s4
	v_div_scale_f64 v[11:12], null, v[5:6], v[5:6], s[18:19]
	v_div_scale_f64 v[18:19], vcc_lo, s[18:19], v[5:6], s[18:19]
	v_rcp_f64_e32 v[13:14], v[11:12]
	v_fma_f64 v[16:17], -v[11:12], v[13:14], 1.0
	v_fma_f64 v[13:14], v[13:14], v[16:17], v[13:14]
	v_fma_f64 v[16:17], -v[11:12], v[13:14], 1.0
	v_fma_f64 v[13:14], v[13:14], v[16:17], v[13:14]
	v_mul_f64 v[16:17], v[18:19], v[13:14]
	v_fma_f64 v[11:12], -v[11:12], v[16:17], v[18:19]
	v_div_fmas_f64 v[11:12], v[11:12], v[13:14], v[16:17]
	v_div_fixup_f64 v[11:12], v[11:12], v[5:6], s[18:19]
.LBB5_11:
	s_or_b32 exec_lo, exec_lo, s16
	s_orn2_b32 s5, s5, exec_lo
.LBB5_12:
	s_or_b32 exec_lo, exec_lo, s15
	v_mov_b32_e32 v5, 0
	v_mov_b32_e32 v6, 0x7ff80000
	s_and_saveexec_b32 s4, s5
	s_cbranch_execz .LBB5_24
; %bb.13:
	s_mov_b32 s5, exec_lo
	v_cmpx_gt_f64_e32 0x40240000, v[7:8]
	s_cbranch_execz .LBB5_17
; %bb.14:
	s_mov_b32 s15, 0
	.p2align	6
.LBB5_15:                               ; =>This Inner Loop Header: Depth=1
	v_div_scale_f64 v[5:6], null, v[7:8], v[7:8], 1.0
	v_div_scale_f64 v[18:19], vcc_lo, 1.0, v[7:8], 1.0
	v_rcp_f64_e32 v[13:14], v[5:6]
	v_fma_f64 v[16:17], -v[5:6], v[13:14], 1.0
	v_fma_f64 v[13:14], v[13:14], v[16:17], v[13:14]
	v_fma_f64 v[16:17], -v[5:6], v[13:14], 1.0
	v_fma_f64 v[13:14], v[13:14], v[16:17], v[13:14]
	v_mul_f64 v[16:17], v[18:19], v[13:14]
	v_fma_f64 v[5:6], -v[5:6], v[16:17], v[18:19]
	v_div_fmas_f64 v[5:6], v[5:6], v[13:14], v[16:17]
	v_div_fixup_f64 v[5:6], v[5:6], v[7:8], 1.0
	v_add_f64 v[7:8], v[7:8], 1.0
	v_add_f64 v[11:12], v[11:12], -v[5:6]
	v_cmp_ngt_f64_e32 vcc_lo, 0x40240000, v[7:8]
	s_or_b32 s15, vcc_lo, s15
	s_andn2_b32 exec_lo, exec_lo, s15
	s_cbranch_execnz .LBB5_15
; %bb.16:
	s_or_b32 exec_lo, exec_lo, s15
.LBB5_17:
	s_or_b32 exec_lo, exec_lo, s5
	s_mov_b32 s5, exec_lo
                                        ; implicit-def: $vgpr5_vgpr6
	v_cmpx_neq_f64_e32 0x40240000, v[7:8]
	s_xor_b32 s5, exec_lo, s5
	s_cbranch_execz .LBB5_21
; %bb.18:
	v_mov_b32_e32 v5, 0
	v_mov_b32_e32 v6, 0
	s_mov_b32 s16, 0x85d8a000
	s_mov_b32 s17, 0x43763457
	s_mov_b32 s15, exec_lo
	v_cmpx_gt_f64_e32 s[16:17], v[7:8]
	s_cbranch_execz .LBB5_20
; %bb.19:
	v_mul_f64 v[5:6], v[7:8], v[7:8]
	s_mov_b32 s16, 0x55555555
	s_mov_b32 s17, 0x3fb55555
	;; [unrolled: 1-line block ×6, first 2 shown]
	v_div_scale_f64 v[13:14], null, v[5:6], v[5:6], 1.0
	v_rcp_f64_e32 v[16:17], v[13:14]
	v_fma_f64 v[18:19], -v[13:14], v[16:17], 1.0
	v_fma_f64 v[16:17], v[16:17], v[18:19], v[16:17]
	v_fma_f64 v[18:19], -v[13:14], v[16:17], 1.0
	v_fma_f64 v[16:17], v[16:17], v[18:19], v[16:17]
	v_div_scale_f64 v[18:19], vcc_lo, 1.0, v[5:6], 1.0
	v_mul_f64 v[20:21], v[18:19], v[16:17]
	v_fma_f64 v[13:14], -v[13:14], v[20:21], v[18:19]
	v_div_fmas_f64 v[13:14], v[13:14], v[16:17], v[20:21]
	v_div_fixup_f64 v[5:6], v[13:14], v[5:6], 1.0
	v_fma_f64 v[13:14], v[5:6], 0, s[16:17]
	v_fma_f64 v[13:14], v[5:6], v[13:14], s[18:19]
	s_mov_b32 s18, 0xf07c1f08
	s_mov_b32 s19, 0x3f7f07c1
	v_fma_f64 v[13:14], v[5:6], v[13:14], s[18:19]
	s_mov_b32 s19, 0xbf711111
	s_mov_b32 s18, 0x11111111
	v_fma_f64 v[13:14], v[5:6], v[13:14], s[18:19]
	s_mov_b32 s19, 0xbf811111
	v_fma_f64 v[13:14], v[5:6], v[13:14], s[20:21]
	v_fma_f64 v[13:14], v[5:6], v[13:14], s[18:19]
	;; [unrolled: 1-line block ×3, first 2 shown]
	v_mul_f64 v[5:6], v[5:6], v[13:14]
.LBB5_20:
	s_or_b32 exec_lo, exec_lo, s15
	v_frexp_mant_f64_e32 v[13:14], v[7:8]
	s_mov_b32 s17, 0x3fe55555
	s_mov_b32 s16, 0x55555555
	;; [unrolled: 1-line block ×6, first 2 shown]
	v_div_scale_f64 v[30:31], null, v[7:8], v[7:8], -0.5
	v_cmp_gt_f64_e32 vcc_lo, s[16:17], v[13:14]
	s_mov_b32 s16, 0x55555780
	v_rcp_f64_e32 v[34:35], v[30:31]
	v_cndmask_b32_e64 v16, 0, 1, vcc_lo
	v_ldexp_f64 v[13:14], v[13:14], v16
	v_add_f64 v[16:17], v[13:14], 1.0
	v_add_f64 v[22:23], v[13:14], -1.0
	v_rcp_f64_e32 v[18:19], v[16:17]
	v_add_f64 v[24:25], v[16:17], -1.0
	v_add_f64 v[13:14], v[13:14], -v[24:25]
	v_fma_f64 v[20:21], -v[16:17], v[18:19], 1.0
	v_fma_f64 v[18:19], v[20:21], v[18:19], v[18:19]
	v_fma_f64 v[20:21], -v[16:17], v[18:19], 1.0
	v_fma_f64 v[18:19], v[20:21], v[18:19], v[18:19]
	v_mul_f64 v[20:21], v[22:23], v[18:19]
	v_mul_f64 v[26:27], v[16:17], v[20:21]
	v_fma_f64 v[16:17], v[20:21], v[16:17], -v[26:27]
	v_fma_f64 v[13:14], v[20:21], v[13:14], v[16:17]
	v_add_f64 v[16:17], v[26:27], v[13:14]
	v_add_f64 v[24:25], v[22:23], -v[16:17]
	v_add_f64 v[26:27], v[16:17], -v[26:27]
	;; [unrolled: 1-line block ×4, first 2 shown]
	v_frexp_exp_i32_f64_e32 v26, v[7:8]
	v_add_f64 v[16:17], v[22:23], -v[16:17]
	v_add_f64 v[13:14], v[13:14], v[16:17]
	v_add_f64 v[13:14], v[24:25], v[13:14]
	v_mul_f64 v[13:14], v[18:19], v[13:14]
	v_add_f64 v[16:17], v[20:21], v[13:14]
	v_mul_f64 v[18:19], v[16:17], v[16:17]
	v_fma_f64 v[22:23], v[18:19], s[20:21], s[18:19]
	s_mov_b32 s18, 0xd7f4df2e
	s_mov_b32 s19, 0x3fc7474d
	v_mul_f64 v[24:25], v[16:17], v[18:19]
	v_fma_f64 v[22:23], v[18:19], v[22:23], s[18:19]
	s_mov_b32 s18, 0x16291751
	s_mov_b32 s19, 0x3fcc71c0
	v_fma_f64 v[22:23], v[18:19], v[22:23], s[18:19]
	s_mov_b32 s18, 0x9b27acf1
	s_mov_b32 s19, 0x3fd24924
	;; [unrolled: 3-line block ×3, first 2 shown]
	v_fma_f64 v[22:23], v[18:19], v[22:23], s[18:19]
	v_fma_f64 v[18:19], v[18:19], v[22:23], s[16:17]
	v_ldexp_f64 v[22:23], v[16:17], 1
	v_add_f64 v[16:17], v[16:17], -v[20:21]
	s_mov_b32 s16, 0xfefa39ef
	s_mov_b32 s17, 0x3fe62e42
	v_mul_f64 v[18:19], v[24:25], v[18:19]
	v_subrev_co_ci_u32_e64 v24, null, 0, v26, vcc_lo
	v_add_f64 v[13:14], v[13:14], -v[16:17]
	v_cvt_f64_i32_e32 v[24:25], v24
	v_add_f64 v[20:21], v[22:23], v[18:19]
	v_ldexp_f64 v[13:14], v[13:14], 1
	v_mul_f64 v[26:27], v[24:25], s[16:17]
	v_add_f64 v[16:17], v[20:21], -v[22:23]
	v_fma_f64 v[22:23], v[24:25], s[16:17], -v[26:27]
	s_mov_b32 s16, 0x3b39803f
	s_mov_b32 s17, 0x3c7abc9e
	v_add_f64 v[16:17], v[18:19], -v[16:17]
	v_fma_f64 v[18:19], v[24:25], s[16:17], v[22:23]
	v_add_f64 v[13:14], v[13:14], v[16:17]
	v_add_f64 v[16:17], v[26:27], v[18:19]
	;; [unrolled: 1-line block ×3, first 2 shown]
	v_add_f64 v[26:27], v[16:17], -v[26:27]
	v_add_f64 v[24:25], v[16:17], v[22:23]
	v_add_f64 v[20:21], v[22:23], -v[20:21]
	v_add_f64 v[18:19], v[18:19], -v[26:27]
	;; [unrolled: 1-line block ×6, first 2 shown]
	v_fma_f64 v[22:23], -v[30:31], v[34:35], 1.0
	v_add_f64 v[26:27], v[18:19], v[13:14]
	v_add_f64 v[16:17], v[16:17], -v[32:33]
	v_add_f64 v[16:17], v[20:21], v[16:17]
	v_fma_f64 v[20:21], v[34:35], v[22:23], v[34:35]
	v_add_f64 v[22:23], v[26:27], -v[18:19]
	v_div_scale_f64 v[34:35], vcc_lo, -0.5, v[7:8], -0.5
	v_add_f64 v[16:17], v[26:27], v[16:17]
	v_fma_f64 v[28:29], -v[30:31], v[20:21], 1.0
	v_add_f64 v[26:27], v[26:27], -v[22:23]
	v_add_f64 v[13:14], v[13:14], -v[22:23]
	v_add_f64 v[32:33], v[24:25], v[16:17]
	v_fma_f64 v[20:21], v[20:21], v[28:29], v[20:21]
	v_add_f64 v[18:19], v[18:19], -v[26:27]
	v_add_f64 v[22:23], v[32:33], -v[24:25]
	v_mul_f64 v[24:25], v[34:35], v[20:21]
	v_add_f64 v[13:14], v[13:14], v[18:19]
	v_add_f64 v[16:17], v[16:17], -v[22:23]
	v_fma_f64 v[18:19], -v[30:31], v[24:25], v[34:35]
	v_add_f64 v[13:14], v[13:14], v[16:17]
	v_div_fmas_f64 v[16:17], v[18:19], v[20:21], v[24:25]
	v_cmp_class_f64_e64 vcc_lo, v[7:8], 0x204
	v_add_f64 v[13:14], v[32:33], v[13:14]
	v_div_fixup_f64 v[16:17], v[16:17], v[7:8], -0.5
	v_cndmask_b32_e32 v8, v14, v8, vcc_lo
	v_cndmask_b32_e32 v7, v13, v7, vcc_lo
	v_add_f64 v[7:8], v[7:8], v[16:17]
	v_add_f64 v[5:6], v[7:8], -v[5:6]
	v_add_f64 v[5:6], v[11:12], v[5:6]
                                        ; implicit-def: $vgpr11_vgpr12
.LBB5_21:
	s_andn2_saveexec_b32 s5, s5
; %bb.22:
	s_mov_b32 s16, 0xdc85cc95
	s_mov_b32 s17, 0x40020396
	v_add_f64 v[5:6], v[11:12], s[16:17]
; %bb.23:
	s_or_b32 exec_lo, exec_lo, s5
.LBB5_24:
	s_or_b32 exec_lo, exec_lo, s4
.LBB5_25:
	s_andn2_saveexec_b32 s4, s14
; %bb.26:
	v_xor_b32_e32 v5, 0x80000000, v8
	s_mov_b32 s5, 0x7ff00000
	v_bfi_b32 v6, 0x7fffffff, s5, v5
	v_mov_b32_e32 v5, 0
; %bb.27:
	s_or_b32 exec_lo, exec_lo, s4
	s_mov_b32 s4, exec_lo
	v_cmpx_neq_f64_e32 0, v[9:10]
	s_xor_b32 s14, exec_lo, s4
	s_cbranch_execz .LBB5_49
; %bb.28:
	v_mov_b32_e32 v11, 0
	v_mov_b32_e32 v12, 0
	s_mov_b32 s5, -1
	s_mov_b32 s15, exec_lo
	v_cmpx_gt_f64_e32 0, v[9:10]
	s_cbranch_execz .LBB5_36
; %bb.29:
	v_trunc_f64_e32 v[7:8], v[9:10]
	v_mov_b32_e32 v11, 0
	v_mov_b32_e32 v12, 0
	s_mov_b32 s5, 0
	s_mov_b32 s16, exec_lo
	v_cmpx_neq_f64_e32 v[9:10], v[7:8]
	s_cbranch_execz .LBB5_35
; %bb.30:
	v_add_f64 v[7:8], v[9:10], -v[7:8]
	s_mov_b32 s5, 0xc00921fb
	s_mov_b32 s4, 0x54442d18
	v_cmp_neq_f64_e64 vcc_lo, 0x7ff00000, |v[9:10]|
	s_mov_b32 s17, exec_lo
                                        ; implicit-def: $vgpr16
                                        ; implicit-def: $vgpr11_vgpr12
                                        ; implicit-def: $vgpr13_vgpr14
	v_mul_f64 v[7:8], |v[7:8]|, s[4:5]
	v_cndmask_b32_e32 v8, 0x80000000, v8, vcc_lo
	v_cndmask_b32_e32 v7, 0, v7, vcc_lo
	v_cmpx_ngt_f64_e64 0x41d00000, |v[7:8]|
	s_xor_b32 s17, exec_lo, s17
	s_cbranch_execz .LBB5_32
; %bb.31:
	v_ldexp_f64 v[11:12], |v[7:8]|, 0xffffff80
	v_cmp_le_f64_e64 vcc_lo, 0x7b000000, |v[7:8]|
	v_trig_preop_f64 v[13:14], |v[7:8]|, 0
	v_and_b32_e32 v16, 0x7fffffff, v8
	v_trig_preop_f64 v[26:27], |v[7:8]|, 2
	v_mov_b32_e32 v34, 0
	s_mov_b32 s5, 0x3ff921fb
	s_mov_b32 s18, 0x33145c07
	;; [unrolled: 1-line block ×3, first 2 shown]
	v_cndmask_b32_e32 v12, v16, v12, vcc_lo
	v_cndmask_b32_e32 v11, v7, v11, vcc_lo
	v_trig_preop_f64 v[16:17], |v[7:8]|, 1
	v_mul_f64 v[18:19], v[13:14], v[11:12]
	v_mul_f64 v[32:33], v[26:27], v[11:12]
	;; [unrolled: 1-line block ×3, first 2 shown]
	v_fma_f64 v[13:14], v[13:14], v[11:12], -v[18:19]
	v_fma_f64 v[16:17], v[16:17], v[11:12], -v[20:21]
	;; [unrolled: 1-line block ×3, first 2 shown]
	v_add_f64 v[22:23], v[20:21], v[13:14]
	v_add_f64 v[24:25], v[22:23], -v[20:21]
	v_add_f64 v[30:31], v[18:19], v[22:23]
	v_add_f64 v[28:29], v[22:23], -v[24:25]
	v_add_f64 v[13:14], v[13:14], -v[24:25]
	v_ldexp_f64 v[24:25], v[30:31], -2
	v_add_f64 v[18:19], v[30:31], -v[18:19]
	v_add_f64 v[20:21], v[20:21], -v[28:29]
	v_add_f64 v[28:29], v[32:33], v[16:17]
	v_cmp_neq_f64_e64 vcc_lo, 0x7ff00000, |v[24:25]|
	v_add_f64 v[18:19], v[22:23], -v[18:19]
	v_add_f64 v[13:14], v[13:14], v[20:21]
	v_fract_f64_e32 v[20:21], v[24:25]
	v_add_f64 v[22:23], v[28:29], v[13:14]
	v_ldexp_f64 v[20:21], v[20:21], 2
	v_add_f64 v[24:25], v[18:19], v[22:23]
	v_cndmask_b32_e32 v21, 0, v21, vcc_lo
	v_cndmask_b32_e32 v20, 0, v20, vcc_lo
	v_add_f64 v[30:31], v[24:25], v[20:21]
	v_add_f64 v[18:19], v[24:25], -v[18:19]
	v_cmp_gt_f64_e32 vcc_lo, 0, v[30:31]
	v_add_f64 v[30:31], v[28:29], -v[32:33]
	v_cndmask_b32_e64 v35, 0, 0x40100000, vcc_lo
	v_add_f64 v[39:40], v[28:29], -v[30:31]
	v_add_f64 v[16:17], v[16:17], -v[30:31]
	v_add_f64 v[20:21], v[20:21], v[34:35]
	v_add_f64 v[35:36], v[22:23], -v[28:29]
	v_add_f64 v[30:31], v[32:33], -v[39:40]
	v_add_f64 v[37:38], v[24:25], v[20:21]
	;; [unrolled: 3-line block ×3, first 2 shown]
	v_cvt_i32_f64_e32 v37, v[37:38]
	v_add_f64 v[28:29], v[28:29], -v[41:42]
	v_cvt_f64_i32_e32 v[35:36], v37
	v_add_f64 v[13:14], v[13:14], v[28:29]
	v_add_f64 v[20:21], v[20:21], -v[35:36]
	v_add_f64 v[13:14], v[16:17], v[13:14]
	v_add_f64 v[16:17], v[22:23], -v[18:19]
	v_add_f64 v[26:27], v[24:25], v[20:21]
	v_add_f64 v[11:12], v[11:12], v[13:14]
	v_add_f64 v[13:14], v[26:27], -v[20:21]
	v_cmp_le_f64_e32 vcc_lo, 0.5, v[26:27]
	v_add_f64 v[11:12], v[16:17], v[11:12]
	v_add_f64 v[13:14], v[24:25], -v[13:14]
	v_cndmask_b32_e64 v35, 0, 0x3ff00000, vcc_lo
	v_add_co_ci_u32_e64 v16, null, 0, v37, vcc_lo
	v_add_f64 v[11:12], v[11:12], v[13:14]
	v_add_f64 v[13:14], v[26:27], -v[34:35]
	v_add_f64 v[17:18], v[13:14], v[11:12]
	v_mul_f64 v[19:20], v[17:18], s[4:5]
	v_add_f64 v[13:14], v[17:18], -v[13:14]
	v_fma_f64 v[21:22], v[17:18], s[4:5], -v[19:20]
	v_add_f64 v[11:12], v[11:12], -v[13:14]
	v_fma_f64 v[13:14], v[17:18], s[18:19], v[21:22]
	v_fma_f64 v[13:14], v[11:12], s[4:5], v[13:14]
	v_add_f64 v[11:12], v[19:20], v[13:14]
	v_add_f64 v[17:18], v[11:12], -v[19:20]
	v_add_f64 v[13:14], v[13:14], -v[17:18]
.LBB5_32:
	s_andn2_saveexec_b32 s4, s17
	s_cbranch_execz .LBB5_34
; %bb.33:
	s_mov_b32 s18, 0x6dc9c883
	s_mov_b32 s19, 0x3fe45f30
	;; [unrolled: 1-line block ×3, first 2 shown]
	v_mul_f64 v[11:12], |v[7:8]|, s[18:19]
	s_mov_b32 s18, 0x54442d18
	s_mov_b32 s19, 0xbff921fb
	;; [unrolled: 1-line block ×3, first 2 shown]
	v_rndne_f64_e32 v[16:17], v[11:12]
	v_fma_f64 v[11:12], v[16:17], s[18:19], |v[7:8]|
	v_mul_f64 v[13:14], v[16:17], s[20:21]
	s_mov_b32 s18, 0x252049c0
	s_mov_b32 s19, 0xb97b839a
	v_fma_f64 v[20:21], v[16:17], s[20:21], v[11:12]
	v_add_f64 v[18:19], v[11:12], v[13:14]
	s_mov_b32 s21, 0x3c91a626
	v_add_f64 v[11:12], v[11:12], -v[18:19]
	v_add_f64 v[18:19], v[18:19], -v[20:21]
	v_add_f64 v[11:12], v[11:12], v[13:14]
	v_fma_f64 v[13:14], v[16:17], s[20:21], v[13:14]
	v_add_f64 v[11:12], v[18:19], v[11:12]
	v_add_f64 v[11:12], v[11:12], -v[13:14]
	v_fma_f64 v[13:14], v[16:17], s[18:19], v[11:12]
	v_cvt_i32_f64_e32 v16, v[16:17]
	v_add_f64 v[11:12], v[20:21], v[13:14]
	v_add_f64 v[18:19], v[11:12], -v[20:21]
	v_add_f64 v[13:14], v[13:14], -v[18:19]
.LBB5_34:
	s_or_b32 exec_lo, exec_lo, s4
	v_mul_f64 v[17:18], v[11:12], v[11:12]
	v_add_f64 v[19:20], v[13:14], v[13:14]
	s_mov_b32 s18, 0xa9a29f71
	s_mov_b32 s20, 0xc751c08c
	;; [unrolled: 1-line block ×4, first 2 shown]
	v_cmp_class_f64_e64 s4, v[7:8], 0x1f8
	v_and_b32_e32 v16, 1, v16
	v_and_b32_e32 v8, 0x80000000, v8
	v_add_f64 v[9:10], -v[9:10], 1.0
	s_mov_b32 s5, exec_lo
	v_cmp_eq_u32_e32 vcc_lo, 0, v16
	v_fma_f64 v[21:22], v[11:12], v[11:12], -v[17:18]
	v_fma_f64 v[19:20], v[11:12], v[19:20], v[21:22]
	v_add_f64 v[17:18], v[17:18], v[19:20]
	v_fma_f64 v[19:20], v[17:18], s[20:21], s[18:19]
	s_mov_b32 s18, 0x90a8aae0
	s_mov_b32 s19, 0x3f17746f
	v_fma_f64 v[19:20], v[17:18], v[19:20], s[18:19]
	s_mov_b32 s18, 0xa6fbf144
	s_mov_b32 s19, 0xbefbb44d
	v_fma_f64 v[19:20], v[17:18], v[19:20], s[18:19]
	s_mov_b32 s18, 0xa7943acf
	s_mov_b32 s19, 0x3f21e634
	v_fma_f64 v[19:20], v[17:18], v[19:20], s[18:19]
	s_mov_b32 s18, 0xdeb68feb
	s_mov_b32 s19, 0x3f2d250f
	v_fma_f64 v[19:20], v[17:18], v[19:20], s[18:19]
	s_mov_b32 s18, 0xb58c4d95
	s_mov_b32 s19, 0x3f437fd9
	v_fma_f64 v[19:20], v[17:18], v[19:20], s[18:19]
	s_mov_b32 s18, 0x15120e2c
	s_mov_b32 s19, 0x3f57d5af
	v_fma_f64 v[19:20], v[17:18], v[19:20], s[18:19]
	s_mov_b32 s18, 0xe09491df
	s_mov_b32 s19, 0x3f6d6d93
	v_fma_f64 v[19:20], v[17:18], v[19:20], s[18:19]
	s_mov_b32 s18, 0x2033784d
	s_mov_b32 s19, 0x3f8226e1
	v_fma_f64 v[19:20], v[17:18], v[19:20], s[18:19]
	s_mov_b32 s18, 0x9ac36ae2
	s_mov_b32 s19, 0x3f9664f4
	v_fma_f64 v[19:20], v[17:18], v[19:20], s[18:19]
	s_mov_b32 s18, 0x1b451c21
	s_mov_b32 s19, 0x3faba1ba
	v_fma_f64 v[19:20], v[17:18], v[19:20], s[18:19]
	s_mov_b32 s18, 0x111185b7
	s_mov_b32 s19, 0x3fc11111
	v_fma_f64 v[19:20], v[17:18], v[19:20], s[18:19]
	s_mov_b32 s18, 0x555554ee
	s_mov_b32 s19, 0x3fd55555
	v_fma_f64 v[19:20], v[17:18], v[19:20], s[18:19]
	s_mov_b32 s18, 0x54442d18
	s_mov_b32 s19, 0xc00921fb
	v_mul_f64 v[17:18], v[17:18], v[19:20]
	v_mul_f64 v[19:20], v[11:12], v[17:18]
	v_add_f64 v[21:22], v[11:12], v[19:20]
	v_fma_f64 v[17:18], v[11:12], v[17:18], -v[19:20]
	v_add_f64 v[11:12], v[21:22], -v[11:12]
	v_add_f64 v[13:14], v[13:14], v[17:18]
	v_add_f64 v[11:12], v[19:20], -v[11:12]
	v_add_f64 v[11:12], v[13:14], v[11:12]
	v_add_f64 v[13:14], v[21:22], v[11:12]
	v_rcp_f64_e32 v[17:18], v[13:14]
	v_fma_f64 v[19:20], -v[13:14], v[17:18], 1.0
	v_fma_f64 v[17:18], v[19:20], v[17:18], v[17:18]
	v_fma_f64 v[19:20], -v[13:14], v[17:18], 1.0
	v_fma_f64 v[17:18], v[19:20], v[17:18], v[17:18]
	v_add_f64 v[19:20], v[13:14], -v[21:22]
	v_mul_f64 v[21:22], v[13:14], v[17:18]
	v_add_f64 v[11:12], v[11:12], -v[19:20]
	v_fma_f64 v[19:20], v[17:18], v[13:14], -v[21:22]
	v_fma_f64 v[11:12], v[17:18], v[11:12], v[19:20]
	v_add_f64 v[19:20], v[21:22], v[11:12]
	v_add_f64 v[23:24], -v[19:20], 1.0
	v_add_f64 v[21:22], v[19:20], -v[21:22]
	v_add_f64 v[25:26], -v[23:24], 1.0
	v_add_f64 v[11:12], v[21:22], -v[11:12]
	v_add_f64 v[19:20], v[25:26], -v[19:20]
	v_add_f64 v[11:12], v[11:12], v[19:20]
	v_add_f64 v[11:12], v[23:24], v[11:12]
	v_mul_f64 v[11:12], v[17:18], v[11:12]
	v_add_f64 v[11:12], v[17:18], v[11:12]
	v_xor_b32_e32 v7, 0x80000000, v12
	v_cndmask_b32_e32 v11, v11, v13, vcc_lo
	v_cndmask_b32_e32 v7, v7, v14, vcc_lo
	v_xor_b32_e32 v8, v7, v8
	v_cndmask_b32_e64 v7, 0, v11, s4
	v_cndmask_b32_e64 v8, 0x7ff80000, v8, s4
	v_div_scale_f64 v[11:12], null, v[7:8], v[7:8], s[18:19]
	v_div_scale_f64 v[18:19], vcc_lo, s[18:19], v[7:8], s[18:19]
	v_rcp_f64_e32 v[13:14], v[11:12]
	v_fma_f64 v[16:17], -v[11:12], v[13:14], 1.0
	v_fma_f64 v[13:14], v[13:14], v[16:17], v[13:14]
	v_fma_f64 v[16:17], -v[11:12], v[13:14], 1.0
	v_fma_f64 v[13:14], v[13:14], v[16:17], v[13:14]
	v_mul_f64 v[16:17], v[18:19], v[13:14]
	v_fma_f64 v[11:12], -v[11:12], v[16:17], v[18:19]
	v_div_fmas_f64 v[11:12], v[11:12], v[13:14], v[16:17]
	v_div_fixup_f64 v[11:12], v[11:12], v[7:8], s[18:19]
.LBB5_35:
	s_or_b32 exec_lo, exec_lo, s16
	s_orn2_b32 s5, s5, exec_lo
.LBB5_36:
	s_or_b32 exec_lo, exec_lo, s15
	v_mov_b32_e32 v7, 0
	v_mov_b32_e32 v8, 0x7ff80000
	s_and_saveexec_b32 s4, s5
	s_cbranch_execz .LBB5_48
; %bb.37:
	s_mov_b32 s5, exec_lo
	v_cmpx_gt_f64_e32 0x40240000, v[9:10]
	s_cbranch_execz .LBB5_41
; %bb.38:
	s_mov_b32 s15, 0
	.p2align	6
.LBB5_39:                               ; =>This Inner Loop Header: Depth=1
	v_div_scale_f64 v[7:8], null, v[9:10], v[9:10], 1.0
	v_div_scale_f64 v[18:19], vcc_lo, 1.0, v[9:10], 1.0
	v_rcp_f64_e32 v[13:14], v[7:8]
	v_fma_f64 v[16:17], -v[7:8], v[13:14], 1.0
	v_fma_f64 v[13:14], v[13:14], v[16:17], v[13:14]
	v_fma_f64 v[16:17], -v[7:8], v[13:14], 1.0
	v_fma_f64 v[13:14], v[13:14], v[16:17], v[13:14]
	v_mul_f64 v[16:17], v[18:19], v[13:14]
	v_fma_f64 v[7:8], -v[7:8], v[16:17], v[18:19]
	v_div_fmas_f64 v[7:8], v[7:8], v[13:14], v[16:17]
	v_div_fixup_f64 v[7:8], v[7:8], v[9:10], 1.0
	v_add_f64 v[9:10], v[9:10], 1.0
	v_add_f64 v[11:12], v[11:12], -v[7:8]
	v_cmp_ngt_f64_e32 vcc_lo, 0x40240000, v[9:10]
	s_or_b32 s15, vcc_lo, s15
	s_andn2_b32 exec_lo, exec_lo, s15
	s_cbranch_execnz .LBB5_39
; %bb.40:
	s_or_b32 exec_lo, exec_lo, s15
.LBB5_41:
	s_or_b32 exec_lo, exec_lo, s5
	s_mov_b32 s5, exec_lo
	v_cmpx_neq_f64_e32 0x40240000, v[9:10]
	s_xor_b32 s5, exec_lo, s5
	s_cbranch_execz .LBB5_45
; %bb.42:
	v_mov_b32_e32 v7, 0
	v_mov_b32_e32 v8, 0
	s_mov_b32 s16, 0x85d8a000
	s_mov_b32 s17, 0x43763457
	s_mov_b32 s15, exec_lo
	v_cmpx_gt_f64_e32 s[16:17], v[9:10]
	s_cbranch_execz .LBB5_44
; %bb.43:
	v_mul_f64 v[7:8], v[9:10], v[9:10]
	s_mov_b32 s16, 0x55555555
	s_mov_b32 s17, 0x3fb55555
	;; [unrolled: 1-line block ×6, first 2 shown]
	v_div_scale_f64 v[13:14], null, v[7:8], v[7:8], 1.0
	v_rcp_f64_e32 v[16:17], v[13:14]
	v_fma_f64 v[18:19], -v[13:14], v[16:17], 1.0
	v_fma_f64 v[16:17], v[16:17], v[18:19], v[16:17]
	v_fma_f64 v[18:19], -v[13:14], v[16:17], 1.0
	v_fma_f64 v[16:17], v[16:17], v[18:19], v[16:17]
	v_div_scale_f64 v[18:19], vcc_lo, 1.0, v[7:8], 1.0
	v_mul_f64 v[20:21], v[18:19], v[16:17]
	v_fma_f64 v[13:14], -v[13:14], v[20:21], v[18:19]
	v_div_fmas_f64 v[13:14], v[13:14], v[16:17], v[20:21]
	v_div_fixup_f64 v[7:8], v[13:14], v[7:8], 1.0
	v_fma_f64 v[13:14], v[7:8], 0, s[16:17]
	v_fma_f64 v[13:14], v[7:8], v[13:14], s[18:19]
	s_mov_b32 s18, 0xf07c1f08
	s_mov_b32 s19, 0x3f7f07c1
	v_fma_f64 v[13:14], v[7:8], v[13:14], s[18:19]
	s_mov_b32 s19, 0xbf711111
	s_mov_b32 s18, 0x11111111
	v_fma_f64 v[13:14], v[7:8], v[13:14], s[18:19]
	s_mov_b32 s19, 0xbf811111
	v_fma_f64 v[13:14], v[7:8], v[13:14], s[20:21]
	v_fma_f64 v[13:14], v[7:8], v[13:14], s[18:19]
	;; [unrolled: 1-line block ×3, first 2 shown]
	v_mul_f64 v[7:8], v[7:8], v[13:14]
.LBB5_44:
	s_or_b32 exec_lo, exec_lo, s15
	v_frexp_mant_f64_e32 v[13:14], v[9:10]
	s_mov_b32 s17, 0x3fe55555
	s_mov_b32 s16, 0x55555555
	;; [unrolled: 1-line block ×6, first 2 shown]
	v_div_scale_f64 v[30:31], null, v[9:10], v[9:10], -0.5
	v_cmp_gt_f64_e32 vcc_lo, s[16:17], v[13:14]
	s_mov_b32 s16, 0x55555780
	v_rcp_f64_e32 v[34:35], v[30:31]
	v_cndmask_b32_e64 v16, 0, 1, vcc_lo
	v_ldexp_f64 v[13:14], v[13:14], v16
	v_add_f64 v[16:17], v[13:14], 1.0
	v_add_f64 v[22:23], v[13:14], -1.0
	v_rcp_f64_e32 v[18:19], v[16:17]
	v_add_f64 v[24:25], v[16:17], -1.0
	v_add_f64 v[13:14], v[13:14], -v[24:25]
	v_fma_f64 v[20:21], -v[16:17], v[18:19], 1.0
	v_fma_f64 v[18:19], v[20:21], v[18:19], v[18:19]
	v_fma_f64 v[20:21], -v[16:17], v[18:19], 1.0
	v_fma_f64 v[18:19], v[20:21], v[18:19], v[18:19]
	v_mul_f64 v[20:21], v[22:23], v[18:19]
	v_mul_f64 v[26:27], v[16:17], v[20:21]
	v_fma_f64 v[16:17], v[20:21], v[16:17], -v[26:27]
	v_fma_f64 v[13:14], v[20:21], v[13:14], v[16:17]
	v_add_f64 v[16:17], v[26:27], v[13:14]
	v_add_f64 v[24:25], v[22:23], -v[16:17]
	v_add_f64 v[26:27], v[16:17], -v[26:27]
	;; [unrolled: 1-line block ×4, first 2 shown]
	v_frexp_exp_i32_f64_e32 v26, v[9:10]
	v_add_f64 v[16:17], v[22:23], -v[16:17]
	v_add_f64 v[13:14], v[13:14], v[16:17]
	v_add_f64 v[13:14], v[24:25], v[13:14]
	v_mul_f64 v[13:14], v[18:19], v[13:14]
	v_add_f64 v[16:17], v[20:21], v[13:14]
	v_mul_f64 v[18:19], v[16:17], v[16:17]
	v_fma_f64 v[22:23], v[18:19], s[20:21], s[18:19]
	s_mov_b32 s18, 0xd7f4df2e
	s_mov_b32 s19, 0x3fc7474d
	v_mul_f64 v[24:25], v[16:17], v[18:19]
	v_fma_f64 v[22:23], v[18:19], v[22:23], s[18:19]
	s_mov_b32 s18, 0x16291751
	s_mov_b32 s19, 0x3fcc71c0
	v_fma_f64 v[22:23], v[18:19], v[22:23], s[18:19]
	s_mov_b32 s18, 0x9b27acf1
	s_mov_b32 s19, 0x3fd24924
	;; [unrolled: 3-line block ×3, first 2 shown]
	v_fma_f64 v[22:23], v[18:19], v[22:23], s[18:19]
	v_fma_f64 v[18:19], v[18:19], v[22:23], s[16:17]
	v_ldexp_f64 v[22:23], v[16:17], 1
	v_add_f64 v[16:17], v[16:17], -v[20:21]
	s_mov_b32 s16, 0xfefa39ef
	s_mov_b32 s17, 0x3fe62e42
	v_mul_f64 v[18:19], v[24:25], v[18:19]
	v_subrev_co_ci_u32_e64 v24, null, 0, v26, vcc_lo
	v_add_f64 v[13:14], v[13:14], -v[16:17]
	v_cvt_f64_i32_e32 v[24:25], v24
	v_add_f64 v[20:21], v[22:23], v[18:19]
	v_ldexp_f64 v[13:14], v[13:14], 1
	v_mul_f64 v[26:27], v[24:25], s[16:17]
	v_add_f64 v[16:17], v[20:21], -v[22:23]
	v_fma_f64 v[22:23], v[24:25], s[16:17], -v[26:27]
	s_mov_b32 s16, 0x3b39803f
	s_mov_b32 s17, 0x3c7abc9e
	v_add_f64 v[16:17], v[18:19], -v[16:17]
	v_fma_f64 v[18:19], v[24:25], s[16:17], v[22:23]
	v_add_f64 v[13:14], v[13:14], v[16:17]
	v_add_f64 v[16:17], v[26:27], v[18:19]
	;; [unrolled: 1-line block ×3, first 2 shown]
	v_add_f64 v[26:27], v[16:17], -v[26:27]
	v_add_f64 v[24:25], v[16:17], v[22:23]
	v_add_f64 v[20:21], v[22:23], -v[20:21]
	v_add_f64 v[18:19], v[18:19], -v[26:27]
	;; [unrolled: 1-line block ×6, first 2 shown]
	v_fma_f64 v[22:23], -v[30:31], v[34:35], 1.0
	v_add_f64 v[26:27], v[18:19], v[13:14]
	v_add_f64 v[16:17], v[16:17], -v[32:33]
	v_add_f64 v[16:17], v[20:21], v[16:17]
	v_fma_f64 v[20:21], v[34:35], v[22:23], v[34:35]
	v_add_f64 v[22:23], v[26:27], -v[18:19]
	v_div_scale_f64 v[34:35], vcc_lo, -0.5, v[9:10], -0.5
	v_add_f64 v[16:17], v[26:27], v[16:17]
	v_fma_f64 v[28:29], -v[30:31], v[20:21], 1.0
	v_add_f64 v[26:27], v[26:27], -v[22:23]
	v_add_f64 v[13:14], v[13:14], -v[22:23]
	v_add_f64 v[32:33], v[24:25], v[16:17]
	v_fma_f64 v[20:21], v[20:21], v[28:29], v[20:21]
	v_add_f64 v[18:19], v[18:19], -v[26:27]
	v_add_f64 v[22:23], v[32:33], -v[24:25]
	v_mul_f64 v[24:25], v[34:35], v[20:21]
	v_add_f64 v[13:14], v[13:14], v[18:19]
	v_add_f64 v[16:17], v[16:17], -v[22:23]
	v_fma_f64 v[18:19], -v[30:31], v[24:25], v[34:35]
	v_add_f64 v[13:14], v[13:14], v[16:17]
	v_div_fmas_f64 v[16:17], v[18:19], v[20:21], v[24:25]
	v_cmp_class_f64_e64 vcc_lo, v[9:10], 0x204
	v_add_f64 v[13:14], v[32:33], v[13:14]
	v_div_fixup_f64 v[16:17], v[16:17], v[9:10], -0.5
	v_cndmask_b32_e32 v10, v14, v10, vcc_lo
	v_cndmask_b32_e32 v9, v13, v9, vcc_lo
	v_add_f64 v[9:10], v[9:10], v[16:17]
	v_add_f64 v[7:8], v[9:10], -v[7:8]
	v_add_f64 v[7:8], v[11:12], v[7:8]
                                        ; implicit-def: $vgpr11_vgpr12
.LBB5_45:
	s_andn2_saveexec_b32 s5, s5
; %bb.46:
	s_mov_b32 s16, 0xdc85cc95
	s_mov_b32 s17, 0x40020396
	v_add_f64 v[7:8], v[11:12], s[16:17]
; %bb.47:
	s_or_b32 exec_lo, exec_lo, s5
.LBB5_48:
	s_or_b32 exec_lo, exec_lo, s4
                                        ; implicit-def: $vgpr9_vgpr10
.LBB5_49:
	s_andn2_saveexec_b32 s4, s14
; %bb.50:
	v_xor_b32_e32 v7, 0x80000000, v10
	s_mov_b32 s5, 0x7ff00000
	v_bfi_b32 v8, 0x7fffffff, s5, v7
	v_mov_b32_e32 v7, 0
; %bb.51:
	s_or_b32 exec_lo, exec_lo, s4
                                        ; implicit-def: $vgpr9_vgpr10
	s_mov_b32 s4, exec_lo
	s_waitcnt vmcnt(0)
	v_cmpx_neq_f64_e32 0, v[1:2]
	s_xor_b32 s14, exec_lo, s4
	s_cbranch_execz .LBB5_73
; %bb.52:
	v_mov_b32_e32 v11, 0
	v_mov_b32_e32 v12, 0
	s_mov_b32 s5, -1
	s_mov_b32 s15, exec_lo
	v_cmpx_gt_f64_e32 0, v[1:2]
	s_cbranch_execz .LBB5_60
; %bb.53:
	v_trunc_f64_e32 v[9:10], v[1:2]
	v_mov_b32_e32 v11, 0
	v_mov_b32_e32 v12, 0
	s_mov_b32 s5, 0
	s_mov_b32 s16, exec_lo
	v_cmpx_neq_f64_e32 v[1:2], v[9:10]
	s_cbranch_execz .LBB5_59
; %bb.54:
	v_add_f64 v[9:10], v[1:2], -v[9:10]
	s_mov_b32 s5, 0xc00921fb
	s_mov_b32 s4, 0x54442d18
	v_cmp_neq_f64_e64 vcc_lo, 0x7ff00000, |v[1:2]|
	s_mov_b32 s17, exec_lo
                                        ; implicit-def: $vgpr16
                                        ; implicit-def: $vgpr11_vgpr12
                                        ; implicit-def: $vgpr13_vgpr14
	v_mul_f64 v[9:10], |v[9:10]|, s[4:5]
	v_cndmask_b32_e32 v10, 0x80000000, v10, vcc_lo
	v_cndmask_b32_e32 v9, 0, v9, vcc_lo
	v_cmpx_ngt_f64_e64 0x41d00000, |v[9:10]|
	s_xor_b32 s17, exec_lo, s17
	s_cbranch_execz .LBB5_56
; %bb.55:
	v_ldexp_f64 v[11:12], |v[9:10]|, 0xffffff80
	v_cmp_le_f64_e64 vcc_lo, 0x7b000000, |v[9:10]|
	v_trig_preop_f64 v[13:14], |v[9:10]|, 0
	v_and_b32_e32 v16, 0x7fffffff, v10
	v_trig_preop_f64 v[26:27], |v[9:10]|, 2
	v_mov_b32_e32 v34, 0
	s_mov_b32 s5, 0x3ff921fb
	s_mov_b32 s18, 0x33145c07
	;; [unrolled: 1-line block ×3, first 2 shown]
	v_cndmask_b32_e32 v12, v16, v12, vcc_lo
	v_cndmask_b32_e32 v11, v9, v11, vcc_lo
	v_trig_preop_f64 v[16:17], |v[9:10]|, 1
	v_mul_f64 v[18:19], v[13:14], v[11:12]
	v_mul_f64 v[32:33], v[26:27], v[11:12]
	;; [unrolled: 1-line block ×3, first 2 shown]
	v_fma_f64 v[13:14], v[13:14], v[11:12], -v[18:19]
	v_fma_f64 v[16:17], v[16:17], v[11:12], -v[20:21]
	;; [unrolled: 1-line block ×3, first 2 shown]
	v_add_f64 v[22:23], v[20:21], v[13:14]
	v_add_f64 v[24:25], v[22:23], -v[20:21]
	v_add_f64 v[30:31], v[18:19], v[22:23]
	v_add_f64 v[28:29], v[22:23], -v[24:25]
	v_add_f64 v[13:14], v[13:14], -v[24:25]
	v_ldexp_f64 v[24:25], v[30:31], -2
	v_add_f64 v[18:19], v[30:31], -v[18:19]
	v_add_f64 v[20:21], v[20:21], -v[28:29]
	v_add_f64 v[28:29], v[32:33], v[16:17]
	v_cmp_neq_f64_e64 vcc_lo, 0x7ff00000, |v[24:25]|
	v_add_f64 v[18:19], v[22:23], -v[18:19]
	v_add_f64 v[13:14], v[13:14], v[20:21]
	v_fract_f64_e32 v[20:21], v[24:25]
	v_add_f64 v[22:23], v[28:29], v[13:14]
	v_ldexp_f64 v[20:21], v[20:21], 2
	v_add_f64 v[24:25], v[18:19], v[22:23]
	v_cndmask_b32_e32 v21, 0, v21, vcc_lo
	v_cndmask_b32_e32 v20, 0, v20, vcc_lo
	v_add_f64 v[30:31], v[24:25], v[20:21]
	v_add_f64 v[18:19], v[24:25], -v[18:19]
	v_cmp_gt_f64_e32 vcc_lo, 0, v[30:31]
	v_add_f64 v[30:31], v[28:29], -v[32:33]
	v_cndmask_b32_e64 v35, 0, 0x40100000, vcc_lo
	v_add_f64 v[39:40], v[28:29], -v[30:31]
	v_add_f64 v[16:17], v[16:17], -v[30:31]
	v_add_f64 v[20:21], v[20:21], v[34:35]
	v_add_f64 v[35:36], v[22:23], -v[28:29]
	v_add_f64 v[30:31], v[32:33], -v[39:40]
	v_add_f64 v[37:38], v[24:25], v[20:21]
	;; [unrolled: 3-line block ×3, first 2 shown]
	v_cvt_i32_f64_e32 v37, v[37:38]
	v_add_f64 v[28:29], v[28:29], -v[41:42]
	v_cvt_f64_i32_e32 v[35:36], v37
	v_add_f64 v[13:14], v[13:14], v[28:29]
	v_add_f64 v[20:21], v[20:21], -v[35:36]
	v_add_f64 v[13:14], v[16:17], v[13:14]
	v_add_f64 v[16:17], v[22:23], -v[18:19]
	v_add_f64 v[26:27], v[24:25], v[20:21]
	v_add_f64 v[11:12], v[11:12], v[13:14]
	v_add_f64 v[13:14], v[26:27], -v[20:21]
	v_cmp_le_f64_e32 vcc_lo, 0.5, v[26:27]
	v_add_f64 v[11:12], v[16:17], v[11:12]
	v_add_f64 v[13:14], v[24:25], -v[13:14]
	v_cndmask_b32_e64 v35, 0, 0x3ff00000, vcc_lo
	v_add_co_ci_u32_e64 v16, null, 0, v37, vcc_lo
	v_add_f64 v[11:12], v[11:12], v[13:14]
	v_add_f64 v[13:14], v[26:27], -v[34:35]
	v_add_f64 v[17:18], v[13:14], v[11:12]
	v_mul_f64 v[19:20], v[17:18], s[4:5]
	v_add_f64 v[13:14], v[17:18], -v[13:14]
	v_fma_f64 v[21:22], v[17:18], s[4:5], -v[19:20]
	v_add_f64 v[11:12], v[11:12], -v[13:14]
	v_fma_f64 v[13:14], v[17:18], s[18:19], v[21:22]
	v_fma_f64 v[13:14], v[11:12], s[4:5], v[13:14]
	v_add_f64 v[11:12], v[19:20], v[13:14]
	v_add_f64 v[17:18], v[11:12], -v[19:20]
	v_add_f64 v[13:14], v[13:14], -v[17:18]
.LBB5_56:
	s_andn2_saveexec_b32 s4, s17
	s_cbranch_execz .LBB5_58
; %bb.57:
	s_mov_b32 s18, 0x6dc9c883
	s_mov_b32 s19, 0x3fe45f30
	;; [unrolled: 1-line block ×3, first 2 shown]
	v_mul_f64 v[11:12], |v[9:10]|, s[18:19]
	s_mov_b32 s18, 0x54442d18
	s_mov_b32 s19, 0xbff921fb
	;; [unrolled: 1-line block ×3, first 2 shown]
	v_rndne_f64_e32 v[16:17], v[11:12]
	v_fma_f64 v[11:12], v[16:17], s[18:19], |v[9:10]|
	v_mul_f64 v[13:14], v[16:17], s[20:21]
	s_mov_b32 s18, 0x252049c0
	s_mov_b32 s19, 0xb97b839a
	v_fma_f64 v[20:21], v[16:17], s[20:21], v[11:12]
	v_add_f64 v[18:19], v[11:12], v[13:14]
	s_mov_b32 s21, 0x3c91a626
	v_add_f64 v[11:12], v[11:12], -v[18:19]
	v_add_f64 v[18:19], v[18:19], -v[20:21]
	v_add_f64 v[11:12], v[11:12], v[13:14]
	v_fma_f64 v[13:14], v[16:17], s[20:21], v[13:14]
	v_add_f64 v[11:12], v[18:19], v[11:12]
	v_add_f64 v[11:12], v[11:12], -v[13:14]
	v_fma_f64 v[13:14], v[16:17], s[18:19], v[11:12]
	v_cvt_i32_f64_e32 v16, v[16:17]
	v_add_f64 v[11:12], v[20:21], v[13:14]
	v_add_f64 v[18:19], v[11:12], -v[20:21]
	v_add_f64 v[13:14], v[13:14], -v[18:19]
.LBB5_58:
	s_or_b32 exec_lo, exec_lo, s4
	v_mul_f64 v[17:18], v[11:12], v[11:12]
	v_add_f64 v[19:20], v[13:14], v[13:14]
	s_mov_b32 s18, 0xa9a29f71
	s_mov_b32 s20, 0xc751c08c
	;; [unrolled: 1-line block ×4, first 2 shown]
	v_cmp_class_f64_e64 s4, v[9:10], 0x1f8
	v_and_b32_e32 v16, 1, v16
	v_and_b32_e32 v10, 0x80000000, v10
	v_add_f64 v[1:2], -v[1:2], 1.0
	s_mov_b32 s5, exec_lo
	v_cmp_eq_u32_e32 vcc_lo, 0, v16
	v_fma_f64 v[21:22], v[11:12], v[11:12], -v[17:18]
	v_fma_f64 v[19:20], v[11:12], v[19:20], v[21:22]
	v_add_f64 v[17:18], v[17:18], v[19:20]
	v_fma_f64 v[19:20], v[17:18], s[20:21], s[18:19]
	s_mov_b32 s18, 0x90a8aae0
	s_mov_b32 s19, 0x3f17746f
	v_fma_f64 v[19:20], v[17:18], v[19:20], s[18:19]
	s_mov_b32 s18, 0xa6fbf144
	s_mov_b32 s19, 0xbefbb44d
	;; [unrolled: 3-line block ×13, first 2 shown]
	v_mul_f64 v[17:18], v[17:18], v[19:20]
	v_mul_f64 v[19:20], v[11:12], v[17:18]
	v_add_f64 v[21:22], v[11:12], v[19:20]
	v_fma_f64 v[17:18], v[11:12], v[17:18], -v[19:20]
	v_add_f64 v[11:12], v[21:22], -v[11:12]
	v_add_f64 v[13:14], v[13:14], v[17:18]
	v_add_f64 v[11:12], v[19:20], -v[11:12]
	v_add_f64 v[11:12], v[13:14], v[11:12]
	v_add_f64 v[13:14], v[21:22], v[11:12]
	v_rcp_f64_e32 v[17:18], v[13:14]
	v_fma_f64 v[19:20], -v[13:14], v[17:18], 1.0
	v_fma_f64 v[17:18], v[19:20], v[17:18], v[17:18]
	v_fma_f64 v[19:20], -v[13:14], v[17:18], 1.0
	v_fma_f64 v[17:18], v[19:20], v[17:18], v[17:18]
	v_add_f64 v[19:20], v[13:14], -v[21:22]
	v_mul_f64 v[21:22], v[13:14], v[17:18]
	v_add_f64 v[11:12], v[11:12], -v[19:20]
	v_fma_f64 v[19:20], v[17:18], v[13:14], -v[21:22]
	v_fma_f64 v[11:12], v[17:18], v[11:12], v[19:20]
	v_add_f64 v[19:20], v[21:22], v[11:12]
	v_add_f64 v[23:24], -v[19:20], 1.0
	v_add_f64 v[21:22], v[19:20], -v[21:22]
	v_add_f64 v[25:26], -v[23:24], 1.0
	v_add_f64 v[11:12], v[21:22], -v[11:12]
	v_add_f64 v[19:20], v[25:26], -v[19:20]
	v_add_f64 v[11:12], v[11:12], v[19:20]
	v_add_f64 v[11:12], v[23:24], v[11:12]
	v_mul_f64 v[11:12], v[17:18], v[11:12]
	v_add_f64 v[11:12], v[17:18], v[11:12]
	v_xor_b32_e32 v9, 0x80000000, v12
	v_cndmask_b32_e32 v11, v11, v13, vcc_lo
	v_cndmask_b32_e32 v9, v9, v14, vcc_lo
	v_xor_b32_e32 v10, v9, v10
	v_cndmask_b32_e64 v9, 0, v11, s4
	v_cndmask_b32_e64 v10, 0x7ff80000, v10, s4
	v_div_scale_f64 v[11:12], null, v[9:10], v[9:10], s[18:19]
	v_div_scale_f64 v[18:19], vcc_lo, s[18:19], v[9:10], s[18:19]
	v_rcp_f64_e32 v[13:14], v[11:12]
	v_fma_f64 v[16:17], -v[11:12], v[13:14], 1.0
	v_fma_f64 v[13:14], v[13:14], v[16:17], v[13:14]
	v_fma_f64 v[16:17], -v[11:12], v[13:14], 1.0
	v_fma_f64 v[13:14], v[13:14], v[16:17], v[13:14]
	v_mul_f64 v[16:17], v[18:19], v[13:14]
	v_fma_f64 v[11:12], -v[11:12], v[16:17], v[18:19]
	v_div_fmas_f64 v[11:12], v[11:12], v[13:14], v[16:17]
	v_div_fixup_f64 v[11:12], v[11:12], v[9:10], s[18:19]
.LBB5_59:
	s_or_b32 exec_lo, exec_lo, s16
	s_orn2_b32 s5, s5, exec_lo
.LBB5_60:
	s_or_b32 exec_lo, exec_lo, s15
	v_mov_b32_e32 v9, 0
	v_mov_b32_e32 v10, 0x7ff80000
	s_and_saveexec_b32 s4, s5
	s_cbranch_execz .LBB5_72
; %bb.61:
	s_mov_b32 s5, exec_lo
	v_cmpx_gt_f64_e32 0x40240000, v[1:2]
	s_cbranch_execz .LBB5_65
; %bb.62:
	s_mov_b32 s15, 0
	.p2align	6
.LBB5_63:                               ; =>This Inner Loop Header: Depth=1
	v_div_scale_f64 v[9:10], null, v[1:2], v[1:2], 1.0
	v_div_scale_f64 v[18:19], vcc_lo, 1.0, v[1:2], 1.0
	v_rcp_f64_e32 v[13:14], v[9:10]
	v_fma_f64 v[16:17], -v[9:10], v[13:14], 1.0
	v_fma_f64 v[13:14], v[13:14], v[16:17], v[13:14]
	v_fma_f64 v[16:17], -v[9:10], v[13:14], 1.0
	v_fma_f64 v[13:14], v[13:14], v[16:17], v[13:14]
	v_mul_f64 v[16:17], v[18:19], v[13:14]
	v_fma_f64 v[9:10], -v[9:10], v[16:17], v[18:19]
	v_div_fmas_f64 v[9:10], v[9:10], v[13:14], v[16:17]
	v_div_fixup_f64 v[9:10], v[9:10], v[1:2], 1.0
	v_add_f64 v[1:2], v[1:2], 1.0
	v_add_f64 v[11:12], v[11:12], -v[9:10]
	v_cmp_ngt_f64_e32 vcc_lo, 0x40240000, v[1:2]
	s_or_b32 s15, vcc_lo, s15
	s_andn2_b32 exec_lo, exec_lo, s15
	s_cbranch_execnz .LBB5_63
; %bb.64:
	s_or_b32 exec_lo, exec_lo, s15
.LBB5_65:
	s_or_b32 exec_lo, exec_lo, s5
	s_mov_b32 s5, exec_lo
                                        ; implicit-def: $vgpr9_vgpr10
	v_cmpx_neq_f64_e32 0x40240000, v[1:2]
	s_xor_b32 s5, exec_lo, s5
	s_cbranch_execz .LBB5_69
; %bb.66:
	v_mov_b32_e32 v9, 0
	v_mov_b32_e32 v10, 0
	s_mov_b32 s16, 0x85d8a000
	s_mov_b32 s17, 0x43763457
	s_mov_b32 s15, exec_lo
	v_cmpx_gt_f64_e32 s[16:17], v[1:2]
	s_cbranch_execz .LBB5_68
; %bb.67:
	v_mul_f64 v[9:10], v[1:2], v[1:2]
	s_mov_b32 s16, 0x55555555
	s_mov_b32 s17, 0x3fb55555
	;; [unrolled: 1-line block ×6, first 2 shown]
	v_div_scale_f64 v[13:14], null, v[9:10], v[9:10], 1.0
	v_rcp_f64_e32 v[16:17], v[13:14]
	v_fma_f64 v[18:19], -v[13:14], v[16:17], 1.0
	v_fma_f64 v[16:17], v[16:17], v[18:19], v[16:17]
	v_fma_f64 v[18:19], -v[13:14], v[16:17], 1.0
	v_fma_f64 v[16:17], v[16:17], v[18:19], v[16:17]
	v_div_scale_f64 v[18:19], vcc_lo, 1.0, v[9:10], 1.0
	v_mul_f64 v[20:21], v[18:19], v[16:17]
	v_fma_f64 v[13:14], -v[13:14], v[20:21], v[18:19]
	v_div_fmas_f64 v[13:14], v[13:14], v[16:17], v[20:21]
	v_div_fixup_f64 v[9:10], v[13:14], v[9:10], 1.0
	v_fma_f64 v[13:14], v[9:10], 0, s[16:17]
	v_fma_f64 v[13:14], v[9:10], v[13:14], s[18:19]
	s_mov_b32 s18, 0xf07c1f08
	s_mov_b32 s19, 0x3f7f07c1
	v_fma_f64 v[13:14], v[9:10], v[13:14], s[18:19]
	s_mov_b32 s19, 0xbf711111
	s_mov_b32 s18, 0x11111111
	v_fma_f64 v[13:14], v[9:10], v[13:14], s[18:19]
	s_mov_b32 s19, 0xbf811111
	v_fma_f64 v[13:14], v[9:10], v[13:14], s[20:21]
	v_fma_f64 v[13:14], v[9:10], v[13:14], s[18:19]
	;; [unrolled: 1-line block ×3, first 2 shown]
	v_mul_f64 v[9:10], v[9:10], v[13:14]
.LBB5_68:
	s_or_b32 exec_lo, exec_lo, s15
	v_frexp_mant_f64_e32 v[13:14], v[1:2]
	s_mov_b32 s17, 0x3fe55555
	s_mov_b32 s16, 0x55555555
	;; [unrolled: 1-line block ×6, first 2 shown]
	v_div_scale_f64 v[30:31], null, v[1:2], v[1:2], -0.5
	v_cmp_gt_f64_e32 vcc_lo, s[16:17], v[13:14]
	s_mov_b32 s16, 0x55555780
	v_rcp_f64_e32 v[34:35], v[30:31]
	v_cndmask_b32_e64 v16, 0, 1, vcc_lo
	v_ldexp_f64 v[13:14], v[13:14], v16
	v_add_f64 v[16:17], v[13:14], 1.0
	v_add_f64 v[22:23], v[13:14], -1.0
	v_rcp_f64_e32 v[18:19], v[16:17]
	v_add_f64 v[24:25], v[16:17], -1.0
	v_add_f64 v[13:14], v[13:14], -v[24:25]
	v_fma_f64 v[20:21], -v[16:17], v[18:19], 1.0
	v_fma_f64 v[18:19], v[20:21], v[18:19], v[18:19]
	v_fma_f64 v[20:21], -v[16:17], v[18:19], 1.0
	v_fma_f64 v[18:19], v[20:21], v[18:19], v[18:19]
	v_mul_f64 v[20:21], v[22:23], v[18:19]
	v_mul_f64 v[26:27], v[16:17], v[20:21]
	v_fma_f64 v[16:17], v[20:21], v[16:17], -v[26:27]
	v_fma_f64 v[13:14], v[20:21], v[13:14], v[16:17]
	v_add_f64 v[16:17], v[26:27], v[13:14]
	v_add_f64 v[24:25], v[22:23], -v[16:17]
	v_add_f64 v[26:27], v[16:17], -v[26:27]
	;; [unrolled: 1-line block ×4, first 2 shown]
	v_frexp_exp_i32_f64_e32 v26, v[1:2]
	v_add_f64 v[16:17], v[22:23], -v[16:17]
	v_add_f64 v[13:14], v[13:14], v[16:17]
	v_add_f64 v[13:14], v[24:25], v[13:14]
	v_mul_f64 v[13:14], v[18:19], v[13:14]
	v_add_f64 v[16:17], v[20:21], v[13:14]
	v_mul_f64 v[18:19], v[16:17], v[16:17]
	v_fma_f64 v[22:23], v[18:19], s[20:21], s[18:19]
	s_mov_b32 s18, 0xd7f4df2e
	s_mov_b32 s19, 0x3fc7474d
	v_mul_f64 v[24:25], v[16:17], v[18:19]
	v_fma_f64 v[22:23], v[18:19], v[22:23], s[18:19]
	s_mov_b32 s18, 0x16291751
	s_mov_b32 s19, 0x3fcc71c0
	v_fma_f64 v[22:23], v[18:19], v[22:23], s[18:19]
	s_mov_b32 s18, 0x9b27acf1
	s_mov_b32 s19, 0x3fd24924
	;; [unrolled: 3-line block ×3, first 2 shown]
	v_fma_f64 v[22:23], v[18:19], v[22:23], s[18:19]
	v_fma_f64 v[18:19], v[18:19], v[22:23], s[16:17]
	v_ldexp_f64 v[22:23], v[16:17], 1
	v_add_f64 v[16:17], v[16:17], -v[20:21]
	s_mov_b32 s16, 0xfefa39ef
	s_mov_b32 s17, 0x3fe62e42
	v_mul_f64 v[18:19], v[24:25], v[18:19]
	v_subrev_co_ci_u32_e64 v24, null, 0, v26, vcc_lo
	v_add_f64 v[13:14], v[13:14], -v[16:17]
	v_cvt_f64_i32_e32 v[24:25], v24
	v_add_f64 v[20:21], v[22:23], v[18:19]
	v_ldexp_f64 v[13:14], v[13:14], 1
	v_mul_f64 v[26:27], v[24:25], s[16:17]
	v_add_f64 v[16:17], v[20:21], -v[22:23]
	v_fma_f64 v[22:23], v[24:25], s[16:17], -v[26:27]
	s_mov_b32 s16, 0x3b39803f
	s_mov_b32 s17, 0x3c7abc9e
	v_add_f64 v[16:17], v[18:19], -v[16:17]
	v_fma_f64 v[18:19], v[24:25], s[16:17], v[22:23]
	v_add_f64 v[13:14], v[13:14], v[16:17]
	v_add_f64 v[16:17], v[26:27], v[18:19]
	;; [unrolled: 1-line block ×3, first 2 shown]
	v_add_f64 v[26:27], v[16:17], -v[26:27]
	v_add_f64 v[24:25], v[16:17], v[22:23]
	v_add_f64 v[20:21], v[22:23], -v[20:21]
	v_add_f64 v[18:19], v[18:19], -v[26:27]
	;; [unrolled: 1-line block ×6, first 2 shown]
	v_fma_f64 v[22:23], -v[30:31], v[34:35], 1.0
	v_add_f64 v[26:27], v[18:19], v[13:14]
	v_add_f64 v[16:17], v[16:17], -v[32:33]
	v_add_f64 v[16:17], v[20:21], v[16:17]
	v_fma_f64 v[20:21], v[34:35], v[22:23], v[34:35]
	v_add_f64 v[22:23], v[26:27], -v[18:19]
	v_div_scale_f64 v[34:35], vcc_lo, -0.5, v[1:2], -0.5
	v_add_f64 v[16:17], v[26:27], v[16:17]
	v_fma_f64 v[28:29], -v[30:31], v[20:21], 1.0
	v_add_f64 v[26:27], v[26:27], -v[22:23]
	v_add_f64 v[13:14], v[13:14], -v[22:23]
	v_add_f64 v[32:33], v[24:25], v[16:17]
	v_fma_f64 v[20:21], v[20:21], v[28:29], v[20:21]
	v_add_f64 v[18:19], v[18:19], -v[26:27]
	v_add_f64 v[22:23], v[32:33], -v[24:25]
	v_mul_f64 v[24:25], v[34:35], v[20:21]
	v_add_f64 v[13:14], v[13:14], v[18:19]
	v_add_f64 v[16:17], v[16:17], -v[22:23]
	v_fma_f64 v[18:19], -v[30:31], v[24:25], v[34:35]
	v_add_f64 v[13:14], v[13:14], v[16:17]
	v_div_fmas_f64 v[16:17], v[18:19], v[20:21], v[24:25]
	v_cmp_class_f64_e64 vcc_lo, v[1:2], 0x204
	v_add_f64 v[13:14], v[32:33], v[13:14]
	v_div_fixup_f64 v[16:17], v[16:17], v[1:2], -0.5
	v_cndmask_b32_e32 v2, v14, v2, vcc_lo
	v_cndmask_b32_e32 v1, v13, v1, vcc_lo
	v_add_f64 v[1:2], v[1:2], v[16:17]
	v_add_f64 v[1:2], v[1:2], -v[9:10]
	v_add_f64 v[9:10], v[11:12], v[1:2]
                                        ; implicit-def: $vgpr11_vgpr12
.LBB5_69:
	s_andn2_saveexec_b32 s5, s5
; %bb.70:
	s_mov_b32 s16, 0xdc85cc95
	s_mov_b32 s17, 0x40020396
	v_add_f64 v[9:10], v[11:12], s[16:17]
; %bb.71:
	s_or_b32 exec_lo, exec_lo, s5
.LBB5_72:
	s_or_b32 exec_lo, exec_lo, s4
.LBB5_73:
	s_andn2_saveexec_b32 s4, s14
; %bb.74:
	v_xor_b32_e32 v1, 0x80000000, v2
	s_mov_b32 s5, 0x7ff00000
	v_mov_b32_e32 v9, 0
	v_bfi_b32 v10, 0x7fffffff, s5, v1
; %bb.75:
	s_or_b32 exec_lo, exec_lo, s4
	s_mov_b32 s4, exec_lo
	v_cmpx_neq_f64_e32 0, v[3:4]
	s_xor_b32 s14, exec_lo, s4
	s_cbranch_execz .LBB5_97
; %bb.76:
	v_mov_b32_e32 v1, 0
	v_mov_b32_e32 v2, 0
	s_mov_b32 s5, -1
	s_mov_b32 s15, exec_lo
	v_cmpx_gt_f64_e32 0, v[3:4]
	s_cbranch_execz .LBB5_84
; %bb.77:
	v_trunc_f64_e32 v[11:12], v[3:4]
	v_mov_b32_e32 v1, 0
	v_mov_b32_e32 v2, 0
	s_mov_b32 s5, 0
	s_mov_b32 s16, exec_lo
	v_cmpx_neq_f64_e32 v[3:4], v[11:12]
	s_cbranch_execz .LBB5_83
; %bb.78:
	v_add_f64 v[1:2], v[3:4], -v[11:12]
	s_mov_b32 s5, 0xc00921fb
	s_mov_b32 s4, 0x54442d18
	v_cmp_neq_f64_e64 vcc_lo, 0x7ff00000, |v[3:4]|
	s_mov_b32 s17, exec_lo
                                        ; implicit-def: $vgpr16
                                        ; implicit-def: $vgpr11_vgpr12
                                        ; implicit-def: $vgpr13_vgpr14
	v_mul_f64 v[1:2], |v[1:2]|, s[4:5]
	v_cndmask_b32_e32 v2, 0x80000000, v2, vcc_lo
	v_cndmask_b32_e32 v1, 0, v1, vcc_lo
	v_cmpx_ngt_f64_e64 0x41d00000, |v[1:2]|
	s_xor_b32 s17, exec_lo, s17
	s_cbranch_execz .LBB5_80
; %bb.79:
	v_ldexp_f64 v[11:12], |v[1:2]|, 0xffffff80
	v_cmp_le_f64_e64 vcc_lo, 0x7b000000, |v[1:2]|
	v_trig_preop_f64 v[13:14], |v[1:2]|, 0
	v_and_b32_e32 v16, 0x7fffffff, v2
	v_trig_preop_f64 v[26:27], |v[1:2]|, 2
	v_mov_b32_e32 v34, 0
	s_mov_b32 s5, 0x3ff921fb
	s_mov_b32 s18, 0x33145c07
	;; [unrolled: 1-line block ×3, first 2 shown]
	v_cndmask_b32_e32 v12, v16, v12, vcc_lo
	v_cndmask_b32_e32 v11, v1, v11, vcc_lo
	v_trig_preop_f64 v[16:17], |v[1:2]|, 1
	v_mul_f64 v[18:19], v[13:14], v[11:12]
	v_mul_f64 v[32:33], v[26:27], v[11:12]
	;; [unrolled: 1-line block ×3, first 2 shown]
	v_fma_f64 v[13:14], v[13:14], v[11:12], -v[18:19]
	v_fma_f64 v[16:17], v[16:17], v[11:12], -v[20:21]
	;; [unrolled: 1-line block ×3, first 2 shown]
	v_add_f64 v[22:23], v[20:21], v[13:14]
	v_add_f64 v[24:25], v[22:23], -v[20:21]
	v_add_f64 v[30:31], v[18:19], v[22:23]
	v_add_f64 v[28:29], v[22:23], -v[24:25]
	v_add_f64 v[13:14], v[13:14], -v[24:25]
	v_ldexp_f64 v[24:25], v[30:31], -2
	v_add_f64 v[18:19], v[30:31], -v[18:19]
	v_add_f64 v[20:21], v[20:21], -v[28:29]
	v_add_f64 v[28:29], v[32:33], v[16:17]
	v_cmp_neq_f64_e64 vcc_lo, 0x7ff00000, |v[24:25]|
	v_add_f64 v[18:19], v[22:23], -v[18:19]
	v_add_f64 v[13:14], v[13:14], v[20:21]
	v_fract_f64_e32 v[20:21], v[24:25]
	v_add_f64 v[22:23], v[28:29], v[13:14]
	v_ldexp_f64 v[20:21], v[20:21], 2
	v_add_f64 v[24:25], v[18:19], v[22:23]
	v_cndmask_b32_e32 v21, 0, v21, vcc_lo
	v_cndmask_b32_e32 v20, 0, v20, vcc_lo
	v_add_f64 v[30:31], v[24:25], v[20:21]
	v_add_f64 v[18:19], v[24:25], -v[18:19]
	v_cmp_gt_f64_e32 vcc_lo, 0, v[30:31]
	v_add_f64 v[30:31], v[28:29], -v[32:33]
	v_cndmask_b32_e64 v35, 0, 0x40100000, vcc_lo
	v_add_f64 v[39:40], v[28:29], -v[30:31]
	v_add_f64 v[16:17], v[16:17], -v[30:31]
	v_add_f64 v[20:21], v[20:21], v[34:35]
	v_add_f64 v[35:36], v[22:23], -v[28:29]
	v_add_f64 v[30:31], v[32:33], -v[39:40]
	v_add_f64 v[37:38], v[24:25], v[20:21]
	;; [unrolled: 3-line block ×3, first 2 shown]
	v_cvt_i32_f64_e32 v37, v[37:38]
	v_add_f64 v[28:29], v[28:29], -v[41:42]
	v_cvt_f64_i32_e32 v[35:36], v37
	v_add_f64 v[13:14], v[13:14], v[28:29]
	v_add_f64 v[20:21], v[20:21], -v[35:36]
	v_add_f64 v[13:14], v[16:17], v[13:14]
	v_add_f64 v[16:17], v[22:23], -v[18:19]
	v_add_f64 v[26:27], v[24:25], v[20:21]
	v_add_f64 v[11:12], v[11:12], v[13:14]
	v_add_f64 v[13:14], v[26:27], -v[20:21]
	v_cmp_le_f64_e32 vcc_lo, 0.5, v[26:27]
	v_add_f64 v[11:12], v[16:17], v[11:12]
	v_add_f64 v[13:14], v[24:25], -v[13:14]
	v_cndmask_b32_e64 v35, 0, 0x3ff00000, vcc_lo
	v_add_co_ci_u32_e64 v16, null, 0, v37, vcc_lo
	v_add_f64 v[11:12], v[11:12], v[13:14]
	v_add_f64 v[13:14], v[26:27], -v[34:35]
	v_add_f64 v[17:18], v[13:14], v[11:12]
	v_mul_f64 v[19:20], v[17:18], s[4:5]
	v_add_f64 v[13:14], v[17:18], -v[13:14]
	v_fma_f64 v[21:22], v[17:18], s[4:5], -v[19:20]
	v_add_f64 v[11:12], v[11:12], -v[13:14]
	v_fma_f64 v[13:14], v[17:18], s[18:19], v[21:22]
	v_fma_f64 v[13:14], v[11:12], s[4:5], v[13:14]
	v_add_f64 v[11:12], v[19:20], v[13:14]
	v_add_f64 v[17:18], v[11:12], -v[19:20]
	v_add_f64 v[13:14], v[13:14], -v[17:18]
.LBB5_80:
	s_andn2_saveexec_b32 s4, s17
	s_cbranch_execz .LBB5_82
; %bb.81:
	s_mov_b32 s18, 0x6dc9c883
	s_mov_b32 s19, 0x3fe45f30
	;; [unrolled: 1-line block ×3, first 2 shown]
	v_mul_f64 v[11:12], |v[1:2]|, s[18:19]
	s_mov_b32 s18, 0x54442d18
	s_mov_b32 s19, 0xbff921fb
	;; [unrolled: 1-line block ×3, first 2 shown]
	v_rndne_f64_e32 v[16:17], v[11:12]
	v_fma_f64 v[11:12], v[16:17], s[18:19], |v[1:2]|
	v_mul_f64 v[13:14], v[16:17], s[20:21]
	s_mov_b32 s18, 0x252049c0
	s_mov_b32 s19, 0xb97b839a
	v_fma_f64 v[20:21], v[16:17], s[20:21], v[11:12]
	v_add_f64 v[18:19], v[11:12], v[13:14]
	s_mov_b32 s21, 0x3c91a626
	v_add_f64 v[11:12], v[11:12], -v[18:19]
	v_add_f64 v[18:19], v[18:19], -v[20:21]
	v_add_f64 v[11:12], v[11:12], v[13:14]
	v_fma_f64 v[13:14], v[16:17], s[20:21], v[13:14]
	v_add_f64 v[11:12], v[18:19], v[11:12]
	v_add_f64 v[11:12], v[11:12], -v[13:14]
	v_fma_f64 v[13:14], v[16:17], s[18:19], v[11:12]
	v_cvt_i32_f64_e32 v16, v[16:17]
	v_add_f64 v[11:12], v[20:21], v[13:14]
	v_add_f64 v[18:19], v[11:12], -v[20:21]
	v_add_f64 v[13:14], v[13:14], -v[18:19]
.LBB5_82:
	s_or_b32 exec_lo, exec_lo, s4
	v_mul_f64 v[17:18], v[11:12], v[11:12]
	v_add_f64 v[19:20], v[13:14], v[13:14]
	s_mov_b32 s18, 0xa9a29f71
	s_mov_b32 s20, 0xc751c08c
	;; [unrolled: 1-line block ×4, first 2 shown]
	v_cmp_class_f64_e64 s4, v[1:2], 0x1f8
	v_and_b32_e32 v16, 1, v16
	v_and_b32_e32 v2, 0x80000000, v2
	v_add_f64 v[3:4], -v[3:4], 1.0
	s_mov_b32 s5, exec_lo
	v_cmp_eq_u32_e32 vcc_lo, 0, v16
	v_fma_f64 v[21:22], v[11:12], v[11:12], -v[17:18]
	v_fma_f64 v[19:20], v[11:12], v[19:20], v[21:22]
	v_add_f64 v[17:18], v[17:18], v[19:20]
	v_fma_f64 v[19:20], v[17:18], s[20:21], s[18:19]
	s_mov_b32 s18, 0x90a8aae0
	s_mov_b32 s19, 0x3f17746f
	v_fma_f64 v[19:20], v[17:18], v[19:20], s[18:19]
	s_mov_b32 s18, 0xa6fbf144
	s_mov_b32 s19, 0xbefbb44d
	;; [unrolled: 3-line block ×13, first 2 shown]
	v_mul_f64 v[17:18], v[17:18], v[19:20]
	v_mul_f64 v[19:20], v[11:12], v[17:18]
	v_add_f64 v[21:22], v[11:12], v[19:20]
	v_fma_f64 v[17:18], v[11:12], v[17:18], -v[19:20]
	v_add_f64 v[11:12], v[21:22], -v[11:12]
	v_add_f64 v[13:14], v[13:14], v[17:18]
	v_add_f64 v[11:12], v[19:20], -v[11:12]
	v_add_f64 v[11:12], v[13:14], v[11:12]
	v_add_f64 v[13:14], v[21:22], v[11:12]
	v_rcp_f64_e32 v[17:18], v[13:14]
	v_fma_f64 v[19:20], -v[13:14], v[17:18], 1.0
	v_fma_f64 v[17:18], v[19:20], v[17:18], v[17:18]
	v_fma_f64 v[19:20], -v[13:14], v[17:18], 1.0
	v_fma_f64 v[17:18], v[19:20], v[17:18], v[17:18]
	v_add_f64 v[19:20], v[13:14], -v[21:22]
	v_mul_f64 v[21:22], v[13:14], v[17:18]
	v_add_f64 v[11:12], v[11:12], -v[19:20]
	v_fma_f64 v[19:20], v[17:18], v[13:14], -v[21:22]
	v_fma_f64 v[11:12], v[17:18], v[11:12], v[19:20]
	v_add_f64 v[19:20], v[21:22], v[11:12]
	v_add_f64 v[23:24], -v[19:20], 1.0
	v_add_f64 v[21:22], v[19:20], -v[21:22]
	v_add_f64 v[25:26], -v[23:24], 1.0
	v_add_f64 v[11:12], v[21:22], -v[11:12]
	v_add_f64 v[19:20], v[25:26], -v[19:20]
	v_add_f64 v[11:12], v[11:12], v[19:20]
	v_add_f64 v[11:12], v[23:24], v[11:12]
	v_mul_f64 v[11:12], v[17:18], v[11:12]
	v_add_f64 v[11:12], v[17:18], v[11:12]
	v_xor_b32_e32 v1, 0x80000000, v12
	v_cndmask_b32_e32 v11, v11, v13, vcc_lo
	v_cndmask_b32_e32 v1, v1, v14, vcc_lo
	v_xor_b32_e32 v2, v1, v2
	v_cndmask_b32_e64 v1, 0, v11, s4
	v_cndmask_b32_e64 v2, 0x7ff80000, v2, s4
	v_div_scale_f64 v[11:12], null, v[1:2], v[1:2], s[18:19]
	v_div_scale_f64 v[18:19], vcc_lo, s[18:19], v[1:2], s[18:19]
	v_rcp_f64_e32 v[13:14], v[11:12]
	v_fma_f64 v[16:17], -v[11:12], v[13:14], 1.0
	v_fma_f64 v[13:14], v[13:14], v[16:17], v[13:14]
	v_fma_f64 v[16:17], -v[11:12], v[13:14], 1.0
	v_fma_f64 v[13:14], v[13:14], v[16:17], v[13:14]
	v_mul_f64 v[16:17], v[18:19], v[13:14]
	v_fma_f64 v[11:12], -v[11:12], v[16:17], v[18:19]
	v_div_fmas_f64 v[11:12], v[11:12], v[13:14], v[16:17]
	v_div_fixup_f64 v[1:2], v[11:12], v[1:2], s[18:19]
.LBB5_83:
	s_or_b32 exec_lo, exec_lo, s16
	s_orn2_b32 s5, s5, exec_lo
.LBB5_84:
	s_or_b32 exec_lo, exec_lo, s15
	v_mov_b32_e32 v11, 0
	v_mov_b32_e32 v12, 0x7ff80000
	s_and_saveexec_b32 s4, s5
	s_cbranch_execz .LBB5_96
; %bb.85:
	s_mov_b32 s5, exec_lo
	v_cmpx_gt_f64_e32 0x40240000, v[3:4]
	s_cbranch_execz .LBB5_89
; %bb.86:
	s_mov_b32 s15, 0
	.p2align	6
.LBB5_87:                               ; =>This Inner Loop Header: Depth=1
	v_div_scale_f64 v[11:12], null, v[3:4], v[3:4], 1.0
	v_div_scale_f64 v[18:19], vcc_lo, 1.0, v[3:4], 1.0
	v_rcp_f64_e32 v[13:14], v[11:12]
	v_fma_f64 v[16:17], -v[11:12], v[13:14], 1.0
	v_fma_f64 v[13:14], v[13:14], v[16:17], v[13:14]
	v_fma_f64 v[16:17], -v[11:12], v[13:14], 1.0
	v_fma_f64 v[13:14], v[13:14], v[16:17], v[13:14]
	v_mul_f64 v[16:17], v[18:19], v[13:14]
	v_fma_f64 v[11:12], -v[11:12], v[16:17], v[18:19]
	v_div_fmas_f64 v[11:12], v[11:12], v[13:14], v[16:17]
	v_div_fixup_f64 v[11:12], v[11:12], v[3:4], 1.0
	v_add_f64 v[3:4], v[3:4], 1.0
	v_add_f64 v[1:2], v[1:2], -v[11:12]
	v_cmp_ngt_f64_e32 vcc_lo, 0x40240000, v[3:4]
	s_or_b32 s15, vcc_lo, s15
	s_andn2_b32 exec_lo, exec_lo, s15
	s_cbranch_execnz .LBB5_87
; %bb.88:
	s_or_b32 exec_lo, exec_lo, s15
.LBB5_89:
	s_or_b32 exec_lo, exec_lo, s5
	s_mov_b32 s5, exec_lo
	v_cmpx_neq_f64_e32 0x40240000, v[3:4]
	s_xor_b32 s5, exec_lo, s5
	s_cbranch_execz .LBB5_93
; %bb.90:
	v_mov_b32_e32 v11, 0
	v_mov_b32_e32 v12, 0
	s_mov_b32 s16, 0x85d8a000
	s_mov_b32 s17, 0x43763457
	s_mov_b32 s15, exec_lo
	v_cmpx_gt_f64_e32 s[16:17], v[3:4]
	s_cbranch_execz .LBB5_92
; %bb.91:
	v_mul_f64 v[11:12], v[3:4], v[3:4]
	s_mov_b32 s16, 0x55555555
	s_mov_b32 s17, 0x3fb55555
	;; [unrolled: 1-line block ×6, first 2 shown]
	v_div_scale_f64 v[13:14], null, v[11:12], v[11:12], 1.0
	v_rcp_f64_e32 v[16:17], v[13:14]
	v_fma_f64 v[18:19], -v[13:14], v[16:17], 1.0
	v_fma_f64 v[16:17], v[16:17], v[18:19], v[16:17]
	v_fma_f64 v[18:19], -v[13:14], v[16:17], 1.0
	v_fma_f64 v[16:17], v[16:17], v[18:19], v[16:17]
	v_div_scale_f64 v[18:19], vcc_lo, 1.0, v[11:12], 1.0
	v_mul_f64 v[20:21], v[18:19], v[16:17]
	v_fma_f64 v[13:14], -v[13:14], v[20:21], v[18:19]
	v_div_fmas_f64 v[13:14], v[13:14], v[16:17], v[20:21]
	v_div_fixup_f64 v[11:12], v[13:14], v[11:12], 1.0
	v_fma_f64 v[13:14], v[11:12], 0, s[16:17]
	v_fma_f64 v[13:14], v[11:12], v[13:14], s[18:19]
	s_mov_b32 s18, 0xf07c1f08
	s_mov_b32 s19, 0x3f7f07c1
	v_fma_f64 v[13:14], v[11:12], v[13:14], s[18:19]
	s_mov_b32 s19, 0xbf711111
	s_mov_b32 s18, 0x11111111
	v_fma_f64 v[13:14], v[11:12], v[13:14], s[18:19]
	s_mov_b32 s19, 0xbf811111
	v_fma_f64 v[13:14], v[11:12], v[13:14], s[20:21]
	v_fma_f64 v[13:14], v[11:12], v[13:14], s[18:19]
	;; [unrolled: 1-line block ×3, first 2 shown]
	v_mul_f64 v[11:12], v[11:12], v[13:14]
.LBB5_92:
	s_or_b32 exec_lo, exec_lo, s15
	v_frexp_mant_f64_e32 v[13:14], v[3:4]
	s_mov_b32 s17, 0x3fe55555
	s_mov_b32 s16, 0x55555555
	;; [unrolled: 1-line block ×6, first 2 shown]
	v_div_scale_f64 v[30:31], null, v[3:4], v[3:4], -0.5
	v_cmp_gt_f64_e32 vcc_lo, s[16:17], v[13:14]
	s_mov_b32 s16, 0x55555780
	v_rcp_f64_e32 v[34:35], v[30:31]
	v_cndmask_b32_e64 v16, 0, 1, vcc_lo
	v_ldexp_f64 v[13:14], v[13:14], v16
	v_add_f64 v[16:17], v[13:14], 1.0
	v_add_f64 v[22:23], v[13:14], -1.0
	v_rcp_f64_e32 v[18:19], v[16:17]
	v_add_f64 v[24:25], v[16:17], -1.0
	v_add_f64 v[13:14], v[13:14], -v[24:25]
	v_fma_f64 v[20:21], -v[16:17], v[18:19], 1.0
	v_fma_f64 v[18:19], v[20:21], v[18:19], v[18:19]
	v_fma_f64 v[20:21], -v[16:17], v[18:19], 1.0
	v_fma_f64 v[18:19], v[20:21], v[18:19], v[18:19]
	v_mul_f64 v[20:21], v[22:23], v[18:19]
	v_mul_f64 v[26:27], v[16:17], v[20:21]
	v_fma_f64 v[16:17], v[20:21], v[16:17], -v[26:27]
	v_fma_f64 v[13:14], v[20:21], v[13:14], v[16:17]
	v_add_f64 v[16:17], v[26:27], v[13:14]
	v_add_f64 v[24:25], v[22:23], -v[16:17]
	v_add_f64 v[26:27], v[16:17], -v[26:27]
	;; [unrolled: 1-line block ×4, first 2 shown]
	v_frexp_exp_i32_f64_e32 v26, v[3:4]
	v_add_f64 v[16:17], v[22:23], -v[16:17]
	v_add_f64 v[13:14], v[13:14], v[16:17]
	v_add_f64 v[13:14], v[24:25], v[13:14]
	v_mul_f64 v[13:14], v[18:19], v[13:14]
	v_add_f64 v[16:17], v[20:21], v[13:14]
	v_mul_f64 v[18:19], v[16:17], v[16:17]
	v_fma_f64 v[22:23], v[18:19], s[20:21], s[18:19]
	s_mov_b32 s18, 0xd7f4df2e
	s_mov_b32 s19, 0x3fc7474d
	v_mul_f64 v[24:25], v[16:17], v[18:19]
	v_fma_f64 v[22:23], v[18:19], v[22:23], s[18:19]
	s_mov_b32 s18, 0x16291751
	s_mov_b32 s19, 0x3fcc71c0
	v_fma_f64 v[22:23], v[18:19], v[22:23], s[18:19]
	s_mov_b32 s18, 0x9b27acf1
	s_mov_b32 s19, 0x3fd24924
	;; [unrolled: 3-line block ×3, first 2 shown]
	v_fma_f64 v[22:23], v[18:19], v[22:23], s[18:19]
	v_fma_f64 v[18:19], v[18:19], v[22:23], s[16:17]
	v_ldexp_f64 v[22:23], v[16:17], 1
	v_add_f64 v[16:17], v[16:17], -v[20:21]
	s_mov_b32 s16, 0xfefa39ef
	s_mov_b32 s17, 0x3fe62e42
	v_mul_f64 v[18:19], v[24:25], v[18:19]
	v_subrev_co_ci_u32_e64 v24, null, 0, v26, vcc_lo
	v_add_f64 v[13:14], v[13:14], -v[16:17]
	v_cvt_f64_i32_e32 v[24:25], v24
	v_add_f64 v[20:21], v[22:23], v[18:19]
	v_ldexp_f64 v[13:14], v[13:14], 1
	v_mul_f64 v[26:27], v[24:25], s[16:17]
	v_add_f64 v[16:17], v[20:21], -v[22:23]
	v_fma_f64 v[22:23], v[24:25], s[16:17], -v[26:27]
	s_mov_b32 s16, 0x3b39803f
	s_mov_b32 s17, 0x3c7abc9e
	v_add_f64 v[16:17], v[18:19], -v[16:17]
	v_fma_f64 v[18:19], v[24:25], s[16:17], v[22:23]
	v_add_f64 v[13:14], v[13:14], v[16:17]
	v_add_f64 v[16:17], v[26:27], v[18:19]
	;; [unrolled: 1-line block ×3, first 2 shown]
	v_add_f64 v[26:27], v[16:17], -v[26:27]
	v_add_f64 v[24:25], v[16:17], v[22:23]
	v_add_f64 v[20:21], v[22:23], -v[20:21]
	v_add_f64 v[18:19], v[18:19], -v[26:27]
	;; [unrolled: 1-line block ×6, first 2 shown]
	v_fma_f64 v[22:23], -v[30:31], v[34:35], 1.0
	v_add_f64 v[26:27], v[18:19], v[13:14]
	v_add_f64 v[16:17], v[16:17], -v[32:33]
	v_add_f64 v[16:17], v[20:21], v[16:17]
	v_fma_f64 v[20:21], v[34:35], v[22:23], v[34:35]
	v_add_f64 v[22:23], v[26:27], -v[18:19]
	v_div_scale_f64 v[34:35], vcc_lo, -0.5, v[3:4], -0.5
	v_add_f64 v[16:17], v[26:27], v[16:17]
	v_fma_f64 v[28:29], -v[30:31], v[20:21], 1.0
	v_add_f64 v[26:27], v[26:27], -v[22:23]
	v_add_f64 v[13:14], v[13:14], -v[22:23]
	v_add_f64 v[32:33], v[24:25], v[16:17]
	v_fma_f64 v[20:21], v[20:21], v[28:29], v[20:21]
	v_add_f64 v[18:19], v[18:19], -v[26:27]
	v_add_f64 v[22:23], v[32:33], -v[24:25]
	v_mul_f64 v[24:25], v[34:35], v[20:21]
	v_add_f64 v[13:14], v[13:14], v[18:19]
	v_add_f64 v[16:17], v[16:17], -v[22:23]
	v_fma_f64 v[18:19], -v[30:31], v[24:25], v[34:35]
	v_add_f64 v[13:14], v[13:14], v[16:17]
	v_div_fmas_f64 v[16:17], v[18:19], v[20:21], v[24:25]
	v_cmp_class_f64_e64 vcc_lo, v[3:4], 0x204
	v_add_f64 v[13:14], v[32:33], v[13:14]
	v_div_fixup_f64 v[16:17], v[16:17], v[3:4], -0.5
	v_cndmask_b32_e32 v4, v14, v4, vcc_lo
	v_cndmask_b32_e32 v3, v13, v3, vcc_lo
	v_add_f64 v[3:4], v[3:4], v[16:17]
	v_add_f64 v[3:4], v[3:4], -v[11:12]
	v_add_f64 v[11:12], v[1:2], v[3:4]
                                        ; implicit-def: $vgpr1_vgpr2
.LBB5_93:
	s_andn2_saveexec_b32 s5, s5
; %bb.94:
	s_mov_b32 s16, 0xdc85cc95
	s_mov_b32 s17, 0x40020396
	v_add_f64 v[11:12], v[1:2], s[16:17]
; %bb.95:
	s_or_b32 exec_lo, exec_lo, s5
.LBB5_96:
	s_or_b32 exec_lo, exec_lo, s4
                                        ; implicit-def: $vgpr3_vgpr4
.LBB5_97:
	s_andn2_saveexec_b32 s4, s14
; %bb.98:
	v_xor_b32_e32 v1, 0x80000000, v4
	s_mov_b32 s5, 0x7ff00000
	v_mov_b32_e32 v11, 0
	v_bfi_b32 v12, 0x7fffffff, s5, v1
; %bb.99:
	s_or_b32 exec_lo, exec_lo, s4
	s_add_u32 s4, s8, s12
	s_addc_u32 s5, s9, s13
	v_add_co_u32 v1, s12, s4, v15
	v_add_co_ci_u32_e64 v2, null, s5, 0, s12
	global_store_dwordx4 v15, v[5:8], s[4:5]
	v_add_co_u32 v1, vcc_lo, 0x1000, v1
	v_add_co_ci_u32_e64 v2, null, 0, v2, vcc_lo
	global_store_dwordx4 v[1:2], v[9:12], off
	s_branch .LBB5_2
.LBB5_100:
	v_mov_b32_e32 v31, v0
	v_mov_b32_e32 v0, s8
	;; [unrolled: 1-line block ×6, first 2 shown]
	s_getpc_b64 s[4:5]
	s_add_u32 s4, s4, _ZN2at6native25elementwise_kernel_helperILb0EZZZNS0_19digamma_kernel_cudaERNS_18TensorIteratorBaseEENKUlvE_clEvENKUlvE_clEvEUldE_NS0_6memory8policies11unroll_baseILi256ESt5arrayIPcLm2EE23TrivialOffsetCalculatorILi1EjESE_NS7_15LoadWithoutCastENS7_16StoreWithoutCastELi4ELi1EEEEEvT0_T1_@rel32@lo+4
	s_addc_u32 s5, s5, _ZN2at6native25elementwise_kernel_helperILb0EZZZNS0_19digamma_kernel_cudaERNS_18TensorIteratorBaseEENKUlvE_clEvENKUlvE_clEvEUldE_NS0_6memory8policies11unroll_baseILi256ESt5arrayIPcLm2EE23TrivialOffsetCalculatorILi1EjESE_NS7_15LoadWithoutCastENS7_16StoreWithoutCastELi4ELi1EEEEEvT0_T1_@rel32@hi+12
	s_mov_b32 s12, s6
	s_swappc_b64 s[30:31], s[4:5]
	s_endpgm
	.section	.rodata,"a",@progbits
	.p2align	6, 0x0
	.amdhsa_kernel _ZN2at6native29vectorized_elementwise_kernelILi2EZZZNS0_19digamma_kernel_cudaERNS_18TensorIteratorBaseEENKUlvE_clEvENKUlvE_clEvEUldE_St5arrayIPcLm2EEEEviT0_T1_
		.amdhsa_group_segment_fixed_size 0
		.amdhsa_private_segment_fixed_size 0
		.amdhsa_kernarg_size 24
		.amdhsa_user_sgpr_count 6
		.amdhsa_user_sgpr_private_segment_buffer 1
		.amdhsa_user_sgpr_dispatch_ptr 0
		.amdhsa_user_sgpr_queue_ptr 0
		.amdhsa_user_sgpr_kernarg_segment_ptr 1
		.amdhsa_user_sgpr_dispatch_id 0
		.amdhsa_user_sgpr_flat_scratch_init 0
		.amdhsa_user_sgpr_private_segment_size 0
		.amdhsa_wavefront_size32 1
		.amdhsa_uses_dynamic_stack 0
		.amdhsa_system_sgpr_private_segment_wavefront_offset 0
		.amdhsa_system_sgpr_workgroup_id_x 1
		.amdhsa_system_sgpr_workgroup_id_y 0
		.amdhsa_system_sgpr_workgroup_id_z 0
		.amdhsa_system_sgpr_workgroup_info 0
		.amdhsa_system_vgpr_workitem_id 0
		.amdhsa_next_free_vgpr 68
		.amdhsa_next_free_sgpr 33
		.amdhsa_reserve_vcc 1
		.amdhsa_reserve_flat_scratch 0
		.amdhsa_float_round_mode_32 0
		.amdhsa_float_round_mode_16_64 0
		.amdhsa_float_denorm_mode_32 3
		.amdhsa_float_denorm_mode_16_64 3
		.amdhsa_dx10_clamp 1
		.amdhsa_ieee_mode 1
		.amdhsa_fp16_overflow 0
		.amdhsa_workgroup_processor_mode 1
		.amdhsa_memory_ordered 1
		.amdhsa_forward_progress 1
		.amdhsa_shared_vgpr_count 0
		.amdhsa_exception_fp_ieee_invalid_op 0
		.amdhsa_exception_fp_denorm_src 0
		.amdhsa_exception_fp_ieee_div_zero 0
		.amdhsa_exception_fp_ieee_overflow 0
		.amdhsa_exception_fp_ieee_underflow 0
		.amdhsa_exception_fp_ieee_inexact 0
		.amdhsa_exception_int_div_zero 0
	.end_amdhsa_kernel
	.section	.text._ZN2at6native29vectorized_elementwise_kernelILi2EZZZNS0_19digamma_kernel_cudaERNS_18TensorIteratorBaseEENKUlvE_clEvENKUlvE_clEvEUldE_St5arrayIPcLm2EEEEviT0_T1_,"axG",@progbits,_ZN2at6native29vectorized_elementwise_kernelILi2EZZZNS0_19digamma_kernel_cudaERNS_18TensorIteratorBaseEENKUlvE_clEvENKUlvE_clEvEUldE_St5arrayIPcLm2EEEEviT0_T1_,comdat
.Lfunc_end5:
	.size	_ZN2at6native29vectorized_elementwise_kernelILi2EZZZNS0_19digamma_kernel_cudaERNS_18TensorIteratorBaseEENKUlvE_clEvENKUlvE_clEvEUldE_St5arrayIPcLm2EEEEviT0_T1_, .Lfunc_end5-_ZN2at6native29vectorized_elementwise_kernelILi2EZZZNS0_19digamma_kernel_cudaERNS_18TensorIteratorBaseEENKUlvE_clEvENKUlvE_clEvEUldE_St5arrayIPcLm2EEEEviT0_T1_
                                        ; -- End function
	.set _ZN2at6native29vectorized_elementwise_kernelILi2EZZZNS0_19digamma_kernel_cudaERNS_18TensorIteratorBaseEENKUlvE_clEvENKUlvE_clEvEUldE_St5arrayIPcLm2EEEEviT0_T1_.num_vgpr, max(43, .L_ZN2at6native25elementwise_kernel_helperILb0EZZZNS0_19digamma_kernel_cudaERNS_18TensorIteratorBaseEENKUlvE_clEvENKUlvE_clEvEUldE_NS0_6memory8policies11unroll_baseILi256ESt5arrayIPcLm2EE23TrivialOffsetCalculatorILi1EjESE_NS7_15LoadWithoutCastENS7_16StoreWithoutCastELi4ELi1EEEEEvT0_T1_.num_vgpr)
	.set _ZN2at6native29vectorized_elementwise_kernelILi2EZZZNS0_19digamma_kernel_cudaERNS_18TensorIteratorBaseEENKUlvE_clEvENKUlvE_clEvEUldE_St5arrayIPcLm2EEEEviT0_T1_.num_agpr, max(0, .L_ZN2at6native25elementwise_kernel_helperILb0EZZZNS0_19digamma_kernel_cudaERNS_18TensorIteratorBaseEENKUlvE_clEvENKUlvE_clEvEUldE_NS0_6memory8policies11unroll_baseILi256ESt5arrayIPcLm2EE23TrivialOffsetCalculatorILi1EjESE_NS7_15LoadWithoutCastENS7_16StoreWithoutCastELi4ELi1EEEEEvT0_T1_.num_agpr)
	.set _ZN2at6native29vectorized_elementwise_kernelILi2EZZZNS0_19digamma_kernel_cudaERNS_18TensorIteratorBaseEENKUlvE_clEvENKUlvE_clEvEUldE_St5arrayIPcLm2EEEEviT0_T1_.numbered_sgpr, max(33, .L_ZN2at6native25elementwise_kernel_helperILb0EZZZNS0_19digamma_kernel_cudaERNS_18TensorIteratorBaseEENKUlvE_clEvENKUlvE_clEvEUldE_NS0_6memory8policies11unroll_baseILi256ESt5arrayIPcLm2EE23TrivialOffsetCalculatorILi1EjESE_NS7_15LoadWithoutCastENS7_16StoreWithoutCastELi4ELi1EEEEEvT0_T1_.numbered_sgpr)
	.set _ZN2at6native29vectorized_elementwise_kernelILi2EZZZNS0_19digamma_kernel_cudaERNS_18TensorIteratorBaseEENKUlvE_clEvENKUlvE_clEvEUldE_St5arrayIPcLm2EEEEviT0_T1_.num_named_barrier, max(0, .L_ZN2at6native25elementwise_kernel_helperILb0EZZZNS0_19digamma_kernel_cudaERNS_18TensorIteratorBaseEENKUlvE_clEvENKUlvE_clEvEUldE_NS0_6memory8policies11unroll_baseILi256ESt5arrayIPcLm2EE23TrivialOffsetCalculatorILi1EjESE_NS7_15LoadWithoutCastENS7_16StoreWithoutCastELi4ELi1EEEEEvT0_T1_.num_named_barrier)
	.set _ZN2at6native29vectorized_elementwise_kernelILi2EZZZNS0_19digamma_kernel_cudaERNS_18TensorIteratorBaseEENKUlvE_clEvENKUlvE_clEvEUldE_St5arrayIPcLm2EEEEviT0_T1_.private_seg_size, 0+max(.L_ZN2at6native25elementwise_kernel_helperILb0EZZZNS0_19digamma_kernel_cudaERNS_18TensorIteratorBaseEENKUlvE_clEvENKUlvE_clEvEUldE_NS0_6memory8policies11unroll_baseILi256ESt5arrayIPcLm2EE23TrivialOffsetCalculatorILi1EjESE_NS7_15LoadWithoutCastENS7_16StoreWithoutCastELi4ELi1EEEEEvT0_T1_.private_seg_size)
	.set _ZN2at6native29vectorized_elementwise_kernelILi2EZZZNS0_19digamma_kernel_cudaERNS_18TensorIteratorBaseEENKUlvE_clEvENKUlvE_clEvEUldE_St5arrayIPcLm2EEEEviT0_T1_.uses_vcc, or(1, .L_ZN2at6native25elementwise_kernel_helperILb0EZZZNS0_19digamma_kernel_cudaERNS_18TensorIteratorBaseEENKUlvE_clEvENKUlvE_clEvEUldE_NS0_6memory8policies11unroll_baseILi256ESt5arrayIPcLm2EE23TrivialOffsetCalculatorILi1EjESE_NS7_15LoadWithoutCastENS7_16StoreWithoutCastELi4ELi1EEEEEvT0_T1_.uses_vcc)
	.set _ZN2at6native29vectorized_elementwise_kernelILi2EZZZNS0_19digamma_kernel_cudaERNS_18TensorIteratorBaseEENKUlvE_clEvENKUlvE_clEvEUldE_St5arrayIPcLm2EEEEviT0_T1_.uses_flat_scratch, or(0, .L_ZN2at6native25elementwise_kernel_helperILb0EZZZNS0_19digamma_kernel_cudaERNS_18TensorIteratorBaseEENKUlvE_clEvENKUlvE_clEvEUldE_NS0_6memory8policies11unroll_baseILi256ESt5arrayIPcLm2EE23TrivialOffsetCalculatorILi1EjESE_NS7_15LoadWithoutCastENS7_16StoreWithoutCastELi4ELi1EEEEEvT0_T1_.uses_flat_scratch)
	.set _ZN2at6native29vectorized_elementwise_kernelILi2EZZZNS0_19digamma_kernel_cudaERNS_18TensorIteratorBaseEENKUlvE_clEvENKUlvE_clEvEUldE_St5arrayIPcLm2EEEEviT0_T1_.has_dyn_sized_stack, or(0, .L_ZN2at6native25elementwise_kernel_helperILb0EZZZNS0_19digamma_kernel_cudaERNS_18TensorIteratorBaseEENKUlvE_clEvENKUlvE_clEvEUldE_NS0_6memory8policies11unroll_baseILi256ESt5arrayIPcLm2EE23TrivialOffsetCalculatorILi1EjESE_NS7_15LoadWithoutCastENS7_16StoreWithoutCastELi4ELi1EEEEEvT0_T1_.has_dyn_sized_stack)
	.set _ZN2at6native29vectorized_elementwise_kernelILi2EZZZNS0_19digamma_kernel_cudaERNS_18TensorIteratorBaseEENKUlvE_clEvENKUlvE_clEvEUldE_St5arrayIPcLm2EEEEviT0_T1_.has_recursion, or(0, .L_ZN2at6native25elementwise_kernel_helperILb0EZZZNS0_19digamma_kernel_cudaERNS_18TensorIteratorBaseEENKUlvE_clEvENKUlvE_clEvEUldE_NS0_6memory8policies11unroll_baseILi256ESt5arrayIPcLm2EE23TrivialOffsetCalculatorILi1EjESE_NS7_15LoadWithoutCastENS7_16StoreWithoutCastELi4ELi1EEEEEvT0_T1_.has_recursion)
	.set _ZN2at6native29vectorized_elementwise_kernelILi2EZZZNS0_19digamma_kernel_cudaERNS_18TensorIteratorBaseEENKUlvE_clEvENKUlvE_clEvEUldE_St5arrayIPcLm2EEEEviT0_T1_.has_indirect_call, or(0, .L_ZN2at6native25elementwise_kernel_helperILb0EZZZNS0_19digamma_kernel_cudaERNS_18TensorIteratorBaseEENKUlvE_clEvENKUlvE_clEvEUldE_NS0_6memory8policies11unroll_baseILi256ESt5arrayIPcLm2EE23TrivialOffsetCalculatorILi1EjESE_NS7_15LoadWithoutCastENS7_16StoreWithoutCastELi4ELi1EEEEEvT0_T1_.has_indirect_call)
	.section	.AMDGPU.csdata,"",@progbits
; Kernel info:
; codeLenInByte = 13064
; TotalNumSgprs: 35
; NumVgprs: 68
; ScratchSize: 0
; MemoryBound: 0
; FloatMode: 240
; IeeeMode: 1
; LDSByteSize: 0 bytes/workgroup (compile time only)
; SGPRBlocks: 0
; VGPRBlocks: 8
; NumSGPRsForWavesPerEU: 35
; NumVGPRsForWavesPerEU: 68
; Occupancy: 12
; WaveLimiterHint : 1
; COMPUTE_PGM_RSRC2:SCRATCH_EN: 0
; COMPUTE_PGM_RSRC2:USER_SGPR: 6
; COMPUTE_PGM_RSRC2:TRAP_HANDLER: 0
; COMPUTE_PGM_RSRC2:TGID_X_EN: 1
; COMPUTE_PGM_RSRC2:TGID_Y_EN: 0
; COMPUTE_PGM_RSRC2:TGID_Z_EN: 0
; COMPUTE_PGM_RSRC2:TIDIG_COMP_CNT: 0
	.section	.text._ZN2at6native27unrolled_elementwise_kernelIZZZNS0_19digamma_kernel_cudaERNS_18TensorIteratorBaseEENKUlvE_clEvENKUlvE_clEvEUldE_St5arrayIPcLm2EELi4E23TrivialOffsetCalculatorILi1EjESB_NS0_6memory15LoadWithoutCastENSC_16StoreWithoutCastEEEviT_T0_T2_T3_T4_T5_,"axG",@progbits,_ZN2at6native27unrolled_elementwise_kernelIZZZNS0_19digamma_kernel_cudaERNS_18TensorIteratorBaseEENKUlvE_clEvENKUlvE_clEvEUldE_St5arrayIPcLm2EELi4E23TrivialOffsetCalculatorILi1EjESB_NS0_6memory15LoadWithoutCastENSC_16StoreWithoutCastEEEviT_T0_T2_T3_T4_T5_,comdat
	.globl	_ZN2at6native27unrolled_elementwise_kernelIZZZNS0_19digamma_kernel_cudaERNS_18TensorIteratorBaseEENKUlvE_clEvENKUlvE_clEvEUldE_St5arrayIPcLm2EELi4E23TrivialOffsetCalculatorILi1EjESB_NS0_6memory15LoadWithoutCastENSC_16StoreWithoutCastEEEviT_T0_T2_T3_T4_T5_ ; -- Begin function _ZN2at6native27unrolled_elementwise_kernelIZZZNS0_19digamma_kernel_cudaERNS_18TensorIteratorBaseEENKUlvE_clEvENKUlvE_clEvEUldE_St5arrayIPcLm2EELi4E23TrivialOffsetCalculatorILi1EjESB_NS0_6memory15LoadWithoutCastENSC_16StoreWithoutCastEEEviT_T0_T2_T3_T4_T5_
	.p2align	8
	.type	_ZN2at6native27unrolled_elementwise_kernelIZZZNS0_19digamma_kernel_cudaERNS_18TensorIteratorBaseEENKUlvE_clEvENKUlvE_clEvEUldE_St5arrayIPcLm2EELi4E23TrivialOffsetCalculatorILi1EjESB_NS0_6memory15LoadWithoutCastENSC_16StoreWithoutCastEEEviT_T0_T2_T3_T4_T5_,@function
_ZN2at6native27unrolled_elementwise_kernelIZZZNS0_19digamma_kernel_cudaERNS_18TensorIteratorBaseEENKUlvE_clEvENKUlvE_clEvEUldE_St5arrayIPcLm2EELi4E23TrivialOffsetCalculatorILi1EjESB_NS0_6memory15LoadWithoutCastENSC_16StoreWithoutCastEEEviT_T0_T2_T3_T4_T5_: ; @_ZN2at6native27unrolled_elementwise_kernelIZZZNS0_19digamma_kernel_cudaERNS_18TensorIteratorBaseEENKUlvE_clEvENKUlvE_clEvEUldE_St5arrayIPcLm2EELi4E23TrivialOffsetCalculatorILi1EjESB_NS0_6memory15LoadWithoutCastENSC_16StoreWithoutCastEEEviT_T0_T2_T3_T4_T5_
; %bb.0:
	s_add_u32 s0, s0, s7
	s_clause 0x1
	s_load_dword s7, s[4:5], 0x0
	s_load_dwordx4 s[8:11], s[4:5], 0x8
	s_addc_u32 s1, s1, 0
	s_lshl_b32 s12, s6, 10
	s_getpc_b64 s[4:5]
	s_add_u32 s4, s4, _ZN2at6native25elementwise_kernel_helperILb0EZZZNS0_19digamma_kernel_cudaERNS_18TensorIteratorBaseEENKUlvE_clEvENKUlvE_clEvEUldE_NS0_6memory8policies11unroll_baseILi256ESt5arrayIPcLm2EE23TrivialOffsetCalculatorILi1EjESE_NS7_15LoadWithoutCastENS7_16StoreWithoutCastELi4ELi1EEEEEvT0_T1_@rel32@lo+4
	s_addc_u32 s5, s5, _ZN2at6native25elementwise_kernel_helperILb0EZZZNS0_19digamma_kernel_cudaERNS_18TensorIteratorBaseEENKUlvE_clEvENKUlvE_clEvEUldE_NS0_6memory8policies11unroll_baseILi256ESt5arrayIPcLm2EE23TrivialOffsetCalculatorILi1EjESE_NS7_15LoadWithoutCastENS7_16StoreWithoutCastELi4ELi1EEEEEvT0_T1_@rel32@hi+12
	v_mov_b32_e32 v31, v0
	s_mov_b32 s32, 0
	s_waitcnt lgkmcnt(0)
	s_sub_i32 s7, s7, s12
	v_mov_b32_e32 v0, s8
	v_mov_b32_e32 v1, s9
	;; [unrolled: 1-line block ×5, first 2 shown]
	s_mov_b32 s12, s6
	s_swappc_b64 s[30:31], s[4:5]
	s_endpgm
	.section	.rodata,"a",@progbits
	.p2align	6, 0x0
	.amdhsa_kernel _ZN2at6native27unrolled_elementwise_kernelIZZZNS0_19digamma_kernel_cudaERNS_18TensorIteratorBaseEENKUlvE_clEvENKUlvE_clEvEUldE_St5arrayIPcLm2EELi4E23TrivialOffsetCalculatorILi1EjESB_NS0_6memory15LoadWithoutCastENSC_16StoreWithoutCastEEEviT_T0_T2_T3_T4_T5_
		.amdhsa_group_segment_fixed_size 0
		.amdhsa_private_segment_fixed_size 0
		.amdhsa_kernarg_size 28
		.amdhsa_user_sgpr_count 6
		.amdhsa_user_sgpr_private_segment_buffer 1
		.amdhsa_user_sgpr_dispatch_ptr 0
		.amdhsa_user_sgpr_queue_ptr 0
		.amdhsa_user_sgpr_kernarg_segment_ptr 1
		.amdhsa_user_sgpr_dispatch_id 0
		.amdhsa_user_sgpr_flat_scratch_init 0
		.amdhsa_user_sgpr_private_segment_size 0
		.amdhsa_wavefront_size32 1
		.amdhsa_uses_dynamic_stack 0
		.amdhsa_system_sgpr_private_segment_wavefront_offset 0
		.amdhsa_system_sgpr_workgroup_id_x 1
		.amdhsa_system_sgpr_workgroup_id_y 0
		.amdhsa_system_sgpr_workgroup_id_z 0
		.amdhsa_system_sgpr_workgroup_info 0
		.amdhsa_system_vgpr_workitem_id 0
		.amdhsa_next_free_vgpr 68
		.amdhsa_next_free_sgpr 33
		.amdhsa_reserve_vcc 1
		.amdhsa_reserve_flat_scratch 0
		.amdhsa_float_round_mode_32 0
		.amdhsa_float_round_mode_16_64 0
		.amdhsa_float_denorm_mode_32 3
		.amdhsa_float_denorm_mode_16_64 3
		.amdhsa_dx10_clamp 1
		.amdhsa_ieee_mode 1
		.amdhsa_fp16_overflow 0
		.amdhsa_workgroup_processor_mode 1
		.amdhsa_memory_ordered 1
		.amdhsa_forward_progress 1
		.amdhsa_shared_vgpr_count 0
		.amdhsa_exception_fp_ieee_invalid_op 0
		.amdhsa_exception_fp_denorm_src 0
		.amdhsa_exception_fp_ieee_div_zero 0
		.amdhsa_exception_fp_ieee_overflow 0
		.amdhsa_exception_fp_ieee_underflow 0
		.amdhsa_exception_fp_ieee_inexact 0
		.amdhsa_exception_int_div_zero 0
	.end_amdhsa_kernel
	.section	.text._ZN2at6native27unrolled_elementwise_kernelIZZZNS0_19digamma_kernel_cudaERNS_18TensorIteratorBaseEENKUlvE_clEvENKUlvE_clEvEUldE_St5arrayIPcLm2EELi4E23TrivialOffsetCalculatorILi1EjESB_NS0_6memory15LoadWithoutCastENSC_16StoreWithoutCastEEEviT_T0_T2_T3_T4_T5_,"axG",@progbits,_ZN2at6native27unrolled_elementwise_kernelIZZZNS0_19digamma_kernel_cudaERNS_18TensorIteratorBaseEENKUlvE_clEvENKUlvE_clEvEUldE_St5arrayIPcLm2EELi4E23TrivialOffsetCalculatorILi1EjESB_NS0_6memory15LoadWithoutCastENSC_16StoreWithoutCastEEEviT_T0_T2_T3_T4_T5_,comdat
.Lfunc_end6:
	.size	_ZN2at6native27unrolled_elementwise_kernelIZZZNS0_19digamma_kernel_cudaERNS_18TensorIteratorBaseEENKUlvE_clEvENKUlvE_clEvEUldE_St5arrayIPcLm2EELi4E23TrivialOffsetCalculatorILi1EjESB_NS0_6memory15LoadWithoutCastENSC_16StoreWithoutCastEEEviT_T0_T2_T3_T4_T5_, .Lfunc_end6-_ZN2at6native27unrolled_elementwise_kernelIZZZNS0_19digamma_kernel_cudaERNS_18TensorIteratorBaseEENKUlvE_clEvENKUlvE_clEvEUldE_St5arrayIPcLm2EELi4E23TrivialOffsetCalculatorILi1EjESB_NS0_6memory15LoadWithoutCastENSC_16StoreWithoutCastEEEviT_T0_T2_T3_T4_T5_
                                        ; -- End function
	.set _ZN2at6native27unrolled_elementwise_kernelIZZZNS0_19digamma_kernel_cudaERNS_18TensorIteratorBaseEENKUlvE_clEvENKUlvE_clEvEUldE_St5arrayIPcLm2EELi4E23TrivialOffsetCalculatorILi1EjESB_NS0_6memory15LoadWithoutCastENSC_16StoreWithoutCastEEEviT_T0_T2_T3_T4_T5_.num_vgpr, max(32, .L_ZN2at6native25elementwise_kernel_helperILb0EZZZNS0_19digamma_kernel_cudaERNS_18TensorIteratorBaseEENKUlvE_clEvENKUlvE_clEvEUldE_NS0_6memory8policies11unroll_baseILi256ESt5arrayIPcLm2EE23TrivialOffsetCalculatorILi1EjESE_NS7_15LoadWithoutCastENS7_16StoreWithoutCastELi4ELi1EEEEEvT0_T1_.num_vgpr)
	.set _ZN2at6native27unrolled_elementwise_kernelIZZZNS0_19digamma_kernel_cudaERNS_18TensorIteratorBaseEENKUlvE_clEvENKUlvE_clEvEUldE_St5arrayIPcLm2EELi4E23TrivialOffsetCalculatorILi1EjESB_NS0_6memory15LoadWithoutCastENSC_16StoreWithoutCastEEEviT_T0_T2_T3_T4_T5_.num_agpr, max(0, .L_ZN2at6native25elementwise_kernel_helperILb0EZZZNS0_19digamma_kernel_cudaERNS_18TensorIteratorBaseEENKUlvE_clEvENKUlvE_clEvEUldE_NS0_6memory8policies11unroll_baseILi256ESt5arrayIPcLm2EE23TrivialOffsetCalculatorILi1EjESE_NS7_15LoadWithoutCastENS7_16StoreWithoutCastELi4ELi1EEEEEvT0_T1_.num_agpr)
	.set _ZN2at6native27unrolled_elementwise_kernelIZZZNS0_19digamma_kernel_cudaERNS_18TensorIteratorBaseEENKUlvE_clEvENKUlvE_clEvEUldE_St5arrayIPcLm2EELi4E23TrivialOffsetCalculatorILi1EjESB_NS0_6memory15LoadWithoutCastENSC_16StoreWithoutCastEEEviT_T0_T2_T3_T4_T5_.numbered_sgpr, max(33, .L_ZN2at6native25elementwise_kernel_helperILb0EZZZNS0_19digamma_kernel_cudaERNS_18TensorIteratorBaseEENKUlvE_clEvENKUlvE_clEvEUldE_NS0_6memory8policies11unroll_baseILi256ESt5arrayIPcLm2EE23TrivialOffsetCalculatorILi1EjESE_NS7_15LoadWithoutCastENS7_16StoreWithoutCastELi4ELi1EEEEEvT0_T1_.numbered_sgpr)
	.set _ZN2at6native27unrolled_elementwise_kernelIZZZNS0_19digamma_kernel_cudaERNS_18TensorIteratorBaseEENKUlvE_clEvENKUlvE_clEvEUldE_St5arrayIPcLm2EELi4E23TrivialOffsetCalculatorILi1EjESB_NS0_6memory15LoadWithoutCastENSC_16StoreWithoutCastEEEviT_T0_T2_T3_T4_T5_.num_named_barrier, max(0, .L_ZN2at6native25elementwise_kernel_helperILb0EZZZNS0_19digamma_kernel_cudaERNS_18TensorIteratorBaseEENKUlvE_clEvENKUlvE_clEvEUldE_NS0_6memory8policies11unroll_baseILi256ESt5arrayIPcLm2EE23TrivialOffsetCalculatorILi1EjESE_NS7_15LoadWithoutCastENS7_16StoreWithoutCastELi4ELi1EEEEEvT0_T1_.num_named_barrier)
	.set _ZN2at6native27unrolled_elementwise_kernelIZZZNS0_19digamma_kernel_cudaERNS_18TensorIteratorBaseEENKUlvE_clEvENKUlvE_clEvEUldE_St5arrayIPcLm2EELi4E23TrivialOffsetCalculatorILi1EjESB_NS0_6memory15LoadWithoutCastENSC_16StoreWithoutCastEEEviT_T0_T2_T3_T4_T5_.private_seg_size, 0+max(.L_ZN2at6native25elementwise_kernel_helperILb0EZZZNS0_19digamma_kernel_cudaERNS_18TensorIteratorBaseEENKUlvE_clEvENKUlvE_clEvEUldE_NS0_6memory8policies11unroll_baseILi256ESt5arrayIPcLm2EE23TrivialOffsetCalculatorILi1EjESE_NS7_15LoadWithoutCastENS7_16StoreWithoutCastELi4ELi1EEEEEvT0_T1_.private_seg_size)
	.set _ZN2at6native27unrolled_elementwise_kernelIZZZNS0_19digamma_kernel_cudaERNS_18TensorIteratorBaseEENKUlvE_clEvENKUlvE_clEvEUldE_St5arrayIPcLm2EELi4E23TrivialOffsetCalculatorILi1EjESB_NS0_6memory15LoadWithoutCastENSC_16StoreWithoutCastEEEviT_T0_T2_T3_T4_T5_.uses_vcc, or(1, .L_ZN2at6native25elementwise_kernel_helperILb0EZZZNS0_19digamma_kernel_cudaERNS_18TensorIteratorBaseEENKUlvE_clEvENKUlvE_clEvEUldE_NS0_6memory8policies11unroll_baseILi256ESt5arrayIPcLm2EE23TrivialOffsetCalculatorILi1EjESE_NS7_15LoadWithoutCastENS7_16StoreWithoutCastELi4ELi1EEEEEvT0_T1_.uses_vcc)
	.set _ZN2at6native27unrolled_elementwise_kernelIZZZNS0_19digamma_kernel_cudaERNS_18TensorIteratorBaseEENKUlvE_clEvENKUlvE_clEvEUldE_St5arrayIPcLm2EELi4E23TrivialOffsetCalculatorILi1EjESB_NS0_6memory15LoadWithoutCastENSC_16StoreWithoutCastEEEviT_T0_T2_T3_T4_T5_.uses_flat_scratch, or(0, .L_ZN2at6native25elementwise_kernel_helperILb0EZZZNS0_19digamma_kernel_cudaERNS_18TensorIteratorBaseEENKUlvE_clEvENKUlvE_clEvEUldE_NS0_6memory8policies11unroll_baseILi256ESt5arrayIPcLm2EE23TrivialOffsetCalculatorILi1EjESE_NS7_15LoadWithoutCastENS7_16StoreWithoutCastELi4ELi1EEEEEvT0_T1_.uses_flat_scratch)
	.set _ZN2at6native27unrolled_elementwise_kernelIZZZNS0_19digamma_kernel_cudaERNS_18TensorIteratorBaseEENKUlvE_clEvENKUlvE_clEvEUldE_St5arrayIPcLm2EELi4E23TrivialOffsetCalculatorILi1EjESB_NS0_6memory15LoadWithoutCastENSC_16StoreWithoutCastEEEviT_T0_T2_T3_T4_T5_.has_dyn_sized_stack, or(0, .L_ZN2at6native25elementwise_kernel_helperILb0EZZZNS0_19digamma_kernel_cudaERNS_18TensorIteratorBaseEENKUlvE_clEvENKUlvE_clEvEUldE_NS0_6memory8policies11unroll_baseILi256ESt5arrayIPcLm2EE23TrivialOffsetCalculatorILi1EjESE_NS7_15LoadWithoutCastENS7_16StoreWithoutCastELi4ELi1EEEEEvT0_T1_.has_dyn_sized_stack)
	.set _ZN2at6native27unrolled_elementwise_kernelIZZZNS0_19digamma_kernel_cudaERNS_18TensorIteratorBaseEENKUlvE_clEvENKUlvE_clEvEUldE_St5arrayIPcLm2EELi4E23TrivialOffsetCalculatorILi1EjESB_NS0_6memory15LoadWithoutCastENSC_16StoreWithoutCastEEEviT_T0_T2_T3_T4_T5_.has_recursion, or(0, .L_ZN2at6native25elementwise_kernel_helperILb0EZZZNS0_19digamma_kernel_cudaERNS_18TensorIteratorBaseEENKUlvE_clEvENKUlvE_clEvEUldE_NS0_6memory8policies11unroll_baseILi256ESt5arrayIPcLm2EE23TrivialOffsetCalculatorILi1EjESE_NS7_15LoadWithoutCastENS7_16StoreWithoutCastELi4ELi1EEEEEvT0_T1_.has_recursion)
	.set _ZN2at6native27unrolled_elementwise_kernelIZZZNS0_19digamma_kernel_cudaERNS_18TensorIteratorBaseEENKUlvE_clEvENKUlvE_clEvEUldE_St5arrayIPcLm2EELi4E23TrivialOffsetCalculatorILi1EjESB_NS0_6memory15LoadWithoutCastENSC_16StoreWithoutCastEEEviT_T0_T2_T3_T4_T5_.has_indirect_call, or(0, .L_ZN2at6native25elementwise_kernel_helperILb0EZZZNS0_19digamma_kernel_cudaERNS_18TensorIteratorBaseEENKUlvE_clEvENKUlvE_clEvEUldE_NS0_6memory8policies11unroll_baseILi256ESt5arrayIPcLm2EE23TrivialOffsetCalculatorILi1EjESE_NS7_15LoadWithoutCastENS7_16StoreWithoutCastELi4ELi1EEEEEvT0_T1_.has_indirect_call)
	.section	.AMDGPU.csdata,"",@progbits
; Kernel info:
; codeLenInByte = 100
; TotalNumSgprs: 35
; NumVgprs: 68
; ScratchSize: 0
; MemoryBound: 0
; FloatMode: 240
; IeeeMode: 1
; LDSByteSize: 0 bytes/workgroup (compile time only)
; SGPRBlocks: 0
; VGPRBlocks: 8
; NumSGPRsForWavesPerEU: 35
; NumVGPRsForWavesPerEU: 68
; Occupancy: 12
; WaveLimiterHint : 0
; COMPUTE_PGM_RSRC2:SCRATCH_EN: 0
; COMPUTE_PGM_RSRC2:USER_SGPR: 6
; COMPUTE_PGM_RSRC2:TRAP_HANDLER: 0
; COMPUTE_PGM_RSRC2:TGID_X_EN: 1
; COMPUTE_PGM_RSRC2:TGID_Y_EN: 0
; COMPUTE_PGM_RSRC2:TGID_Z_EN: 0
; COMPUTE_PGM_RSRC2:TIDIG_COMP_CNT: 0
	.section	.text._ZN2at6native32elementwise_kernel_manual_unrollILi128ELi4EZNS0_22gpu_kernel_impl_nocastIZZZNS0_19digamma_kernel_cudaERNS_18TensorIteratorBaseEENKUlvE_clEvENKUlvE_clEvEUldE_EEvS4_RKT_EUlibE_EEviT1_,"axG",@progbits,_ZN2at6native32elementwise_kernel_manual_unrollILi128ELi4EZNS0_22gpu_kernel_impl_nocastIZZZNS0_19digamma_kernel_cudaERNS_18TensorIteratorBaseEENKUlvE_clEvENKUlvE_clEvEUldE_EEvS4_RKT_EUlibE_EEviT1_,comdat
	.globl	_ZN2at6native32elementwise_kernel_manual_unrollILi128ELi4EZNS0_22gpu_kernel_impl_nocastIZZZNS0_19digamma_kernel_cudaERNS_18TensorIteratorBaseEENKUlvE_clEvENKUlvE_clEvEUldE_EEvS4_RKT_EUlibE_EEviT1_ ; -- Begin function _ZN2at6native32elementwise_kernel_manual_unrollILi128ELi4EZNS0_22gpu_kernel_impl_nocastIZZZNS0_19digamma_kernel_cudaERNS_18TensorIteratorBaseEENKUlvE_clEvENKUlvE_clEvEUldE_EEvS4_RKT_EUlibE_EEviT1_
	.p2align	8
	.type	_ZN2at6native32elementwise_kernel_manual_unrollILi128ELi4EZNS0_22gpu_kernel_impl_nocastIZZZNS0_19digamma_kernel_cudaERNS_18TensorIteratorBaseEENKUlvE_clEvENKUlvE_clEvEUldE_EEvS4_RKT_EUlibE_EEviT1_,@function
_ZN2at6native32elementwise_kernel_manual_unrollILi128ELi4EZNS0_22gpu_kernel_impl_nocastIZZZNS0_19digamma_kernel_cudaERNS_18TensorIteratorBaseEENKUlvE_clEvENKUlvE_clEvEUldE_EEvS4_RKT_EUlibE_EEviT1_: ; @_ZN2at6native32elementwise_kernel_manual_unrollILi128ELi4EZNS0_22gpu_kernel_impl_nocastIZZZNS0_19digamma_kernel_cudaERNS_18TensorIteratorBaseEENKUlvE_clEvENKUlvE_clEvEUldE_EEvS4_RKT_EUlibE_EEviT1_
; %bb.0:
	s_clause 0x1
	s_load_dword s22, s[4:5], 0x8
	s_load_dword s27, s[4:5], 0x0
	v_lshl_or_b32 v9, s6, 9, v0
	s_add_u32 s2, s4, 8
	s_addc_u32 s3, s5, 0
	s_mov_b32 s0, exec_lo
	v_or_b32_e32 v12, 0x180, v9
	s_waitcnt lgkmcnt(0)
	s_add_i32 s23, s22, -1
	s_cmp_gt_u32 s23, 1
	s_cselect_b32 s24, -1, 0
	v_cmpx_le_i32_e64 s27, v12
	s_xor_b32 s25, exec_lo, s0
	s_cbranch_execz .LBB7_7
; %bb.1:
	s_clause 0x3
	s_load_dwordx4 s[12:15], s[2:3], 0x4
	s_load_dwordx2 s[16:17], s[2:3], 0x14
	s_load_dwordx4 s[8:11], s[2:3], 0xc4
	s_load_dwordx4 s[4:7], s[2:3], 0x148
	s_cmp_lg_u32 s22, 0
	s_mov_b32 s30, exec_lo
	s_cselect_b32 s29, -1, 0
	s_add_u32 s18, s2, 0xc4
	s_addc_u32 s19, s3, 0
	s_min_u32 s28, s23, 15
	s_cmp_gt_u32 s22, 1
	s_cselect_b32 s26, -1, 0
	v_cmpx_gt_i32_e64 s27, v9
	s_cbranch_execz .LBB7_14
; %bb.2:
	s_andn2_b32 vcc_lo, exec_lo, s24
	s_cbranch_vccnz .LBB7_21
; %bb.3:
	s_andn2_b32 vcc_lo, exec_lo, s29
	s_cbranch_vccnz .LBB7_169
; %bb.4:
	s_add_i32 s33, s28, 1
	s_cmp_eq_u32 s23, 2
	s_cbranch_scc1 .LBB7_171
; %bb.5:
	v_mov_b32_e32 v2, 0
	v_mov_b32_e32 v0, 0
	;; [unrolled: 1-line block ×3, first 2 shown]
	s_and_b32 s31, s33, 28
	s_mov_b32 s34, 0
	s_mov_b64 s[0:1], s[2:3]
	s_mov_b64 s[20:21], s[18:19]
.LBB7_6:                                ; =>This Inner Loop Header: Depth=1
	s_clause 0x1
	s_load_dwordx8 s[36:43], s[0:1], 0x4
	s_load_dwordx4 s[52:55], s[0:1], 0x24
	s_load_dwordx8 s[44:51], s[20:21], 0x0
	s_add_u32 s0, s0, 48
	s_addc_u32 s1, s1, 0
	s_add_i32 s34, s34, 4
	s_add_u32 s20, s20, 32
	s_addc_u32 s21, s21, 0
	s_cmp_lg_u32 s31, s34
	s_waitcnt lgkmcnt(0)
	v_mul_hi_u32 v3, s37, v1
	v_add_nc_u32_e32 v3, v1, v3
	v_lshrrev_b32_e32 v3, s38, v3
	v_mul_hi_u32 v4, s40, v3
	v_mul_lo_u32 v6, v3, s36
	v_add_nc_u32_e32 v4, v3, v4
	v_sub_nc_u32_e32 v1, v1, v6
	v_lshrrev_b32_e32 v4, s41, v4
	v_mul_lo_u32 v6, v1, s44
	v_mul_lo_u32 v8, v1, s45
	v_mul_hi_u32 v5, s43, v4
	v_add_nc_u32_e32 v5, v4, v5
	v_lshrrev_b32_e32 v5, s52, v5
	v_mul_hi_u32 v7, s54, v5
	v_mul_lo_u32 v10, v5, s42
	v_add_nc_u32_e32 v1, v5, v7
	v_mul_lo_u32 v7, v4, s39
	v_sub_nc_u32_e32 v4, v4, v10
	v_lshrrev_b32_e32 v1, s55, v1
	v_mul_lo_u32 v10, v4, s48
	v_mul_lo_u32 v4, v4, s49
	v_sub_nc_u32_e32 v3, v3, v7
	v_mul_lo_u32 v11, v1, s53
	v_mul_lo_u32 v7, v3, s46
	;; [unrolled: 1-line block ×3, first 2 shown]
	v_sub_nc_u32_e32 v5, v5, v11
	v_add3_u32 v0, v6, v0, v7
	v_mul_lo_u32 v11, v5, s50
	v_mul_lo_u32 v5, v5, s51
	v_add3_u32 v2, v8, v2, v3
	v_add3_u32 v0, v10, v0, v11
	;; [unrolled: 1-line block ×3, first 2 shown]
	s_cbranch_scc1 .LBB7_6
	s_branch .LBB7_172
.LBB7_7:
	s_andn2_saveexec_b32 s0, s25
	s_cbranch_execz .LBB7_245
.LBB7_8:
	v_cndmask_b32_e64 v4, 0, 1, s24
	s_andn2_b32 vcc_lo, exec_lo, s24
	s_cbranch_vccnz .LBB7_20
; %bb.9:
	s_cmp_lg_u32 s22, 0
	s_waitcnt lgkmcnt(0)
	s_mov_b32 s6, 0
	s_cbranch_scc0 .LBB7_23
; %bb.10:
	s_min_u32 s8, s23, 15
	s_add_i32 s8, s8, 1
	s_cmp_eq_u32 s23, 2
	s_cbranch_scc1 .LBB7_24
; %bb.11:
	v_mov_b32_e32 v7, 0
	v_mov_b32_e32 v0, 0
	;; [unrolled: 1-line block ×3, first 2 shown]
	s_and_b32 s7, s8, 28
	s_add_u32 s0, s2, 0xc4
	s_addc_u32 s1, s3, 0
	s_mov_b32 s9, 0
	s_mov_b64 s[4:5], s[2:3]
.LBB7_12:                               ; =>This Inner Loop Header: Depth=1
	s_clause 0x1
	s_load_dwordx8 s[12:19], s[4:5], 0x4
	s_load_dwordx4 s[36:39], s[4:5], 0x24
	s_load_dwordx8 s[24:31], s[0:1], 0x0
	s_add_u32 s4, s4, 48
	s_addc_u32 s5, s5, 0
	s_add_i32 s9, s9, 4
	s_add_u32 s0, s0, 32
	s_addc_u32 s1, s1, 0
	s_cmp_lg_u32 s7, s9
	s_waitcnt lgkmcnt(0)
	v_mul_hi_u32 v2, s13, v1
	v_add_nc_u32_e32 v2, v1, v2
	v_lshrrev_b32_e32 v2, s14, v2
	v_mul_hi_u32 v3, s16, v2
	v_mul_lo_u32 v6, v2, s12
	v_add_nc_u32_e32 v3, v2, v3
	v_sub_nc_u32_e32 v1, v1, v6
	v_lshrrev_b32_e32 v3, s17, v3
	v_mul_lo_u32 v6, v1, s24
	v_mul_lo_u32 v10, v1, s25
	v_mul_hi_u32 v5, s19, v3
	v_add_nc_u32_e32 v5, v3, v5
	v_lshrrev_b32_e32 v5, s36, v5
	v_mul_hi_u32 v8, s38, v5
	v_mul_lo_u32 v11, v5, s18
	v_add_nc_u32_e32 v1, v5, v8
	v_mul_lo_u32 v8, v3, s15
	v_sub_nc_u32_e32 v3, v3, v11
	v_lshrrev_b32_e32 v1, s39, v1
	v_mul_lo_u32 v11, v3, s28
	v_mul_lo_u32 v3, v3, s29
	v_sub_nc_u32_e32 v2, v2, v8
	v_mul_lo_u32 v13, v1, s37
	v_mul_lo_u32 v8, v2, s26
	;; [unrolled: 1-line block ×3, first 2 shown]
	v_sub_nc_u32_e32 v5, v5, v13
	v_add3_u32 v0, v6, v0, v8
	v_mul_lo_u32 v13, v5, s30
	v_mul_lo_u32 v5, v5, s31
	v_add3_u32 v2, v10, v7, v2
	v_add3_u32 v0, v11, v0, v13
	;; [unrolled: 1-line block ×3, first 2 shown]
	s_cbranch_scc1 .LBB7_12
; %bb.13:
	s_and_b32 s8, s8, 3
	s_cmp_eq_u32 s8, 0
	s_cbranch_scc0 .LBB7_25
	s_branch .LBB7_27
.LBB7_14:
	s_or_b32 exec_lo, exec_lo, s30
	s_mov_b32 s30, exec_lo
	v_cmpx_gt_i32_e64 s27, v9
	s_cbranch_execz .LBB7_203
.LBB7_15:
	s_andn2_b32 vcc_lo, exec_lo, s24
	s_cbranch_vccnz .LBB7_22
; %bb.16:
	s_andn2_b32 vcc_lo, exec_lo, s29
	s_cbranch_vccnz .LBB7_170
; %bb.17:
	s_add_i32 s33, s28, 1
	s_cmp_eq_u32 s23, 2
	s_cbranch_scc1 .LBB7_211
; %bb.18:
	v_mov_b32_e32 v2, 0
	v_mov_b32_e32 v0, 0
	;; [unrolled: 1-line block ×3, first 2 shown]
	s_and_b32 s31, s33, 28
	s_mov_b32 s34, 0
	s_mov_b64 s[0:1], s[2:3]
	s_mov_b64 s[20:21], s[18:19]
.LBB7_19:                               ; =>This Inner Loop Header: Depth=1
	s_clause 0x1
	s_load_dwordx8 s[36:43], s[0:1], 0x4
	s_load_dwordx4 s[52:55], s[0:1], 0x24
	s_load_dwordx8 s[44:51], s[20:21], 0x0
	s_add_u32 s0, s0, 48
	s_addc_u32 s1, s1, 0
	s_add_i32 s34, s34, 4
	s_add_u32 s20, s20, 32
	s_addc_u32 s21, s21, 0
	s_cmp_eq_u32 s31, s34
	s_waitcnt lgkmcnt(0)
	v_mul_hi_u32 v3, s37, v1
	v_add_nc_u32_e32 v3, v1, v3
	v_lshrrev_b32_e32 v3, s38, v3
	v_mul_hi_u32 v4, s40, v3
	v_mul_lo_u32 v6, v3, s36
	v_add_nc_u32_e32 v4, v3, v4
	v_sub_nc_u32_e32 v1, v1, v6
	v_lshrrev_b32_e32 v4, s41, v4
	v_mul_lo_u32 v6, v1, s44
	v_mul_lo_u32 v8, v1, s45
	v_mul_hi_u32 v5, s43, v4
	v_add_nc_u32_e32 v5, v4, v5
	v_lshrrev_b32_e32 v5, s52, v5
	v_mul_hi_u32 v7, s54, v5
	v_mul_lo_u32 v10, v5, s42
	v_add_nc_u32_e32 v1, v5, v7
	v_mul_lo_u32 v7, v4, s39
	v_sub_nc_u32_e32 v4, v4, v10
	v_lshrrev_b32_e32 v1, s55, v1
	v_mul_lo_u32 v10, v4, s48
	v_mul_lo_u32 v4, v4, s49
	v_sub_nc_u32_e32 v3, v3, v7
	v_mul_lo_u32 v11, v1, s53
	v_mul_lo_u32 v7, v3, s46
	;; [unrolled: 1-line block ×3, first 2 shown]
	v_sub_nc_u32_e32 v5, v5, v11
	v_add3_u32 v0, v6, v0, v7
	v_mul_lo_u32 v11, v5, s50
	v_mul_lo_u32 v5, v5, s51
	v_add3_u32 v2, v8, v2, v3
	v_add3_u32 v0, v10, v0, v11
	;; [unrolled: 1-line block ×3, first 2 shown]
	s_cbranch_scc0 .LBB7_19
	s_branch .LBB7_212
.LBB7_20:
	s_waitcnt lgkmcnt(0)
	s_mov_b32 s6, -1
                                        ; implicit-def: $vgpr0
                                        ; implicit-def: $vgpr7
	s_branch .LBB7_27
.LBB7_21:
                                        ; implicit-def: $vgpr0
                                        ; implicit-def: $vgpr2
	s_branch .LBB7_176
.LBB7_22:
                                        ; implicit-def: $vgpr0
                                        ; implicit-def: $vgpr2
	s_branch .LBB7_216
.LBB7_23:
	v_mov_b32_e32 v0, 0
	v_mov_b32_e32 v7, 0
	s_branch .LBB7_27
.LBB7_24:
	v_mov_b32_e32 v0, 0
	v_mov_b32_e32 v7, 0
	;; [unrolled: 1-line block ×3, first 2 shown]
	s_mov_b32 s7, 0
	s_and_b32 s8, s8, 3
	s_cmp_eq_u32 s8, 0
	s_cbranch_scc1 .LBB7_27
.LBB7_25:
	s_lshl_b32 s0, s7, 3
	s_mul_i32 s4, s7, 12
	s_add_u32 s0, s2, s0
	s_addc_u32 s1, s3, 0
	s_add_u32 s0, s0, 0xc4
	s_addc_u32 s1, s1, 0
	;; [unrolled: 2-line block ×3, first 2 shown]
	.p2align	6
.LBB7_26:                               ; =>This Inner Loop Header: Depth=1
	s_clause 0x1
	s_load_dwordx2 s[10:11], s[4:5], 0x4
	s_load_dword s7, s[4:5], 0xc
	s_load_dwordx2 s[12:13], s[0:1], 0x0
	s_add_u32 s4, s4, 12
	s_addc_u32 s5, s5, 0
	s_add_u32 s0, s0, 8
	s_addc_u32 s1, s1, 0
	s_add_i32 s8, s8, -1
	s_cmp_lg_u32 s8, 0
	s_waitcnt lgkmcnt(0)
	v_mul_hi_u32 v2, s11, v1
	v_add_nc_u32_e32 v2, v1, v2
	v_lshrrev_b32_e32 v2, s7, v2
	v_mul_lo_u32 v3, v2, s10
	v_sub_nc_u32_e32 v3, v1, v3
	v_mad_u64_u32 v[0:1], null, v3, s12, v[0:1]
	v_mad_u64_u32 v[7:8], null, v3, s13, v[7:8]
	v_mov_b32_e32 v1, v2
	s_cbranch_scc1 .LBB7_26
.LBB7_27:
	s_andn2_b32 vcc_lo, exec_lo, s6
	s_cbranch_vccnz .LBB7_30
; %bb.28:
	s_clause 0x1
	s_load_dwordx4 s[4:7], s[2:3], 0x4
	s_load_dwordx2 s[0:1], s[2:3], 0xc4
	s_cmp_lt_u32 s22, 2
	s_waitcnt lgkmcnt(0)
	v_mul_hi_u32 v0, s5, v9
	v_add_nc_u32_e32 v0, v9, v0
	v_lshrrev_b32_e32 v1, s6, v0
	v_mul_lo_u32 v0, v1, s4
	v_sub_nc_u32_e32 v2, v9, v0
	v_mul_lo_u32 v0, v2, s0
	v_mul_lo_u32 v7, v2, s1
	s_cbranch_scc1 .LBB7_30
; %bb.29:
	s_clause 0x1
	s_load_dwordx4 s[4:7], s[2:3], 0x10
	s_load_dwordx2 s[0:1], s[2:3], 0xcc
	s_waitcnt lgkmcnt(0)
	v_mul_hi_u32 v2, s5, v1
	v_add_nc_u32_e32 v2, v1, v2
	v_lshrrev_b32_e32 v2, s6, v2
	v_mul_lo_u32 v2, v2, s4
	v_sub_nc_u32_e32 v2, v1, v2
	v_mad_u64_u32 v[0:1], null, v2, s0, v[0:1]
	v_mad_u64_u32 v[7:8], null, v2, s1, v[7:8]
.LBB7_30:
	v_cmp_ne_u32_e32 vcc_lo, 1, v4
	v_add_nc_u32_e32 v3, 0x80, v9
	s_cbranch_vccnz .LBB7_36
; %bb.31:
	s_cmp_lg_u32 s22, 0
	s_mov_b32 s6, 0
	s_cbranch_scc0 .LBB7_37
; %bb.32:
	s_min_u32 s8, s23, 15
	s_add_i32 s8, s8, 1
	s_cmp_eq_u32 s23, 2
	s_cbranch_scc1 .LBB7_38
; %bb.33:
	v_mov_b32_e32 v10, 0
	v_mov_b32_e32 v1, 0
	;; [unrolled: 1-line block ×3, first 2 shown]
	s_and_b32 s7, s8, 28
	s_add_u32 s0, s2, 0xc4
	s_addc_u32 s1, s3, 0
	s_mov_b32 s9, 0
	s_mov_b64 s[4:5], s[2:3]
.LBB7_34:                               ; =>This Inner Loop Header: Depth=1
	s_clause 0x1
	s_load_dwordx8 s[12:19], s[4:5], 0x4
	s_load_dwordx4 s[36:39], s[4:5], 0x24
	s_load_dwordx8 s[24:31], s[0:1], 0x0
	s_add_u32 s4, s4, 48
	s_addc_u32 s5, s5, 0
	s_add_i32 s9, s9, 4
	s_add_u32 s0, s0, 32
	s_addc_u32 s1, s1, 0
	s_cmp_lg_u32 s7, s9
	s_waitcnt lgkmcnt(0)
	v_mul_hi_u32 v5, s13, v2
	v_add_nc_u32_e32 v5, v2, v5
	v_lshrrev_b32_e32 v5, s14, v5
	v_mul_hi_u32 v6, s16, v5
	v_mul_lo_u32 v11, v5, s12
	v_add_nc_u32_e32 v6, v5, v6
	v_sub_nc_u32_e32 v2, v2, v11
	v_lshrrev_b32_e32 v6, s17, v6
	v_mul_lo_u32 v11, v2, s24
	v_mul_lo_u32 v14, v2, s25
	v_mul_hi_u32 v8, s19, v6
	v_add_nc_u32_e32 v8, v6, v8
	v_lshrrev_b32_e32 v8, s36, v8
	v_mul_hi_u32 v13, s38, v8
	v_mul_lo_u32 v15, v8, s18
	v_add_nc_u32_e32 v2, v8, v13
	v_mul_lo_u32 v13, v6, s15
	v_sub_nc_u32_e32 v6, v6, v15
	v_lshrrev_b32_e32 v2, s39, v2
	v_mul_lo_u32 v15, v6, s28
	v_mul_lo_u32 v6, v6, s29
	v_sub_nc_u32_e32 v5, v5, v13
	v_mul_lo_u32 v16, v2, s37
	v_mul_lo_u32 v13, v5, s26
	;; [unrolled: 1-line block ×3, first 2 shown]
	v_sub_nc_u32_e32 v8, v8, v16
	v_add3_u32 v1, v11, v1, v13
	v_mul_lo_u32 v16, v8, s30
	v_mul_lo_u32 v8, v8, s31
	v_add3_u32 v5, v14, v10, v5
	v_add3_u32 v1, v15, v1, v16
	;; [unrolled: 1-line block ×3, first 2 shown]
	s_cbranch_scc1 .LBB7_34
; %bb.35:
	s_and_b32 s8, s8, 3
	s_cmp_eq_u32 s8, 0
	s_cbranch_scc0 .LBB7_39
	s_branch .LBB7_41
.LBB7_36:
	s_mov_b32 s6, -1
                                        ; implicit-def: $vgpr1
                                        ; implicit-def: $vgpr10
	s_branch .LBB7_41
.LBB7_37:
	v_mov_b32_e32 v1, 0
	v_mov_b32_e32 v10, 0
	s_branch .LBB7_41
.LBB7_38:
	v_mov_b32_e32 v1, 0
	v_mov_b32_e32 v10, 0
	;; [unrolled: 1-line block ×3, first 2 shown]
	s_mov_b32 s7, 0
	s_and_b32 s8, s8, 3
	s_cmp_eq_u32 s8, 0
	s_cbranch_scc1 .LBB7_41
.LBB7_39:
	s_lshl_b32 s0, s7, 3
	s_mul_i32 s4, s7, 12
	s_add_u32 s0, s2, s0
	s_addc_u32 s1, s3, 0
	s_add_u32 s0, s0, 0xc4
	s_addc_u32 s1, s1, 0
	;; [unrolled: 2-line block ×3, first 2 shown]
	.p2align	6
.LBB7_40:                               ; =>This Inner Loop Header: Depth=1
	s_clause 0x1
	s_load_dwordx2 s[10:11], s[4:5], 0x4
	s_load_dword s7, s[4:5], 0xc
	s_load_dwordx2 s[12:13], s[0:1], 0x0
	s_add_u32 s4, s4, 12
	s_addc_u32 s5, s5, 0
	s_add_u32 s0, s0, 8
	s_addc_u32 s1, s1, 0
	s_add_i32 s8, s8, -1
	s_cmp_lg_u32 s8, 0
	s_waitcnt lgkmcnt(0)
	v_mul_hi_u32 v5, s11, v2
	v_add_nc_u32_e32 v5, v2, v5
	v_lshrrev_b32_e32 v5, s7, v5
	v_mul_lo_u32 v6, v5, s10
	v_sub_nc_u32_e32 v6, v2, v6
	v_mad_u64_u32 v[1:2], null, v6, s12, v[1:2]
	v_mad_u64_u32 v[10:11], null, v6, s13, v[10:11]
	v_mov_b32_e32 v2, v5
	s_cbranch_scc1 .LBB7_40
.LBB7_41:
	s_andn2_b32 vcc_lo, exec_lo, s6
	s_cbranch_vccnz .LBB7_44
; %bb.42:
	s_clause 0x1
	s_load_dwordx4 s[4:7], s[2:3], 0x4
	s_load_dwordx2 s[0:1], s[2:3], 0xc4
	s_cmp_lt_u32 s22, 2
	s_waitcnt lgkmcnt(0)
	v_mul_hi_u32 v1, s5, v3
	v_add_nc_u32_e32 v1, v3, v1
	v_lshrrev_b32_e32 v2, s6, v1
	v_mul_lo_u32 v1, v2, s4
	v_sub_nc_u32_e32 v3, v3, v1
	v_mul_lo_u32 v1, v3, s0
	v_mul_lo_u32 v10, v3, s1
	s_cbranch_scc1 .LBB7_44
; %bb.43:
	s_clause 0x1
	s_load_dwordx4 s[4:7], s[2:3], 0x10
	s_load_dwordx2 s[0:1], s[2:3], 0xcc
	s_waitcnt lgkmcnt(0)
	v_mul_hi_u32 v3, s5, v2
	v_add_nc_u32_e32 v3, v2, v3
	v_lshrrev_b32_e32 v3, s6, v3
	v_mul_lo_u32 v3, v3, s4
	v_sub_nc_u32_e32 v3, v2, v3
	v_mad_u64_u32 v[1:2], null, v3, s0, v[1:2]
	v_mad_u64_u32 v[10:11], null, v3, s1, v[10:11]
.LBB7_44:
	v_cmp_ne_u32_e32 vcc_lo, 1, v4
	v_add_nc_u32_e32 v5, 0x100, v9
	s_cbranch_vccnz .LBB7_50
; %bb.45:
	s_cmp_lg_u32 s22, 0
	s_mov_b32 s6, 0
	s_cbranch_scc0 .LBB7_51
; %bb.46:
	s_min_u32 s8, s23, 15
	s_add_i32 s8, s8, 1
	s_cmp_eq_u32 s23, 2
	s_cbranch_scc1 .LBB7_52
; %bb.47:
	v_mov_b32_e32 v8, 0
	v_mov_b32_e32 v2, 0
	;; [unrolled: 1-line block ×3, first 2 shown]
	s_and_b32 s7, s8, 28
	s_add_u32 s0, s2, 0xc4
	s_addc_u32 s1, s3, 0
	s_mov_b32 s9, 0
	s_mov_b64 s[4:5], s[2:3]
.LBB7_48:                               ; =>This Inner Loop Header: Depth=1
	s_clause 0x1
	s_load_dwordx8 s[12:19], s[4:5], 0x4
	s_load_dwordx4 s[36:39], s[4:5], 0x24
	s_load_dwordx8 s[24:31], s[0:1], 0x0
	s_add_u32 s4, s4, 48
	s_addc_u32 s5, s5, 0
	s_add_i32 s9, s9, 4
	s_add_u32 s0, s0, 32
	s_addc_u32 s1, s1, 0
	s_cmp_lg_u32 s7, s9
	s_waitcnt lgkmcnt(0)
	v_mul_hi_u32 v6, s13, v3
	v_add_nc_u32_e32 v6, v3, v6
	v_lshrrev_b32_e32 v6, s14, v6
	v_mul_hi_u32 v9, s16, v6
	v_mul_lo_u32 v13, v6, s12
	v_add_nc_u32_e32 v9, v6, v9
	v_sub_nc_u32_e32 v3, v3, v13
	v_lshrrev_b32_e32 v9, s17, v9
	v_mul_lo_u32 v13, v3, s24
	v_mul_lo_u32 v15, v3, s25
	v_mul_hi_u32 v11, s19, v9
	v_add_nc_u32_e32 v11, v9, v11
	v_lshrrev_b32_e32 v11, s36, v11
	v_mul_hi_u32 v14, s38, v11
	v_mul_lo_u32 v16, v11, s18
	v_add_nc_u32_e32 v3, v11, v14
	v_mul_lo_u32 v14, v9, s15
	v_sub_nc_u32_e32 v9, v9, v16
	v_lshrrev_b32_e32 v3, s39, v3
	v_mul_lo_u32 v16, v9, s28
	v_mul_lo_u32 v9, v9, s29
	v_sub_nc_u32_e32 v6, v6, v14
	v_mul_lo_u32 v17, v3, s37
	v_mul_lo_u32 v14, v6, s26
	;; [unrolled: 1-line block ×3, first 2 shown]
	v_sub_nc_u32_e32 v11, v11, v17
	v_add3_u32 v2, v13, v2, v14
	v_mul_lo_u32 v17, v11, s30
	v_mul_lo_u32 v11, v11, s31
	v_add3_u32 v6, v15, v8, v6
	v_add3_u32 v2, v16, v2, v17
	;; [unrolled: 1-line block ×3, first 2 shown]
	s_cbranch_scc1 .LBB7_48
; %bb.49:
	s_and_b32 s8, s8, 3
	s_cmp_eq_u32 s8, 0
	s_cbranch_scc0 .LBB7_53
	s_branch .LBB7_55
.LBB7_50:
	s_mov_b32 s6, -1
                                        ; implicit-def: $vgpr2
                                        ; implicit-def: $vgpr8
	s_branch .LBB7_55
.LBB7_51:
	v_mov_b32_e32 v2, 0
	v_mov_b32_e32 v8, 0
	s_branch .LBB7_55
.LBB7_52:
	v_mov_b32_e32 v2, 0
	v_mov_b32_e32 v8, 0
	;; [unrolled: 1-line block ×3, first 2 shown]
	s_mov_b32 s7, 0
	s_and_b32 s8, s8, 3
	s_cmp_eq_u32 s8, 0
	s_cbranch_scc1 .LBB7_55
.LBB7_53:
	s_lshl_b32 s0, s7, 3
	s_mul_i32 s4, s7, 12
	s_add_u32 s0, s2, s0
	s_addc_u32 s1, s3, 0
	s_add_u32 s0, s0, 0xc4
	s_addc_u32 s1, s1, 0
	;; [unrolled: 2-line block ×3, first 2 shown]
	.p2align	6
.LBB7_54:                               ; =>This Inner Loop Header: Depth=1
	s_clause 0x1
	s_load_dwordx2 s[10:11], s[4:5], 0x4
	s_load_dword s7, s[4:5], 0xc
	s_load_dwordx2 s[12:13], s[0:1], 0x0
	s_add_u32 s4, s4, 12
	s_addc_u32 s5, s5, 0
	s_add_u32 s0, s0, 8
	s_addc_u32 s1, s1, 0
	s_add_i32 s8, s8, -1
	s_cmp_lg_u32 s8, 0
	s_waitcnt lgkmcnt(0)
	v_mul_hi_u32 v6, s11, v3
	v_add_nc_u32_e32 v6, v3, v6
	v_lshrrev_b32_e32 v6, s7, v6
	v_mul_lo_u32 v9, v6, s10
	v_sub_nc_u32_e32 v9, v3, v9
	v_mad_u64_u32 v[2:3], null, v9, s12, v[2:3]
	v_mad_u64_u32 v[8:9], null, v9, s13, v[8:9]
	v_mov_b32_e32 v3, v6
	s_cbranch_scc1 .LBB7_54
.LBB7_55:
	s_andn2_b32 vcc_lo, exec_lo, s6
	s_cbranch_vccnz .LBB7_58
; %bb.56:
	s_clause 0x1
	s_load_dwordx4 s[4:7], s[2:3], 0x4
	s_load_dwordx2 s[0:1], s[2:3], 0xc4
	s_cmp_lt_u32 s22, 2
	s_waitcnt lgkmcnt(0)
	v_mul_hi_u32 v2, s5, v5
	v_add_nc_u32_e32 v2, v5, v2
	v_lshrrev_b32_e32 v3, s6, v2
	v_mul_lo_u32 v2, v3, s4
	v_sub_nc_u32_e32 v5, v5, v2
	v_mul_lo_u32 v2, v5, s0
	v_mul_lo_u32 v8, v5, s1
	s_cbranch_scc1 .LBB7_58
; %bb.57:
	s_clause 0x1
	s_load_dwordx4 s[4:7], s[2:3], 0x10
	s_load_dwordx2 s[0:1], s[2:3], 0xcc
	s_waitcnt lgkmcnt(0)
	v_mul_hi_u32 v5, s5, v3
	v_add_nc_u32_e32 v5, v3, v5
	v_lshrrev_b32_e32 v5, s6, v5
	v_mul_lo_u32 v5, v5, s4
	v_sub_nc_u32_e32 v5, v3, v5
	v_mad_u64_u32 v[2:3], null, v5, s0, v[2:3]
	v_mad_u64_u32 v[8:9], null, v5, s1, v[8:9]
.LBB7_58:
	v_cmp_ne_u32_e32 vcc_lo, 1, v4
	s_cbranch_vccnz .LBB7_64
; %bb.59:
	s_cmp_lg_u32 s22, 0
	s_mov_b32 s6, 0
	s_cbranch_scc0 .LBB7_65
; %bb.60:
	s_min_u32 s8, s23, 15
	s_add_i32 s8, s8, 1
	s_cmp_eq_u32 s23, 2
	s_cbranch_scc1 .LBB7_66
; %bb.61:
	v_mov_b32_e32 v5, 0
	v_mov_b32_e32 v3, 0
	;; [unrolled: 1-line block ×3, first 2 shown]
	s_and_b32 s7, s8, 28
	s_add_u32 s0, s2, 0xc4
	s_addc_u32 s1, s3, 0
	s_mov_b32 s9, 0
	s_mov_b64 s[4:5], s[2:3]
.LBB7_62:                               ; =>This Inner Loop Header: Depth=1
	s_clause 0x1
	s_load_dwordx8 s[12:19], s[4:5], 0x4
	s_load_dwordx4 s[36:39], s[4:5], 0x24
	s_load_dwordx8 s[24:31], s[0:1], 0x0
	s_add_u32 s4, s4, 48
	s_addc_u32 s5, s5, 0
	s_add_i32 s9, s9, 4
	s_add_u32 s0, s0, 32
	s_addc_u32 s1, s1, 0
	s_cmp_lg_u32 s7, s9
	s_waitcnt lgkmcnt(0)
	v_mul_hi_u32 v6, s13, v4
	v_add_nc_u32_e32 v6, v4, v6
	v_lshrrev_b32_e32 v6, s14, v6
	v_mul_hi_u32 v9, s16, v6
	v_mul_lo_u32 v13, v6, s12
	v_add_nc_u32_e32 v9, v6, v9
	v_sub_nc_u32_e32 v4, v4, v13
	v_lshrrev_b32_e32 v9, s17, v9
	v_mul_lo_u32 v13, v4, s24
	v_mul_lo_u32 v15, v4, s25
	v_mul_hi_u32 v11, s19, v9
	v_add_nc_u32_e32 v11, v9, v11
	v_lshrrev_b32_e32 v11, s36, v11
	v_mul_hi_u32 v14, s38, v11
	v_mul_lo_u32 v16, v11, s18
	v_add_nc_u32_e32 v4, v11, v14
	v_mul_lo_u32 v14, v9, s15
	v_sub_nc_u32_e32 v9, v9, v16
	v_lshrrev_b32_e32 v4, s39, v4
	v_mul_lo_u32 v16, v9, s28
	v_mul_lo_u32 v9, v9, s29
	v_sub_nc_u32_e32 v6, v6, v14
	v_mul_lo_u32 v17, v4, s37
	v_mul_lo_u32 v14, v6, s26
	;; [unrolled: 1-line block ×3, first 2 shown]
	v_sub_nc_u32_e32 v11, v11, v17
	v_add3_u32 v3, v13, v3, v14
	v_mul_lo_u32 v17, v11, s30
	v_mul_lo_u32 v11, v11, s31
	v_add3_u32 v5, v15, v5, v6
	v_add3_u32 v3, v16, v3, v17
	;; [unrolled: 1-line block ×3, first 2 shown]
	s_cbranch_scc1 .LBB7_62
; %bb.63:
	s_and_b32 s8, s8, 3
	s_cmp_eq_u32 s8, 0
	s_cbranch_scc0 .LBB7_67
	s_branch .LBB7_69
.LBB7_64:
	s_mov_b32 s6, -1
                                        ; implicit-def: $vgpr3
                                        ; implicit-def: $vgpr5
	s_branch .LBB7_69
.LBB7_65:
	v_mov_b32_e32 v3, 0
	v_mov_b32_e32 v5, 0
	s_branch .LBB7_69
.LBB7_66:
	v_mov_b32_e32 v3, 0
	v_mov_b32_e32 v5, 0
	;; [unrolled: 1-line block ×3, first 2 shown]
	s_mov_b32 s7, 0
	s_and_b32 s8, s8, 3
	s_cmp_eq_u32 s8, 0
	s_cbranch_scc1 .LBB7_69
.LBB7_67:
	s_lshl_b32 s0, s7, 3
	s_mul_i32 s4, s7, 12
	s_add_u32 s0, s2, s0
	s_addc_u32 s1, s3, 0
	s_add_u32 s0, s0, 0xc4
	s_addc_u32 s1, s1, 0
	;; [unrolled: 2-line block ×3, first 2 shown]
	.p2align	6
.LBB7_68:                               ; =>This Inner Loop Header: Depth=1
	s_clause 0x1
	s_load_dwordx2 s[10:11], s[4:5], 0x4
	s_load_dword s7, s[4:5], 0xc
	s_load_dwordx2 s[12:13], s[0:1], 0x0
	s_add_u32 s4, s4, 12
	s_addc_u32 s5, s5, 0
	s_add_u32 s0, s0, 8
	s_addc_u32 s1, s1, 0
	s_add_i32 s8, s8, -1
	s_cmp_lg_u32 s8, 0
	s_waitcnt lgkmcnt(0)
	v_mul_hi_u32 v6, s11, v4
	v_add_nc_u32_e32 v6, v4, v6
	v_lshrrev_b32_e32 v9, s7, v6
	v_mul_lo_u32 v6, v9, s10
	v_sub_nc_u32_e32 v6, v4, v6
	v_mad_u64_u32 v[3:4], null, v6, s12, v[3:4]
	v_mad_u64_u32 v[5:6], null, v6, s13, v[5:6]
	v_mov_b32_e32 v4, v9
	s_cbranch_scc1 .LBB7_68
.LBB7_69:
	s_andn2_b32 vcc_lo, exec_lo, s6
	s_cbranch_vccnz .LBB7_72
; %bb.70:
	s_clause 0x1
	s_load_dwordx4 s[4:7], s[2:3], 0x4
	s_load_dwordx2 s[0:1], s[2:3], 0xc4
	s_cmp_lt_u32 s22, 2
	s_waitcnt lgkmcnt(0)
	v_mul_hi_u32 v3, s5, v12
	v_add_nc_u32_e32 v3, v12, v3
	v_lshrrev_b32_e32 v4, s6, v3
	v_mul_lo_u32 v3, v4, s4
	v_sub_nc_u32_e32 v5, v12, v3
	v_mul_lo_u32 v3, v5, s0
	v_mul_lo_u32 v5, v5, s1
	s_cbranch_scc1 .LBB7_72
; %bb.71:
	s_clause 0x1
	s_load_dwordx4 s[4:7], s[2:3], 0x10
	s_load_dwordx2 s[0:1], s[2:3], 0xcc
	s_waitcnt lgkmcnt(0)
	v_mul_hi_u32 v6, s5, v4
	v_add_nc_u32_e32 v6, v4, v6
	v_lshrrev_b32_e32 v6, s6, v6
	v_mul_lo_u32 v6, v6, s4
	v_sub_nc_u32_e32 v6, v4, v6
	v_mad_u64_u32 v[3:4], null, v6, s0, v[3:4]
	v_mad_u64_u32 v[5:6], null, v6, s1, v[5:6]
.LBB7_72:
	s_load_dwordx4 s[4:7], s[2:3], 0x148
	s_mov_b32 s0, exec_lo
	s_waitcnt lgkmcnt(0)
	global_load_dwordx2 v[11:12], v7, s[6:7]
                                        ; implicit-def: $vgpr6_vgpr7
	s_waitcnt vmcnt(0)
	v_cmpx_neq_f64_e32 0, v[11:12]
	s_xor_b32 s2, exec_lo, s0
	s_cbranch_execz .LBB7_94
; %bb.73:
	v_mov_b32_e32 v13, 0
	v_mov_b32_e32 v14, 0
	s_mov_b32 s1, -1
	s_mov_b32 s3, exec_lo
	v_cmpx_gt_f64_e32 0, v[11:12]
	s_cbranch_execz .LBB7_81
; %bb.74:
	v_trunc_f64_e32 v[6:7], v[11:12]
	v_mov_b32_e32 v13, 0
	v_mov_b32_e32 v14, 0
	s_mov_b32 s1, 0
	s_mov_b32 s8, exec_lo
	v_cmpx_neq_f64_e32 v[11:12], v[6:7]
	s_cbranch_execz .LBB7_80
; %bb.75:
	v_add_f64 v[6:7], v[11:12], -v[6:7]
	s_mov_b32 s1, 0xc00921fb
	s_mov_b32 s0, 0x54442d18
	v_cmp_neq_f64_e64 vcc_lo, 0x7ff00000, |v[11:12]|
	s_mov_b32 s9, exec_lo
                                        ; implicit-def: $vgpr4
                                        ; implicit-def: $vgpr13_vgpr14
                                        ; implicit-def: $vgpr15_vgpr16
	v_mul_f64 v[6:7], |v[6:7]|, s[0:1]
	v_cndmask_b32_e32 v7, 0x80000000, v7, vcc_lo
	v_cndmask_b32_e32 v6, 0, v6, vcc_lo
	v_cmpx_ngt_f64_e64 0x41d00000, |v[6:7]|
	s_xor_b32 s9, exec_lo, s9
	s_cbranch_execz .LBB7_77
; %bb.76:
	v_ldexp_f64 v[13:14], |v[6:7]|, 0xffffff80
	v_cmp_le_f64_e64 vcc_lo, 0x7b000000, |v[6:7]|
	v_trig_preop_f64 v[15:16], |v[6:7]|, 0
	v_and_b32_e32 v4, 0x7fffffff, v7
	v_trig_preop_f64 v[17:18], |v[6:7]|, 1
	v_trig_preop_f64 v[27:28], |v[6:7]|, 2
	v_mov_b32_e32 v35, 0
	s_mov_b32 s1, 0x3ff921fb
	s_mov_b32 s10, 0x33145c07
	;; [unrolled: 1-line block ×3, first 2 shown]
	v_cndmask_b32_e32 v14, v4, v14, vcc_lo
	v_cndmask_b32_e32 v13, v6, v13, vcc_lo
	v_mul_f64 v[19:20], v[15:16], v[13:14]
	v_mul_f64 v[21:22], v[17:18], v[13:14]
	;; [unrolled: 1-line block ×3, first 2 shown]
	v_fma_f64 v[15:16], v[15:16], v[13:14], -v[19:20]
	v_fma_f64 v[17:18], v[17:18], v[13:14], -v[21:22]
	;; [unrolled: 1-line block ×3, first 2 shown]
	v_add_f64 v[23:24], v[21:22], v[15:16]
	v_add_f64 v[25:26], v[23:24], -v[21:22]
	v_add_f64 v[31:32], v[19:20], v[23:24]
	v_add_f64 v[29:30], v[23:24], -v[25:26]
	v_add_f64 v[15:16], v[15:16], -v[25:26]
	v_ldexp_f64 v[25:26], v[31:32], -2
	v_add_f64 v[19:20], v[31:32], -v[19:20]
	v_add_f64 v[21:22], v[21:22], -v[29:30]
	v_add_f64 v[29:30], v[33:34], v[17:18]
	v_cmp_neq_f64_e64 vcc_lo, 0x7ff00000, |v[25:26]|
	v_add_f64 v[19:20], v[23:24], -v[19:20]
	v_add_f64 v[15:16], v[15:16], v[21:22]
	v_fract_f64_e32 v[21:22], v[25:26]
	v_add_f64 v[23:24], v[29:30], v[15:16]
	v_ldexp_f64 v[21:22], v[21:22], 2
	v_add_f64 v[25:26], v[19:20], v[23:24]
	v_cndmask_b32_e32 v22, 0, v22, vcc_lo
	v_cndmask_b32_e32 v21, 0, v21, vcc_lo
	v_add_f64 v[31:32], v[25:26], v[21:22]
	v_add_f64 v[19:20], v[25:26], -v[19:20]
	v_cmp_gt_f64_e32 vcc_lo, 0, v[31:32]
	v_add_f64 v[31:32], v[29:30], -v[33:34]
	v_add_f64 v[19:20], v[23:24], -v[19:20]
	v_cndmask_b32_e64 v36, 0, 0x40100000, vcc_lo
	v_add_f64 v[40:41], v[29:30], -v[31:32]
	v_add_f64 v[17:18], v[17:18], -v[31:32]
	v_add_f64 v[21:22], v[21:22], v[35:36]
	v_add_f64 v[36:37], v[23:24], -v[29:30]
	v_add_f64 v[31:32], v[33:34], -v[40:41]
	v_add_f64 v[38:39], v[25:26], v[21:22]
	v_add_f64 v[42:43], v[23:24], -v[36:37]
	v_add_f64 v[15:16], v[15:16], -v[36:37]
	v_add_f64 v[17:18], v[17:18], v[31:32]
	v_cvt_i32_f64_e32 v4, v[38:39]
	v_add_f64 v[29:30], v[29:30], -v[42:43]
	v_cvt_f64_i32_e32 v[36:37], v4
	v_add_f64 v[15:16], v[15:16], v[29:30]
	v_add_f64 v[21:22], v[21:22], -v[36:37]
	v_add_f64 v[15:16], v[17:18], v[15:16]
	v_add_f64 v[17:18], v[25:26], v[21:22]
	;; [unrolled: 1-line block ×3, first 2 shown]
	v_add_f64 v[15:16], v[17:18], -v[21:22]
	v_cmp_le_f64_e32 vcc_lo, 0.5, v[17:18]
	v_add_f64 v[13:14], v[19:20], v[13:14]
	v_add_f64 v[15:16], v[25:26], -v[15:16]
	v_cndmask_b32_e64 v36, 0, 0x3ff00000, vcc_lo
	v_add_co_ci_u32_e64 v4, null, 0, v4, vcc_lo
	v_add_f64 v[13:14], v[13:14], v[15:16]
	v_add_f64 v[15:16], v[17:18], -v[35:36]
	v_add_f64 v[17:18], v[15:16], v[13:14]
	v_mul_f64 v[19:20], v[17:18], s[0:1]
	v_add_f64 v[15:16], v[17:18], -v[15:16]
	v_fma_f64 v[21:22], v[17:18], s[0:1], -v[19:20]
	v_add_f64 v[13:14], v[13:14], -v[15:16]
	v_fma_f64 v[15:16], v[17:18], s[10:11], v[21:22]
	v_fma_f64 v[15:16], v[13:14], s[0:1], v[15:16]
	v_add_f64 v[13:14], v[19:20], v[15:16]
	v_add_f64 v[17:18], v[13:14], -v[19:20]
	v_add_f64 v[15:16], v[15:16], -v[17:18]
.LBB7_77:
	s_andn2_saveexec_b32 s0, s9
	s_cbranch_execz .LBB7_79
; %bb.78:
	s_mov_b32 s10, 0x6dc9c883
	s_mov_b32 s11, 0x3fe45f30
	;; [unrolled: 1-line block ×3, first 2 shown]
	v_mul_f64 v[13:14], |v[6:7]|, s[10:11]
	s_mov_b32 s10, 0x54442d18
	s_mov_b32 s11, 0xbff921fb
	;; [unrolled: 1-line block ×3, first 2 shown]
	v_rndne_f64_e32 v[17:18], v[13:14]
	v_fma_f64 v[13:14], v[17:18], s[10:11], |v[6:7]|
	v_mul_f64 v[15:16], v[17:18], s[12:13]
	s_mov_b32 s10, 0x252049c0
	s_mov_b32 s11, 0xb97b839a
	v_cvt_i32_f64_e32 v4, v[17:18]
	v_fma_f64 v[21:22], v[17:18], s[12:13], v[13:14]
	v_add_f64 v[19:20], v[13:14], v[15:16]
	s_mov_b32 s13, 0x3c91a626
	v_add_f64 v[13:14], v[13:14], -v[19:20]
	v_add_f64 v[19:20], v[19:20], -v[21:22]
	v_add_f64 v[13:14], v[13:14], v[15:16]
	v_fma_f64 v[15:16], v[17:18], s[12:13], v[15:16]
	v_add_f64 v[13:14], v[19:20], v[13:14]
	v_add_f64 v[13:14], v[13:14], -v[15:16]
	v_fma_f64 v[15:16], v[17:18], s[10:11], v[13:14]
	v_add_f64 v[13:14], v[21:22], v[15:16]
	v_add_f64 v[19:20], v[13:14], -v[21:22]
	v_add_f64 v[15:16], v[15:16], -v[19:20]
.LBB7_79:
	s_or_b32 exec_lo, exec_lo, s0
	v_mul_f64 v[17:18], v[13:14], v[13:14]
	v_add_f64 v[19:20], v[15:16], v[15:16]
	s_mov_b32 s10, 0xa9a29f71
	s_mov_b32 s12, 0xc751c08c
	;; [unrolled: 1-line block ×4, first 2 shown]
	v_cmp_class_f64_e64 s0, v[6:7], 0x1f8
	v_and_b32_e32 v4, 1, v4
	v_and_b32_e32 v7, 0x80000000, v7
	v_add_f64 v[11:12], -v[11:12], 1.0
	s_mov_b32 s1, exec_lo
	v_cmp_eq_u32_e32 vcc_lo, 0, v4
	v_fma_f64 v[21:22], v[13:14], v[13:14], -v[17:18]
	v_fma_f64 v[19:20], v[13:14], v[19:20], v[21:22]
	v_add_f64 v[17:18], v[17:18], v[19:20]
	v_fma_f64 v[19:20], v[17:18], s[12:13], s[10:11]
	s_mov_b32 s10, 0x90a8aae0
	s_mov_b32 s11, 0x3f17746f
	v_fma_f64 v[19:20], v[17:18], v[19:20], s[10:11]
	s_mov_b32 s10, 0xa6fbf144
	s_mov_b32 s11, 0xbefbb44d
	;; [unrolled: 3-line block ×13, first 2 shown]
	v_mul_f64 v[17:18], v[17:18], v[19:20]
	v_mul_f64 v[19:20], v[13:14], v[17:18]
	v_add_f64 v[21:22], v[13:14], v[19:20]
	v_fma_f64 v[17:18], v[13:14], v[17:18], -v[19:20]
	v_add_f64 v[13:14], v[21:22], -v[13:14]
	v_add_f64 v[15:16], v[15:16], v[17:18]
	v_add_f64 v[13:14], v[19:20], -v[13:14]
	v_add_f64 v[13:14], v[15:16], v[13:14]
	v_add_f64 v[15:16], v[21:22], v[13:14]
	v_rcp_f64_e32 v[17:18], v[15:16]
	v_fma_f64 v[19:20], -v[15:16], v[17:18], 1.0
	v_fma_f64 v[17:18], v[19:20], v[17:18], v[17:18]
	v_fma_f64 v[19:20], -v[15:16], v[17:18], 1.0
	v_fma_f64 v[17:18], v[19:20], v[17:18], v[17:18]
	v_add_f64 v[19:20], v[15:16], -v[21:22]
	v_mul_f64 v[21:22], v[15:16], v[17:18]
	v_add_f64 v[13:14], v[13:14], -v[19:20]
	v_fma_f64 v[19:20], v[17:18], v[15:16], -v[21:22]
	v_fma_f64 v[13:14], v[17:18], v[13:14], v[19:20]
	v_add_f64 v[19:20], v[21:22], v[13:14]
	v_add_f64 v[23:24], -v[19:20], 1.0
	v_add_f64 v[21:22], v[19:20], -v[21:22]
	v_add_f64 v[25:26], -v[23:24], 1.0
	v_add_f64 v[13:14], v[21:22], -v[13:14]
	v_add_f64 v[19:20], v[25:26], -v[19:20]
	v_add_f64 v[13:14], v[13:14], v[19:20]
	v_add_f64 v[13:14], v[23:24], v[13:14]
	v_mul_f64 v[13:14], v[17:18], v[13:14]
	v_add_f64 v[13:14], v[17:18], v[13:14]
	v_xor_b32_e32 v6, 0x80000000, v14
	v_cndmask_b32_e32 v4, v13, v15, vcc_lo
	v_cndmask_b32_e32 v6, v6, v16, vcc_lo
	v_xor_b32_e32 v7, v6, v7
	v_cndmask_b32_e64 v6, 0, v4, s0
	v_cndmask_b32_e64 v7, 0x7ff80000, v7, s0
	v_div_scale_f64 v[13:14], null, v[6:7], v[6:7], s[10:11]
	v_div_scale_f64 v[19:20], vcc_lo, s[10:11], v[6:7], s[10:11]
	v_rcp_f64_e32 v[15:16], v[13:14]
	v_fma_f64 v[17:18], -v[13:14], v[15:16], 1.0
	v_fma_f64 v[15:16], v[15:16], v[17:18], v[15:16]
	v_fma_f64 v[17:18], -v[13:14], v[15:16], 1.0
	v_fma_f64 v[15:16], v[15:16], v[17:18], v[15:16]
	v_mul_f64 v[17:18], v[19:20], v[15:16]
	v_fma_f64 v[13:14], -v[13:14], v[17:18], v[19:20]
	v_div_fmas_f64 v[13:14], v[13:14], v[15:16], v[17:18]
	v_div_fixup_f64 v[13:14], v[13:14], v[6:7], s[10:11]
.LBB7_80:
	s_or_b32 exec_lo, exec_lo, s8
	s_orn2_b32 s1, s1, exec_lo
.LBB7_81:
	s_or_b32 exec_lo, exec_lo, s3
	v_mov_b32_e32 v6, 0
	v_mov_b32_e32 v7, 0x7ff80000
	s_and_saveexec_b32 s0, s1
	s_cbranch_execz .LBB7_93
; %bb.82:
	s_mov_b32 s1, exec_lo
	v_cmpx_gt_f64_e32 0x40240000, v[11:12]
	s_cbranch_execz .LBB7_86
; %bb.83:
	s_mov_b32 s3, 0
	.p2align	6
.LBB7_84:                               ; =>This Inner Loop Header: Depth=1
	v_div_scale_f64 v[6:7], null, v[11:12], v[11:12], 1.0
	v_div_scale_f64 v[19:20], vcc_lo, 1.0, v[11:12], 1.0
	v_rcp_f64_e32 v[15:16], v[6:7]
	v_fma_f64 v[17:18], -v[6:7], v[15:16], 1.0
	v_fma_f64 v[15:16], v[15:16], v[17:18], v[15:16]
	v_fma_f64 v[17:18], -v[6:7], v[15:16], 1.0
	v_fma_f64 v[15:16], v[15:16], v[17:18], v[15:16]
	v_mul_f64 v[17:18], v[19:20], v[15:16]
	v_fma_f64 v[6:7], -v[6:7], v[17:18], v[19:20]
	v_div_fmas_f64 v[6:7], v[6:7], v[15:16], v[17:18]
	v_div_fixup_f64 v[6:7], v[6:7], v[11:12], 1.0
	v_add_f64 v[11:12], v[11:12], 1.0
	v_add_f64 v[13:14], v[13:14], -v[6:7]
	v_cmp_ngt_f64_e32 vcc_lo, 0x40240000, v[11:12]
	s_or_b32 s3, vcc_lo, s3
	s_andn2_b32 exec_lo, exec_lo, s3
	s_cbranch_execnz .LBB7_84
; %bb.85:
	s_or_b32 exec_lo, exec_lo, s3
.LBB7_86:
	s_or_b32 exec_lo, exec_lo, s1
	s_mov_b32 s1, exec_lo
                                        ; implicit-def: $vgpr6_vgpr7
	v_cmpx_neq_f64_e32 0x40240000, v[11:12]
	s_xor_b32 s1, exec_lo, s1
	s_cbranch_execz .LBB7_90
; %bb.87:
	v_mov_b32_e32 v6, 0
	v_mov_b32_e32 v7, 0
	s_mov_b32 s8, 0x85d8a000
	s_mov_b32 s9, 0x43763457
	s_mov_b32 s3, exec_lo
	v_cmpx_gt_f64_e32 s[8:9], v[11:12]
	s_cbranch_execz .LBB7_89
; %bb.88:
	v_mul_f64 v[6:7], v[11:12], v[11:12]
	s_mov_b32 s8, 0x55555555
	s_mov_b32 s9, 0x3fb55555
	;; [unrolled: 1-line block ×6, first 2 shown]
	v_div_scale_f64 v[15:16], null, v[6:7], v[6:7], 1.0
	v_rcp_f64_e32 v[17:18], v[15:16]
	v_fma_f64 v[19:20], -v[15:16], v[17:18], 1.0
	v_fma_f64 v[17:18], v[17:18], v[19:20], v[17:18]
	v_fma_f64 v[19:20], -v[15:16], v[17:18], 1.0
	v_fma_f64 v[17:18], v[17:18], v[19:20], v[17:18]
	v_div_scale_f64 v[19:20], vcc_lo, 1.0, v[6:7], 1.0
	v_mul_f64 v[21:22], v[19:20], v[17:18]
	v_fma_f64 v[15:16], -v[15:16], v[21:22], v[19:20]
	v_div_fmas_f64 v[15:16], v[15:16], v[17:18], v[21:22]
	v_div_fixup_f64 v[6:7], v[15:16], v[6:7], 1.0
	v_fma_f64 v[15:16], v[6:7], 0, s[8:9]
	v_fma_f64 v[15:16], v[6:7], v[15:16], s[10:11]
	s_mov_b32 s10, 0xf07c1f08
	s_mov_b32 s11, 0x3f7f07c1
	v_fma_f64 v[15:16], v[6:7], v[15:16], s[10:11]
	s_mov_b32 s11, 0xbf711111
	s_mov_b32 s10, 0x11111111
	v_fma_f64 v[15:16], v[6:7], v[15:16], s[10:11]
	s_mov_b32 s11, 0xbf811111
	v_fma_f64 v[15:16], v[6:7], v[15:16], s[12:13]
	v_fma_f64 v[15:16], v[6:7], v[15:16], s[10:11]
	;; [unrolled: 1-line block ×3, first 2 shown]
	v_mul_f64 v[6:7], v[6:7], v[15:16]
.LBB7_89:
	s_or_b32 exec_lo, exec_lo, s3
	v_frexp_mant_f64_e32 v[15:16], v[11:12]
	s_mov_b32 s9, 0x3fe55555
	s_mov_b32 s8, 0x55555555
	;; [unrolled: 1-line block ×6, first 2 shown]
	v_div_scale_f64 v[31:32], null, v[11:12], v[11:12], -0.5
	v_cmp_gt_f64_e32 vcc_lo, s[8:9], v[15:16]
	s_mov_b32 s8, 0x55555780
	v_rcp_f64_e32 v[35:36], v[31:32]
	v_cndmask_b32_e64 v4, 0, 1, vcc_lo
	v_ldexp_f64 v[15:16], v[15:16], v4
	v_frexp_exp_i32_f64_e32 v4, v[11:12]
	v_add_f64 v[17:18], v[15:16], 1.0
	v_add_f64 v[23:24], v[15:16], -1.0
	v_subrev_co_ci_u32_e64 v4, null, 0, v4, vcc_lo
	v_rcp_f64_e32 v[19:20], v[17:18]
	v_add_f64 v[25:26], v[17:18], -1.0
	v_add_f64 v[15:16], v[15:16], -v[25:26]
	v_fma_f64 v[21:22], -v[17:18], v[19:20], 1.0
	v_fma_f64 v[19:20], v[21:22], v[19:20], v[19:20]
	v_fma_f64 v[21:22], -v[17:18], v[19:20], 1.0
	v_fma_f64 v[19:20], v[21:22], v[19:20], v[19:20]
	v_mul_f64 v[21:22], v[23:24], v[19:20]
	v_mul_f64 v[27:28], v[17:18], v[21:22]
	v_fma_f64 v[17:18], v[21:22], v[17:18], -v[27:28]
	v_fma_f64 v[15:16], v[21:22], v[15:16], v[17:18]
	v_add_f64 v[17:18], v[27:28], v[15:16]
	v_add_f64 v[25:26], v[23:24], -v[17:18]
	v_add_f64 v[27:28], v[17:18], -v[27:28]
	;; [unrolled: 1-line block ×5, first 2 shown]
	v_add_f64 v[15:16], v[15:16], v[17:18]
	v_add_f64 v[15:16], v[25:26], v[15:16]
	v_mul_f64 v[15:16], v[19:20], v[15:16]
	v_add_f64 v[17:18], v[21:22], v[15:16]
	v_mul_f64 v[19:20], v[17:18], v[17:18]
	v_fma_f64 v[23:24], v[19:20], s[12:13], s[10:11]
	s_mov_b32 s10, 0xd7f4df2e
	s_mov_b32 s11, 0x3fc7474d
	v_mul_f64 v[25:26], v[17:18], v[19:20]
	v_fma_f64 v[23:24], v[19:20], v[23:24], s[10:11]
	s_mov_b32 s10, 0x16291751
	s_mov_b32 s11, 0x3fcc71c0
	v_fma_f64 v[23:24], v[19:20], v[23:24], s[10:11]
	s_mov_b32 s10, 0x9b27acf1
	s_mov_b32 s11, 0x3fd24924
	;; [unrolled: 3-line block ×3, first 2 shown]
	v_fma_f64 v[23:24], v[19:20], v[23:24], s[10:11]
	v_fma_f64 v[19:20], v[19:20], v[23:24], s[8:9]
	v_ldexp_f64 v[23:24], v[17:18], 1
	v_add_f64 v[17:18], v[17:18], -v[21:22]
	s_mov_b32 s8, 0xfefa39ef
	s_mov_b32 s9, 0x3fe62e42
	v_mul_f64 v[19:20], v[25:26], v[19:20]
	v_cvt_f64_i32_e32 v[25:26], v4
	v_add_f64 v[15:16], v[15:16], -v[17:18]
	v_add_f64 v[21:22], v[23:24], v[19:20]
	v_mul_f64 v[27:28], v[25:26], s[8:9]
	v_ldexp_f64 v[15:16], v[15:16], 1
	v_add_f64 v[17:18], v[21:22], -v[23:24]
	v_fma_f64 v[23:24], v[25:26], s[8:9], -v[27:28]
	s_mov_b32 s8, 0x3b39803f
	s_mov_b32 s9, 0x3c7abc9e
	v_add_f64 v[17:18], v[19:20], -v[17:18]
	v_fma_f64 v[19:20], v[25:26], s[8:9], v[23:24]
	v_add_f64 v[15:16], v[15:16], v[17:18]
	v_add_f64 v[17:18], v[27:28], v[19:20]
	;; [unrolled: 1-line block ×3, first 2 shown]
	v_add_f64 v[27:28], v[17:18], -v[27:28]
	v_add_f64 v[25:26], v[17:18], v[23:24]
	v_add_f64 v[21:22], v[23:24], -v[21:22]
	v_add_f64 v[19:20], v[19:20], -v[27:28]
	;; [unrolled: 1-line block ×6, first 2 shown]
	v_fma_f64 v[23:24], -v[31:32], v[35:36], 1.0
	v_add_f64 v[27:28], v[19:20], v[15:16]
	v_add_f64 v[17:18], v[17:18], -v[33:34]
	v_add_f64 v[17:18], v[21:22], v[17:18]
	v_fma_f64 v[21:22], v[35:36], v[23:24], v[35:36]
	v_add_f64 v[23:24], v[27:28], -v[19:20]
	v_div_scale_f64 v[35:36], vcc_lo, -0.5, v[11:12], -0.5
	v_add_f64 v[17:18], v[27:28], v[17:18]
	v_fma_f64 v[29:30], -v[31:32], v[21:22], 1.0
	v_add_f64 v[27:28], v[27:28], -v[23:24]
	v_add_f64 v[15:16], v[15:16], -v[23:24]
	v_add_f64 v[33:34], v[25:26], v[17:18]
	v_fma_f64 v[21:22], v[21:22], v[29:30], v[21:22]
	v_add_f64 v[19:20], v[19:20], -v[27:28]
	v_add_f64 v[23:24], v[33:34], -v[25:26]
	v_mul_f64 v[25:26], v[35:36], v[21:22]
	v_add_f64 v[15:16], v[15:16], v[19:20]
	v_add_f64 v[17:18], v[17:18], -v[23:24]
	v_fma_f64 v[19:20], -v[31:32], v[25:26], v[35:36]
	v_add_f64 v[15:16], v[15:16], v[17:18]
	v_div_fmas_f64 v[17:18], v[19:20], v[21:22], v[25:26]
	v_cmp_class_f64_e64 vcc_lo, v[11:12], 0x204
	v_add_f64 v[15:16], v[33:34], v[15:16]
	v_div_fixup_f64 v[17:18], v[17:18], v[11:12], -0.5
	v_cndmask_b32_e32 v12, v16, v12, vcc_lo
	v_cndmask_b32_e32 v11, v15, v11, vcc_lo
	v_add_f64 v[11:12], v[11:12], v[17:18]
	v_add_f64 v[6:7], v[11:12], -v[6:7]
	v_add_f64 v[6:7], v[13:14], v[6:7]
                                        ; implicit-def: $vgpr13_vgpr14
.LBB7_90:
	s_andn2_saveexec_b32 s1, s1
; %bb.91:
	s_mov_b32 s8, 0xdc85cc95
	s_mov_b32 s9, 0x40020396
	v_add_f64 v[6:7], v[13:14], s[8:9]
; %bb.92:
	s_or_b32 exec_lo, exec_lo, s1
.LBB7_93:
	s_or_b32 exec_lo, exec_lo, s0
                                        ; implicit-def: $vgpr11_vgpr12
.LBB7_94:
	s_andn2_saveexec_b32 s0, s2
; %bb.95:
	v_xor_b32_e32 v4, 0x80000000, v12
	s_mov_b32 s1, 0x7ff00000
	v_mov_b32_e32 v6, 0
	v_bfi_b32 v7, 0x7fffffff, s1, v4
; %bb.96:
	s_or_b32 exec_lo, exec_lo, s0
	global_load_dwordx2 v[11:12], v10, s[6:7]
                                        ; implicit-def: $vgpr9_vgpr10
	s_mov_b32 s0, exec_lo
	s_waitcnt vmcnt(0)
	v_cmpx_neq_f64_e32 0, v[11:12]
	s_xor_b32 s2, exec_lo, s0
	s_cbranch_execz .LBB7_118
; %bb.97:
	v_mov_b32_e32 v13, 0
	v_mov_b32_e32 v14, 0
	s_mov_b32 s1, -1
	s_mov_b32 s3, exec_lo
	v_cmpx_gt_f64_e32 0, v[11:12]
	s_cbranch_execz .LBB7_105
; %bb.98:
	v_trunc_f64_e32 v[9:10], v[11:12]
	v_mov_b32_e32 v13, 0
	v_mov_b32_e32 v14, 0
	s_mov_b32 s1, 0
	s_mov_b32 s8, exec_lo
	v_cmpx_neq_f64_e32 v[11:12], v[9:10]
	s_cbranch_execz .LBB7_104
; %bb.99:
	v_add_f64 v[9:10], v[11:12], -v[9:10]
	s_mov_b32 s1, 0xc00921fb
	s_mov_b32 s0, 0x54442d18
	v_cmp_neq_f64_e64 vcc_lo, 0x7ff00000, |v[11:12]|
	s_mov_b32 s9, exec_lo
                                        ; implicit-def: $vgpr4
                                        ; implicit-def: $vgpr13_vgpr14
                                        ; implicit-def: $vgpr15_vgpr16
	v_mul_f64 v[9:10], |v[9:10]|, s[0:1]
	v_cndmask_b32_e32 v10, 0x80000000, v10, vcc_lo
	v_cndmask_b32_e32 v9, 0, v9, vcc_lo
	v_cmpx_ngt_f64_e64 0x41d00000, |v[9:10]|
	s_xor_b32 s9, exec_lo, s9
	s_cbranch_execz .LBB7_101
; %bb.100:
	v_ldexp_f64 v[13:14], |v[9:10]|, 0xffffff80
	v_cmp_le_f64_e64 vcc_lo, 0x7b000000, |v[9:10]|
	v_trig_preop_f64 v[15:16], |v[9:10]|, 0
	v_and_b32_e32 v4, 0x7fffffff, v10
	v_trig_preop_f64 v[17:18], |v[9:10]|, 1
	v_trig_preop_f64 v[27:28], |v[9:10]|, 2
	v_mov_b32_e32 v35, 0
	s_mov_b32 s1, 0x3ff921fb
	s_mov_b32 s10, 0x33145c07
	;; [unrolled: 1-line block ×3, first 2 shown]
	v_cndmask_b32_e32 v14, v4, v14, vcc_lo
	v_cndmask_b32_e32 v13, v9, v13, vcc_lo
	v_mul_f64 v[19:20], v[15:16], v[13:14]
	v_mul_f64 v[21:22], v[17:18], v[13:14]
	;; [unrolled: 1-line block ×3, first 2 shown]
	v_fma_f64 v[15:16], v[15:16], v[13:14], -v[19:20]
	v_fma_f64 v[17:18], v[17:18], v[13:14], -v[21:22]
	;; [unrolled: 1-line block ×3, first 2 shown]
	v_add_f64 v[23:24], v[21:22], v[15:16]
	v_add_f64 v[25:26], v[23:24], -v[21:22]
	v_add_f64 v[31:32], v[19:20], v[23:24]
	v_add_f64 v[29:30], v[23:24], -v[25:26]
	v_add_f64 v[15:16], v[15:16], -v[25:26]
	v_ldexp_f64 v[25:26], v[31:32], -2
	v_add_f64 v[19:20], v[31:32], -v[19:20]
	v_add_f64 v[21:22], v[21:22], -v[29:30]
	v_add_f64 v[29:30], v[33:34], v[17:18]
	v_cmp_neq_f64_e64 vcc_lo, 0x7ff00000, |v[25:26]|
	v_add_f64 v[19:20], v[23:24], -v[19:20]
	v_add_f64 v[15:16], v[15:16], v[21:22]
	v_fract_f64_e32 v[21:22], v[25:26]
	v_add_f64 v[23:24], v[29:30], v[15:16]
	v_ldexp_f64 v[21:22], v[21:22], 2
	v_add_f64 v[25:26], v[19:20], v[23:24]
	v_cndmask_b32_e32 v22, 0, v22, vcc_lo
	v_cndmask_b32_e32 v21, 0, v21, vcc_lo
	v_add_f64 v[31:32], v[25:26], v[21:22]
	v_add_f64 v[19:20], v[25:26], -v[19:20]
	v_cmp_gt_f64_e32 vcc_lo, 0, v[31:32]
	v_add_f64 v[31:32], v[29:30], -v[33:34]
	v_add_f64 v[19:20], v[23:24], -v[19:20]
	v_cndmask_b32_e64 v36, 0, 0x40100000, vcc_lo
	v_add_f64 v[40:41], v[29:30], -v[31:32]
	v_add_f64 v[17:18], v[17:18], -v[31:32]
	v_add_f64 v[21:22], v[21:22], v[35:36]
	v_add_f64 v[36:37], v[23:24], -v[29:30]
	v_add_f64 v[31:32], v[33:34], -v[40:41]
	v_add_f64 v[38:39], v[25:26], v[21:22]
	;; [unrolled: 3-line block ×3, first 2 shown]
	v_cvt_i32_f64_e32 v4, v[38:39]
	v_add_f64 v[29:30], v[29:30], -v[42:43]
	v_cvt_f64_i32_e32 v[36:37], v4
	v_add_f64 v[15:16], v[15:16], v[29:30]
	v_add_f64 v[21:22], v[21:22], -v[36:37]
	v_add_f64 v[15:16], v[17:18], v[15:16]
	v_add_f64 v[17:18], v[25:26], v[21:22]
	;; [unrolled: 1-line block ×3, first 2 shown]
	v_add_f64 v[15:16], v[17:18], -v[21:22]
	v_cmp_le_f64_e32 vcc_lo, 0.5, v[17:18]
	v_add_f64 v[13:14], v[19:20], v[13:14]
	v_add_f64 v[15:16], v[25:26], -v[15:16]
	v_cndmask_b32_e64 v36, 0, 0x3ff00000, vcc_lo
	v_add_co_ci_u32_e64 v4, null, 0, v4, vcc_lo
	v_add_f64 v[13:14], v[13:14], v[15:16]
	v_add_f64 v[15:16], v[17:18], -v[35:36]
	v_add_f64 v[17:18], v[15:16], v[13:14]
	v_mul_f64 v[19:20], v[17:18], s[0:1]
	v_add_f64 v[15:16], v[17:18], -v[15:16]
	v_fma_f64 v[21:22], v[17:18], s[0:1], -v[19:20]
	v_add_f64 v[13:14], v[13:14], -v[15:16]
	v_fma_f64 v[15:16], v[17:18], s[10:11], v[21:22]
	v_fma_f64 v[15:16], v[13:14], s[0:1], v[15:16]
	v_add_f64 v[13:14], v[19:20], v[15:16]
	v_add_f64 v[17:18], v[13:14], -v[19:20]
	v_add_f64 v[15:16], v[15:16], -v[17:18]
.LBB7_101:
	s_andn2_saveexec_b32 s0, s9
	s_cbranch_execz .LBB7_103
; %bb.102:
	s_mov_b32 s10, 0x6dc9c883
	s_mov_b32 s11, 0x3fe45f30
	;; [unrolled: 1-line block ×3, first 2 shown]
	v_mul_f64 v[13:14], |v[9:10]|, s[10:11]
	s_mov_b32 s10, 0x54442d18
	s_mov_b32 s11, 0xbff921fb
	s_mov_b32 s12, 0x33145c00
	v_rndne_f64_e32 v[17:18], v[13:14]
	v_fma_f64 v[13:14], v[17:18], s[10:11], |v[9:10]|
	v_mul_f64 v[15:16], v[17:18], s[12:13]
	s_mov_b32 s10, 0x252049c0
	s_mov_b32 s11, 0xb97b839a
	v_cvt_i32_f64_e32 v4, v[17:18]
	v_fma_f64 v[21:22], v[17:18], s[12:13], v[13:14]
	v_add_f64 v[19:20], v[13:14], v[15:16]
	s_mov_b32 s13, 0x3c91a626
	v_add_f64 v[13:14], v[13:14], -v[19:20]
	v_add_f64 v[19:20], v[19:20], -v[21:22]
	v_add_f64 v[13:14], v[13:14], v[15:16]
	v_fma_f64 v[15:16], v[17:18], s[12:13], v[15:16]
	v_add_f64 v[13:14], v[19:20], v[13:14]
	v_add_f64 v[13:14], v[13:14], -v[15:16]
	v_fma_f64 v[15:16], v[17:18], s[10:11], v[13:14]
	v_add_f64 v[13:14], v[21:22], v[15:16]
	v_add_f64 v[19:20], v[13:14], -v[21:22]
	v_add_f64 v[15:16], v[15:16], -v[19:20]
.LBB7_103:
	s_or_b32 exec_lo, exec_lo, s0
	v_mul_f64 v[17:18], v[13:14], v[13:14]
	v_add_f64 v[19:20], v[15:16], v[15:16]
	s_mov_b32 s10, 0xa9a29f71
	s_mov_b32 s12, 0xc751c08c
	;; [unrolled: 1-line block ×4, first 2 shown]
	v_cmp_class_f64_e64 s0, v[9:10], 0x1f8
	v_and_b32_e32 v4, 1, v4
	v_and_b32_e32 v10, 0x80000000, v10
	v_add_f64 v[11:12], -v[11:12], 1.0
	s_mov_b32 s1, exec_lo
	v_cmp_eq_u32_e32 vcc_lo, 0, v4
	v_fma_f64 v[21:22], v[13:14], v[13:14], -v[17:18]
	v_fma_f64 v[19:20], v[13:14], v[19:20], v[21:22]
	v_add_f64 v[17:18], v[17:18], v[19:20]
	v_fma_f64 v[19:20], v[17:18], s[12:13], s[10:11]
	s_mov_b32 s10, 0x90a8aae0
	s_mov_b32 s11, 0x3f17746f
	v_fma_f64 v[19:20], v[17:18], v[19:20], s[10:11]
	s_mov_b32 s10, 0xa6fbf144
	s_mov_b32 s11, 0xbefbb44d
	;; [unrolled: 3-line block ×13, first 2 shown]
	v_mul_f64 v[17:18], v[17:18], v[19:20]
	v_mul_f64 v[19:20], v[13:14], v[17:18]
	v_add_f64 v[21:22], v[13:14], v[19:20]
	v_fma_f64 v[17:18], v[13:14], v[17:18], -v[19:20]
	v_add_f64 v[13:14], v[21:22], -v[13:14]
	v_add_f64 v[15:16], v[15:16], v[17:18]
	v_add_f64 v[13:14], v[19:20], -v[13:14]
	v_add_f64 v[13:14], v[15:16], v[13:14]
	v_add_f64 v[15:16], v[21:22], v[13:14]
	v_rcp_f64_e32 v[17:18], v[15:16]
	v_fma_f64 v[19:20], -v[15:16], v[17:18], 1.0
	v_fma_f64 v[17:18], v[19:20], v[17:18], v[17:18]
	v_fma_f64 v[19:20], -v[15:16], v[17:18], 1.0
	v_fma_f64 v[17:18], v[19:20], v[17:18], v[17:18]
	v_add_f64 v[19:20], v[15:16], -v[21:22]
	v_mul_f64 v[21:22], v[15:16], v[17:18]
	v_add_f64 v[13:14], v[13:14], -v[19:20]
	v_fma_f64 v[19:20], v[17:18], v[15:16], -v[21:22]
	v_fma_f64 v[13:14], v[17:18], v[13:14], v[19:20]
	v_add_f64 v[19:20], v[21:22], v[13:14]
	v_add_f64 v[23:24], -v[19:20], 1.0
	v_add_f64 v[21:22], v[19:20], -v[21:22]
	v_add_f64 v[25:26], -v[23:24], 1.0
	v_add_f64 v[13:14], v[21:22], -v[13:14]
	v_add_f64 v[19:20], v[25:26], -v[19:20]
	v_add_f64 v[13:14], v[13:14], v[19:20]
	v_add_f64 v[13:14], v[23:24], v[13:14]
	v_mul_f64 v[13:14], v[17:18], v[13:14]
	v_add_f64 v[13:14], v[17:18], v[13:14]
	v_xor_b32_e32 v9, 0x80000000, v14
	v_cndmask_b32_e32 v4, v13, v15, vcc_lo
	v_cndmask_b32_e32 v9, v9, v16, vcc_lo
	v_xor_b32_e32 v10, v9, v10
	v_cndmask_b32_e64 v9, 0, v4, s0
	v_cndmask_b32_e64 v10, 0x7ff80000, v10, s0
	v_div_scale_f64 v[13:14], null, v[9:10], v[9:10], s[10:11]
	v_div_scale_f64 v[19:20], vcc_lo, s[10:11], v[9:10], s[10:11]
	v_rcp_f64_e32 v[15:16], v[13:14]
	v_fma_f64 v[17:18], -v[13:14], v[15:16], 1.0
	v_fma_f64 v[15:16], v[15:16], v[17:18], v[15:16]
	v_fma_f64 v[17:18], -v[13:14], v[15:16], 1.0
	v_fma_f64 v[15:16], v[15:16], v[17:18], v[15:16]
	v_mul_f64 v[17:18], v[19:20], v[15:16]
	v_fma_f64 v[13:14], -v[13:14], v[17:18], v[19:20]
	v_div_fmas_f64 v[13:14], v[13:14], v[15:16], v[17:18]
	v_div_fixup_f64 v[13:14], v[13:14], v[9:10], s[10:11]
.LBB7_104:
	s_or_b32 exec_lo, exec_lo, s8
	s_orn2_b32 s1, s1, exec_lo
.LBB7_105:
	s_or_b32 exec_lo, exec_lo, s3
	v_mov_b32_e32 v9, 0
	v_mov_b32_e32 v10, 0x7ff80000
	s_and_saveexec_b32 s0, s1
	s_cbranch_execz .LBB7_117
; %bb.106:
	s_mov_b32 s1, exec_lo
	v_cmpx_gt_f64_e32 0x40240000, v[11:12]
	s_cbranch_execz .LBB7_110
; %bb.107:
	s_mov_b32 s3, 0
	.p2align	6
.LBB7_108:                              ; =>This Inner Loop Header: Depth=1
	v_div_scale_f64 v[9:10], null, v[11:12], v[11:12], 1.0
	v_div_scale_f64 v[19:20], vcc_lo, 1.0, v[11:12], 1.0
	v_rcp_f64_e32 v[15:16], v[9:10]
	v_fma_f64 v[17:18], -v[9:10], v[15:16], 1.0
	v_fma_f64 v[15:16], v[15:16], v[17:18], v[15:16]
	v_fma_f64 v[17:18], -v[9:10], v[15:16], 1.0
	v_fma_f64 v[15:16], v[15:16], v[17:18], v[15:16]
	v_mul_f64 v[17:18], v[19:20], v[15:16]
	v_fma_f64 v[9:10], -v[9:10], v[17:18], v[19:20]
	v_div_fmas_f64 v[9:10], v[9:10], v[15:16], v[17:18]
	v_div_fixup_f64 v[9:10], v[9:10], v[11:12], 1.0
	v_add_f64 v[11:12], v[11:12], 1.0
	v_add_f64 v[13:14], v[13:14], -v[9:10]
	v_cmp_ngt_f64_e32 vcc_lo, 0x40240000, v[11:12]
	s_or_b32 s3, vcc_lo, s3
	s_andn2_b32 exec_lo, exec_lo, s3
	s_cbranch_execnz .LBB7_108
; %bb.109:
	s_or_b32 exec_lo, exec_lo, s3
.LBB7_110:
	s_or_b32 exec_lo, exec_lo, s1
	s_mov_b32 s1, exec_lo
                                        ; implicit-def: $vgpr9_vgpr10
	v_cmpx_neq_f64_e32 0x40240000, v[11:12]
	s_xor_b32 s1, exec_lo, s1
	s_cbranch_execz .LBB7_114
; %bb.111:
	v_mov_b32_e32 v9, 0
	v_mov_b32_e32 v10, 0
	s_mov_b32 s8, 0x85d8a000
	s_mov_b32 s9, 0x43763457
	s_mov_b32 s3, exec_lo
	v_cmpx_gt_f64_e32 s[8:9], v[11:12]
	s_cbranch_execz .LBB7_113
; %bb.112:
	v_mul_f64 v[9:10], v[11:12], v[11:12]
	s_mov_b32 s8, 0x55555555
	s_mov_b32 s9, 0x3fb55555
	;; [unrolled: 1-line block ×6, first 2 shown]
	v_div_scale_f64 v[15:16], null, v[9:10], v[9:10], 1.0
	v_rcp_f64_e32 v[17:18], v[15:16]
	v_fma_f64 v[19:20], -v[15:16], v[17:18], 1.0
	v_fma_f64 v[17:18], v[17:18], v[19:20], v[17:18]
	v_fma_f64 v[19:20], -v[15:16], v[17:18], 1.0
	v_fma_f64 v[17:18], v[17:18], v[19:20], v[17:18]
	v_div_scale_f64 v[19:20], vcc_lo, 1.0, v[9:10], 1.0
	v_mul_f64 v[21:22], v[19:20], v[17:18]
	v_fma_f64 v[15:16], -v[15:16], v[21:22], v[19:20]
	v_div_fmas_f64 v[15:16], v[15:16], v[17:18], v[21:22]
	v_div_fixup_f64 v[9:10], v[15:16], v[9:10], 1.0
	v_fma_f64 v[15:16], v[9:10], 0, s[8:9]
	v_fma_f64 v[15:16], v[9:10], v[15:16], s[10:11]
	s_mov_b32 s10, 0xf07c1f08
	s_mov_b32 s11, 0x3f7f07c1
	v_fma_f64 v[15:16], v[9:10], v[15:16], s[10:11]
	s_mov_b32 s11, 0xbf711111
	s_mov_b32 s10, 0x11111111
	v_fma_f64 v[15:16], v[9:10], v[15:16], s[10:11]
	s_mov_b32 s11, 0xbf811111
	v_fma_f64 v[15:16], v[9:10], v[15:16], s[12:13]
	v_fma_f64 v[15:16], v[9:10], v[15:16], s[10:11]
	;; [unrolled: 1-line block ×3, first 2 shown]
	v_mul_f64 v[9:10], v[9:10], v[15:16]
.LBB7_113:
	s_or_b32 exec_lo, exec_lo, s3
	v_frexp_mant_f64_e32 v[15:16], v[11:12]
	s_mov_b32 s9, 0x3fe55555
	s_mov_b32 s8, 0x55555555
	;; [unrolled: 1-line block ×6, first 2 shown]
	v_div_scale_f64 v[31:32], null, v[11:12], v[11:12], -0.5
	v_cmp_gt_f64_e32 vcc_lo, s[8:9], v[15:16]
	s_mov_b32 s8, 0x55555780
	v_rcp_f64_e32 v[35:36], v[31:32]
	v_cndmask_b32_e64 v4, 0, 1, vcc_lo
	v_ldexp_f64 v[15:16], v[15:16], v4
	v_frexp_exp_i32_f64_e32 v4, v[11:12]
	v_add_f64 v[17:18], v[15:16], 1.0
	v_add_f64 v[23:24], v[15:16], -1.0
	v_subrev_co_ci_u32_e64 v4, null, 0, v4, vcc_lo
	v_rcp_f64_e32 v[19:20], v[17:18]
	v_add_f64 v[25:26], v[17:18], -1.0
	v_add_f64 v[15:16], v[15:16], -v[25:26]
	v_fma_f64 v[21:22], -v[17:18], v[19:20], 1.0
	v_fma_f64 v[19:20], v[21:22], v[19:20], v[19:20]
	v_fma_f64 v[21:22], -v[17:18], v[19:20], 1.0
	v_fma_f64 v[19:20], v[21:22], v[19:20], v[19:20]
	v_mul_f64 v[21:22], v[23:24], v[19:20]
	v_mul_f64 v[27:28], v[17:18], v[21:22]
	v_fma_f64 v[17:18], v[21:22], v[17:18], -v[27:28]
	v_fma_f64 v[15:16], v[21:22], v[15:16], v[17:18]
	v_add_f64 v[17:18], v[27:28], v[15:16]
	v_add_f64 v[25:26], v[23:24], -v[17:18]
	v_add_f64 v[27:28], v[17:18], -v[27:28]
	;; [unrolled: 1-line block ×5, first 2 shown]
	v_add_f64 v[15:16], v[15:16], v[17:18]
	v_add_f64 v[15:16], v[25:26], v[15:16]
	v_mul_f64 v[15:16], v[19:20], v[15:16]
	v_add_f64 v[17:18], v[21:22], v[15:16]
	v_mul_f64 v[19:20], v[17:18], v[17:18]
	v_fma_f64 v[23:24], v[19:20], s[12:13], s[10:11]
	s_mov_b32 s10, 0xd7f4df2e
	s_mov_b32 s11, 0x3fc7474d
	v_mul_f64 v[25:26], v[17:18], v[19:20]
	v_fma_f64 v[23:24], v[19:20], v[23:24], s[10:11]
	s_mov_b32 s10, 0x16291751
	s_mov_b32 s11, 0x3fcc71c0
	v_fma_f64 v[23:24], v[19:20], v[23:24], s[10:11]
	s_mov_b32 s10, 0x9b27acf1
	s_mov_b32 s11, 0x3fd24924
	;; [unrolled: 3-line block ×3, first 2 shown]
	v_fma_f64 v[23:24], v[19:20], v[23:24], s[10:11]
	v_fma_f64 v[19:20], v[19:20], v[23:24], s[8:9]
	v_ldexp_f64 v[23:24], v[17:18], 1
	v_add_f64 v[17:18], v[17:18], -v[21:22]
	s_mov_b32 s8, 0xfefa39ef
	s_mov_b32 s9, 0x3fe62e42
	v_mul_f64 v[19:20], v[25:26], v[19:20]
	v_cvt_f64_i32_e32 v[25:26], v4
	v_add_f64 v[15:16], v[15:16], -v[17:18]
	v_add_f64 v[21:22], v[23:24], v[19:20]
	v_mul_f64 v[27:28], v[25:26], s[8:9]
	v_ldexp_f64 v[15:16], v[15:16], 1
	v_add_f64 v[17:18], v[21:22], -v[23:24]
	v_fma_f64 v[23:24], v[25:26], s[8:9], -v[27:28]
	s_mov_b32 s8, 0x3b39803f
	s_mov_b32 s9, 0x3c7abc9e
	v_add_f64 v[17:18], v[19:20], -v[17:18]
	v_fma_f64 v[19:20], v[25:26], s[8:9], v[23:24]
	v_add_f64 v[15:16], v[15:16], v[17:18]
	v_add_f64 v[17:18], v[27:28], v[19:20]
	;; [unrolled: 1-line block ×3, first 2 shown]
	v_add_f64 v[27:28], v[17:18], -v[27:28]
	v_add_f64 v[25:26], v[17:18], v[23:24]
	v_add_f64 v[21:22], v[23:24], -v[21:22]
	v_add_f64 v[19:20], v[19:20], -v[27:28]
	;; [unrolled: 1-line block ×6, first 2 shown]
	v_fma_f64 v[23:24], -v[31:32], v[35:36], 1.0
	v_add_f64 v[27:28], v[19:20], v[15:16]
	v_add_f64 v[17:18], v[17:18], -v[33:34]
	v_add_f64 v[17:18], v[21:22], v[17:18]
	v_fma_f64 v[21:22], v[35:36], v[23:24], v[35:36]
	v_add_f64 v[23:24], v[27:28], -v[19:20]
	v_div_scale_f64 v[35:36], vcc_lo, -0.5, v[11:12], -0.5
	v_add_f64 v[17:18], v[27:28], v[17:18]
	v_fma_f64 v[29:30], -v[31:32], v[21:22], 1.0
	v_add_f64 v[27:28], v[27:28], -v[23:24]
	v_add_f64 v[15:16], v[15:16], -v[23:24]
	v_add_f64 v[33:34], v[25:26], v[17:18]
	v_fma_f64 v[21:22], v[21:22], v[29:30], v[21:22]
	v_add_f64 v[19:20], v[19:20], -v[27:28]
	v_add_f64 v[23:24], v[33:34], -v[25:26]
	v_mul_f64 v[25:26], v[35:36], v[21:22]
	v_add_f64 v[15:16], v[15:16], v[19:20]
	v_add_f64 v[17:18], v[17:18], -v[23:24]
	v_fma_f64 v[19:20], -v[31:32], v[25:26], v[35:36]
	v_add_f64 v[15:16], v[15:16], v[17:18]
	v_div_fmas_f64 v[17:18], v[19:20], v[21:22], v[25:26]
	v_cmp_class_f64_e64 vcc_lo, v[11:12], 0x204
	v_add_f64 v[15:16], v[33:34], v[15:16]
	v_div_fixup_f64 v[17:18], v[17:18], v[11:12], -0.5
	v_cndmask_b32_e32 v12, v16, v12, vcc_lo
	v_cndmask_b32_e32 v11, v15, v11, vcc_lo
	v_add_f64 v[11:12], v[11:12], v[17:18]
	v_add_f64 v[9:10], v[11:12], -v[9:10]
	v_add_f64 v[9:10], v[13:14], v[9:10]
                                        ; implicit-def: $vgpr13_vgpr14
.LBB7_114:
	s_andn2_saveexec_b32 s1, s1
; %bb.115:
	s_mov_b32 s8, 0xdc85cc95
	s_mov_b32 s9, 0x40020396
	v_add_f64 v[9:10], v[13:14], s[8:9]
; %bb.116:
	s_or_b32 exec_lo, exec_lo, s1
.LBB7_117:
	s_or_b32 exec_lo, exec_lo, s0
                                        ; implicit-def: $vgpr11_vgpr12
.LBB7_118:
	s_andn2_saveexec_b32 s0, s2
; %bb.119:
	v_xor_b32_e32 v4, 0x80000000, v12
	s_mov_b32 s1, 0x7ff00000
	v_mov_b32_e32 v9, 0
	v_bfi_b32 v10, 0x7fffffff, s1, v4
; %bb.120:
	s_or_b32 exec_lo, exec_lo, s0
	global_load_dwordx2 v[13:14], v8, s[6:7]
                                        ; implicit-def: $vgpr11_vgpr12
	s_mov_b32 s0, exec_lo
	s_waitcnt vmcnt(0)
	v_cmpx_neq_f64_e32 0, v[13:14]
	s_xor_b32 s2, exec_lo, s0
	s_cbranch_execz .LBB7_142
; %bb.121:
	v_mov_b32_e32 v15, 0
	v_mov_b32_e32 v16, 0
	s_mov_b32 s1, -1
	s_mov_b32 s3, exec_lo
	v_cmpx_gt_f64_e32 0, v[13:14]
	s_cbranch_execz .LBB7_129
; %bb.122:
	v_trunc_f64_e32 v[11:12], v[13:14]
	v_mov_b32_e32 v15, 0
	v_mov_b32_e32 v16, 0
	s_mov_b32 s1, 0
	s_mov_b32 s8, exec_lo
	v_cmpx_neq_f64_e32 v[13:14], v[11:12]
	s_cbranch_execz .LBB7_128
; %bb.123:
	v_add_f64 v[11:12], v[13:14], -v[11:12]
	s_mov_b32 s1, 0xc00921fb
	s_mov_b32 s0, 0x54442d18
	v_cmp_neq_f64_e64 vcc_lo, 0x7ff00000, |v[13:14]|
	s_mov_b32 s9, exec_lo
                                        ; implicit-def: $vgpr4
                                        ; implicit-def: $vgpr15_vgpr16
                                        ; implicit-def: $vgpr17_vgpr18
	v_mul_f64 v[11:12], |v[11:12]|, s[0:1]
	v_cndmask_b32_e32 v12, 0x80000000, v12, vcc_lo
	v_cndmask_b32_e32 v11, 0, v11, vcc_lo
	v_cmpx_ngt_f64_e64 0x41d00000, |v[11:12]|
	s_xor_b32 s9, exec_lo, s9
	s_cbranch_execz .LBB7_125
; %bb.124:
	v_ldexp_f64 v[15:16], |v[11:12]|, 0xffffff80
	v_cmp_le_f64_e64 vcc_lo, 0x7b000000, |v[11:12]|
	v_trig_preop_f64 v[17:18], |v[11:12]|, 0
	v_and_b32_e32 v4, 0x7fffffff, v12
	v_trig_preop_f64 v[19:20], |v[11:12]|, 1
	v_trig_preop_f64 v[29:30], |v[11:12]|, 2
	v_mov_b32_e32 v37, 0
	s_mov_b32 s1, 0x3ff921fb
	s_mov_b32 s10, 0x33145c07
	s_mov_b32 s11, 0x3c91a626
	v_cndmask_b32_e32 v16, v4, v16, vcc_lo
	v_cndmask_b32_e32 v15, v11, v15, vcc_lo
	v_mul_f64 v[21:22], v[17:18], v[15:16]
	v_mul_f64 v[23:24], v[19:20], v[15:16]
	;; [unrolled: 1-line block ×3, first 2 shown]
	v_fma_f64 v[17:18], v[17:18], v[15:16], -v[21:22]
	v_fma_f64 v[19:20], v[19:20], v[15:16], -v[23:24]
	;; [unrolled: 1-line block ×3, first 2 shown]
	v_add_f64 v[25:26], v[23:24], v[17:18]
	v_add_f64 v[27:28], v[25:26], -v[23:24]
	v_add_f64 v[33:34], v[21:22], v[25:26]
	v_add_f64 v[31:32], v[25:26], -v[27:28]
	v_add_f64 v[17:18], v[17:18], -v[27:28]
	v_ldexp_f64 v[27:28], v[33:34], -2
	v_add_f64 v[21:22], v[33:34], -v[21:22]
	v_add_f64 v[23:24], v[23:24], -v[31:32]
	v_add_f64 v[31:32], v[35:36], v[19:20]
	v_cmp_neq_f64_e64 vcc_lo, 0x7ff00000, |v[27:28]|
	v_add_f64 v[21:22], v[25:26], -v[21:22]
	v_add_f64 v[17:18], v[17:18], v[23:24]
	v_fract_f64_e32 v[23:24], v[27:28]
	v_add_f64 v[25:26], v[31:32], v[17:18]
	v_ldexp_f64 v[23:24], v[23:24], 2
	v_add_f64 v[27:28], v[21:22], v[25:26]
	v_cndmask_b32_e32 v24, 0, v24, vcc_lo
	v_cndmask_b32_e32 v23, 0, v23, vcc_lo
	v_add_f64 v[33:34], v[27:28], v[23:24]
	v_add_f64 v[21:22], v[27:28], -v[21:22]
	v_cmp_gt_f64_e32 vcc_lo, 0, v[33:34]
	v_add_f64 v[33:34], v[31:32], -v[35:36]
	v_add_f64 v[21:22], v[25:26], -v[21:22]
	v_cndmask_b32_e64 v38, 0, 0x40100000, vcc_lo
	v_add_f64 v[42:43], v[31:32], -v[33:34]
	v_add_f64 v[19:20], v[19:20], -v[33:34]
	v_add_f64 v[23:24], v[23:24], v[37:38]
	v_add_f64 v[38:39], v[25:26], -v[31:32]
	v_add_f64 v[33:34], v[35:36], -v[42:43]
	v_add_f64 v[40:41], v[27:28], v[23:24]
	;; [unrolled: 3-line block ×3, first 2 shown]
	v_cvt_i32_f64_e32 v4, v[40:41]
	v_add_f64 v[31:32], v[31:32], -v[44:45]
	v_cvt_f64_i32_e32 v[38:39], v4
	v_add_f64 v[17:18], v[17:18], v[31:32]
	v_add_f64 v[23:24], v[23:24], -v[38:39]
	v_add_f64 v[17:18], v[19:20], v[17:18]
	v_add_f64 v[19:20], v[27:28], v[23:24]
	;; [unrolled: 1-line block ×3, first 2 shown]
	v_add_f64 v[17:18], v[19:20], -v[23:24]
	v_cmp_le_f64_e32 vcc_lo, 0.5, v[19:20]
	v_add_f64 v[15:16], v[21:22], v[15:16]
	v_add_f64 v[17:18], v[27:28], -v[17:18]
	v_cndmask_b32_e64 v38, 0, 0x3ff00000, vcc_lo
	v_add_co_ci_u32_e64 v4, null, 0, v4, vcc_lo
	v_add_f64 v[15:16], v[15:16], v[17:18]
	v_add_f64 v[17:18], v[19:20], -v[37:38]
	v_add_f64 v[19:20], v[17:18], v[15:16]
	v_mul_f64 v[21:22], v[19:20], s[0:1]
	v_add_f64 v[17:18], v[19:20], -v[17:18]
	v_fma_f64 v[23:24], v[19:20], s[0:1], -v[21:22]
	v_add_f64 v[15:16], v[15:16], -v[17:18]
	v_fma_f64 v[17:18], v[19:20], s[10:11], v[23:24]
	v_fma_f64 v[17:18], v[15:16], s[0:1], v[17:18]
	v_add_f64 v[15:16], v[21:22], v[17:18]
	v_add_f64 v[19:20], v[15:16], -v[21:22]
	v_add_f64 v[17:18], v[17:18], -v[19:20]
.LBB7_125:
	s_andn2_saveexec_b32 s0, s9
	s_cbranch_execz .LBB7_127
; %bb.126:
	s_mov_b32 s10, 0x6dc9c883
	s_mov_b32 s11, 0x3fe45f30
	;; [unrolled: 1-line block ×3, first 2 shown]
	v_mul_f64 v[15:16], |v[11:12]|, s[10:11]
	s_mov_b32 s10, 0x54442d18
	s_mov_b32 s11, 0xbff921fb
	;; [unrolled: 1-line block ×3, first 2 shown]
	v_rndne_f64_e32 v[19:20], v[15:16]
	v_fma_f64 v[15:16], v[19:20], s[10:11], |v[11:12]|
	v_mul_f64 v[17:18], v[19:20], s[12:13]
	s_mov_b32 s10, 0x252049c0
	s_mov_b32 s11, 0xb97b839a
	v_cvt_i32_f64_e32 v4, v[19:20]
	v_fma_f64 v[23:24], v[19:20], s[12:13], v[15:16]
	v_add_f64 v[21:22], v[15:16], v[17:18]
	s_mov_b32 s13, 0x3c91a626
	v_add_f64 v[15:16], v[15:16], -v[21:22]
	v_add_f64 v[21:22], v[21:22], -v[23:24]
	v_add_f64 v[15:16], v[15:16], v[17:18]
	v_fma_f64 v[17:18], v[19:20], s[12:13], v[17:18]
	v_add_f64 v[15:16], v[21:22], v[15:16]
	v_add_f64 v[15:16], v[15:16], -v[17:18]
	v_fma_f64 v[17:18], v[19:20], s[10:11], v[15:16]
	v_add_f64 v[15:16], v[23:24], v[17:18]
	v_add_f64 v[21:22], v[15:16], -v[23:24]
	v_add_f64 v[17:18], v[17:18], -v[21:22]
.LBB7_127:
	s_or_b32 exec_lo, exec_lo, s0
	v_mul_f64 v[19:20], v[15:16], v[15:16]
	v_add_f64 v[21:22], v[17:18], v[17:18]
	s_mov_b32 s10, 0xa9a29f71
	s_mov_b32 s12, 0xc751c08c
	;; [unrolled: 1-line block ×4, first 2 shown]
	v_cmp_class_f64_e64 s0, v[11:12], 0x1f8
	v_and_b32_e32 v4, 1, v4
	v_and_b32_e32 v11, 0x80000000, v12
	v_add_f64 v[13:14], -v[13:14], 1.0
	s_mov_b32 s1, exec_lo
	v_cmp_eq_u32_e32 vcc_lo, 0, v4
	v_fma_f64 v[23:24], v[15:16], v[15:16], -v[19:20]
	v_fma_f64 v[21:22], v[15:16], v[21:22], v[23:24]
	v_add_f64 v[19:20], v[19:20], v[21:22]
	v_fma_f64 v[21:22], v[19:20], s[12:13], s[10:11]
	s_mov_b32 s10, 0x90a8aae0
	s_mov_b32 s11, 0x3f17746f
	v_fma_f64 v[21:22], v[19:20], v[21:22], s[10:11]
	s_mov_b32 s10, 0xa6fbf144
	s_mov_b32 s11, 0xbefbb44d
	;; [unrolled: 3-line block ×13, first 2 shown]
	v_mul_f64 v[19:20], v[19:20], v[21:22]
	v_mul_f64 v[21:22], v[15:16], v[19:20]
	v_add_f64 v[23:24], v[15:16], v[21:22]
	v_fma_f64 v[19:20], v[15:16], v[19:20], -v[21:22]
	v_add_f64 v[15:16], v[23:24], -v[15:16]
	v_add_f64 v[17:18], v[17:18], v[19:20]
	v_add_f64 v[15:16], v[21:22], -v[15:16]
	v_add_f64 v[15:16], v[17:18], v[15:16]
	v_add_f64 v[17:18], v[23:24], v[15:16]
	v_rcp_f64_e32 v[19:20], v[17:18]
	v_fma_f64 v[21:22], -v[17:18], v[19:20], 1.0
	v_fma_f64 v[19:20], v[21:22], v[19:20], v[19:20]
	v_fma_f64 v[21:22], -v[17:18], v[19:20], 1.0
	v_fma_f64 v[19:20], v[21:22], v[19:20], v[19:20]
	v_add_f64 v[21:22], v[17:18], -v[23:24]
	v_mul_f64 v[23:24], v[17:18], v[19:20]
	v_add_f64 v[15:16], v[15:16], -v[21:22]
	v_fma_f64 v[21:22], v[19:20], v[17:18], -v[23:24]
	v_fma_f64 v[15:16], v[19:20], v[15:16], v[21:22]
	v_add_f64 v[21:22], v[23:24], v[15:16]
	v_add_f64 v[25:26], -v[21:22], 1.0
	v_add_f64 v[23:24], v[21:22], -v[23:24]
	v_add_f64 v[27:28], -v[25:26], 1.0
	v_add_f64 v[15:16], v[23:24], -v[15:16]
	v_add_f64 v[21:22], v[27:28], -v[21:22]
	v_add_f64 v[15:16], v[15:16], v[21:22]
	v_add_f64 v[15:16], v[25:26], v[15:16]
	v_mul_f64 v[15:16], v[19:20], v[15:16]
	v_add_f64 v[15:16], v[19:20], v[15:16]
	v_xor_b32_e32 v8, 0x80000000, v16
	v_cndmask_b32_e32 v4, v15, v17, vcc_lo
	v_cndmask_b32_e32 v8, v8, v18, vcc_lo
	v_xor_b32_e32 v8, v8, v11
	v_cndmask_b32_e64 v11, 0, v4, s0
	v_cndmask_b32_e64 v12, 0x7ff80000, v8, s0
	v_div_scale_f64 v[15:16], null, v[11:12], v[11:12], s[10:11]
	v_div_scale_f64 v[21:22], vcc_lo, s[10:11], v[11:12], s[10:11]
	v_rcp_f64_e32 v[17:18], v[15:16]
	v_fma_f64 v[19:20], -v[15:16], v[17:18], 1.0
	v_fma_f64 v[17:18], v[17:18], v[19:20], v[17:18]
	v_fma_f64 v[19:20], -v[15:16], v[17:18], 1.0
	v_fma_f64 v[17:18], v[17:18], v[19:20], v[17:18]
	v_mul_f64 v[19:20], v[21:22], v[17:18]
	v_fma_f64 v[15:16], -v[15:16], v[19:20], v[21:22]
	v_div_fmas_f64 v[15:16], v[15:16], v[17:18], v[19:20]
	v_div_fixup_f64 v[15:16], v[15:16], v[11:12], s[10:11]
.LBB7_128:
	s_or_b32 exec_lo, exec_lo, s8
	s_orn2_b32 s1, s1, exec_lo
.LBB7_129:
	s_or_b32 exec_lo, exec_lo, s3
	v_mov_b32_e32 v11, 0
	v_mov_b32_e32 v12, 0x7ff80000
	s_and_saveexec_b32 s0, s1
	s_cbranch_execz .LBB7_141
; %bb.130:
	s_mov_b32 s1, exec_lo
	v_cmpx_gt_f64_e32 0x40240000, v[13:14]
	s_cbranch_execz .LBB7_134
; %bb.131:
	s_mov_b32 s3, 0
	.p2align	6
.LBB7_132:                              ; =>This Inner Loop Header: Depth=1
	v_div_scale_f64 v[11:12], null, v[13:14], v[13:14], 1.0
	v_div_scale_f64 v[21:22], vcc_lo, 1.0, v[13:14], 1.0
	v_rcp_f64_e32 v[17:18], v[11:12]
	v_fma_f64 v[19:20], -v[11:12], v[17:18], 1.0
	v_fma_f64 v[17:18], v[17:18], v[19:20], v[17:18]
	v_fma_f64 v[19:20], -v[11:12], v[17:18], 1.0
	v_fma_f64 v[17:18], v[17:18], v[19:20], v[17:18]
	v_mul_f64 v[19:20], v[21:22], v[17:18]
	v_fma_f64 v[11:12], -v[11:12], v[19:20], v[21:22]
	v_div_fmas_f64 v[11:12], v[11:12], v[17:18], v[19:20]
	v_div_fixup_f64 v[11:12], v[11:12], v[13:14], 1.0
	v_add_f64 v[13:14], v[13:14], 1.0
	v_add_f64 v[15:16], v[15:16], -v[11:12]
	v_cmp_ngt_f64_e32 vcc_lo, 0x40240000, v[13:14]
	s_or_b32 s3, vcc_lo, s3
	s_andn2_b32 exec_lo, exec_lo, s3
	s_cbranch_execnz .LBB7_132
; %bb.133:
	s_or_b32 exec_lo, exec_lo, s3
.LBB7_134:
	s_or_b32 exec_lo, exec_lo, s1
	s_mov_b32 s1, exec_lo
                                        ; implicit-def: $vgpr11_vgpr12
	v_cmpx_neq_f64_e32 0x40240000, v[13:14]
	s_xor_b32 s1, exec_lo, s1
	s_cbranch_execz .LBB7_138
; %bb.135:
	v_mov_b32_e32 v11, 0
	v_mov_b32_e32 v12, 0
	s_mov_b32 s8, 0x85d8a000
	s_mov_b32 s9, 0x43763457
	s_mov_b32 s3, exec_lo
	v_cmpx_gt_f64_e32 s[8:9], v[13:14]
	s_cbranch_execz .LBB7_137
; %bb.136:
	v_mul_f64 v[11:12], v[13:14], v[13:14]
	s_mov_b32 s8, 0x55555555
	s_mov_b32 s9, 0x3fb55555
	s_mov_b32 s10, 0x95995996
	s_mov_b32 s11, 0xbf959959
	s_mov_b32 s12, 0x10410410
	s_mov_b32 s13, 0x3f704104
	v_div_scale_f64 v[17:18], null, v[11:12], v[11:12], 1.0
	v_rcp_f64_e32 v[19:20], v[17:18]
	v_fma_f64 v[21:22], -v[17:18], v[19:20], 1.0
	v_fma_f64 v[19:20], v[19:20], v[21:22], v[19:20]
	v_fma_f64 v[21:22], -v[17:18], v[19:20], 1.0
	v_fma_f64 v[19:20], v[19:20], v[21:22], v[19:20]
	v_div_scale_f64 v[21:22], vcc_lo, 1.0, v[11:12], 1.0
	v_mul_f64 v[23:24], v[21:22], v[19:20]
	v_fma_f64 v[17:18], -v[17:18], v[23:24], v[21:22]
	v_div_fmas_f64 v[17:18], v[17:18], v[19:20], v[23:24]
	v_div_fixup_f64 v[11:12], v[17:18], v[11:12], 1.0
	v_fma_f64 v[17:18], v[11:12], 0, s[8:9]
	v_fma_f64 v[17:18], v[11:12], v[17:18], s[10:11]
	s_mov_b32 s10, 0xf07c1f08
	s_mov_b32 s11, 0x3f7f07c1
	v_fma_f64 v[17:18], v[11:12], v[17:18], s[10:11]
	s_mov_b32 s11, 0xbf711111
	s_mov_b32 s10, 0x11111111
	v_fma_f64 v[17:18], v[11:12], v[17:18], s[10:11]
	s_mov_b32 s11, 0xbf811111
	v_fma_f64 v[17:18], v[11:12], v[17:18], s[12:13]
	v_fma_f64 v[17:18], v[11:12], v[17:18], s[10:11]
	;; [unrolled: 1-line block ×3, first 2 shown]
	v_mul_f64 v[11:12], v[11:12], v[17:18]
.LBB7_137:
	s_or_b32 exec_lo, exec_lo, s3
	v_frexp_mant_f64_e32 v[17:18], v[13:14]
	s_mov_b32 s9, 0x3fe55555
	s_mov_b32 s8, 0x55555555
	;; [unrolled: 1-line block ×6, first 2 shown]
	v_div_scale_f64 v[33:34], null, v[13:14], v[13:14], -0.5
	v_cmp_gt_f64_e32 vcc_lo, s[8:9], v[17:18]
	s_mov_b32 s8, 0x55555780
	v_rcp_f64_e32 v[37:38], v[33:34]
	v_cndmask_b32_e64 v4, 0, 1, vcc_lo
	v_ldexp_f64 v[17:18], v[17:18], v4
	v_frexp_exp_i32_f64_e32 v4, v[13:14]
	v_add_f64 v[19:20], v[17:18], 1.0
	v_add_f64 v[25:26], v[17:18], -1.0
	v_subrev_co_ci_u32_e64 v4, null, 0, v4, vcc_lo
	v_rcp_f64_e32 v[21:22], v[19:20]
	v_add_f64 v[27:28], v[19:20], -1.0
	v_add_f64 v[17:18], v[17:18], -v[27:28]
	v_fma_f64 v[23:24], -v[19:20], v[21:22], 1.0
	v_fma_f64 v[21:22], v[23:24], v[21:22], v[21:22]
	v_fma_f64 v[23:24], -v[19:20], v[21:22], 1.0
	v_fma_f64 v[21:22], v[23:24], v[21:22], v[21:22]
	v_mul_f64 v[23:24], v[25:26], v[21:22]
	v_mul_f64 v[29:30], v[19:20], v[23:24]
	v_fma_f64 v[19:20], v[23:24], v[19:20], -v[29:30]
	v_fma_f64 v[17:18], v[23:24], v[17:18], v[19:20]
	v_add_f64 v[19:20], v[29:30], v[17:18]
	v_add_f64 v[27:28], v[25:26], -v[19:20]
	v_add_f64 v[29:30], v[19:20], -v[29:30]
	;; [unrolled: 1-line block ×5, first 2 shown]
	v_add_f64 v[17:18], v[17:18], v[19:20]
	v_add_f64 v[17:18], v[27:28], v[17:18]
	v_mul_f64 v[17:18], v[21:22], v[17:18]
	v_add_f64 v[19:20], v[23:24], v[17:18]
	v_mul_f64 v[21:22], v[19:20], v[19:20]
	v_fma_f64 v[25:26], v[21:22], s[12:13], s[10:11]
	s_mov_b32 s10, 0xd7f4df2e
	s_mov_b32 s11, 0x3fc7474d
	v_mul_f64 v[27:28], v[19:20], v[21:22]
	v_fma_f64 v[25:26], v[21:22], v[25:26], s[10:11]
	s_mov_b32 s10, 0x16291751
	s_mov_b32 s11, 0x3fcc71c0
	v_fma_f64 v[25:26], v[21:22], v[25:26], s[10:11]
	s_mov_b32 s10, 0x9b27acf1
	s_mov_b32 s11, 0x3fd24924
	v_fma_f64 v[25:26], v[21:22], v[25:26], s[10:11]
	s_mov_b32 s10, 0x998ef7b6
	s_mov_b32 s11, 0x3fd99999
	v_fma_f64 v[25:26], v[21:22], v[25:26], s[10:11]
	v_fma_f64 v[21:22], v[21:22], v[25:26], s[8:9]
	v_ldexp_f64 v[25:26], v[19:20], 1
	v_add_f64 v[19:20], v[19:20], -v[23:24]
	s_mov_b32 s8, 0xfefa39ef
	s_mov_b32 s9, 0x3fe62e42
	v_mul_f64 v[21:22], v[27:28], v[21:22]
	v_cvt_f64_i32_e32 v[27:28], v4
	v_add_f64 v[17:18], v[17:18], -v[19:20]
	v_add_f64 v[23:24], v[25:26], v[21:22]
	v_mul_f64 v[29:30], v[27:28], s[8:9]
	v_ldexp_f64 v[17:18], v[17:18], 1
	v_add_f64 v[19:20], v[23:24], -v[25:26]
	v_fma_f64 v[25:26], v[27:28], s[8:9], -v[29:30]
	s_mov_b32 s8, 0x3b39803f
	s_mov_b32 s9, 0x3c7abc9e
	v_add_f64 v[19:20], v[21:22], -v[19:20]
	v_fma_f64 v[21:22], v[27:28], s[8:9], v[25:26]
	v_add_f64 v[17:18], v[17:18], v[19:20]
	v_add_f64 v[19:20], v[29:30], v[21:22]
	;; [unrolled: 1-line block ×3, first 2 shown]
	v_add_f64 v[29:30], v[19:20], -v[29:30]
	v_add_f64 v[27:28], v[19:20], v[25:26]
	v_add_f64 v[23:24], v[25:26], -v[23:24]
	v_add_f64 v[21:22], v[21:22], -v[29:30]
	;; [unrolled: 1-line block ×6, first 2 shown]
	v_fma_f64 v[25:26], -v[33:34], v[37:38], 1.0
	v_add_f64 v[29:30], v[21:22], v[17:18]
	v_add_f64 v[19:20], v[19:20], -v[35:36]
	v_add_f64 v[19:20], v[23:24], v[19:20]
	v_fma_f64 v[23:24], v[37:38], v[25:26], v[37:38]
	v_add_f64 v[25:26], v[29:30], -v[21:22]
	v_div_scale_f64 v[37:38], vcc_lo, -0.5, v[13:14], -0.5
	v_add_f64 v[19:20], v[29:30], v[19:20]
	v_fma_f64 v[31:32], -v[33:34], v[23:24], 1.0
	v_add_f64 v[29:30], v[29:30], -v[25:26]
	v_add_f64 v[17:18], v[17:18], -v[25:26]
	v_add_f64 v[35:36], v[27:28], v[19:20]
	v_fma_f64 v[23:24], v[23:24], v[31:32], v[23:24]
	v_add_f64 v[21:22], v[21:22], -v[29:30]
	v_add_f64 v[25:26], v[35:36], -v[27:28]
	v_mul_f64 v[27:28], v[37:38], v[23:24]
	v_add_f64 v[17:18], v[17:18], v[21:22]
	v_add_f64 v[19:20], v[19:20], -v[25:26]
	v_fma_f64 v[21:22], -v[33:34], v[27:28], v[37:38]
	v_add_f64 v[17:18], v[17:18], v[19:20]
	v_div_fmas_f64 v[19:20], v[21:22], v[23:24], v[27:28]
	v_cmp_class_f64_e64 vcc_lo, v[13:14], 0x204
	v_add_f64 v[17:18], v[35:36], v[17:18]
	v_div_fixup_f64 v[19:20], v[19:20], v[13:14], -0.5
	v_cndmask_b32_e32 v14, v18, v14, vcc_lo
	v_cndmask_b32_e32 v13, v17, v13, vcc_lo
	v_add_f64 v[13:14], v[13:14], v[19:20]
	v_add_f64 v[11:12], v[13:14], -v[11:12]
	v_add_f64 v[11:12], v[15:16], v[11:12]
                                        ; implicit-def: $vgpr15_vgpr16
.LBB7_138:
	s_andn2_saveexec_b32 s1, s1
; %bb.139:
	s_mov_b32 s8, 0xdc85cc95
	s_mov_b32 s9, 0x40020396
	v_add_f64 v[11:12], v[15:16], s[8:9]
; %bb.140:
	s_or_b32 exec_lo, exec_lo, s1
.LBB7_141:
	s_or_b32 exec_lo, exec_lo, s0
                                        ; implicit-def: $vgpr13_vgpr14
.LBB7_142:
	s_andn2_saveexec_b32 s0, s2
; %bb.143:
	v_xor_b32_e32 v4, 0x80000000, v14
	s_mov_b32 s1, 0x7ff00000
	v_mov_b32_e32 v11, 0
	v_bfi_b32 v12, 0x7fffffff, s1, v4
; %bb.144:
	s_or_b32 exec_lo, exec_lo, s0
	global_load_dwordx2 v[4:5], v5, s[6:7]
                                        ; implicit-def: $vgpr15_vgpr16
	s_mov_b32 s0, exec_lo
	s_waitcnt vmcnt(0)
	v_cmpx_neq_f64_e32 0, v[4:5]
	s_xor_b32 s2, exec_lo, s0
	s_cbranch_execz .LBB7_166
; %bb.145:
	v_mov_b32_e32 v13, 0
	v_mov_b32_e32 v14, 0
	s_mov_b32 s1, -1
	s_mov_b32 s3, exec_lo
	v_cmpx_gt_f64_e32 0, v[4:5]
	s_cbranch_execz .LBB7_153
; %bb.146:
	v_trunc_f64_e32 v[15:16], v[4:5]
	v_mov_b32_e32 v13, 0
	v_mov_b32_e32 v14, 0
	s_mov_b32 s1, 0
	s_mov_b32 s6, exec_lo
	v_cmpx_neq_f64_e32 v[4:5], v[15:16]
	s_cbranch_execz .LBB7_152
; %bb.147:
	v_add_f64 v[13:14], v[4:5], -v[15:16]
	s_mov_b32 s1, 0xc00921fb
	s_mov_b32 s0, 0x54442d18
	v_cmp_neq_f64_e64 vcc_lo, 0x7ff00000, |v[4:5]|
	s_mov_b32 s7, exec_lo
                                        ; implicit-def: $vgpr8
                                        ; implicit-def: $vgpr15_vgpr16
                                        ; implicit-def: $vgpr17_vgpr18
	v_mul_f64 v[13:14], |v[13:14]|, s[0:1]
	v_cndmask_b32_e32 v14, 0x80000000, v14, vcc_lo
	v_cndmask_b32_e32 v13, 0, v13, vcc_lo
	v_cmpx_ngt_f64_e64 0x41d00000, |v[13:14]|
	s_xor_b32 s7, exec_lo, s7
	s_cbranch_execz .LBB7_149
; %bb.148:
	v_ldexp_f64 v[15:16], |v[13:14]|, 0xffffff80
	v_cmp_le_f64_e64 vcc_lo, 0x7b000000, |v[13:14]|
	v_trig_preop_f64 v[17:18], |v[13:14]|, 0
	v_and_b32_e32 v8, 0x7fffffff, v14
	v_trig_preop_f64 v[19:20], |v[13:14]|, 1
	v_trig_preop_f64 v[29:30], |v[13:14]|, 2
	v_mov_b32_e32 v37, 0
	s_mov_b32 s1, 0x3ff921fb
	s_mov_b32 s8, 0x33145c07
	;; [unrolled: 1-line block ×3, first 2 shown]
	v_cndmask_b32_e32 v16, v8, v16, vcc_lo
	v_cndmask_b32_e32 v15, v13, v15, vcc_lo
	v_mul_f64 v[21:22], v[17:18], v[15:16]
	v_mul_f64 v[23:24], v[19:20], v[15:16]
	;; [unrolled: 1-line block ×3, first 2 shown]
	v_fma_f64 v[17:18], v[17:18], v[15:16], -v[21:22]
	v_fma_f64 v[19:20], v[19:20], v[15:16], -v[23:24]
	;; [unrolled: 1-line block ×3, first 2 shown]
	v_add_f64 v[25:26], v[23:24], v[17:18]
	v_add_f64 v[27:28], v[25:26], -v[23:24]
	v_add_f64 v[33:34], v[21:22], v[25:26]
	v_add_f64 v[31:32], v[25:26], -v[27:28]
	v_add_f64 v[17:18], v[17:18], -v[27:28]
	v_ldexp_f64 v[27:28], v[33:34], -2
	v_add_f64 v[21:22], v[33:34], -v[21:22]
	v_add_f64 v[23:24], v[23:24], -v[31:32]
	v_add_f64 v[31:32], v[35:36], v[19:20]
	v_cmp_neq_f64_e64 vcc_lo, 0x7ff00000, |v[27:28]|
	v_add_f64 v[21:22], v[25:26], -v[21:22]
	v_add_f64 v[17:18], v[17:18], v[23:24]
	v_fract_f64_e32 v[23:24], v[27:28]
	v_add_f64 v[25:26], v[31:32], v[17:18]
	v_ldexp_f64 v[23:24], v[23:24], 2
	v_add_f64 v[27:28], v[21:22], v[25:26]
	v_cndmask_b32_e32 v24, 0, v24, vcc_lo
	v_cndmask_b32_e32 v23, 0, v23, vcc_lo
	v_add_f64 v[33:34], v[27:28], v[23:24]
	v_add_f64 v[21:22], v[27:28], -v[21:22]
	v_cmp_gt_f64_e32 vcc_lo, 0, v[33:34]
	v_add_f64 v[33:34], v[31:32], -v[35:36]
	v_add_f64 v[21:22], v[25:26], -v[21:22]
	v_cndmask_b32_e64 v38, 0, 0x40100000, vcc_lo
	v_add_f64 v[42:43], v[31:32], -v[33:34]
	v_add_f64 v[19:20], v[19:20], -v[33:34]
	v_add_f64 v[23:24], v[23:24], v[37:38]
	v_add_f64 v[38:39], v[25:26], -v[31:32]
	v_add_f64 v[33:34], v[35:36], -v[42:43]
	v_add_f64 v[40:41], v[27:28], v[23:24]
	v_add_f64 v[44:45], v[25:26], -v[38:39]
	v_add_f64 v[17:18], v[17:18], -v[38:39]
	v_add_f64 v[19:20], v[19:20], v[33:34]
	v_cvt_i32_f64_e32 v8, v[40:41]
	v_add_f64 v[31:32], v[31:32], -v[44:45]
	v_cvt_f64_i32_e32 v[38:39], v8
	v_add_f64 v[17:18], v[17:18], v[31:32]
	v_add_f64 v[23:24], v[23:24], -v[38:39]
	v_add_f64 v[17:18], v[19:20], v[17:18]
	v_add_f64 v[19:20], v[27:28], v[23:24]
	;; [unrolled: 1-line block ×3, first 2 shown]
	v_add_f64 v[17:18], v[19:20], -v[23:24]
	v_cmp_le_f64_e32 vcc_lo, 0.5, v[19:20]
	v_add_f64 v[15:16], v[21:22], v[15:16]
	v_add_f64 v[17:18], v[27:28], -v[17:18]
	v_cndmask_b32_e64 v38, 0, 0x3ff00000, vcc_lo
	v_add_co_ci_u32_e64 v8, null, 0, v8, vcc_lo
	v_add_f64 v[15:16], v[15:16], v[17:18]
	v_add_f64 v[17:18], v[19:20], -v[37:38]
	v_add_f64 v[19:20], v[17:18], v[15:16]
	v_mul_f64 v[21:22], v[19:20], s[0:1]
	v_add_f64 v[17:18], v[19:20], -v[17:18]
	v_fma_f64 v[23:24], v[19:20], s[0:1], -v[21:22]
	v_add_f64 v[15:16], v[15:16], -v[17:18]
	v_fma_f64 v[17:18], v[19:20], s[8:9], v[23:24]
	v_fma_f64 v[17:18], v[15:16], s[0:1], v[17:18]
	v_add_f64 v[15:16], v[21:22], v[17:18]
	v_add_f64 v[19:20], v[15:16], -v[21:22]
	v_add_f64 v[17:18], v[17:18], -v[19:20]
.LBB7_149:
	s_andn2_saveexec_b32 s0, s7
	s_cbranch_execz .LBB7_151
; %bb.150:
	s_mov_b32 s8, 0x6dc9c883
	s_mov_b32 s9, 0x3fe45f30
	s_mov_b32 s11, 0xbc91a626
	v_mul_f64 v[15:16], |v[13:14]|, s[8:9]
	s_mov_b32 s8, 0x54442d18
	s_mov_b32 s9, 0xbff921fb
	;; [unrolled: 1-line block ×3, first 2 shown]
	v_rndne_f64_e32 v[19:20], v[15:16]
	v_fma_f64 v[15:16], v[19:20], s[8:9], |v[13:14]|
	v_mul_f64 v[17:18], v[19:20], s[10:11]
	s_mov_b32 s8, 0x252049c0
	s_mov_b32 s9, 0xb97b839a
	v_cvt_i32_f64_e32 v8, v[19:20]
	v_fma_f64 v[23:24], v[19:20], s[10:11], v[15:16]
	v_add_f64 v[21:22], v[15:16], v[17:18]
	s_mov_b32 s11, 0x3c91a626
	v_add_f64 v[15:16], v[15:16], -v[21:22]
	v_add_f64 v[21:22], v[21:22], -v[23:24]
	v_add_f64 v[15:16], v[15:16], v[17:18]
	v_fma_f64 v[17:18], v[19:20], s[10:11], v[17:18]
	v_add_f64 v[15:16], v[21:22], v[15:16]
	v_add_f64 v[15:16], v[15:16], -v[17:18]
	v_fma_f64 v[17:18], v[19:20], s[8:9], v[15:16]
	v_add_f64 v[15:16], v[23:24], v[17:18]
	v_add_f64 v[21:22], v[15:16], -v[23:24]
	v_add_f64 v[17:18], v[17:18], -v[21:22]
.LBB7_151:
	s_or_b32 exec_lo, exec_lo, s0
	v_mul_f64 v[19:20], v[15:16], v[15:16]
	v_add_f64 v[21:22], v[17:18], v[17:18]
	s_mov_b32 s8, 0xa9a29f71
	s_mov_b32 s10, 0xc751c08c
	s_mov_b32 s9, 0xbf078809
	s_mov_b32 s11, 0x3ef5e089
	v_cmp_class_f64_e64 s0, v[13:14], 0x1f8
	v_and_b32_e32 v8, 1, v8
	v_and_b32_e32 v14, 0x80000000, v14
	v_add_f64 v[4:5], -v[4:5], 1.0
	s_mov_b32 s1, exec_lo
	v_cmp_eq_u32_e32 vcc_lo, 0, v8
	v_fma_f64 v[23:24], v[15:16], v[15:16], -v[19:20]
	v_fma_f64 v[21:22], v[15:16], v[21:22], v[23:24]
	v_add_f64 v[19:20], v[19:20], v[21:22]
	v_fma_f64 v[21:22], v[19:20], s[10:11], s[8:9]
	s_mov_b32 s8, 0x90a8aae0
	s_mov_b32 s9, 0x3f17746f
	v_fma_f64 v[21:22], v[19:20], v[21:22], s[8:9]
	s_mov_b32 s8, 0xa6fbf144
	s_mov_b32 s9, 0xbefbb44d
	;; [unrolled: 3-line block ×13, first 2 shown]
	v_mul_f64 v[19:20], v[19:20], v[21:22]
	v_mul_f64 v[21:22], v[15:16], v[19:20]
	v_add_f64 v[23:24], v[15:16], v[21:22]
	v_fma_f64 v[19:20], v[15:16], v[19:20], -v[21:22]
	v_add_f64 v[15:16], v[23:24], -v[15:16]
	v_add_f64 v[17:18], v[17:18], v[19:20]
	v_add_f64 v[15:16], v[21:22], -v[15:16]
	v_add_f64 v[15:16], v[17:18], v[15:16]
	v_add_f64 v[17:18], v[23:24], v[15:16]
	v_rcp_f64_e32 v[19:20], v[17:18]
	v_fma_f64 v[21:22], -v[17:18], v[19:20], 1.0
	v_fma_f64 v[19:20], v[21:22], v[19:20], v[19:20]
	v_fma_f64 v[21:22], -v[17:18], v[19:20], 1.0
	v_fma_f64 v[19:20], v[21:22], v[19:20], v[19:20]
	v_add_f64 v[21:22], v[17:18], -v[23:24]
	v_mul_f64 v[23:24], v[17:18], v[19:20]
	v_add_f64 v[15:16], v[15:16], -v[21:22]
	v_fma_f64 v[21:22], v[19:20], v[17:18], -v[23:24]
	v_fma_f64 v[15:16], v[19:20], v[15:16], v[21:22]
	v_add_f64 v[21:22], v[23:24], v[15:16]
	v_add_f64 v[25:26], -v[21:22], 1.0
	v_add_f64 v[23:24], v[21:22], -v[23:24]
	v_add_f64 v[27:28], -v[25:26], 1.0
	v_add_f64 v[15:16], v[23:24], -v[15:16]
	v_add_f64 v[21:22], v[27:28], -v[21:22]
	v_add_f64 v[15:16], v[15:16], v[21:22]
	v_add_f64 v[15:16], v[25:26], v[15:16]
	v_mul_f64 v[15:16], v[19:20], v[15:16]
	v_add_f64 v[15:16], v[19:20], v[15:16]
	v_xor_b32_e32 v13, 0x80000000, v16
	v_cndmask_b32_e32 v8, v15, v17, vcc_lo
	v_cndmask_b32_e32 v13, v13, v18, vcc_lo
	v_xor_b32_e32 v14, v13, v14
	v_cndmask_b32_e64 v13, 0, v8, s0
	v_cndmask_b32_e64 v14, 0x7ff80000, v14, s0
	v_div_scale_f64 v[15:16], null, v[13:14], v[13:14], s[8:9]
	v_div_scale_f64 v[21:22], vcc_lo, s[8:9], v[13:14], s[8:9]
	v_rcp_f64_e32 v[17:18], v[15:16]
	v_fma_f64 v[19:20], -v[15:16], v[17:18], 1.0
	v_fma_f64 v[17:18], v[17:18], v[19:20], v[17:18]
	v_fma_f64 v[19:20], -v[15:16], v[17:18], 1.0
	v_fma_f64 v[17:18], v[17:18], v[19:20], v[17:18]
	v_mul_f64 v[19:20], v[21:22], v[17:18]
	v_fma_f64 v[15:16], -v[15:16], v[19:20], v[21:22]
	v_div_fmas_f64 v[15:16], v[15:16], v[17:18], v[19:20]
	v_div_fixup_f64 v[13:14], v[15:16], v[13:14], s[8:9]
.LBB7_152:
	s_or_b32 exec_lo, exec_lo, s6
	s_orn2_b32 s1, s1, exec_lo
.LBB7_153:
	s_or_b32 exec_lo, exec_lo, s3
	v_mov_b32_e32 v15, 0
	v_mov_b32_e32 v16, 0x7ff80000
	s_and_saveexec_b32 s0, s1
	s_cbranch_execz .LBB7_165
; %bb.154:
	s_mov_b32 s1, exec_lo
	v_cmpx_gt_f64_e32 0x40240000, v[4:5]
	s_cbranch_execz .LBB7_158
; %bb.155:
	s_mov_b32 s3, 0
	.p2align	6
.LBB7_156:                              ; =>This Inner Loop Header: Depth=1
	v_div_scale_f64 v[15:16], null, v[4:5], v[4:5], 1.0
	v_div_scale_f64 v[21:22], vcc_lo, 1.0, v[4:5], 1.0
	v_rcp_f64_e32 v[17:18], v[15:16]
	v_fma_f64 v[19:20], -v[15:16], v[17:18], 1.0
	v_fma_f64 v[17:18], v[17:18], v[19:20], v[17:18]
	v_fma_f64 v[19:20], -v[15:16], v[17:18], 1.0
	v_fma_f64 v[17:18], v[17:18], v[19:20], v[17:18]
	v_mul_f64 v[19:20], v[21:22], v[17:18]
	v_fma_f64 v[15:16], -v[15:16], v[19:20], v[21:22]
	v_div_fmas_f64 v[15:16], v[15:16], v[17:18], v[19:20]
	v_div_fixup_f64 v[15:16], v[15:16], v[4:5], 1.0
	v_add_f64 v[4:5], v[4:5], 1.0
	v_add_f64 v[13:14], v[13:14], -v[15:16]
	v_cmp_ngt_f64_e32 vcc_lo, 0x40240000, v[4:5]
	s_or_b32 s3, vcc_lo, s3
	s_andn2_b32 exec_lo, exec_lo, s3
	s_cbranch_execnz .LBB7_156
; %bb.157:
	s_or_b32 exec_lo, exec_lo, s3
.LBB7_158:
	s_or_b32 exec_lo, exec_lo, s1
	s_mov_b32 s1, exec_lo
                                        ; implicit-def: $vgpr15_vgpr16
	v_cmpx_neq_f64_e32 0x40240000, v[4:5]
	s_xor_b32 s1, exec_lo, s1
	s_cbranch_execz .LBB7_162
; %bb.159:
	v_mov_b32_e32 v15, 0
	v_mov_b32_e32 v16, 0
	s_mov_b32 s6, 0x85d8a000
	s_mov_b32 s7, 0x43763457
	s_mov_b32 s3, exec_lo
	v_cmpx_gt_f64_e32 s[6:7], v[4:5]
	s_cbranch_execz .LBB7_161
; %bb.160:
	v_mul_f64 v[15:16], v[4:5], v[4:5]
	s_mov_b32 s6, 0x55555555
	s_mov_b32 s7, 0x3fb55555
	;; [unrolled: 1-line block ×6, first 2 shown]
	v_div_scale_f64 v[17:18], null, v[15:16], v[15:16], 1.0
	v_rcp_f64_e32 v[19:20], v[17:18]
	v_fma_f64 v[21:22], -v[17:18], v[19:20], 1.0
	v_fma_f64 v[19:20], v[19:20], v[21:22], v[19:20]
	v_fma_f64 v[21:22], -v[17:18], v[19:20], 1.0
	v_fma_f64 v[19:20], v[19:20], v[21:22], v[19:20]
	v_div_scale_f64 v[21:22], vcc_lo, 1.0, v[15:16], 1.0
	v_mul_f64 v[23:24], v[21:22], v[19:20]
	v_fma_f64 v[17:18], -v[17:18], v[23:24], v[21:22]
	v_div_fmas_f64 v[17:18], v[17:18], v[19:20], v[23:24]
	v_div_fixup_f64 v[15:16], v[17:18], v[15:16], 1.0
	v_fma_f64 v[17:18], v[15:16], 0, s[6:7]
	v_fma_f64 v[17:18], v[15:16], v[17:18], s[8:9]
	s_mov_b32 s8, 0xf07c1f08
	s_mov_b32 s9, 0x3f7f07c1
	v_fma_f64 v[17:18], v[15:16], v[17:18], s[8:9]
	s_mov_b32 s9, 0xbf711111
	s_mov_b32 s8, 0x11111111
	v_fma_f64 v[17:18], v[15:16], v[17:18], s[8:9]
	s_mov_b32 s9, 0xbf811111
	v_fma_f64 v[17:18], v[15:16], v[17:18], s[10:11]
	v_fma_f64 v[17:18], v[15:16], v[17:18], s[8:9]
	;; [unrolled: 1-line block ×3, first 2 shown]
	v_mul_f64 v[15:16], v[15:16], v[17:18]
.LBB7_161:
	s_or_b32 exec_lo, exec_lo, s3
	v_frexp_mant_f64_e32 v[17:18], v[4:5]
	s_mov_b32 s7, 0x3fe55555
	s_mov_b32 s6, 0x55555555
	;; [unrolled: 1-line block ×6, first 2 shown]
	v_div_scale_f64 v[33:34], null, v[4:5], v[4:5], -0.5
	v_cmp_gt_f64_e32 vcc_lo, s[6:7], v[17:18]
	s_mov_b32 s6, 0x55555780
	v_rcp_f64_e32 v[37:38], v[33:34]
	v_cndmask_b32_e64 v8, 0, 1, vcc_lo
	v_ldexp_f64 v[17:18], v[17:18], v8
	v_frexp_exp_i32_f64_e32 v8, v[4:5]
	v_add_f64 v[19:20], v[17:18], 1.0
	v_add_f64 v[25:26], v[17:18], -1.0
	v_subrev_co_ci_u32_e64 v8, null, 0, v8, vcc_lo
	v_rcp_f64_e32 v[21:22], v[19:20]
	v_add_f64 v[27:28], v[19:20], -1.0
	v_add_f64 v[17:18], v[17:18], -v[27:28]
	v_fma_f64 v[23:24], -v[19:20], v[21:22], 1.0
	v_fma_f64 v[21:22], v[23:24], v[21:22], v[21:22]
	v_fma_f64 v[23:24], -v[19:20], v[21:22], 1.0
	v_fma_f64 v[21:22], v[23:24], v[21:22], v[21:22]
	v_mul_f64 v[23:24], v[25:26], v[21:22]
	v_mul_f64 v[29:30], v[19:20], v[23:24]
	v_fma_f64 v[19:20], v[23:24], v[19:20], -v[29:30]
	v_fma_f64 v[17:18], v[23:24], v[17:18], v[19:20]
	v_add_f64 v[19:20], v[29:30], v[17:18]
	v_add_f64 v[27:28], v[25:26], -v[19:20]
	v_add_f64 v[29:30], v[19:20], -v[29:30]
	;; [unrolled: 1-line block ×5, first 2 shown]
	v_add_f64 v[17:18], v[17:18], v[19:20]
	v_add_f64 v[17:18], v[27:28], v[17:18]
	v_mul_f64 v[17:18], v[21:22], v[17:18]
	v_add_f64 v[19:20], v[23:24], v[17:18]
	v_mul_f64 v[21:22], v[19:20], v[19:20]
	v_fma_f64 v[25:26], v[21:22], s[10:11], s[8:9]
	s_mov_b32 s8, 0xd7f4df2e
	s_mov_b32 s9, 0x3fc7474d
	v_mul_f64 v[27:28], v[19:20], v[21:22]
	v_fma_f64 v[25:26], v[21:22], v[25:26], s[8:9]
	s_mov_b32 s8, 0x16291751
	s_mov_b32 s9, 0x3fcc71c0
	v_fma_f64 v[25:26], v[21:22], v[25:26], s[8:9]
	s_mov_b32 s8, 0x9b27acf1
	s_mov_b32 s9, 0x3fd24924
	;; [unrolled: 3-line block ×3, first 2 shown]
	v_fma_f64 v[25:26], v[21:22], v[25:26], s[8:9]
	v_fma_f64 v[21:22], v[21:22], v[25:26], s[6:7]
	v_ldexp_f64 v[25:26], v[19:20], 1
	v_add_f64 v[19:20], v[19:20], -v[23:24]
	s_mov_b32 s6, 0xfefa39ef
	s_mov_b32 s7, 0x3fe62e42
	v_mul_f64 v[21:22], v[27:28], v[21:22]
	v_cvt_f64_i32_e32 v[27:28], v8
	v_add_f64 v[17:18], v[17:18], -v[19:20]
	v_add_f64 v[23:24], v[25:26], v[21:22]
	v_mul_f64 v[29:30], v[27:28], s[6:7]
	v_ldexp_f64 v[17:18], v[17:18], 1
	v_add_f64 v[19:20], v[23:24], -v[25:26]
	v_fma_f64 v[25:26], v[27:28], s[6:7], -v[29:30]
	s_mov_b32 s6, 0x3b39803f
	s_mov_b32 s7, 0x3c7abc9e
	v_add_f64 v[19:20], v[21:22], -v[19:20]
	v_fma_f64 v[21:22], v[27:28], s[6:7], v[25:26]
	v_add_f64 v[17:18], v[17:18], v[19:20]
	v_add_f64 v[19:20], v[29:30], v[21:22]
	;; [unrolled: 1-line block ×3, first 2 shown]
	v_add_f64 v[29:30], v[19:20], -v[29:30]
	v_add_f64 v[27:28], v[19:20], v[25:26]
	v_add_f64 v[23:24], v[25:26], -v[23:24]
	v_add_f64 v[21:22], v[21:22], -v[29:30]
	;; [unrolled: 1-line block ×6, first 2 shown]
	v_fma_f64 v[25:26], -v[33:34], v[37:38], 1.0
	v_add_f64 v[29:30], v[21:22], v[17:18]
	v_add_f64 v[19:20], v[19:20], -v[35:36]
	v_add_f64 v[19:20], v[23:24], v[19:20]
	v_fma_f64 v[23:24], v[37:38], v[25:26], v[37:38]
	v_add_f64 v[25:26], v[29:30], -v[21:22]
	v_div_scale_f64 v[37:38], vcc_lo, -0.5, v[4:5], -0.5
	v_add_f64 v[19:20], v[29:30], v[19:20]
	v_fma_f64 v[31:32], -v[33:34], v[23:24], 1.0
	v_add_f64 v[29:30], v[29:30], -v[25:26]
	v_add_f64 v[17:18], v[17:18], -v[25:26]
	v_add_f64 v[35:36], v[27:28], v[19:20]
	v_fma_f64 v[23:24], v[23:24], v[31:32], v[23:24]
	v_add_f64 v[21:22], v[21:22], -v[29:30]
	v_add_f64 v[25:26], v[35:36], -v[27:28]
	v_mul_f64 v[27:28], v[37:38], v[23:24]
	v_add_f64 v[17:18], v[17:18], v[21:22]
	v_add_f64 v[19:20], v[19:20], -v[25:26]
	v_fma_f64 v[21:22], -v[33:34], v[27:28], v[37:38]
	v_add_f64 v[17:18], v[17:18], v[19:20]
	v_div_fmas_f64 v[19:20], v[21:22], v[23:24], v[27:28]
	v_cmp_class_f64_e64 vcc_lo, v[4:5], 0x204
	v_add_f64 v[17:18], v[35:36], v[17:18]
	v_div_fixup_f64 v[19:20], v[19:20], v[4:5], -0.5
	v_cndmask_b32_e32 v5, v18, v5, vcc_lo
	v_cndmask_b32_e32 v4, v17, v4, vcc_lo
	v_add_f64 v[4:5], v[4:5], v[19:20]
	v_add_f64 v[4:5], v[4:5], -v[15:16]
	v_add_f64 v[15:16], v[13:14], v[4:5]
                                        ; implicit-def: $vgpr13_vgpr14
.LBB7_162:
	s_andn2_saveexec_b32 s1, s1
; %bb.163:
	s_mov_b32 s6, 0xdc85cc95
	s_mov_b32 s7, 0x40020396
	v_add_f64 v[15:16], v[13:14], s[6:7]
; %bb.164:
	s_or_b32 exec_lo, exec_lo, s1
.LBB7_165:
	s_or_b32 exec_lo, exec_lo, s0
                                        ; implicit-def: $vgpr4_vgpr5
.LBB7_166:
	s_andn2_saveexec_b32 s0, s2
; %bb.167:
	v_xor_b32_e32 v4, 0x80000000, v5
	s_mov_b32 s1, 0x7ff00000
	v_mov_b32_e32 v15, 0
	v_bfi_b32 v16, 0x7fffffff, s1, v4
; %bb.168:
	s_or_b32 exec_lo, exec_lo, s0
	global_store_dwordx2 v0, v[6:7], s[4:5]
	global_store_dwordx2 v1, v[9:10], s[4:5]
	;; [unrolled: 1-line block ×4, first 2 shown]
	s_endpgm
.LBB7_169:
	v_mov_b32_e32 v0, 0
	v_mov_b32_e32 v2, 0
	s_branch .LBB7_175
.LBB7_170:
	v_mov_b32_e32 v0, 0
	v_mov_b32_e32 v2, 0
	s_branch .LBB7_215
.LBB7_171:
	v_mov_b32_e32 v0, 0
	v_mov_b32_e32 v2, 0
	v_mov_b32_e32 v1, v9
	s_mov_b32 s31, 0
.LBB7_172:
	s_and_b32 s33, s33, 3
	s_cmp_eq_u32 s33, 0
	s_cbranch_scc1 .LBB7_175
; %bb.173:
	s_lshl_b32 s0, s31, 3
	s_mul_i32 s20, s31, 12
	s_add_u32 s0, s2, s0
	s_addc_u32 s1, s3, 0
	s_add_u32 s0, s0, 0xc4
	s_addc_u32 s1, s1, 0
	s_add_u32 s20, s2, s20
	s_addc_u32 s21, s3, 0
	.p2align	6
.LBB7_174:                              ; =>This Inner Loop Header: Depth=1
	s_clause 0x1
	s_load_dwordx2 s[34:35], s[20:21], 0x4
	s_load_dword s31, s[20:21], 0xc
	s_load_dwordx2 s[36:37], s[0:1], 0x0
	s_add_u32 s20, s20, 12
	s_addc_u32 s21, s21, 0
	s_add_u32 s0, s0, 8
	s_addc_u32 s1, s1, 0
	s_add_i32 s33, s33, -1
	s_cmp_lg_u32 s33, 0
	s_waitcnt lgkmcnt(0)
	v_mul_hi_u32 v3, s35, v1
	v_add_nc_u32_e32 v3, v1, v3
	v_lshrrev_b32_e32 v4, s31, v3
	v_mul_lo_u32 v3, v4, s34
	v_sub_nc_u32_e32 v3, v1, v3
	v_mad_u64_u32 v[0:1], null, v3, s36, v[0:1]
	v_mad_u64_u32 v[2:3], null, v3, s37, v[2:3]
	v_mov_b32_e32 v1, v4
	s_cbranch_scc1 .LBB7_174
.LBB7_175:
	s_cbranch_execnz .LBB7_178
.LBB7_176:
	s_waitcnt lgkmcnt(0)
	v_mul_hi_u32 v0, s13, v9
	s_andn2_b32 vcc_lo, exec_lo, s26
	v_add_nc_u32_e32 v0, v9, v0
	v_lshrrev_b32_e32 v1, s14, v0
	v_mul_lo_u32 v0, v1, s12
	v_sub_nc_u32_e32 v2, v9, v0
	v_mul_lo_u32 v0, v2, s8
	v_mul_lo_u32 v2, v2, s9
	s_cbranch_vccnz .LBB7_178
; %bb.177:
	v_mul_hi_u32 v3, s16, v1
	v_add_nc_u32_e32 v3, v1, v3
	v_lshrrev_b32_e32 v3, s17, v3
	v_mul_lo_u32 v3, v3, s15
	v_sub_nc_u32_e32 v3, v1, v3
	v_mad_u64_u32 v[0:1], null, v3, s10, v[0:1]
	v_mad_u64_u32 v[2:3], null, v3, s11, v[2:3]
.LBB7_178:
	s_waitcnt lgkmcnt(0)
	global_load_dwordx2 v[1:2], v2, s[6:7]
                                        ; implicit-def: $vgpr5_vgpr6
	s_mov_b32 s0, exec_lo
	s_waitcnt vmcnt(0)
	v_cmpx_neq_f64_e32 0, v[1:2]
	s_xor_b32 s20, exec_lo, s0
	s_cbranch_execz .LBB7_200
; %bb.179:
	v_mov_b32_e32 v3, 0
	v_mov_b32_e32 v4, 0
	s_mov_b32 s1, -1
	s_mov_b32 s21, exec_lo
	v_cmpx_gt_f64_e32 0, v[1:2]
	s_cbranch_execz .LBB7_187
; %bb.180:
	v_trunc_f64_e32 v[5:6], v[1:2]
	v_mov_b32_e32 v3, 0
	v_mov_b32_e32 v4, 0
	s_mov_b32 s1, 0
	s_mov_b32 s31, exec_lo
	v_cmpx_neq_f64_e32 v[1:2], v[5:6]
	s_cbranch_execz .LBB7_186
; %bb.181:
	v_add_f64 v[3:4], v[1:2], -v[5:6]
	s_mov_b32 s1, 0xc00921fb
	s_mov_b32 s0, 0x54442d18
	v_cmp_neq_f64_e64 vcc_lo, 0x7ff00000, |v[1:2]|
	s_mov_b32 s33, exec_lo
                                        ; implicit-def: $vgpr10
                                        ; implicit-def: $vgpr5_vgpr6
                                        ; implicit-def: $vgpr7_vgpr8
	v_mul_f64 v[3:4], |v[3:4]|, s[0:1]
	v_cndmask_b32_e32 v4, 0x80000000, v4, vcc_lo
	v_cndmask_b32_e32 v3, 0, v3, vcc_lo
	v_cmpx_ngt_f64_e64 0x41d00000, |v[3:4]|
	s_xor_b32 s33, exec_lo, s33
	s_cbranch_execz .LBB7_183
; %bb.182:
	v_ldexp_f64 v[5:6], |v[3:4]|, 0xffffff80
	v_cmp_le_f64_e64 vcc_lo, 0x7b000000, |v[3:4]|
	v_trig_preop_f64 v[7:8], |v[3:4]|, 0
	v_and_b32_e32 v10, 0x7fffffff, v4
	v_trig_preop_f64 v[20:21], |v[3:4]|, 2
	v_mov_b32_e32 v28, 0
	s_mov_b32 s1, 0x3ff921fb
	s_mov_b32 s34, 0x33145c07
	;; [unrolled: 1-line block ×3, first 2 shown]
	v_cndmask_b32_e32 v6, v10, v6, vcc_lo
	v_cndmask_b32_e32 v5, v3, v5, vcc_lo
	v_trig_preop_f64 v[10:11], |v[3:4]|, 1
	v_mul_f64 v[12:13], v[7:8], v[5:6]
	v_mul_f64 v[26:27], v[20:21], v[5:6]
	;; [unrolled: 1-line block ×3, first 2 shown]
	v_fma_f64 v[7:8], v[7:8], v[5:6], -v[12:13]
	v_fma_f64 v[10:11], v[10:11], v[5:6], -v[14:15]
	;; [unrolled: 1-line block ×3, first 2 shown]
	v_add_f64 v[16:17], v[14:15], v[7:8]
	v_add_f64 v[18:19], v[16:17], -v[14:15]
	v_add_f64 v[24:25], v[12:13], v[16:17]
	v_add_f64 v[22:23], v[16:17], -v[18:19]
	v_add_f64 v[7:8], v[7:8], -v[18:19]
	v_ldexp_f64 v[18:19], v[24:25], -2
	v_add_f64 v[12:13], v[24:25], -v[12:13]
	v_add_f64 v[14:15], v[14:15], -v[22:23]
	v_add_f64 v[22:23], v[26:27], v[10:11]
	v_cmp_neq_f64_e64 vcc_lo, 0x7ff00000, |v[18:19]|
	v_add_f64 v[12:13], v[16:17], -v[12:13]
	v_add_f64 v[7:8], v[7:8], v[14:15]
	v_fract_f64_e32 v[14:15], v[18:19]
	v_add_f64 v[16:17], v[22:23], v[7:8]
	v_ldexp_f64 v[14:15], v[14:15], 2
	v_add_f64 v[18:19], v[12:13], v[16:17]
	v_cndmask_b32_e32 v15, 0, v15, vcc_lo
	v_cndmask_b32_e32 v14, 0, v14, vcc_lo
	v_add_f64 v[24:25], v[18:19], v[14:15]
	v_add_f64 v[12:13], v[18:19], -v[12:13]
	v_cmp_gt_f64_e32 vcc_lo, 0, v[24:25]
	v_add_f64 v[24:25], v[22:23], -v[26:27]
	v_cndmask_b32_e64 v29, 0, 0x40100000, vcc_lo
	v_add_f64 v[33:34], v[22:23], -v[24:25]
	v_add_f64 v[10:11], v[10:11], -v[24:25]
	v_add_f64 v[14:15], v[14:15], v[28:29]
	v_add_f64 v[29:30], v[16:17], -v[22:23]
	v_add_f64 v[24:25], v[26:27], -v[33:34]
	v_add_f64 v[31:32], v[18:19], v[14:15]
	;; [unrolled: 3-line block ×3, first 2 shown]
	v_cvt_i32_f64_e32 v31, v[31:32]
	v_add_f64 v[22:23], v[22:23], -v[35:36]
	v_cvt_f64_i32_e32 v[29:30], v31
	v_add_f64 v[7:8], v[7:8], v[22:23]
	v_add_f64 v[14:15], v[14:15], -v[29:30]
	v_add_f64 v[7:8], v[10:11], v[7:8]
	v_add_f64 v[10:11], v[16:17], -v[12:13]
	v_add_f64 v[20:21], v[18:19], v[14:15]
	v_add_f64 v[5:6], v[5:6], v[7:8]
	v_add_f64 v[7:8], v[20:21], -v[14:15]
	v_cmp_le_f64_e32 vcc_lo, 0.5, v[20:21]
	v_add_f64 v[5:6], v[10:11], v[5:6]
	v_add_f64 v[7:8], v[18:19], -v[7:8]
	v_cndmask_b32_e64 v29, 0, 0x3ff00000, vcc_lo
	v_add_co_ci_u32_e64 v10, null, 0, v31, vcc_lo
	v_add_f64 v[5:6], v[5:6], v[7:8]
	v_add_f64 v[7:8], v[20:21], -v[28:29]
	v_add_f64 v[11:12], v[7:8], v[5:6]
	v_mul_f64 v[13:14], v[11:12], s[0:1]
	v_add_f64 v[7:8], v[11:12], -v[7:8]
	v_fma_f64 v[15:16], v[11:12], s[0:1], -v[13:14]
	v_add_f64 v[5:6], v[5:6], -v[7:8]
	v_fma_f64 v[7:8], v[11:12], s[34:35], v[15:16]
	v_fma_f64 v[7:8], v[5:6], s[0:1], v[7:8]
	v_add_f64 v[5:6], v[13:14], v[7:8]
	v_add_f64 v[11:12], v[5:6], -v[13:14]
	v_add_f64 v[7:8], v[7:8], -v[11:12]
.LBB7_183:
	s_andn2_saveexec_b32 s0, s33
	s_cbranch_execz .LBB7_185
; %bb.184:
	s_mov_b32 s34, 0x6dc9c883
	s_mov_b32 s35, 0x3fe45f30
	;; [unrolled: 1-line block ×3, first 2 shown]
	v_mul_f64 v[5:6], |v[3:4]|, s[34:35]
	s_mov_b32 s34, 0x54442d18
	s_mov_b32 s35, 0xbff921fb
	s_mov_b32 s36, 0x33145c00
	v_rndne_f64_e32 v[10:11], v[5:6]
	v_fma_f64 v[5:6], v[10:11], s[34:35], |v[3:4]|
	v_mul_f64 v[7:8], v[10:11], s[36:37]
	s_mov_b32 s34, 0x252049c0
	s_mov_b32 s35, 0xb97b839a
	v_fma_f64 v[14:15], v[10:11], s[36:37], v[5:6]
	v_add_f64 v[12:13], v[5:6], v[7:8]
	s_mov_b32 s37, 0x3c91a626
	v_add_f64 v[5:6], v[5:6], -v[12:13]
	v_add_f64 v[12:13], v[12:13], -v[14:15]
	v_add_f64 v[5:6], v[5:6], v[7:8]
	v_fma_f64 v[7:8], v[10:11], s[36:37], v[7:8]
	v_add_f64 v[5:6], v[12:13], v[5:6]
	v_add_f64 v[5:6], v[5:6], -v[7:8]
	v_fma_f64 v[7:8], v[10:11], s[34:35], v[5:6]
	v_cvt_i32_f64_e32 v10, v[10:11]
	v_add_f64 v[5:6], v[14:15], v[7:8]
	v_add_f64 v[12:13], v[5:6], -v[14:15]
	v_add_f64 v[7:8], v[7:8], -v[12:13]
.LBB7_185:
	s_or_b32 exec_lo, exec_lo, s0
	v_mul_f64 v[11:12], v[5:6], v[5:6]
	v_add_f64 v[13:14], v[7:8], v[7:8]
	s_mov_b32 s34, 0xa9a29f71
	s_mov_b32 s36, 0xc751c08c
	;; [unrolled: 1-line block ×4, first 2 shown]
	v_cmp_class_f64_e64 s0, v[3:4], 0x1f8
	v_and_b32_e32 v10, 1, v10
	v_and_b32_e32 v4, 0x80000000, v4
	v_add_f64 v[1:2], -v[1:2], 1.0
	s_mov_b32 s1, exec_lo
	v_cmp_eq_u32_e32 vcc_lo, 0, v10
	v_fma_f64 v[15:16], v[5:6], v[5:6], -v[11:12]
	v_fma_f64 v[13:14], v[5:6], v[13:14], v[15:16]
	v_add_f64 v[11:12], v[11:12], v[13:14]
	v_fma_f64 v[13:14], v[11:12], s[36:37], s[34:35]
	s_mov_b32 s34, 0x90a8aae0
	s_mov_b32 s35, 0x3f17746f
	v_fma_f64 v[13:14], v[11:12], v[13:14], s[34:35]
	s_mov_b32 s34, 0xa6fbf144
	s_mov_b32 s35, 0xbefbb44d
	;; [unrolled: 3-line block ×13, first 2 shown]
	v_mul_f64 v[11:12], v[11:12], v[13:14]
	v_mul_f64 v[13:14], v[5:6], v[11:12]
	v_add_f64 v[15:16], v[5:6], v[13:14]
	v_fma_f64 v[11:12], v[5:6], v[11:12], -v[13:14]
	v_add_f64 v[5:6], v[15:16], -v[5:6]
	v_add_f64 v[7:8], v[7:8], v[11:12]
	v_add_f64 v[5:6], v[13:14], -v[5:6]
	v_add_f64 v[5:6], v[7:8], v[5:6]
	v_add_f64 v[7:8], v[15:16], v[5:6]
	v_rcp_f64_e32 v[11:12], v[7:8]
	v_fma_f64 v[13:14], -v[7:8], v[11:12], 1.0
	v_fma_f64 v[11:12], v[13:14], v[11:12], v[11:12]
	v_fma_f64 v[13:14], -v[7:8], v[11:12], 1.0
	v_fma_f64 v[11:12], v[13:14], v[11:12], v[11:12]
	v_add_f64 v[13:14], v[7:8], -v[15:16]
	v_mul_f64 v[15:16], v[7:8], v[11:12]
	v_add_f64 v[5:6], v[5:6], -v[13:14]
	v_fma_f64 v[13:14], v[11:12], v[7:8], -v[15:16]
	v_fma_f64 v[5:6], v[11:12], v[5:6], v[13:14]
	v_add_f64 v[13:14], v[15:16], v[5:6]
	v_add_f64 v[17:18], -v[13:14], 1.0
	v_add_f64 v[15:16], v[13:14], -v[15:16]
	v_add_f64 v[19:20], -v[17:18], 1.0
	v_add_f64 v[5:6], v[15:16], -v[5:6]
	v_add_f64 v[13:14], v[19:20], -v[13:14]
	v_add_f64 v[5:6], v[5:6], v[13:14]
	v_add_f64 v[5:6], v[17:18], v[5:6]
	v_mul_f64 v[5:6], v[11:12], v[5:6]
	v_add_f64 v[5:6], v[11:12], v[5:6]
	v_xor_b32_e32 v3, 0x80000000, v6
	v_cndmask_b32_e32 v5, v5, v7, vcc_lo
	v_cndmask_b32_e32 v3, v3, v8, vcc_lo
	v_xor_b32_e32 v4, v3, v4
	v_cndmask_b32_e64 v3, 0, v5, s0
	v_cndmask_b32_e64 v4, 0x7ff80000, v4, s0
	v_div_scale_f64 v[5:6], null, v[3:4], v[3:4], s[34:35]
	v_div_scale_f64 v[12:13], vcc_lo, s[34:35], v[3:4], s[34:35]
	v_rcp_f64_e32 v[7:8], v[5:6]
	v_fma_f64 v[10:11], -v[5:6], v[7:8], 1.0
	v_fma_f64 v[7:8], v[7:8], v[10:11], v[7:8]
	v_fma_f64 v[10:11], -v[5:6], v[7:8], 1.0
	v_fma_f64 v[7:8], v[7:8], v[10:11], v[7:8]
	v_mul_f64 v[10:11], v[12:13], v[7:8]
	v_fma_f64 v[5:6], -v[5:6], v[10:11], v[12:13]
	v_div_fmas_f64 v[5:6], v[5:6], v[7:8], v[10:11]
	v_div_fixup_f64 v[3:4], v[5:6], v[3:4], s[34:35]
.LBB7_186:
	s_or_b32 exec_lo, exec_lo, s31
	s_orn2_b32 s1, s1, exec_lo
.LBB7_187:
	s_or_b32 exec_lo, exec_lo, s21
	v_mov_b32_e32 v5, 0
	v_mov_b32_e32 v6, 0x7ff80000
	s_and_saveexec_b32 s0, s1
	s_cbranch_execz .LBB7_199
; %bb.188:
	s_mov_b32 s1, exec_lo
	v_cmpx_gt_f64_e32 0x40240000, v[1:2]
	s_cbranch_execz .LBB7_192
; %bb.189:
	s_mov_b32 s21, 0
	.p2align	6
.LBB7_190:                              ; =>This Inner Loop Header: Depth=1
	v_div_scale_f64 v[5:6], null, v[1:2], v[1:2], 1.0
	v_div_scale_f64 v[12:13], vcc_lo, 1.0, v[1:2], 1.0
	v_rcp_f64_e32 v[7:8], v[5:6]
	v_fma_f64 v[10:11], -v[5:6], v[7:8], 1.0
	v_fma_f64 v[7:8], v[7:8], v[10:11], v[7:8]
	v_fma_f64 v[10:11], -v[5:6], v[7:8], 1.0
	v_fma_f64 v[7:8], v[7:8], v[10:11], v[7:8]
	v_mul_f64 v[10:11], v[12:13], v[7:8]
	v_fma_f64 v[5:6], -v[5:6], v[10:11], v[12:13]
	v_div_fmas_f64 v[5:6], v[5:6], v[7:8], v[10:11]
	v_div_fixup_f64 v[5:6], v[5:6], v[1:2], 1.0
	v_add_f64 v[1:2], v[1:2], 1.0
	v_add_f64 v[3:4], v[3:4], -v[5:6]
	v_cmp_ngt_f64_e32 vcc_lo, 0x40240000, v[1:2]
	s_or_b32 s21, vcc_lo, s21
	s_andn2_b32 exec_lo, exec_lo, s21
	s_cbranch_execnz .LBB7_190
; %bb.191:
	s_or_b32 exec_lo, exec_lo, s21
.LBB7_192:
	s_or_b32 exec_lo, exec_lo, s1
	s_mov_b32 s1, exec_lo
                                        ; implicit-def: $vgpr5_vgpr6
	v_cmpx_neq_f64_e32 0x40240000, v[1:2]
	s_xor_b32 s1, exec_lo, s1
	s_cbranch_execz .LBB7_196
; %bb.193:
	v_mov_b32_e32 v5, 0
	v_mov_b32_e32 v6, 0
	s_mov_b32 s34, 0x85d8a000
	s_mov_b32 s35, 0x43763457
	s_mov_b32 s21, exec_lo
	v_cmpx_gt_f64_e32 s[34:35], v[1:2]
	s_cbranch_execz .LBB7_195
; %bb.194:
	v_mul_f64 v[5:6], v[1:2], v[1:2]
	s_mov_b32 s34, 0x55555555
	s_mov_b32 s35, 0x3fb55555
	;; [unrolled: 1-line block ×6, first 2 shown]
	v_div_scale_f64 v[7:8], null, v[5:6], v[5:6], 1.0
	v_rcp_f64_e32 v[10:11], v[7:8]
	v_fma_f64 v[12:13], -v[7:8], v[10:11], 1.0
	v_fma_f64 v[10:11], v[10:11], v[12:13], v[10:11]
	v_fma_f64 v[12:13], -v[7:8], v[10:11], 1.0
	v_fma_f64 v[10:11], v[10:11], v[12:13], v[10:11]
	v_div_scale_f64 v[12:13], vcc_lo, 1.0, v[5:6], 1.0
	v_mul_f64 v[14:15], v[12:13], v[10:11]
	v_fma_f64 v[7:8], -v[7:8], v[14:15], v[12:13]
	v_div_fmas_f64 v[7:8], v[7:8], v[10:11], v[14:15]
	v_div_fixup_f64 v[5:6], v[7:8], v[5:6], 1.0
	v_fma_f64 v[7:8], v[5:6], 0, s[34:35]
	v_fma_f64 v[7:8], v[5:6], v[7:8], s[36:37]
	s_mov_b32 s36, 0xf07c1f08
	s_mov_b32 s37, 0x3f7f07c1
	v_fma_f64 v[7:8], v[5:6], v[7:8], s[36:37]
	s_mov_b32 s37, 0xbf711111
	s_mov_b32 s36, 0x11111111
	v_fma_f64 v[7:8], v[5:6], v[7:8], s[36:37]
	s_mov_b32 s37, 0xbf811111
	v_fma_f64 v[7:8], v[5:6], v[7:8], s[38:39]
	v_fma_f64 v[7:8], v[5:6], v[7:8], s[36:37]
	;; [unrolled: 1-line block ×3, first 2 shown]
	v_mul_f64 v[5:6], v[5:6], v[7:8]
.LBB7_195:
	s_or_b32 exec_lo, exec_lo, s21
	v_frexp_mant_f64_e32 v[7:8], v[1:2]
	s_mov_b32 s35, 0x3fe55555
	s_mov_b32 s34, 0x55555555
	;; [unrolled: 1-line block ×6, first 2 shown]
	v_div_scale_f64 v[24:25], null, v[1:2], v[1:2], -0.5
	v_cmp_gt_f64_e32 vcc_lo, s[34:35], v[7:8]
	s_mov_b32 s34, 0x55555780
	v_rcp_f64_e32 v[28:29], v[24:25]
	v_cndmask_b32_e64 v10, 0, 1, vcc_lo
	v_ldexp_f64 v[7:8], v[7:8], v10
	v_add_f64 v[10:11], v[7:8], 1.0
	v_add_f64 v[16:17], v[7:8], -1.0
	v_rcp_f64_e32 v[12:13], v[10:11]
	v_add_f64 v[18:19], v[10:11], -1.0
	v_add_f64 v[7:8], v[7:8], -v[18:19]
	v_fma_f64 v[14:15], -v[10:11], v[12:13], 1.0
	v_fma_f64 v[12:13], v[14:15], v[12:13], v[12:13]
	v_fma_f64 v[14:15], -v[10:11], v[12:13], 1.0
	v_fma_f64 v[12:13], v[14:15], v[12:13], v[12:13]
	v_mul_f64 v[14:15], v[16:17], v[12:13]
	v_mul_f64 v[20:21], v[10:11], v[14:15]
	v_fma_f64 v[10:11], v[14:15], v[10:11], -v[20:21]
	v_fma_f64 v[7:8], v[14:15], v[7:8], v[10:11]
	v_add_f64 v[10:11], v[20:21], v[7:8]
	v_add_f64 v[18:19], v[16:17], -v[10:11]
	v_add_f64 v[20:21], v[10:11], -v[20:21]
	;; [unrolled: 1-line block ×4, first 2 shown]
	v_frexp_exp_i32_f64_e32 v20, v[1:2]
	v_add_f64 v[10:11], v[16:17], -v[10:11]
	v_add_f64 v[7:8], v[7:8], v[10:11]
	v_add_f64 v[7:8], v[18:19], v[7:8]
	v_mul_f64 v[7:8], v[12:13], v[7:8]
	v_add_f64 v[10:11], v[14:15], v[7:8]
	v_mul_f64 v[12:13], v[10:11], v[10:11]
	v_fma_f64 v[16:17], v[12:13], s[38:39], s[36:37]
	s_mov_b32 s36, 0xd7f4df2e
	s_mov_b32 s37, 0x3fc7474d
	v_mul_f64 v[18:19], v[10:11], v[12:13]
	v_fma_f64 v[16:17], v[12:13], v[16:17], s[36:37]
	s_mov_b32 s36, 0x16291751
	s_mov_b32 s37, 0x3fcc71c0
	v_fma_f64 v[16:17], v[12:13], v[16:17], s[36:37]
	s_mov_b32 s36, 0x9b27acf1
	s_mov_b32 s37, 0x3fd24924
	;; [unrolled: 3-line block ×3, first 2 shown]
	v_fma_f64 v[16:17], v[12:13], v[16:17], s[36:37]
	v_fma_f64 v[12:13], v[12:13], v[16:17], s[34:35]
	v_ldexp_f64 v[16:17], v[10:11], 1
	v_add_f64 v[10:11], v[10:11], -v[14:15]
	s_mov_b32 s34, 0xfefa39ef
	s_mov_b32 s35, 0x3fe62e42
	v_mul_f64 v[12:13], v[18:19], v[12:13]
	v_subrev_co_ci_u32_e64 v18, null, 0, v20, vcc_lo
	v_add_f64 v[7:8], v[7:8], -v[10:11]
	v_cvt_f64_i32_e32 v[18:19], v18
	v_add_f64 v[14:15], v[16:17], v[12:13]
	v_ldexp_f64 v[7:8], v[7:8], 1
	v_mul_f64 v[20:21], v[18:19], s[34:35]
	v_add_f64 v[10:11], v[14:15], -v[16:17]
	v_fma_f64 v[16:17], v[18:19], s[34:35], -v[20:21]
	s_mov_b32 s34, 0x3b39803f
	s_mov_b32 s35, 0x3c7abc9e
	v_add_f64 v[10:11], v[12:13], -v[10:11]
	v_fma_f64 v[12:13], v[18:19], s[34:35], v[16:17]
	v_add_f64 v[7:8], v[7:8], v[10:11]
	v_add_f64 v[10:11], v[20:21], v[12:13]
	;; [unrolled: 1-line block ×3, first 2 shown]
	v_add_f64 v[20:21], v[10:11], -v[20:21]
	v_add_f64 v[18:19], v[10:11], v[16:17]
	v_add_f64 v[14:15], v[16:17], -v[14:15]
	v_add_f64 v[12:13], v[12:13], -v[20:21]
	;; [unrolled: 1-line block ×6, first 2 shown]
	v_fma_f64 v[16:17], -v[24:25], v[28:29], 1.0
	v_add_f64 v[20:21], v[12:13], v[7:8]
	v_add_f64 v[10:11], v[10:11], -v[26:27]
	v_add_f64 v[10:11], v[14:15], v[10:11]
	v_fma_f64 v[14:15], v[28:29], v[16:17], v[28:29]
	v_add_f64 v[16:17], v[20:21], -v[12:13]
	v_div_scale_f64 v[28:29], vcc_lo, -0.5, v[1:2], -0.5
	v_add_f64 v[10:11], v[20:21], v[10:11]
	v_fma_f64 v[22:23], -v[24:25], v[14:15], 1.0
	v_add_f64 v[20:21], v[20:21], -v[16:17]
	v_add_f64 v[7:8], v[7:8], -v[16:17]
	v_add_f64 v[26:27], v[18:19], v[10:11]
	v_fma_f64 v[14:15], v[14:15], v[22:23], v[14:15]
	v_add_f64 v[12:13], v[12:13], -v[20:21]
	v_add_f64 v[16:17], v[26:27], -v[18:19]
	v_mul_f64 v[18:19], v[28:29], v[14:15]
	v_add_f64 v[7:8], v[7:8], v[12:13]
	v_add_f64 v[10:11], v[10:11], -v[16:17]
	v_fma_f64 v[12:13], -v[24:25], v[18:19], v[28:29]
	v_add_f64 v[7:8], v[7:8], v[10:11]
	v_div_fmas_f64 v[10:11], v[12:13], v[14:15], v[18:19]
	v_cmp_class_f64_e64 vcc_lo, v[1:2], 0x204
	v_add_f64 v[7:8], v[26:27], v[7:8]
	v_div_fixup_f64 v[10:11], v[10:11], v[1:2], -0.5
	v_cndmask_b32_e32 v2, v8, v2, vcc_lo
	v_cndmask_b32_e32 v1, v7, v1, vcc_lo
	v_add_f64 v[1:2], v[1:2], v[10:11]
	v_add_f64 v[1:2], v[1:2], -v[5:6]
	v_add_f64 v[5:6], v[3:4], v[1:2]
                                        ; implicit-def: $vgpr3_vgpr4
.LBB7_196:
	s_andn2_saveexec_b32 s1, s1
; %bb.197:
	s_mov_b32 s34, 0xdc85cc95
	s_mov_b32 s35, 0x40020396
	v_add_f64 v[5:6], v[3:4], s[34:35]
; %bb.198:
	s_or_b32 exec_lo, exec_lo, s1
.LBB7_199:
	s_or_b32 exec_lo, exec_lo, s0
                                        ; implicit-def: $vgpr1_vgpr2
.LBB7_200:
	s_andn2_saveexec_b32 s0, s20
; %bb.201:
	v_xor_b32_e32 v1, 0x80000000, v2
	s_mov_b32 s1, 0x7ff00000
	v_mov_b32_e32 v5, 0
	v_bfi_b32 v6, 0x7fffffff, s1, v1
; %bb.202:
	s_or_b32 exec_lo, exec_lo, s0
	v_add_nc_u32_e32 v9, 0x80, v9
	global_store_dwordx2 v0, v[5:6], s[4:5]
	s_or_b32 exec_lo, exec_lo, s30
	s_mov_b32 s30, exec_lo
	v_cmpx_gt_i32_e64 s27, v9
	s_cbranch_execnz .LBB7_15
.LBB7_203:
	s_or_b32 exec_lo, exec_lo, s30
	s_mov_b32 s30, exec_lo
	v_cmpx_gt_i32_e64 s27, v9
	s_cbranch_execz .LBB7_243
.LBB7_204:
	s_andn2_b32 vcc_lo, exec_lo, s24
	s_cbranch_vccnz .LBB7_209
; %bb.205:
	s_andn2_b32 vcc_lo, exec_lo, s29
	s_cbranch_vccnz .LBB7_210
; %bb.206:
	s_add_i32 s33, s28, 1
	s_cmp_eq_u32 s23, 2
	s_cbranch_scc1 .LBB7_246
; %bb.207:
	v_mov_b32_e32 v2, 0
	v_mov_b32_e32 v0, 0
	;; [unrolled: 1-line block ×3, first 2 shown]
	s_and_b32 s31, s33, 28
	s_mov_b32 s34, 0
	s_mov_b64 s[0:1], s[2:3]
	s_mov_b64 s[20:21], s[18:19]
.LBB7_208:                              ; =>This Inner Loop Header: Depth=1
	s_clause 0x1
	s_load_dwordx8 s[36:43], s[0:1], 0x4
	s_load_dwordx4 s[52:55], s[0:1], 0x24
	s_load_dwordx8 s[44:51], s[20:21], 0x0
	s_add_u32 s0, s0, 48
	s_addc_u32 s1, s1, 0
	s_add_i32 s34, s34, 4
	s_add_u32 s20, s20, 32
	s_addc_u32 s21, s21, 0
	s_cmp_eq_u32 s31, s34
	s_waitcnt lgkmcnt(0)
	v_mul_hi_u32 v3, s37, v1
	v_add_nc_u32_e32 v3, v1, v3
	v_lshrrev_b32_e32 v3, s38, v3
	v_mul_hi_u32 v4, s40, v3
	v_mul_lo_u32 v6, v3, s36
	v_add_nc_u32_e32 v4, v3, v4
	v_sub_nc_u32_e32 v1, v1, v6
	v_lshrrev_b32_e32 v4, s41, v4
	v_mul_lo_u32 v6, v1, s44
	v_mul_lo_u32 v8, v1, s45
	v_mul_hi_u32 v5, s43, v4
	v_add_nc_u32_e32 v5, v4, v5
	v_lshrrev_b32_e32 v5, s52, v5
	v_mul_hi_u32 v7, s54, v5
	v_mul_lo_u32 v10, v5, s42
	v_add_nc_u32_e32 v1, v5, v7
	v_mul_lo_u32 v7, v4, s39
	v_sub_nc_u32_e32 v4, v4, v10
	v_lshrrev_b32_e32 v1, s55, v1
	v_mul_lo_u32 v10, v4, s48
	v_mul_lo_u32 v4, v4, s49
	v_sub_nc_u32_e32 v3, v3, v7
	v_mul_lo_u32 v11, v1, s53
	v_mul_lo_u32 v7, v3, s46
	;; [unrolled: 1-line block ×3, first 2 shown]
	v_sub_nc_u32_e32 v5, v5, v11
	v_add3_u32 v0, v6, v0, v7
	v_mul_lo_u32 v11, v5, s50
	v_mul_lo_u32 v5, v5, s51
	v_add3_u32 v2, v8, v2, v3
	v_add3_u32 v0, v10, v0, v11
	;; [unrolled: 1-line block ×3, first 2 shown]
	s_cbranch_scc0 .LBB7_208
	s_branch .LBB7_247
.LBB7_209:
                                        ; implicit-def: $vgpr0
                                        ; implicit-def: $vgpr2
	s_branch .LBB7_251
.LBB7_210:
	v_mov_b32_e32 v0, 0
	v_mov_b32_e32 v2, 0
	s_branch .LBB7_250
.LBB7_211:
	v_mov_b32_e32 v0, 0
	v_mov_b32_e32 v2, 0
	;; [unrolled: 1-line block ×3, first 2 shown]
	s_mov_b32 s31, 0
.LBB7_212:
	s_and_b32 s33, s33, 3
	s_cmp_eq_u32 s33, 0
	s_cbranch_scc1 .LBB7_215
; %bb.213:
	s_lshl_b32 s0, s31, 3
	s_mul_i32 s20, s31, 12
	s_add_u32 s0, s2, s0
	s_addc_u32 s1, s3, 0
	s_add_u32 s0, s0, 0xc4
	s_addc_u32 s1, s1, 0
	;; [unrolled: 2-line block ×3, first 2 shown]
	.p2align	6
.LBB7_214:                              ; =>This Inner Loop Header: Depth=1
	s_clause 0x1
	s_load_dwordx2 s[34:35], s[20:21], 0x4
	s_load_dword s31, s[20:21], 0xc
	s_load_dwordx2 s[36:37], s[0:1], 0x0
	s_add_u32 s20, s20, 12
	s_addc_u32 s21, s21, 0
	s_add_u32 s0, s0, 8
	s_addc_u32 s1, s1, 0
	s_add_i32 s33, s33, -1
	s_cmp_lg_u32 s33, 0
	s_waitcnt lgkmcnt(0)
	v_mul_hi_u32 v3, s35, v1
	v_add_nc_u32_e32 v3, v1, v3
	v_lshrrev_b32_e32 v4, s31, v3
	v_mul_lo_u32 v3, v4, s34
	v_sub_nc_u32_e32 v3, v1, v3
	v_mad_u64_u32 v[0:1], null, v3, s36, v[0:1]
	v_mad_u64_u32 v[2:3], null, v3, s37, v[2:3]
	v_mov_b32_e32 v1, v4
	s_cbranch_scc1 .LBB7_214
.LBB7_215:
	s_cbranch_execnz .LBB7_218
.LBB7_216:
	s_waitcnt lgkmcnt(0)
	v_mul_hi_u32 v0, s13, v9
	s_andn2_b32 vcc_lo, exec_lo, s26
	v_add_nc_u32_e32 v0, v9, v0
	v_lshrrev_b32_e32 v1, s14, v0
	v_mul_lo_u32 v0, v1, s12
	v_sub_nc_u32_e32 v2, v9, v0
	v_mul_lo_u32 v0, v2, s8
	v_mul_lo_u32 v2, v2, s9
	s_cbranch_vccnz .LBB7_218
; %bb.217:
	v_mul_hi_u32 v3, s16, v1
	v_add_nc_u32_e32 v3, v1, v3
	v_lshrrev_b32_e32 v3, s17, v3
	v_mul_lo_u32 v3, v3, s15
	v_sub_nc_u32_e32 v3, v1, v3
	v_mad_u64_u32 v[0:1], null, v3, s10, v[0:1]
	v_mad_u64_u32 v[2:3], null, v3, s11, v[2:3]
.LBB7_218:
	s_waitcnt lgkmcnt(0)
	global_load_dwordx2 v[1:2], v2, s[6:7]
                                        ; implicit-def: $vgpr5_vgpr6
	s_mov_b32 s0, exec_lo
	s_waitcnt vmcnt(0)
	v_cmpx_neq_f64_e32 0, v[1:2]
	s_xor_b32 s20, exec_lo, s0
	s_cbranch_execz .LBB7_240
; %bb.219:
	v_mov_b32_e32 v3, 0
	v_mov_b32_e32 v4, 0
	s_mov_b32 s1, -1
	s_mov_b32 s21, exec_lo
	v_cmpx_gt_f64_e32 0, v[1:2]
	s_cbranch_execz .LBB7_227
; %bb.220:
	v_trunc_f64_e32 v[5:6], v[1:2]
	v_mov_b32_e32 v3, 0
	v_mov_b32_e32 v4, 0
	s_mov_b32 s1, 0
	s_mov_b32 s31, exec_lo
	v_cmpx_neq_f64_e32 v[1:2], v[5:6]
	s_cbranch_execz .LBB7_226
; %bb.221:
	v_add_f64 v[3:4], v[1:2], -v[5:6]
	s_mov_b32 s1, 0xc00921fb
	s_mov_b32 s0, 0x54442d18
	v_cmp_neq_f64_e64 vcc_lo, 0x7ff00000, |v[1:2]|
	s_mov_b32 s33, exec_lo
                                        ; implicit-def: $vgpr10
                                        ; implicit-def: $vgpr5_vgpr6
                                        ; implicit-def: $vgpr7_vgpr8
	v_mul_f64 v[3:4], |v[3:4]|, s[0:1]
	v_cndmask_b32_e32 v4, 0x80000000, v4, vcc_lo
	v_cndmask_b32_e32 v3, 0, v3, vcc_lo
	v_cmpx_ngt_f64_e64 0x41d00000, |v[3:4]|
	s_xor_b32 s33, exec_lo, s33
	s_cbranch_execz .LBB7_223
; %bb.222:
	v_ldexp_f64 v[5:6], |v[3:4]|, 0xffffff80
	v_cmp_le_f64_e64 vcc_lo, 0x7b000000, |v[3:4]|
	v_trig_preop_f64 v[7:8], |v[3:4]|, 0
	v_and_b32_e32 v10, 0x7fffffff, v4
	v_trig_preop_f64 v[20:21], |v[3:4]|, 2
	v_mov_b32_e32 v28, 0
	s_mov_b32 s1, 0x3ff921fb
	s_mov_b32 s34, 0x33145c07
	;; [unrolled: 1-line block ×3, first 2 shown]
	v_cndmask_b32_e32 v6, v10, v6, vcc_lo
	v_cndmask_b32_e32 v5, v3, v5, vcc_lo
	v_trig_preop_f64 v[10:11], |v[3:4]|, 1
	v_mul_f64 v[12:13], v[7:8], v[5:6]
	v_mul_f64 v[26:27], v[20:21], v[5:6]
	;; [unrolled: 1-line block ×3, first 2 shown]
	v_fma_f64 v[7:8], v[7:8], v[5:6], -v[12:13]
	v_fma_f64 v[10:11], v[10:11], v[5:6], -v[14:15]
	;; [unrolled: 1-line block ×3, first 2 shown]
	v_add_f64 v[16:17], v[14:15], v[7:8]
	v_add_f64 v[18:19], v[16:17], -v[14:15]
	v_add_f64 v[24:25], v[12:13], v[16:17]
	v_add_f64 v[22:23], v[16:17], -v[18:19]
	v_add_f64 v[7:8], v[7:8], -v[18:19]
	v_ldexp_f64 v[18:19], v[24:25], -2
	v_add_f64 v[12:13], v[24:25], -v[12:13]
	v_add_f64 v[14:15], v[14:15], -v[22:23]
	v_add_f64 v[22:23], v[26:27], v[10:11]
	v_cmp_neq_f64_e64 vcc_lo, 0x7ff00000, |v[18:19]|
	v_add_f64 v[12:13], v[16:17], -v[12:13]
	v_add_f64 v[7:8], v[7:8], v[14:15]
	v_fract_f64_e32 v[14:15], v[18:19]
	v_add_f64 v[16:17], v[22:23], v[7:8]
	v_ldexp_f64 v[14:15], v[14:15], 2
	v_add_f64 v[18:19], v[12:13], v[16:17]
	v_cndmask_b32_e32 v15, 0, v15, vcc_lo
	v_cndmask_b32_e32 v14, 0, v14, vcc_lo
	v_add_f64 v[24:25], v[18:19], v[14:15]
	v_add_f64 v[12:13], v[18:19], -v[12:13]
	v_cmp_gt_f64_e32 vcc_lo, 0, v[24:25]
	v_add_f64 v[24:25], v[22:23], -v[26:27]
	v_cndmask_b32_e64 v29, 0, 0x40100000, vcc_lo
	v_add_f64 v[33:34], v[22:23], -v[24:25]
	v_add_f64 v[10:11], v[10:11], -v[24:25]
	v_add_f64 v[14:15], v[14:15], v[28:29]
	v_add_f64 v[29:30], v[16:17], -v[22:23]
	v_add_f64 v[24:25], v[26:27], -v[33:34]
	v_add_f64 v[31:32], v[18:19], v[14:15]
	;; [unrolled: 3-line block ×3, first 2 shown]
	v_cvt_i32_f64_e32 v31, v[31:32]
	v_add_f64 v[22:23], v[22:23], -v[35:36]
	v_cvt_f64_i32_e32 v[29:30], v31
	v_add_f64 v[7:8], v[7:8], v[22:23]
	v_add_f64 v[14:15], v[14:15], -v[29:30]
	v_add_f64 v[7:8], v[10:11], v[7:8]
	v_add_f64 v[10:11], v[16:17], -v[12:13]
	v_add_f64 v[20:21], v[18:19], v[14:15]
	v_add_f64 v[5:6], v[5:6], v[7:8]
	v_add_f64 v[7:8], v[20:21], -v[14:15]
	v_cmp_le_f64_e32 vcc_lo, 0.5, v[20:21]
	v_add_f64 v[5:6], v[10:11], v[5:6]
	v_add_f64 v[7:8], v[18:19], -v[7:8]
	v_cndmask_b32_e64 v29, 0, 0x3ff00000, vcc_lo
	v_add_co_ci_u32_e64 v10, null, 0, v31, vcc_lo
	v_add_f64 v[5:6], v[5:6], v[7:8]
	v_add_f64 v[7:8], v[20:21], -v[28:29]
	v_add_f64 v[11:12], v[7:8], v[5:6]
	v_mul_f64 v[13:14], v[11:12], s[0:1]
	v_add_f64 v[7:8], v[11:12], -v[7:8]
	v_fma_f64 v[15:16], v[11:12], s[0:1], -v[13:14]
	v_add_f64 v[5:6], v[5:6], -v[7:8]
	v_fma_f64 v[7:8], v[11:12], s[34:35], v[15:16]
	v_fma_f64 v[7:8], v[5:6], s[0:1], v[7:8]
	v_add_f64 v[5:6], v[13:14], v[7:8]
	v_add_f64 v[11:12], v[5:6], -v[13:14]
	v_add_f64 v[7:8], v[7:8], -v[11:12]
.LBB7_223:
	s_andn2_saveexec_b32 s0, s33
	s_cbranch_execz .LBB7_225
; %bb.224:
	s_mov_b32 s34, 0x6dc9c883
	s_mov_b32 s35, 0x3fe45f30
	s_mov_b32 s37, 0xbc91a626
	v_mul_f64 v[5:6], |v[3:4]|, s[34:35]
	s_mov_b32 s34, 0x54442d18
	s_mov_b32 s35, 0xbff921fb
	;; [unrolled: 1-line block ×3, first 2 shown]
	v_rndne_f64_e32 v[10:11], v[5:6]
	v_fma_f64 v[5:6], v[10:11], s[34:35], |v[3:4]|
	v_mul_f64 v[7:8], v[10:11], s[36:37]
	s_mov_b32 s34, 0x252049c0
	s_mov_b32 s35, 0xb97b839a
	v_fma_f64 v[14:15], v[10:11], s[36:37], v[5:6]
	v_add_f64 v[12:13], v[5:6], v[7:8]
	s_mov_b32 s37, 0x3c91a626
	v_add_f64 v[5:6], v[5:6], -v[12:13]
	v_add_f64 v[12:13], v[12:13], -v[14:15]
	v_add_f64 v[5:6], v[5:6], v[7:8]
	v_fma_f64 v[7:8], v[10:11], s[36:37], v[7:8]
	v_add_f64 v[5:6], v[12:13], v[5:6]
	v_add_f64 v[5:6], v[5:6], -v[7:8]
	v_fma_f64 v[7:8], v[10:11], s[34:35], v[5:6]
	v_cvt_i32_f64_e32 v10, v[10:11]
	v_add_f64 v[5:6], v[14:15], v[7:8]
	v_add_f64 v[12:13], v[5:6], -v[14:15]
	v_add_f64 v[7:8], v[7:8], -v[12:13]
.LBB7_225:
	s_or_b32 exec_lo, exec_lo, s0
	v_mul_f64 v[11:12], v[5:6], v[5:6]
	v_add_f64 v[13:14], v[7:8], v[7:8]
	s_mov_b32 s34, 0xa9a29f71
	s_mov_b32 s36, 0xc751c08c
	;; [unrolled: 1-line block ×4, first 2 shown]
	v_cmp_class_f64_e64 s0, v[3:4], 0x1f8
	v_and_b32_e32 v10, 1, v10
	v_and_b32_e32 v4, 0x80000000, v4
	v_add_f64 v[1:2], -v[1:2], 1.0
	s_mov_b32 s1, exec_lo
	v_cmp_eq_u32_e32 vcc_lo, 0, v10
	v_fma_f64 v[15:16], v[5:6], v[5:6], -v[11:12]
	v_fma_f64 v[13:14], v[5:6], v[13:14], v[15:16]
	v_add_f64 v[11:12], v[11:12], v[13:14]
	v_fma_f64 v[13:14], v[11:12], s[36:37], s[34:35]
	s_mov_b32 s34, 0x90a8aae0
	s_mov_b32 s35, 0x3f17746f
	v_fma_f64 v[13:14], v[11:12], v[13:14], s[34:35]
	s_mov_b32 s34, 0xa6fbf144
	s_mov_b32 s35, 0xbefbb44d
	;; [unrolled: 3-line block ×13, first 2 shown]
	v_mul_f64 v[11:12], v[11:12], v[13:14]
	v_mul_f64 v[13:14], v[5:6], v[11:12]
	v_add_f64 v[15:16], v[5:6], v[13:14]
	v_fma_f64 v[11:12], v[5:6], v[11:12], -v[13:14]
	v_add_f64 v[5:6], v[15:16], -v[5:6]
	v_add_f64 v[7:8], v[7:8], v[11:12]
	v_add_f64 v[5:6], v[13:14], -v[5:6]
	v_add_f64 v[5:6], v[7:8], v[5:6]
	v_add_f64 v[7:8], v[15:16], v[5:6]
	v_rcp_f64_e32 v[11:12], v[7:8]
	v_fma_f64 v[13:14], -v[7:8], v[11:12], 1.0
	v_fma_f64 v[11:12], v[13:14], v[11:12], v[11:12]
	v_fma_f64 v[13:14], -v[7:8], v[11:12], 1.0
	v_fma_f64 v[11:12], v[13:14], v[11:12], v[11:12]
	v_add_f64 v[13:14], v[7:8], -v[15:16]
	v_mul_f64 v[15:16], v[7:8], v[11:12]
	v_add_f64 v[5:6], v[5:6], -v[13:14]
	v_fma_f64 v[13:14], v[11:12], v[7:8], -v[15:16]
	v_fma_f64 v[5:6], v[11:12], v[5:6], v[13:14]
	v_add_f64 v[13:14], v[15:16], v[5:6]
	v_add_f64 v[17:18], -v[13:14], 1.0
	v_add_f64 v[15:16], v[13:14], -v[15:16]
	v_add_f64 v[19:20], -v[17:18], 1.0
	v_add_f64 v[5:6], v[15:16], -v[5:6]
	v_add_f64 v[13:14], v[19:20], -v[13:14]
	v_add_f64 v[5:6], v[5:6], v[13:14]
	v_add_f64 v[5:6], v[17:18], v[5:6]
	v_mul_f64 v[5:6], v[11:12], v[5:6]
	v_add_f64 v[5:6], v[11:12], v[5:6]
	v_xor_b32_e32 v3, 0x80000000, v6
	v_cndmask_b32_e32 v5, v5, v7, vcc_lo
	v_cndmask_b32_e32 v3, v3, v8, vcc_lo
	v_xor_b32_e32 v4, v3, v4
	v_cndmask_b32_e64 v3, 0, v5, s0
	v_cndmask_b32_e64 v4, 0x7ff80000, v4, s0
	v_div_scale_f64 v[5:6], null, v[3:4], v[3:4], s[34:35]
	v_div_scale_f64 v[12:13], vcc_lo, s[34:35], v[3:4], s[34:35]
	v_rcp_f64_e32 v[7:8], v[5:6]
	v_fma_f64 v[10:11], -v[5:6], v[7:8], 1.0
	v_fma_f64 v[7:8], v[7:8], v[10:11], v[7:8]
	v_fma_f64 v[10:11], -v[5:6], v[7:8], 1.0
	v_fma_f64 v[7:8], v[7:8], v[10:11], v[7:8]
	v_mul_f64 v[10:11], v[12:13], v[7:8]
	v_fma_f64 v[5:6], -v[5:6], v[10:11], v[12:13]
	v_div_fmas_f64 v[5:6], v[5:6], v[7:8], v[10:11]
	v_div_fixup_f64 v[3:4], v[5:6], v[3:4], s[34:35]
.LBB7_226:
	s_or_b32 exec_lo, exec_lo, s31
	s_orn2_b32 s1, s1, exec_lo
.LBB7_227:
	s_or_b32 exec_lo, exec_lo, s21
	v_mov_b32_e32 v5, 0
	v_mov_b32_e32 v6, 0x7ff80000
	s_and_saveexec_b32 s0, s1
	s_cbranch_execz .LBB7_239
; %bb.228:
	s_mov_b32 s1, exec_lo
	v_cmpx_gt_f64_e32 0x40240000, v[1:2]
	s_cbranch_execz .LBB7_232
; %bb.229:
	s_mov_b32 s21, 0
	.p2align	6
.LBB7_230:                              ; =>This Inner Loop Header: Depth=1
	v_div_scale_f64 v[5:6], null, v[1:2], v[1:2], 1.0
	v_div_scale_f64 v[12:13], vcc_lo, 1.0, v[1:2], 1.0
	v_rcp_f64_e32 v[7:8], v[5:6]
	v_fma_f64 v[10:11], -v[5:6], v[7:8], 1.0
	v_fma_f64 v[7:8], v[7:8], v[10:11], v[7:8]
	v_fma_f64 v[10:11], -v[5:6], v[7:8], 1.0
	v_fma_f64 v[7:8], v[7:8], v[10:11], v[7:8]
	v_mul_f64 v[10:11], v[12:13], v[7:8]
	v_fma_f64 v[5:6], -v[5:6], v[10:11], v[12:13]
	v_div_fmas_f64 v[5:6], v[5:6], v[7:8], v[10:11]
	v_div_fixup_f64 v[5:6], v[5:6], v[1:2], 1.0
	v_add_f64 v[1:2], v[1:2], 1.0
	v_add_f64 v[3:4], v[3:4], -v[5:6]
	v_cmp_ngt_f64_e32 vcc_lo, 0x40240000, v[1:2]
	s_or_b32 s21, vcc_lo, s21
	s_andn2_b32 exec_lo, exec_lo, s21
	s_cbranch_execnz .LBB7_230
; %bb.231:
	s_or_b32 exec_lo, exec_lo, s21
.LBB7_232:
	s_or_b32 exec_lo, exec_lo, s1
	s_mov_b32 s1, exec_lo
                                        ; implicit-def: $vgpr5_vgpr6
	v_cmpx_neq_f64_e32 0x40240000, v[1:2]
	s_xor_b32 s1, exec_lo, s1
	s_cbranch_execz .LBB7_236
; %bb.233:
	v_mov_b32_e32 v5, 0
	v_mov_b32_e32 v6, 0
	s_mov_b32 s34, 0x85d8a000
	s_mov_b32 s35, 0x43763457
	s_mov_b32 s21, exec_lo
	v_cmpx_gt_f64_e32 s[34:35], v[1:2]
	s_cbranch_execz .LBB7_235
; %bb.234:
	v_mul_f64 v[5:6], v[1:2], v[1:2]
	s_mov_b32 s34, 0x55555555
	s_mov_b32 s35, 0x3fb55555
	s_mov_b32 s36, 0x95995996
	s_mov_b32 s37, 0xbf959959
	s_mov_b32 s38, 0x10410410
	s_mov_b32 s39, 0x3f704104
	v_div_scale_f64 v[7:8], null, v[5:6], v[5:6], 1.0
	v_rcp_f64_e32 v[10:11], v[7:8]
	v_fma_f64 v[12:13], -v[7:8], v[10:11], 1.0
	v_fma_f64 v[10:11], v[10:11], v[12:13], v[10:11]
	v_fma_f64 v[12:13], -v[7:8], v[10:11], 1.0
	v_fma_f64 v[10:11], v[10:11], v[12:13], v[10:11]
	v_div_scale_f64 v[12:13], vcc_lo, 1.0, v[5:6], 1.0
	v_mul_f64 v[14:15], v[12:13], v[10:11]
	v_fma_f64 v[7:8], -v[7:8], v[14:15], v[12:13]
	v_div_fmas_f64 v[7:8], v[7:8], v[10:11], v[14:15]
	v_div_fixup_f64 v[5:6], v[7:8], v[5:6], 1.0
	v_fma_f64 v[7:8], v[5:6], 0, s[34:35]
	v_fma_f64 v[7:8], v[5:6], v[7:8], s[36:37]
	s_mov_b32 s36, 0xf07c1f08
	s_mov_b32 s37, 0x3f7f07c1
	v_fma_f64 v[7:8], v[5:6], v[7:8], s[36:37]
	s_mov_b32 s37, 0xbf711111
	s_mov_b32 s36, 0x11111111
	v_fma_f64 v[7:8], v[5:6], v[7:8], s[36:37]
	s_mov_b32 s37, 0xbf811111
	v_fma_f64 v[7:8], v[5:6], v[7:8], s[38:39]
	v_fma_f64 v[7:8], v[5:6], v[7:8], s[36:37]
	;; [unrolled: 1-line block ×3, first 2 shown]
	v_mul_f64 v[5:6], v[5:6], v[7:8]
.LBB7_235:
	s_or_b32 exec_lo, exec_lo, s21
	v_frexp_mant_f64_e32 v[7:8], v[1:2]
	s_mov_b32 s35, 0x3fe55555
	s_mov_b32 s34, 0x55555555
	;; [unrolled: 1-line block ×6, first 2 shown]
	v_div_scale_f64 v[24:25], null, v[1:2], v[1:2], -0.5
	v_cmp_gt_f64_e32 vcc_lo, s[34:35], v[7:8]
	s_mov_b32 s34, 0x55555780
	v_rcp_f64_e32 v[28:29], v[24:25]
	v_cndmask_b32_e64 v10, 0, 1, vcc_lo
	v_ldexp_f64 v[7:8], v[7:8], v10
	v_add_f64 v[10:11], v[7:8], 1.0
	v_add_f64 v[16:17], v[7:8], -1.0
	v_rcp_f64_e32 v[12:13], v[10:11]
	v_add_f64 v[18:19], v[10:11], -1.0
	v_add_f64 v[7:8], v[7:8], -v[18:19]
	v_fma_f64 v[14:15], -v[10:11], v[12:13], 1.0
	v_fma_f64 v[12:13], v[14:15], v[12:13], v[12:13]
	v_fma_f64 v[14:15], -v[10:11], v[12:13], 1.0
	v_fma_f64 v[12:13], v[14:15], v[12:13], v[12:13]
	v_mul_f64 v[14:15], v[16:17], v[12:13]
	v_mul_f64 v[20:21], v[10:11], v[14:15]
	v_fma_f64 v[10:11], v[14:15], v[10:11], -v[20:21]
	v_fma_f64 v[7:8], v[14:15], v[7:8], v[10:11]
	v_add_f64 v[10:11], v[20:21], v[7:8]
	v_add_f64 v[18:19], v[16:17], -v[10:11]
	v_add_f64 v[20:21], v[10:11], -v[20:21]
	;; [unrolled: 1-line block ×4, first 2 shown]
	v_frexp_exp_i32_f64_e32 v20, v[1:2]
	v_add_f64 v[10:11], v[16:17], -v[10:11]
	v_add_f64 v[7:8], v[7:8], v[10:11]
	v_add_f64 v[7:8], v[18:19], v[7:8]
	v_mul_f64 v[7:8], v[12:13], v[7:8]
	v_add_f64 v[10:11], v[14:15], v[7:8]
	v_mul_f64 v[12:13], v[10:11], v[10:11]
	v_fma_f64 v[16:17], v[12:13], s[38:39], s[36:37]
	s_mov_b32 s36, 0xd7f4df2e
	s_mov_b32 s37, 0x3fc7474d
	v_mul_f64 v[18:19], v[10:11], v[12:13]
	v_fma_f64 v[16:17], v[12:13], v[16:17], s[36:37]
	s_mov_b32 s36, 0x16291751
	s_mov_b32 s37, 0x3fcc71c0
	v_fma_f64 v[16:17], v[12:13], v[16:17], s[36:37]
	s_mov_b32 s36, 0x9b27acf1
	s_mov_b32 s37, 0x3fd24924
	v_fma_f64 v[16:17], v[12:13], v[16:17], s[36:37]
	s_mov_b32 s36, 0x998ef7b6
	s_mov_b32 s37, 0x3fd99999
	v_fma_f64 v[16:17], v[12:13], v[16:17], s[36:37]
	v_fma_f64 v[12:13], v[12:13], v[16:17], s[34:35]
	v_ldexp_f64 v[16:17], v[10:11], 1
	v_add_f64 v[10:11], v[10:11], -v[14:15]
	s_mov_b32 s34, 0xfefa39ef
	s_mov_b32 s35, 0x3fe62e42
	v_mul_f64 v[12:13], v[18:19], v[12:13]
	v_subrev_co_ci_u32_e64 v18, null, 0, v20, vcc_lo
	v_add_f64 v[7:8], v[7:8], -v[10:11]
	v_cvt_f64_i32_e32 v[18:19], v18
	v_add_f64 v[14:15], v[16:17], v[12:13]
	v_ldexp_f64 v[7:8], v[7:8], 1
	v_mul_f64 v[20:21], v[18:19], s[34:35]
	v_add_f64 v[10:11], v[14:15], -v[16:17]
	v_fma_f64 v[16:17], v[18:19], s[34:35], -v[20:21]
	s_mov_b32 s34, 0x3b39803f
	s_mov_b32 s35, 0x3c7abc9e
	v_add_f64 v[10:11], v[12:13], -v[10:11]
	v_fma_f64 v[12:13], v[18:19], s[34:35], v[16:17]
	v_add_f64 v[7:8], v[7:8], v[10:11]
	v_add_f64 v[10:11], v[20:21], v[12:13]
	v_add_f64 v[16:17], v[14:15], v[7:8]
	v_add_f64 v[20:21], v[10:11], -v[20:21]
	v_add_f64 v[18:19], v[10:11], v[16:17]
	v_add_f64 v[14:15], v[16:17], -v[14:15]
	v_add_f64 v[12:13], v[12:13], -v[20:21]
	;; [unrolled: 1-line block ×6, first 2 shown]
	v_fma_f64 v[16:17], -v[24:25], v[28:29], 1.0
	v_add_f64 v[20:21], v[12:13], v[7:8]
	v_add_f64 v[10:11], v[10:11], -v[26:27]
	v_add_f64 v[10:11], v[14:15], v[10:11]
	v_fma_f64 v[14:15], v[28:29], v[16:17], v[28:29]
	v_add_f64 v[16:17], v[20:21], -v[12:13]
	v_div_scale_f64 v[28:29], vcc_lo, -0.5, v[1:2], -0.5
	v_add_f64 v[10:11], v[20:21], v[10:11]
	v_fma_f64 v[22:23], -v[24:25], v[14:15], 1.0
	v_add_f64 v[20:21], v[20:21], -v[16:17]
	v_add_f64 v[7:8], v[7:8], -v[16:17]
	v_add_f64 v[26:27], v[18:19], v[10:11]
	v_fma_f64 v[14:15], v[14:15], v[22:23], v[14:15]
	v_add_f64 v[12:13], v[12:13], -v[20:21]
	v_add_f64 v[16:17], v[26:27], -v[18:19]
	v_mul_f64 v[18:19], v[28:29], v[14:15]
	v_add_f64 v[7:8], v[7:8], v[12:13]
	v_add_f64 v[10:11], v[10:11], -v[16:17]
	v_fma_f64 v[12:13], -v[24:25], v[18:19], v[28:29]
	v_add_f64 v[7:8], v[7:8], v[10:11]
	v_div_fmas_f64 v[10:11], v[12:13], v[14:15], v[18:19]
	v_cmp_class_f64_e64 vcc_lo, v[1:2], 0x204
	v_add_f64 v[7:8], v[26:27], v[7:8]
	v_div_fixup_f64 v[10:11], v[10:11], v[1:2], -0.5
	v_cndmask_b32_e32 v2, v8, v2, vcc_lo
	v_cndmask_b32_e32 v1, v7, v1, vcc_lo
	v_add_f64 v[1:2], v[1:2], v[10:11]
	v_add_f64 v[1:2], v[1:2], -v[5:6]
	v_add_f64 v[5:6], v[3:4], v[1:2]
                                        ; implicit-def: $vgpr3_vgpr4
.LBB7_236:
	s_andn2_saveexec_b32 s1, s1
; %bb.237:
	s_mov_b32 s34, 0xdc85cc95
	s_mov_b32 s35, 0x40020396
	v_add_f64 v[5:6], v[3:4], s[34:35]
; %bb.238:
	s_or_b32 exec_lo, exec_lo, s1
.LBB7_239:
	s_or_b32 exec_lo, exec_lo, s0
                                        ; implicit-def: $vgpr1_vgpr2
.LBB7_240:
	s_andn2_saveexec_b32 s0, s20
; %bb.241:
	v_xor_b32_e32 v1, 0x80000000, v2
	s_mov_b32 s1, 0x7ff00000
	v_mov_b32_e32 v5, 0
	v_bfi_b32 v6, 0x7fffffff, s1, v1
; %bb.242:
	s_or_b32 exec_lo, exec_lo, s0
	v_add_nc_u32_e32 v9, 0x80, v9
	global_store_dwordx2 v0, v[5:6], s[4:5]
	s_or_b32 exec_lo, exec_lo, s30
	s_mov_b32 s30, exec_lo
	v_cmpx_gt_i32_e64 s27, v9
	s_cbranch_execnz .LBB7_204
.LBB7_243:
	s_or_b32 exec_lo, exec_lo, s30
	s_mov_b32 s20, exec_lo
	v_cmpx_gt_i32_e64 s27, v9
	s_cbranch_execnz .LBB7_278
.LBB7_244:
	s_or_b32 exec_lo, exec_lo, s20
                                        ; implicit-def: $vgpr12
                                        ; implicit-def: $vgpr9
	s_andn2_saveexec_b32 s0, s25
	s_cbranch_execnz .LBB7_8
.LBB7_245:
	s_endpgm
.LBB7_246:
	v_mov_b32_e32 v0, 0
	v_mov_b32_e32 v2, 0
	;; [unrolled: 1-line block ×3, first 2 shown]
	s_mov_b32 s31, 0
.LBB7_247:
	s_and_b32 s33, s33, 3
	s_cmp_eq_u32 s33, 0
	s_cbranch_scc1 .LBB7_250
; %bb.248:
	s_lshl_b32 s0, s31, 3
	s_mul_i32 s20, s31, 12
	s_add_u32 s0, s2, s0
	s_addc_u32 s1, s3, 0
	s_add_u32 s0, s0, 0xc4
	s_addc_u32 s1, s1, 0
	;; [unrolled: 2-line block ×3, first 2 shown]
	.p2align	6
.LBB7_249:                              ; =>This Inner Loop Header: Depth=1
	s_clause 0x1
	s_load_dwordx2 s[34:35], s[20:21], 0x4
	s_load_dword s31, s[20:21], 0xc
	s_load_dwordx2 s[36:37], s[0:1], 0x0
	s_add_u32 s20, s20, 12
	s_addc_u32 s21, s21, 0
	s_add_u32 s0, s0, 8
	s_addc_u32 s1, s1, 0
	s_add_i32 s33, s33, -1
	s_cmp_lg_u32 s33, 0
	s_waitcnt lgkmcnt(0)
	v_mul_hi_u32 v3, s35, v1
	v_add_nc_u32_e32 v3, v1, v3
	v_lshrrev_b32_e32 v4, s31, v3
	v_mul_lo_u32 v3, v4, s34
	v_sub_nc_u32_e32 v3, v1, v3
	v_mad_u64_u32 v[0:1], null, v3, s36, v[0:1]
	v_mad_u64_u32 v[2:3], null, v3, s37, v[2:3]
	v_mov_b32_e32 v1, v4
	s_cbranch_scc1 .LBB7_249
.LBB7_250:
	s_cbranch_execnz .LBB7_253
.LBB7_251:
	s_waitcnt lgkmcnt(0)
	v_mul_hi_u32 v0, s13, v9
	s_andn2_b32 vcc_lo, exec_lo, s26
	v_add_nc_u32_e32 v0, v9, v0
	v_lshrrev_b32_e32 v1, s14, v0
	v_mul_lo_u32 v0, v1, s12
	v_sub_nc_u32_e32 v2, v9, v0
	v_mul_lo_u32 v0, v2, s8
	v_mul_lo_u32 v2, v2, s9
	s_cbranch_vccnz .LBB7_253
; %bb.252:
	v_mul_hi_u32 v3, s16, v1
	v_add_nc_u32_e32 v3, v1, v3
	v_lshrrev_b32_e32 v3, s17, v3
	v_mul_lo_u32 v3, v3, s15
	v_sub_nc_u32_e32 v3, v1, v3
	v_mad_u64_u32 v[0:1], null, v3, s10, v[0:1]
	v_mad_u64_u32 v[2:3], null, v3, s11, v[2:3]
.LBB7_253:
	s_waitcnt lgkmcnt(0)
	global_load_dwordx2 v[1:2], v2, s[6:7]
                                        ; implicit-def: $vgpr5_vgpr6
	s_mov_b32 s0, exec_lo
	s_waitcnt vmcnt(0)
	v_cmpx_neq_f64_e32 0, v[1:2]
	s_xor_b32 s20, exec_lo, s0
	s_cbranch_execz .LBB7_275
; %bb.254:
	v_mov_b32_e32 v3, 0
	v_mov_b32_e32 v4, 0
	s_mov_b32 s1, -1
	s_mov_b32 s21, exec_lo
	v_cmpx_gt_f64_e32 0, v[1:2]
	s_cbranch_execz .LBB7_262
; %bb.255:
	v_trunc_f64_e32 v[5:6], v[1:2]
	v_mov_b32_e32 v3, 0
	v_mov_b32_e32 v4, 0
	s_mov_b32 s1, 0
	s_mov_b32 s31, exec_lo
	v_cmpx_neq_f64_e32 v[1:2], v[5:6]
	s_cbranch_execz .LBB7_261
; %bb.256:
	v_add_f64 v[3:4], v[1:2], -v[5:6]
	s_mov_b32 s1, 0xc00921fb
	s_mov_b32 s0, 0x54442d18
	v_cmp_neq_f64_e64 vcc_lo, 0x7ff00000, |v[1:2]|
	s_mov_b32 s33, exec_lo
                                        ; implicit-def: $vgpr10
                                        ; implicit-def: $vgpr5_vgpr6
                                        ; implicit-def: $vgpr7_vgpr8
	v_mul_f64 v[3:4], |v[3:4]|, s[0:1]
	v_cndmask_b32_e32 v4, 0x80000000, v4, vcc_lo
	v_cndmask_b32_e32 v3, 0, v3, vcc_lo
	v_cmpx_ngt_f64_e64 0x41d00000, |v[3:4]|
	s_xor_b32 s33, exec_lo, s33
	s_cbranch_execz .LBB7_258
; %bb.257:
	v_ldexp_f64 v[5:6], |v[3:4]|, 0xffffff80
	v_cmp_le_f64_e64 vcc_lo, 0x7b000000, |v[3:4]|
	v_trig_preop_f64 v[7:8], |v[3:4]|, 0
	v_and_b32_e32 v10, 0x7fffffff, v4
	v_trig_preop_f64 v[20:21], |v[3:4]|, 2
	v_mov_b32_e32 v28, 0
	s_mov_b32 s1, 0x3ff921fb
	s_mov_b32 s34, 0x33145c07
	;; [unrolled: 1-line block ×3, first 2 shown]
	v_cndmask_b32_e32 v6, v10, v6, vcc_lo
	v_cndmask_b32_e32 v5, v3, v5, vcc_lo
	v_trig_preop_f64 v[10:11], |v[3:4]|, 1
	v_mul_f64 v[12:13], v[7:8], v[5:6]
	v_mul_f64 v[26:27], v[20:21], v[5:6]
	;; [unrolled: 1-line block ×3, first 2 shown]
	v_fma_f64 v[7:8], v[7:8], v[5:6], -v[12:13]
	v_fma_f64 v[10:11], v[10:11], v[5:6], -v[14:15]
	;; [unrolled: 1-line block ×3, first 2 shown]
	v_add_f64 v[16:17], v[14:15], v[7:8]
	v_add_f64 v[18:19], v[16:17], -v[14:15]
	v_add_f64 v[24:25], v[12:13], v[16:17]
	v_add_f64 v[22:23], v[16:17], -v[18:19]
	v_add_f64 v[7:8], v[7:8], -v[18:19]
	v_ldexp_f64 v[18:19], v[24:25], -2
	v_add_f64 v[12:13], v[24:25], -v[12:13]
	v_add_f64 v[14:15], v[14:15], -v[22:23]
	v_add_f64 v[22:23], v[26:27], v[10:11]
	v_cmp_neq_f64_e64 vcc_lo, 0x7ff00000, |v[18:19]|
	v_add_f64 v[12:13], v[16:17], -v[12:13]
	v_add_f64 v[7:8], v[7:8], v[14:15]
	v_fract_f64_e32 v[14:15], v[18:19]
	v_add_f64 v[16:17], v[22:23], v[7:8]
	v_ldexp_f64 v[14:15], v[14:15], 2
	v_add_f64 v[18:19], v[12:13], v[16:17]
	v_cndmask_b32_e32 v15, 0, v15, vcc_lo
	v_cndmask_b32_e32 v14, 0, v14, vcc_lo
	v_add_f64 v[24:25], v[18:19], v[14:15]
	v_add_f64 v[12:13], v[18:19], -v[12:13]
	v_cmp_gt_f64_e32 vcc_lo, 0, v[24:25]
	v_add_f64 v[24:25], v[22:23], -v[26:27]
	v_cndmask_b32_e64 v29, 0, 0x40100000, vcc_lo
	v_add_f64 v[33:34], v[22:23], -v[24:25]
	v_add_f64 v[10:11], v[10:11], -v[24:25]
	v_add_f64 v[14:15], v[14:15], v[28:29]
	v_add_f64 v[29:30], v[16:17], -v[22:23]
	v_add_f64 v[24:25], v[26:27], -v[33:34]
	v_add_f64 v[31:32], v[18:19], v[14:15]
	;; [unrolled: 3-line block ×3, first 2 shown]
	v_cvt_i32_f64_e32 v31, v[31:32]
	v_add_f64 v[22:23], v[22:23], -v[35:36]
	v_cvt_f64_i32_e32 v[29:30], v31
	v_add_f64 v[7:8], v[7:8], v[22:23]
	v_add_f64 v[14:15], v[14:15], -v[29:30]
	v_add_f64 v[7:8], v[10:11], v[7:8]
	v_add_f64 v[10:11], v[16:17], -v[12:13]
	v_add_f64 v[20:21], v[18:19], v[14:15]
	v_add_f64 v[5:6], v[5:6], v[7:8]
	v_add_f64 v[7:8], v[20:21], -v[14:15]
	v_cmp_le_f64_e32 vcc_lo, 0.5, v[20:21]
	v_add_f64 v[5:6], v[10:11], v[5:6]
	v_add_f64 v[7:8], v[18:19], -v[7:8]
	v_cndmask_b32_e64 v29, 0, 0x3ff00000, vcc_lo
	v_add_co_ci_u32_e64 v10, null, 0, v31, vcc_lo
	v_add_f64 v[5:6], v[5:6], v[7:8]
	v_add_f64 v[7:8], v[20:21], -v[28:29]
	v_add_f64 v[11:12], v[7:8], v[5:6]
	v_mul_f64 v[13:14], v[11:12], s[0:1]
	v_add_f64 v[7:8], v[11:12], -v[7:8]
	v_fma_f64 v[15:16], v[11:12], s[0:1], -v[13:14]
	v_add_f64 v[5:6], v[5:6], -v[7:8]
	v_fma_f64 v[7:8], v[11:12], s[34:35], v[15:16]
	v_fma_f64 v[7:8], v[5:6], s[0:1], v[7:8]
	v_add_f64 v[5:6], v[13:14], v[7:8]
	v_add_f64 v[11:12], v[5:6], -v[13:14]
	v_add_f64 v[7:8], v[7:8], -v[11:12]
.LBB7_258:
	s_andn2_saveexec_b32 s0, s33
	s_cbranch_execz .LBB7_260
; %bb.259:
	s_mov_b32 s34, 0x6dc9c883
	s_mov_b32 s35, 0x3fe45f30
	;; [unrolled: 1-line block ×3, first 2 shown]
	v_mul_f64 v[5:6], |v[3:4]|, s[34:35]
	s_mov_b32 s34, 0x54442d18
	s_mov_b32 s35, 0xbff921fb
	;; [unrolled: 1-line block ×3, first 2 shown]
	v_rndne_f64_e32 v[10:11], v[5:6]
	v_fma_f64 v[5:6], v[10:11], s[34:35], |v[3:4]|
	v_mul_f64 v[7:8], v[10:11], s[36:37]
	s_mov_b32 s34, 0x252049c0
	s_mov_b32 s35, 0xb97b839a
	v_fma_f64 v[14:15], v[10:11], s[36:37], v[5:6]
	v_add_f64 v[12:13], v[5:6], v[7:8]
	s_mov_b32 s37, 0x3c91a626
	v_add_f64 v[5:6], v[5:6], -v[12:13]
	v_add_f64 v[12:13], v[12:13], -v[14:15]
	v_add_f64 v[5:6], v[5:6], v[7:8]
	v_fma_f64 v[7:8], v[10:11], s[36:37], v[7:8]
	v_add_f64 v[5:6], v[12:13], v[5:6]
	v_add_f64 v[5:6], v[5:6], -v[7:8]
	v_fma_f64 v[7:8], v[10:11], s[34:35], v[5:6]
	v_cvt_i32_f64_e32 v10, v[10:11]
	v_add_f64 v[5:6], v[14:15], v[7:8]
	v_add_f64 v[12:13], v[5:6], -v[14:15]
	v_add_f64 v[7:8], v[7:8], -v[12:13]
.LBB7_260:
	s_or_b32 exec_lo, exec_lo, s0
	v_mul_f64 v[11:12], v[5:6], v[5:6]
	v_add_f64 v[13:14], v[7:8], v[7:8]
	s_mov_b32 s34, 0xa9a29f71
	s_mov_b32 s36, 0xc751c08c
	;; [unrolled: 1-line block ×4, first 2 shown]
	v_cmp_class_f64_e64 s0, v[3:4], 0x1f8
	v_and_b32_e32 v10, 1, v10
	v_and_b32_e32 v4, 0x80000000, v4
	v_add_f64 v[1:2], -v[1:2], 1.0
	s_mov_b32 s1, exec_lo
	v_cmp_eq_u32_e32 vcc_lo, 0, v10
	v_fma_f64 v[15:16], v[5:6], v[5:6], -v[11:12]
	v_fma_f64 v[13:14], v[5:6], v[13:14], v[15:16]
	v_add_f64 v[11:12], v[11:12], v[13:14]
	v_fma_f64 v[13:14], v[11:12], s[36:37], s[34:35]
	s_mov_b32 s34, 0x90a8aae0
	s_mov_b32 s35, 0x3f17746f
	v_fma_f64 v[13:14], v[11:12], v[13:14], s[34:35]
	s_mov_b32 s34, 0xa6fbf144
	s_mov_b32 s35, 0xbefbb44d
	;; [unrolled: 3-line block ×13, first 2 shown]
	v_mul_f64 v[11:12], v[11:12], v[13:14]
	v_mul_f64 v[13:14], v[5:6], v[11:12]
	v_add_f64 v[15:16], v[5:6], v[13:14]
	v_fma_f64 v[11:12], v[5:6], v[11:12], -v[13:14]
	v_add_f64 v[5:6], v[15:16], -v[5:6]
	v_add_f64 v[7:8], v[7:8], v[11:12]
	v_add_f64 v[5:6], v[13:14], -v[5:6]
	v_add_f64 v[5:6], v[7:8], v[5:6]
	v_add_f64 v[7:8], v[15:16], v[5:6]
	v_rcp_f64_e32 v[11:12], v[7:8]
	v_fma_f64 v[13:14], -v[7:8], v[11:12], 1.0
	v_fma_f64 v[11:12], v[13:14], v[11:12], v[11:12]
	v_fma_f64 v[13:14], -v[7:8], v[11:12], 1.0
	v_fma_f64 v[11:12], v[13:14], v[11:12], v[11:12]
	v_add_f64 v[13:14], v[7:8], -v[15:16]
	v_mul_f64 v[15:16], v[7:8], v[11:12]
	v_add_f64 v[5:6], v[5:6], -v[13:14]
	v_fma_f64 v[13:14], v[11:12], v[7:8], -v[15:16]
	v_fma_f64 v[5:6], v[11:12], v[5:6], v[13:14]
	v_add_f64 v[13:14], v[15:16], v[5:6]
	v_add_f64 v[17:18], -v[13:14], 1.0
	v_add_f64 v[15:16], v[13:14], -v[15:16]
	v_add_f64 v[19:20], -v[17:18], 1.0
	v_add_f64 v[5:6], v[15:16], -v[5:6]
	v_add_f64 v[13:14], v[19:20], -v[13:14]
	v_add_f64 v[5:6], v[5:6], v[13:14]
	v_add_f64 v[5:6], v[17:18], v[5:6]
	v_mul_f64 v[5:6], v[11:12], v[5:6]
	v_add_f64 v[5:6], v[11:12], v[5:6]
	v_xor_b32_e32 v3, 0x80000000, v6
	v_cndmask_b32_e32 v5, v5, v7, vcc_lo
	v_cndmask_b32_e32 v3, v3, v8, vcc_lo
	v_xor_b32_e32 v4, v3, v4
	v_cndmask_b32_e64 v3, 0, v5, s0
	v_cndmask_b32_e64 v4, 0x7ff80000, v4, s0
	v_div_scale_f64 v[5:6], null, v[3:4], v[3:4], s[34:35]
	v_div_scale_f64 v[12:13], vcc_lo, s[34:35], v[3:4], s[34:35]
	v_rcp_f64_e32 v[7:8], v[5:6]
	v_fma_f64 v[10:11], -v[5:6], v[7:8], 1.0
	v_fma_f64 v[7:8], v[7:8], v[10:11], v[7:8]
	v_fma_f64 v[10:11], -v[5:6], v[7:8], 1.0
	v_fma_f64 v[7:8], v[7:8], v[10:11], v[7:8]
	v_mul_f64 v[10:11], v[12:13], v[7:8]
	v_fma_f64 v[5:6], -v[5:6], v[10:11], v[12:13]
	v_div_fmas_f64 v[5:6], v[5:6], v[7:8], v[10:11]
	v_div_fixup_f64 v[3:4], v[5:6], v[3:4], s[34:35]
.LBB7_261:
	s_or_b32 exec_lo, exec_lo, s31
	s_orn2_b32 s1, s1, exec_lo
.LBB7_262:
	s_or_b32 exec_lo, exec_lo, s21
	v_mov_b32_e32 v5, 0
	v_mov_b32_e32 v6, 0x7ff80000
	s_and_saveexec_b32 s0, s1
	s_cbranch_execz .LBB7_274
; %bb.263:
	s_mov_b32 s1, exec_lo
	v_cmpx_gt_f64_e32 0x40240000, v[1:2]
	s_cbranch_execz .LBB7_267
; %bb.264:
	s_mov_b32 s21, 0
	.p2align	6
.LBB7_265:                              ; =>This Inner Loop Header: Depth=1
	v_div_scale_f64 v[5:6], null, v[1:2], v[1:2], 1.0
	v_div_scale_f64 v[12:13], vcc_lo, 1.0, v[1:2], 1.0
	v_rcp_f64_e32 v[7:8], v[5:6]
	v_fma_f64 v[10:11], -v[5:6], v[7:8], 1.0
	v_fma_f64 v[7:8], v[7:8], v[10:11], v[7:8]
	v_fma_f64 v[10:11], -v[5:6], v[7:8], 1.0
	v_fma_f64 v[7:8], v[7:8], v[10:11], v[7:8]
	v_mul_f64 v[10:11], v[12:13], v[7:8]
	v_fma_f64 v[5:6], -v[5:6], v[10:11], v[12:13]
	v_div_fmas_f64 v[5:6], v[5:6], v[7:8], v[10:11]
	v_div_fixup_f64 v[5:6], v[5:6], v[1:2], 1.0
	v_add_f64 v[1:2], v[1:2], 1.0
	v_add_f64 v[3:4], v[3:4], -v[5:6]
	v_cmp_ngt_f64_e32 vcc_lo, 0x40240000, v[1:2]
	s_or_b32 s21, vcc_lo, s21
	s_andn2_b32 exec_lo, exec_lo, s21
	s_cbranch_execnz .LBB7_265
; %bb.266:
	s_or_b32 exec_lo, exec_lo, s21
.LBB7_267:
	s_or_b32 exec_lo, exec_lo, s1
	s_mov_b32 s1, exec_lo
                                        ; implicit-def: $vgpr5_vgpr6
	v_cmpx_neq_f64_e32 0x40240000, v[1:2]
	s_xor_b32 s1, exec_lo, s1
	s_cbranch_execz .LBB7_271
; %bb.268:
	v_mov_b32_e32 v5, 0
	v_mov_b32_e32 v6, 0
	s_mov_b32 s34, 0x85d8a000
	s_mov_b32 s35, 0x43763457
	s_mov_b32 s21, exec_lo
	v_cmpx_gt_f64_e32 s[34:35], v[1:2]
	s_cbranch_execz .LBB7_270
; %bb.269:
	v_mul_f64 v[5:6], v[1:2], v[1:2]
	s_mov_b32 s34, 0x55555555
	s_mov_b32 s35, 0x3fb55555
	;; [unrolled: 1-line block ×6, first 2 shown]
	v_div_scale_f64 v[7:8], null, v[5:6], v[5:6], 1.0
	v_rcp_f64_e32 v[10:11], v[7:8]
	v_fma_f64 v[12:13], -v[7:8], v[10:11], 1.0
	v_fma_f64 v[10:11], v[10:11], v[12:13], v[10:11]
	v_fma_f64 v[12:13], -v[7:8], v[10:11], 1.0
	v_fma_f64 v[10:11], v[10:11], v[12:13], v[10:11]
	v_div_scale_f64 v[12:13], vcc_lo, 1.0, v[5:6], 1.0
	v_mul_f64 v[14:15], v[12:13], v[10:11]
	v_fma_f64 v[7:8], -v[7:8], v[14:15], v[12:13]
	v_div_fmas_f64 v[7:8], v[7:8], v[10:11], v[14:15]
	v_div_fixup_f64 v[5:6], v[7:8], v[5:6], 1.0
	v_fma_f64 v[7:8], v[5:6], 0, s[34:35]
	v_fma_f64 v[7:8], v[5:6], v[7:8], s[36:37]
	s_mov_b32 s36, 0xf07c1f08
	s_mov_b32 s37, 0x3f7f07c1
	v_fma_f64 v[7:8], v[5:6], v[7:8], s[36:37]
	s_mov_b32 s37, 0xbf711111
	s_mov_b32 s36, 0x11111111
	v_fma_f64 v[7:8], v[5:6], v[7:8], s[36:37]
	s_mov_b32 s37, 0xbf811111
	v_fma_f64 v[7:8], v[5:6], v[7:8], s[38:39]
	v_fma_f64 v[7:8], v[5:6], v[7:8], s[36:37]
	;; [unrolled: 1-line block ×3, first 2 shown]
	v_mul_f64 v[5:6], v[5:6], v[7:8]
.LBB7_270:
	s_or_b32 exec_lo, exec_lo, s21
	v_frexp_mant_f64_e32 v[7:8], v[1:2]
	s_mov_b32 s35, 0x3fe55555
	s_mov_b32 s34, 0x55555555
	;; [unrolled: 1-line block ×6, first 2 shown]
	v_div_scale_f64 v[24:25], null, v[1:2], v[1:2], -0.5
	v_cmp_gt_f64_e32 vcc_lo, s[34:35], v[7:8]
	s_mov_b32 s34, 0x55555780
	v_rcp_f64_e32 v[28:29], v[24:25]
	v_cndmask_b32_e64 v10, 0, 1, vcc_lo
	v_ldexp_f64 v[7:8], v[7:8], v10
	v_add_f64 v[10:11], v[7:8], 1.0
	v_add_f64 v[16:17], v[7:8], -1.0
	v_rcp_f64_e32 v[12:13], v[10:11]
	v_add_f64 v[18:19], v[10:11], -1.0
	v_add_f64 v[7:8], v[7:8], -v[18:19]
	v_fma_f64 v[14:15], -v[10:11], v[12:13], 1.0
	v_fma_f64 v[12:13], v[14:15], v[12:13], v[12:13]
	v_fma_f64 v[14:15], -v[10:11], v[12:13], 1.0
	v_fma_f64 v[12:13], v[14:15], v[12:13], v[12:13]
	v_mul_f64 v[14:15], v[16:17], v[12:13]
	v_mul_f64 v[20:21], v[10:11], v[14:15]
	v_fma_f64 v[10:11], v[14:15], v[10:11], -v[20:21]
	v_fma_f64 v[7:8], v[14:15], v[7:8], v[10:11]
	v_add_f64 v[10:11], v[20:21], v[7:8]
	v_add_f64 v[18:19], v[16:17], -v[10:11]
	v_add_f64 v[20:21], v[10:11], -v[20:21]
	;; [unrolled: 1-line block ×4, first 2 shown]
	v_frexp_exp_i32_f64_e32 v20, v[1:2]
	v_add_f64 v[10:11], v[16:17], -v[10:11]
	v_add_f64 v[7:8], v[7:8], v[10:11]
	v_add_f64 v[7:8], v[18:19], v[7:8]
	v_mul_f64 v[7:8], v[12:13], v[7:8]
	v_add_f64 v[10:11], v[14:15], v[7:8]
	v_mul_f64 v[12:13], v[10:11], v[10:11]
	v_fma_f64 v[16:17], v[12:13], s[38:39], s[36:37]
	s_mov_b32 s36, 0xd7f4df2e
	s_mov_b32 s37, 0x3fc7474d
	v_mul_f64 v[18:19], v[10:11], v[12:13]
	v_fma_f64 v[16:17], v[12:13], v[16:17], s[36:37]
	s_mov_b32 s36, 0x16291751
	s_mov_b32 s37, 0x3fcc71c0
	v_fma_f64 v[16:17], v[12:13], v[16:17], s[36:37]
	s_mov_b32 s36, 0x9b27acf1
	s_mov_b32 s37, 0x3fd24924
	;; [unrolled: 3-line block ×3, first 2 shown]
	v_fma_f64 v[16:17], v[12:13], v[16:17], s[36:37]
	v_fma_f64 v[12:13], v[12:13], v[16:17], s[34:35]
	v_ldexp_f64 v[16:17], v[10:11], 1
	v_add_f64 v[10:11], v[10:11], -v[14:15]
	s_mov_b32 s34, 0xfefa39ef
	s_mov_b32 s35, 0x3fe62e42
	v_mul_f64 v[12:13], v[18:19], v[12:13]
	v_subrev_co_ci_u32_e64 v18, null, 0, v20, vcc_lo
	v_add_f64 v[7:8], v[7:8], -v[10:11]
	v_cvt_f64_i32_e32 v[18:19], v18
	v_add_f64 v[14:15], v[16:17], v[12:13]
	v_ldexp_f64 v[7:8], v[7:8], 1
	v_mul_f64 v[20:21], v[18:19], s[34:35]
	v_add_f64 v[10:11], v[14:15], -v[16:17]
	v_fma_f64 v[16:17], v[18:19], s[34:35], -v[20:21]
	s_mov_b32 s34, 0x3b39803f
	s_mov_b32 s35, 0x3c7abc9e
	v_add_f64 v[10:11], v[12:13], -v[10:11]
	v_fma_f64 v[12:13], v[18:19], s[34:35], v[16:17]
	v_add_f64 v[7:8], v[7:8], v[10:11]
	v_add_f64 v[10:11], v[20:21], v[12:13]
	;; [unrolled: 1-line block ×3, first 2 shown]
	v_add_f64 v[20:21], v[10:11], -v[20:21]
	v_add_f64 v[18:19], v[10:11], v[16:17]
	v_add_f64 v[14:15], v[16:17], -v[14:15]
	v_add_f64 v[12:13], v[12:13], -v[20:21]
	;; [unrolled: 1-line block ×6, first 2 shown]
	v_fma_f64 v[16:17], -v[24:25], v[28:29], 1.0
	v_add_f64 v[20:21], v[12:13], v[7:8]
	v_add_f64 v[10:11], v[10:11], -v[26:27]
	v_add_f64 v[10:11], v[14:15], v[10:11]
	v_fma_f64 v[14:15], v[28:29], v[16:17], v[28:29]
	v_add_f64 v[16:17], v[20:21], -v[12:13]
	v_div_scale_f64 v[28:29], vcc_lo, -0.5, v[1:2], -0.5
	v_add_f64 v[10:11], v[20:21], v[10:11]
	v_fma_f64 v[22:23], -v[24:25], v[14:15], 1.0
	v_add_f64 v[20:21], v[20:21], -v[16:17]
	v_add_f64 v[7:8], v[7:8], -v[16:17]
	v_add_f64 v[26:27], v[18:19], v[10:11]
	v_fma_f64 v[14:15], v[14:15], v[22:23], v[14:15]
	v_add_f64 v[12:13], v[12:13], -v[20:21]
	v_add_f64 v[16:17], v[26:27], -v[18:19]
	v_mul_f64 v[18:19], v[28:29], v[14:15]
	v_add_f64 v[7:8], v[7:8], v[12:13]
	v_add_f64 v[10:11], v[10:11], -v[16:17]
	v_fma_f64 v[12:13], -v[24:25], v[18:19], v[28:29]
	v_add_f64 v[7:8], v[7:8], v[10:11]
	v_div_fmas_f64 v[10:11], v[12:13], v[14:15], v[18:19]
	v_cmp_class_f64_e64 vcc_lo, v[1:2], 0x204
	v_add_f64 v[7:8], v[26:27], v[7:8]
	v_div_fixup_f64 v[10:11], v[10:11], v[1:2], -0.5
	v_cndmask_b32_e32 v2, v8, v2, vcc_lo
	v_cndmask_b32_e32 v1, v7, v1, vcc_lo
	v_add_f64 v[1:2], v[1:2], v[10:11]
	v_add_f64 v[1:2], v[1:2], -v[5:6]
	v_add_f64 v[5:6], v[3:4], v[1:2]
                                        ; implicit-def: $vgpr3_vgpr4
.LBB7_271:
	s_andn2_saveexec_b32 s1, s1
; %bb.272:
	s_mov_b32 s34, 0xdc85cc95
	s_mov_b32 s35, 0x40020396
	v_add_f64 v[5:6], v[3:4], s[34:35]
; %bb.273:
	s_or_b32 exec_lo, exec_lo, s1
.LBB7_274:
	s_or_b32 exec_lo, exec_lo, s0
                                        ; implicit-def: $vgpr1_vgpr2
.LBB7_275:
	s_andn2_saveexec_b32 s0, s20
; %bb.276:
	v_xor_b32_e32 v1, 0x80000000, v2
	s_mov_b32 s1, 0x7ff00000
	v_mov_b32_e32 v5, 0
	v_bfi_b32 v6, 0x7fffffff, s1, v1
; %bb.277:
	s_or_b32 exec_lo, exec_lo, s0
	v_add_nc_u32_e32 v9, 0x80, v9
	global_store_dwordx2 v0, v[5:6], s[4:5]
	s_or_b32 exec_lo, exec_lo, s30
	s_mov_b32 s20, exec_lo
	v_cmpx_gt_i32_e64 s27, v9
	s_cbranch_execz .LBB7_244
.LBB7_278:
	s_andn2_b32 vcc_lo, exec_lo, s24
	s_cbranch_vccnz .LBB7_283
; %bb.279:
	s_andn2_b32 vcc_lo, exec_lo, s29
	s_cbranch_vccnz .LBB7_284
; %bb.280:
	s_add_i32 s28, s28, 1
	s_cmp_eq_u32 s23, 2
	s_cbranch_scc1 .LBB7_285
; %bb.281:
	v_mov_b32_e32 v2, 0
	v_mov_b32_e32 v0, 0
	v_mov_b32_e32 v1, v9
	s_and_b32 s21, s28, 28
	s_mov_b32 s27, 0
	s_mov_b64 s[0:1], s[2:3]
.LBB7_282:                              ; =>This Inner Loop Header: Depth=1
	s_clause 0x1
	s_load_dwordx8 s[36:43], s[0:1], 0x4
	s_load_dwordx4 s[52:55], s[0:1], 0x24
	s_load_dwordx8 s[44:51], s[18:19], 0x0
	s_add_u32 s0, s0, 48
	s_addc_u32 s1, s1, 0
	s_add_i32 s27, s27, 4
	s_add_u32 s18, s18, 32
	s_addc_u32 s19, s19, 0
	s_cmp_eq_u32 s21, s27
	s_waitcnt lgkmcnt(0)
	v_mul_hi_u32 v3, s37, v1
	v_add_nc_u32_e32 v3, v1, v3
	v_lshrrev_b32_e32 v3, s38, v3
	v_mul_hi_u32 v4, s40, v3
	v_mul_lo_u32 v6, v3, s36
	v_add_nc_u32_e32 v4, v3, v4
	v_sub_nc_u32_e32 v1, v1, v6
	v_lshrrev_b32_e32 v4, s41, v4
	v_mul_lo_u32 v6, v1, s44
	v_mul_lo_u32 v8, v1, s45
	v_mul_hi_u32 v5, s43, v4
	v_add_nc_u32_e32 v5, v4, v5
	v_lshrrev_b32_e32 v5, s52, v5
	v_mul_hi_u32 v7, s54, v5
	v_mul_lo_u32 v10, v5, s42
	v_add_nc_u32_e32 v1, v5, v7
	v_mul_lo_u32 v7, v4, s39
	v_sub_nc_u32_e32 v4, v4, v10
	v_lshrrev_b32_e32 v1, s55, v1
	v_mul_lo_u32 v10, v4, s48
	v_mul_lo_u32 v4, v4, s49
	v_sub_nc_u32_e32 v3, v3, v7
	v_mul_lo_u32 v11, v1, s53
	v_mul_lo_u32 v7, v3, s46
	;; [unrolled: 1-line block ×3, first 2 shown]
	v_sub_nc_u32_e32 v5, v5, v11
	v_add3_u32 v0, v6, v0, v7
	v_mul_lo_u32 v11, v5, s50
	v_mul_lo_u32 v5, v5, s51
	v_add3_u32 v2, v8, v2, v3
	v_add3_u32 v0, v10, v0, v11
	;; [unrolled: 1-line block ×3, first 2 shown]
	s_cbranch_scc0 .LBB7_282
	s_branch .LBB7_286
.LBB7_283:
                                        ; implicit-def: $vgpr0
                                        ; implicit-def: $vgpr2
	s_branch .LBB7_290
.LBB7_284:
	v_mov_b32_e32 v0, 0
	v_mov_b32_e32 v2, 0
	s_branch .LBB7_289
.LBB7_285:
	v_mov_b32_e32 v0, 0
	v_mov_b32_e32 v2, 0
	;; [unrolled: 1-line block ×3, first 2 shown]
	s_mov_b32 s21, 0
.LBB7_286:
	s_and_b32 s27, s28, 3
	s_cmp_eq_u32 s27, 0
	s_cbranch_scc1 .LBB7_289
; %bb.287:
	s_lshl_b32 s0, s21, 3
	s_mul_i32 s18, s21, 12
	s_add_u32 s0, s2, s0
	s_addc_u32 s1, s3, 0
	s_add_u32 s0, s0, 0xc4
	s_addc_u32 s1, s1, 0
	;; [unrolled: 2-line block ×3, first 2 shown]
	.p2align	6
.LBB7_288:                              ; =>This Inner Loop Header: Depth=1
	s_clause 0x1
	s_load_dwordx2 s[28:29], s[18:19], 0x4
	s_load_dword s21, s[18:19], 0xc
	s_load_dwordx2 s[30:31], s[0:1], 0x0
	s_add_u32 s18, s18, 12
	s_addc_u32 s19, s19, 0
	s_add_u32 s0, s0, 8
	s_addc_u32 s1, s1, 0
	s_add_i32 s27, s27, -1
	s_cmp_lg_u32 s27, 0
	s_waitcnt lgkmcnt(0)
	v_mul_hi_u32 v3, s29, v1
	v_add_nc_u32_e32 v3, v1, v3
	v_lshrrev_b32_e32 v4, s21, v3
	v_mul_lo_u32 v3, v4, s28
	v_sub_nc_u32_e32 v3, v1, v3
	v_mad_u64_u32 v[0:1], null, v3, s30, v[0:1]
	v_mad_u64_u32 v[2:3], null, v3, s31, v[2:3]
	v_mov_b32_e32 v1, v4
	s_cbranch_scc1 .LBB7_288
.LBB7_289:
	s_cbranch_execnz .LBB7_292
.LBB7_290:
	s_waitcnt lgkmcnt(0)
	v_mul_hi_u32 v0, s13, v9
	s_andn2_b32 vcc_lo, exec_lo, s26
	v_add_nc_u32_e32 v0, v9, v0
	v_lshrrev_b32_e32 v1, s14, v0
	v_mul_lo_u32 v0, v1, s12
	v_sub_nc_u32_e32 v2, v9, v0
	v_mul_lo_u32 v0, v2, s8
	v_mul_lo_u32 v2, v2, s9
	s_cbranch_vccnz .LBB7_292
; %bb.291:
	v_mul_hi_u32 v3, s16, v1
	v_add_nc_u32_e32 v3, v1, v3
	v_lshrrev_b32_e32 v3, s17, v3
	v_mul_lo_u32 v3, v3, s15
	v_sub_nc_u32_e32 v3, v1, v3
	v_mad_u64_u32 v[0:1], null, v3, s10, v[0:1]
	v_mad_u64_u32 v[2:3], null, v3, s11, v[2:3]
.LBB7_292:
	s_waitcnt lgkmcnt(0)
	global_load_dwordx2 v[1:2], v2, s[6:7]
                                        ; implicit-def: $vgpr5_vgpr6
	s_mov_b32 s0, exec_lo
	s_waitcnt vmcnt(0)
	v_cmpx_neq_f64_e32 0, v[1:2]
	s_xor_b32 s6, exec_lo, s0
	s_cbranch_execz .LBB7_314
; %bb.293:
	v_mov_b32_e32 v3, 0
	v_mov_b32_e32 v4, 0
	s_mov_b32 s1, -1
	s_mov_b32 s7, exec_lo
	v_cmpx_gt_f64_e32 0, v[1:2]
	s_cbranch_execz .LBB7_301
; %bb.294:
	v_trunc_f64_e32 v[5:6], v[1:2]
	v_mov_b32_e32 v3, 0
	v_mov_b32_e32 v4, 0
	s_mov_b32 s1, 0
	s_mov_b32 s8, exec_lo
	v_cmpx_neq_f64_e32 v[1:2], v[5:6]
	s_cbranch_execz .LBB7_300
; %bb.295:
	v_add_f64 v[3:4], v[1:2], -v[5:6]
	s_mov_b32 s1, 0xc00921fb
	s_mov_b32 s0, 0x54442d18
	v_cmp_neq_f64_e64 vcc_lo, 0x7ff00000, |v[1:2]|
	s_mov_b32 s9, exec_lo
                                        ; implicit-def: $vgpr9
                                        ; implicit-def: $vgpr5_vgpr6
                                        ; implicit-def: $vgpr7_vgpr8
	v_mul_f64 v[3:4], |v[3:4]|, s[0:1]
	v_cndmask_b32_e32 v4, 0x80000000, v4, vcc_lo
	v_cndmask_b32_e32 v3, 0, v3, vcc_lo
	v_cmpx_ngt_f64_e64 0x41d00000, |v[3:4]|
	s_xor_b32 s9, exec_lo, s9
	s_cbranch_execz .LBB7_297
; %bb.296:
	v_ldexp_f64 v[5:6], |v[3:4]|, 0xffffff80
	v_cmp_le_f64_e64 vcc_lo, 0x7b000000, |v[3:4]|
	v_trig_preop_f64 v[7:8], |v[3:4]|, 0
	v_and_b32_e32 v9, 0x7fffffff, v4
	v_trig_preop_f64 v[19:20], |v[3:4]|, 2
	v_mov_b32_e32 v27, 0
	s_mov_b32 s1, 0x3ff921fb
	s_mov_b32 s10, 0x33145c07
	;; [unrolled: 1-line block ×3, first 2 shown]
	v_cndmask_b32_e32 v6, v9, v6, vcc_lo
	v_cndmask_b32_e32 v5, v3, v5, vcc_lo
	v_trig_preop_f64 v[9:10], |v[3:4]|, 1
	v_mul_f64 v[11:12], v[7:8], v[5:6]
	v_mul_f64 v[25:26], v[19:20], v[5:6]
	;; [unrolled: 1-line block ×3, first 2 shown]
	v_fma_f64 v[7:8], v[7:8], v[5:6], -v[11:12]
	v_fma_f64 v[9:10], v[9:10], v[5:6], -v[13:14]
	;; [unrolled: 1-line block ×3, first 2 shown]
	v_add_f64 v[15:16], v[13:14], v[7:8]
	v_add_f64 v[17:18], v[15:16], -v[13:14]
	v_add_f64 v[23:24], v[11:12], v[15:16]
	v_add_f64 v[21:22], v[15:16], -v[17:18]
	v_add_f64 v[7:8], v[7:8], -v[17:18]
	v_ldexp_f64 v[17:18], v[23:24], -2
	v_add_f64 v[11:12], v[23:24], -v[11:12]
	v_add_f64 v[13:14], v[13:14], -v[21:22]
	v_add_f64 v[21:22], v[25:26], v[9:10]
	v_cmp_neq_f64_e64 vcc_lo, 0x7ff00000, |v[17:18]|
	v_add_f64 v[11:12], v[15:16], -v[11:12]
	v_add_f64 v[7:8], v[7:8], v[13:14]
	v_fract_f64_e32 v[13:14], v[17:18]
	v_add_f64 v[15:16], v[21:22], v[7:8]
	v_ldexp_f64 v[13:14], v[13:14], 2
	v_add_f64 v[17:18], v[11:12], v[15:16]
	v_cndmask_b32_e32 v14, 0, v14, vcc_lo
	v_cndmask_b32_e32 v13, 0, v13, vcc_lo
	v_add_f64 v[23:24], v[17:18], v[13:14]
	v_add_f64 v[11:12], v[17:18], -v[11:12]
	v_cmp_gt_f64_e32 vcc_lo, 0, v[23:24]
	v_add_f64 v[23:24], v[21:22], -v[25:26]
	v_cndmask_b32_e64 v28, 0, 0x40100000, vcc_lo
	v_add_f64 v[32:33], v[21:22], -v[23:24]
	v_add_f64 v[9:10], v[9:10], -v[23:24]
	v_add_f64 v[13:14], v[13:14], v[27:28]
	v_add_f64 v[28:29], v[15:16], -v[21:22]
	v_add_f64 v[23:24], v[25:26], -v[32:33]
	v_add_f64 v[30:31], v[17:18], v[13:14]
	;; [unrolled: 3-line block ×3, first 2 shown]
	v_cvt_i32_f64_e32 v30, v[30:31]
	v_add_f64 v[21:22], v[21:22], -v[34:35]
	v_cvt_f64_i32_e32 v[28:29], v30
	v_add_f64 v[7:8], v[7:8], v[21:22]
	v_add_f64 v[13:14], v[13:14], -v[28:29]
	v_add_f64 v[7:8], v[9:10], v[7:8]
	v_add_f64 v[9:10], v[15:16], -v[11:12]
	v_add_f64 v[19:20], v[17:18], v[13:14]
	v_add_f64 v[5:6], v[5:6], v[7:8]
	v_add_f64 v[7:8], v[19:20], -v[13:14]
	v_cmp_le_f64_e32 vcc_lo, 0.5, v[19:20]
	v_add_f64 v[5:6], v[9:10], v[5:6]
	v_add_f64 v[7:8], v[17:18], -v[7:8]
	v_cndmask_b32_e64 v28, 0, 0x3ff00000, vcc_lo
	v_add_co_ci_u32_e64 v9, null, 0, v30, vcc_lo
	v_add_f64 v[5:6], v[5:6], v[7:8]
	v_add_f64 v[7:8], v[19:20], -v[27:28]
	v_add_f64 v[10:11], v[7:8], v[5:6]
	v_mul_f64 v[12:13], v[10:11], s[0:1]
	v_add_f64 v[7:8], v[10:11], -v[7:8]
	v_fma_f64 v[14:15], v[10:11], s[0:1], -v[12:13]
	v_add_f64 v[5:6], v[5:6], -v[7:8]
	v_fma_f64 v[7:8], v[10:11], s[10:11], v[14:15]
	v_fma_f64 v[7:8], v[5:6], s[0:1], v[7:8]
	v_add_f64 v[5:6], v[12:13], v[7:8]
	v_add_f64 v[10:11], v[5:6], -v[12:13]
	v_add_f64 v[7:8], v[7:8], -v[10:11]
.LBB7_297:
	s_andn2_saveexec_b32 s0, s9
	s_cbranch_execz .LBB7_299
; %bb.298:
	s_mov_b32 s10, 0x6dc9c883
	s_mov_b32 s11, 0x3fe45f30
	;; [unrolled: 1-line block ×3, first 2 shown]
	v_mul_f64 v[5:6], |v[3:4]|, s[10:11]
	s_mov_b32 s10, 0x54442d18
	s_mov_b32 s11, 0xbff921fb
	;; [unrolled: 1-line block ×3, first 2 shown]
	v_rndne_f64_e32 v[9:10], v[5:6]
	v_fma_f64 v[5:6], v[9:10], s[10:11], |v[3:4]|
	v_mul_f64 v[7:8], v[9:10], s[12:13]
	s_mov_b32 s10, 0x252049c0
	s_mov_b32 s11, 0xb97b839a
	v_fma_f64 v[13:14], v[9:10], s[12:13], v[5:6]
	v_add_f64 v[11:12], v[5:6], v[7:8]
	s_mov_b32 s13, 0x3c91a626
	v_add_f64 v[5:6], v[5:6], -v[11:12]
	v_add_f64 v[11:12], v[11:12], -v[13:14]
	v_add_f64 v[5:6], v[5:6], v[7:8]
	v_fma_f64 v[7:8], v[9:10], s[12:13], v[7:8]
	v_add_f64 v[5:6], v[11:12], v[5:6]
	v_add_f64 v[5:6], v[5:6], -v[7:8]
	v_fma_f64 v[7:8], v[9:10], s[10:11], v[5:6]
	v_cvt_i32_f64_e32 v9, v[9:10]
	v_add_f64 v[5:6], v[13:14], v[7:8]
	v_add_f64 v[11:12], v[5:6], -v[13:14]
	v_add_f64 v[7:8], v[7:8], -v[11:12]
.LBB7_299:
	s_or_b32 exec_lo, exec_lo, s0
	v_mul_f64 v[10:11], v[5:6], v[5:6]
	v_add_f64 v[12:13], v[7:8], v[7:8]
	s_mov_b32 s10, 0xa9a29f71
	s_mov_b32 s12, 0xc751c08c
	;; [unrolled: 1-line block ×4, first 2 shown]
	v_cmp_class_f64_e64 s0, v[3:4], 0x1f8
	v_and_b32_e32 v9, 1, v9
	v_and_b32_e32 v4, 0x80000000, v4
	v_add_f64 v[1:2], -v[1:2], 1.0
	s_mov_b32 s1, exec_lo
	v_cmp_eq_u32_e32 vcc_lo, 0, v9
	v_fma_f64 v[14:15], v[5:6], v[5:6], -v[10:11]
	v_fma_f64 v[12:13], v[5:6], v[12:13], v[14:15]
	v_add_f64 v[10:11], v[10:11], v[12:13]
	v_fma_f64 v[12:13], v[10:11], s[12:13], s[10:11]
	s_mov_b32 s10, 0x90a8aae0
	s_mov_b32 s11, 0x3f17746f
	v_fma_f64 v[12:13], v[10:11], v[12:13], s[10:11]
	s_mov_b32 s10, 0xa6fbf144
	s_mov_b32 s11, 0xbefbb44d
	;; [unrolled: 3-line block ×13, first 2 shown]
	v_mul_f64 v[10:11], v[10:11], v[12:13]
	v_mul_f64 v[12:13], v[5:6], v[10:11]
	v_add_f64 v[14:15], v[5:6], v[12:13]
	v_fma_f64 v[10:11], v[5:6], v[10:11], -v[12:13]
	v_add_f64 v[5:6], v[14:15], -v[5:6]
	v_add_f64 v[7:8], v[7:8], v[10:11]
	v_add_f64 v[5:6], v[12:13], -v[5:6]
	v_add_f64 v[5:6], v[7:8], v[5:6]
	v_add_f64 v[7:8], v[14:15], v[5:6]
	v_rcp_f64_e32 v[10:11], v[7:8]
	v_fma_f64 v[12:13], -v[7:8], v[10:11], 1.0
	v_fma_f64 v[10:11], v[12:13], v[10:11], v[10:11]
	v_fma_f64 v[12:13], -v[7:8], v[10:11], 1.0
	v_fma_f64 v[10:11], v[12:13], v[10:11], v[10:11]
	v_add_f64 v[12:13], v[7:8], -v[14:15]
	v_mul_f64 v[14:15], v[7:8], v[10:11]
	v_add_f64 v[5:6], v[5:6], -v[12:13]
	v_fma_f64 v[12:13], v[10:11], v[7:8], -v[14:15]
	v_fma_f64 v[5:6], v[10:11], v[5:6], v[12:13]
	v_add_f64 v[12:13], v[14:15], v[5:6]
	v_add_f64 v[16:17], -v[12:13], 1.0
	v_add_f64 v[14:15], v[12:13], -v[14:15]
	v_add_f64 v[18:19], -v[16:17], 1.0
	v_add_f64 v[5:6], v[14:15], -v[5:6]
	v_add_f64 v[12:13], v[18:19], -v[12:13]
	v_add_f64 v[5:6], v[5:6], v[12:13]
	v_add_f64 v[5:6], v[16:17], v[5:6]
	v_mul_f64 v[5:6], v[10:11], v[5:6]
	v_add_f64 v[5:6], v[10:11], v[5:6]
	v_xor_b32_e32 v3, 0x80000000, v6
	v_cndmask_b32_e32 v5, v5, v7, vcc_lo
	v_cndmask_b32_e32 v3, v3, v8, vcc_lo
	v_xor_b32_e32 v4, v3, v4
	v_cndmask_b32_e64 v3, 0, v5, s0
	v_cndmask_b32_e64 v4, 0x7ff80000, v4, s0
	v_div_scale_f64 v[5:6], null, v[3:4], v[3:4], s[10:11]
	v_div_scale_f64 v[11:12], vcc_lo, s[10:11], v[3:4], s[10:11]
	v_rcp_f64_e32 v[7:8], v[5:6]
	v_fma_f64 v[9:10], -v[5:6], v[7:8], 1.0
	v_fma_f64 v[7:8], v[7:8], v[9:10], v[7:8]
	v_fma_f64 v[9:10], -v[5:6], v[7:8], 1.0
	v_fma_f64 v[7:8], v[7:8], v[9:10], v[7:8]
	v_mul_f64 v[9:10], v[11:12], v[7:8]
	v_fma_f64 v[5:6], -v[5:6], v[9:10], v[11:12]
	v_div_fmas_f64 v[5:6], v[5:6], v[7:8], v[9:10]
	v_div_fixup_f64 v[3:4], v[5:6], v[3:4], s[10:11]
.LBB7_300:
	s_or_b32 exec_lo, exec_lo, s8
	s_orn2_b32 s1, s1, exec_lo
.LBB7_301:
	s_or_b32 exec_lo, exec_lo, s7
	v_mov_b32_e32 v5, 0
	v_mov_b32_e32 v6, 0x7ff80000
	s_and_saveexec_b32 s0, s1
	s_cbranch_execz .LBB7_313
; %bb.302:
	s_mov_b32 s1, exec_lo
	v_cmpx_gt_f64_e32 0x40240000, v[1:2]
	s_cbranch_execz .LBB7_306
; %bb.303:
	s_mov_b32 s7, 0
	.p2align	6
.LBB7_304:                              ; =>This Inner Loop Header: Depth=1
	v_div_scale_f64 v[5:6], null, v[1:2], v[1:2], 1.0
	v_div_scale_f64 v[11:12], vcc_lo, 1.0, v[1:2], 1.0
	v_rcp_f64_e32 v[7:8], v[5:6]
	v_fma_f64 v[9:10], -v[5:6], v[7:8], 1.0
	v_fma_f64 v[7:8], v[7:8], v[9:10], v[7:8]
	v_fma_f64 v[9:10], -v[5:6], v[7:8], 1.0
	v_fma_f64 v[7:8], v[7:8], v[9:10], v[7:8]
	v_mul_f64 v[9:10], v[11:12], v[7:8]
	v_fma_f64 v[5:6], -v[5:6], v[9:10], v[11:12]
	v_div_fmas_f64 v[5:6], v[5:6], v[7:8], v[9:10]
	v_div_fixup_f64 v[5:6], v[5:6], v[1:2], 1.0
	v_add_f64 v[1:2], v[1:2], 1.0
	v_add_f64 v[3:4], v[3:4], -v[5:6]
	v_cmp_ngt_f64_e32 vcc_lo, 0x40240000, v[1:2]
	s_or_b32 s7, vcc_lo, s7
	s_andn2_b32 exec_lo, exec_lo, s7
	s_cbranch_execnz .LBB7_304
; %bb.305:
	s_or_b32 exec_lo, exec_lo, s7
.LBB7_306:
	s_or_b32 exec_lo, exec_lo, s1
	s_mov_b32 s1, exec_lo
                                        ; implicit-def: $vgpr5_vgpr6
	v_cmpx_neq_f64_e32 0x40240000, v[1:2]
	s_xor_b32 s1, exec_lo, s1
	s_cbranch_execz .LBB7_310
; %bb.307:
	v_mov_b32_e32 v5, 0
	v_mov_b32_e32 v6, 0
	s_mov_b32 s8, 0x85d8a000
	s_mov_b32 s9, 0x43763457
	s_mov_b32 s7, exec_lo
	v_cmpx_gt_f64_e32 s[8:9], v[1:2]
	s_cbranch_execz .LBB7_309
; %bb.308:
	v_mul_f64 v[5:6], v[1:2], v[1:2]
	s_mov_b32 s8, 0x55555555
	s_mov_b32 s9, 0x3fb55555
	;; [unrolled: 1-line block ×6, first 2 shown]
	v_div_scale_f64 v[7:8], null, v[5:6], v[5:6], 1.0
	v_rcp_f64_e32 v[9:10], v[7:8]
	v_fma_f64 v[11:12], -v[7:8], v[9:10], 1.0
	v_fma_f64 v[9:10], v[9:10], v[11:12], v[9:10]
	v_fma_f64 v[11:12], -v[7:8], v[9:10], 1.0
	v_fma_f64 v[9:10], v[9:10], v[11:12], v[9:10]
	v_div_scale_f64 v[11:12], vcc_lo, 1.0, v[5:6], 1.0
	v_mul_f64 v[13:14], v[11:12], v[9:10]
	v_fma_f64 v[7:8], -v[7:8], v[13:14], v[11:12]
	v_div_fmas_f64 v[7:8], v[7:8], v[9:10], v[13:14]
	v_div_fixup_f64 v[5:6], v[7:8], v[5:6], 1.0
	v_fma_f64 v[7:8], v[5:6], 0, s[8:9]
	v_fma_f64 v[7:8], v[5:6], v[7:8], s[10:11]
	s_mov_b32 s10, 0xf07c1f08
	s_mov_b32 s11, 0x3f7f07c1
	v_fma_f64 v[7:8], v[5:6], v[7:8], s[10:11]
	s_mov_b32 s11, 0xbf711111
	s_mov_b32 s10, 0x11111111
	v_fma_f64 v[7:8], v[5:6], v[7:8], s[10:11]
	s_mov_b32 s11, 0xbf811111
	v_fma_f64 v[7:8], v[5:6], v[7:8], s[12:13]
	v_fma_f64 v[7:8], v[5:6], v[7:8], s[10:11]
	;; [unrolled: 1-line block ×3, first 2 shown]
	v_mul_f64 v[5:6], v[5:6], v[7:8]
.LBB7_309:
	s_or_b32 exec_lo, exec_lo, s7
	v_frexp_mant_f64_e32 v[7:8], v[1:2]
	s_mov_b32 s9, 0x3fe55555
	s_mov_b32 s8, 0x55555555
	;; [unrolled: 1-line block ×6, first 2 shown]
	v_div_scale_f64 v[23:24], null, v[1:2], v[1:2], -0.5
	v_cmp_gt_f64_e32 vcc_lo, s[8:9], v[7:8]
	s_mov_b32 s8, 0x55555780
	v_rcp_f64_e32 v[27:28], v[23:24]
	v_cndmask_b32_e64 v9, 0, 1, vcc_lo
	v_ldexp_f64 v[7:8], v[7:8], v9
	v_add_f64 v[9:10], v[7:8], 1.0
	v_add_f64 v[15:16], v[7:8], -1.0
	v_rcp_f64_e32 v[11:12], v[9:10]
	v_add_f64 v[17:18], v[9:10], -1.0
	v_add_f64 v[7:8], v[7:8], -v[17:18]
	v_fma_f64 v[13:14], -v[9:10], v[11:12], 1.0
	v_fma_f64 v[11:12], v[13:14], v[11:12], v[11:12]
	v_fma_f64 v[13:14], -v[9:10], v[11:12], 1.0
	v_fma_f64 v[11:12], v[13:14], v[11:12], v[11:12]
	v_mul_f64 v[13:14], v[15:16], v[11:12]
	v_mul_f64 v[19:20], v[9:10], v[13:14]
	v_fma_f64 v[9:10], v[13:14], v[9:10], -v[19:20]
	v_fma_f64 v[7:8], v[13:14], v[7:8], v[9:10]
	v_add_f64 v[9:10], v[19:20], v[7:8]
	v_add_f64 v[17:18], v[15:16], -v[9:10]
	v_add_f64 v[19:20], v[9:10], -v[19:20]
	;; [unrolled: 1-line block ×4, first 2 shown]
	v_frexp_exp_i32_f64_e32 v19, v[1:2]
	v_add_f64 v[9:10], v[15:16], -v[9:10]
	v_add_f64 v[7:8], v[7:8], v[9:10]
	v_add_f64 v[7:8], v[17:18], v[7:8]
	v_mul_f64 v[7:8], v[11:12], v[7:8]
	v_add_f64 v[9:10], v[13:14], v[7:8]
	v_mul_f64 v[11:12], v[9:10], v[9:10]
	v_fma_f64 v[15:16], v[11:12], s[12:13], s[10:11]
	s_mov_b32 s10, 0xd7f4df2e
	s_mov_b32 s11, 0x3fc7474d
	v_mul_f64 v[17:18], v[9:10], v[11:12]
	v_fma_f64 v[15:16], v[11:12], v[15:16], s[10:11]
	s_mov_b32 s10, 0x16291751
	s_mov_b32 s11, 0x3fcc71c0
	v_fma_f64 v[15:16], v[11:12], v[15:16], s[10:11]
	s_mov_b32 s10, 0x9b27acf1
	s_mov_b32 s11, 0x3fd24924
	;; [unrolled: 3-line block ×3, first 2 shown]
	v_fma_f64 v[15:16], v[11:12], v[15:16], s[10:11]
	v_fma_f64 v[11:12], v[11:12], v[15:16], s[8:9]
	v_ldexp_f64 v[15:16], v[9:10], 1
	v_add_f64 v[9:10], v[9:10], -v[13:14]
	s_mov_b32 s8, 0xfefa39ef
	s_mov_b32 s9, 0x3fe62e42
	v_mul_f64 v[11:12], v[17:18], v[11:12]
	v_subrev_co_ci_u32_e64 v17, null, 0, v19, vcc_lo
	v_add_f64 v[7:8], v[7:8], -v[9:10]
	v_cvt_f64_i32_e32 v[17:18], v17
	v_add_f64 v[13:14], v[15:16], v[11:12]
	v_ldexp_f64 v[7:8], v[7:8], 1
	v_mul_f64 v[19:20], v[17:18], s[8:9]
	v_add_f64 v[9:10], v[13:14], -v[15:16]
	v_fma_f64 v[15:16], v[17:18], s[8:9], -v[19:20]
	s_mov_b32 s8, 0x3b39803f
	s_mov_b32 s9, 0x3c7abc9e
	v_add_f64 v[9:10], v[11:12], -v[9:10]
	v_fma_f64 v[11:12], v[17:18], s[8:9], v[15:16]
	v_add_f64 v[7:8], v[7:8], v[9:10]
	v_add_f64 v[9:10], v[19:20], v[11:12]
	;; [unrolled: 1-line block ×3, first 2 shown]
	v_add_f64 v[19:20], v[9:10], -v[19:20]
	v_add_f64 v[17:18], v[9:10], v[15:16]
	v_add_f64 v[13:14], v[15:16], -v[13:14]
	v_add_f64 v[11:12], v[11:12], -v[19:20]
	v_add_f64 v[21:22], v[17:18], -v[9:10]
	v_add_f64 v[7:8], v[7:8], -v[13:14]
	v_add_f64 v[25:26], v[17:18], -v[21:22]
	v_add_f64 v[13:14], v[15:16], -v[21:22]
	v_fma_f64 v[15:16], -v[23:24], v[27:28], 1.0
	v_add_f64 v[19:20], v[11:12], v[7:8]
	v_add_f64 v[9:10], v[9:10], -v[25:26]
	v_add_f64 v[9:10], v[13:14], v[9:10]
	v_fma_f64 v[13:14], v[27:28], v[15:16], v[27:28]
	v_add_f64 v[15:16], v[19:20], -v[11:12]
	v_div_scale_f64 v[27:28], vcc_lo, -0.5, v[1:2], -0.5
	v_add_f64 v[9:10], v[19:20], v[9:10]
	v_fma_f64 v[21:22], -v[23:24], v[13:14], 1.0
	v_add_f64 v[19:20], v[19:20], -v[15:16]
	v_add_f64 v[7:8], v[7:8], -v[15:16]
	v_add_f64 v[25:26], v[17:18], v[9:10]
	v_fma_f64 v[13:14], v[13:14], v[21:22], v[13:14]
	v_add_f64 v[11:12], v[11:12], -v[19:20]
	v_add_f64 v[15:16], v[25:26], -v[17:18]
	v_mul_f64 v[17:18], v[27:28], v[13:14]
	v_add_f64 v[7:8], v[7:8], v[11:12]
	v_add_f64 v[9:10], v[9:10], -v[15:16]
	v_fma_f64 v[11:12], -v[23:24], v[17:18], v[27:28]
	v_add_f64 v[7:8], v[7:8], v[9:10]
	v_div_fmas_f64 v[9:10], v[11:12], v[13:14], v[17:18]
	v_cmp_class_f64_e64 vcc_lo, v[1:2], 0x204
	v_add_f64 v[7:8], v[25:26], v[7:8]
	v_div_fixup_f64 v[9:10], v[9:10], v[1:2], -0.5
	v_cndmask_b32_e32 v2, v8, v2, vcc_lo
	v_cndmask_b32_e32 v1, v7, v1, vcc_lo
	v_add_f64 v[1:2], v[1:2], v[9:10]
	v_add_f64 v[1:2], v[1:2], -v[5:6]
	v_add_f64 v[5:6], v[3:4], v[1:2]
                                        ; implicit-def: $vgpr3_vgpr4
.LBB7_310:
	s_andn2_saveexec_b32 s1, s1
; %bb.311:
	s_mov_b32 s8, 0xdc85cc95
	s_mov_b32 s9, 0x40020396
	v_add_f64 v[5:6], v[3:4], s[8:9]
; %bb.312:
	s_or_b32 exec_lo, exec_lo, s1
.LBB7_313:
	s_or_b32 exec_lo, exec_lo, s0
                                        ; implicit-def: $vgpr1_vgpr2
.LBB7_314:
	s_andn2_saveexec_b32 s0, s6
; %bb.315:
	v_xor_b32_e32 v1, 0x80000000, v2
	s_mov_b32 s1, 0x7ff00000
	v_mov_b32_e32 v5, 0
	v_bfi_b32 v6, 0x7fffffff, s1, v1
; %bb.316:
	s_or_b32 exec_lo, exec_lo, s0
	global_store_dwordx2 v0, v[5:6], s[4:5]
	s_or_b32 exec_lo, exec_lo, s20
                                        ; implicit-def: $vgpr12
                                        ; implicit-def: $vgpr9
	s_andn2_saveexec_b32 s0, s25
	s_cbranch_execz .LBB7_245
	s_branch .LBB7_8
	.section	.rodata,"a",@progbits
	.p2align	6, 0x0
	.amdhsa_kernel _ZN2at6native32elementwise_kernel_manual_unrollILi128ELi4EZNS0_22gpu_kernel_impl_nocastIZZZNS0_19digamma_kernel_cudaERNS_18TensorIteratorBaseEENKUlvE_clEvENKUlvE_clEvEUldE_EEvS4_RKT_EUlibE_EEviT1_
		.amdhsa_group_segment_fixed_size 0
		.amdhsa_private_segment_fixed_size 0
		.amdhsa_kernarg_size 360
		.amdhsa_user_sgpr_count 6
		.amdhsa_user_sgpr_private_segment_buffer 1
		.amdhsa_user_sgpr_dispatch_ptr 0
		.amdhsa_user_sgpr_queue_ptr 0
		.amdhsa_user_sgpr_kernarg_segment_ptr 1
		.amdhsa_user_sgpr_dispatch_id 0
		.amdhsa_user_sgpr_flat_scratch_init 0
		.amdhsa_user_sgpr_private_segment_size 0
		.amdhsa_wavefront_size32 1
		.amdhsa_uses_dynamic_stack 0
		.amdhsa_system_sgpr_private_segment_wavefront_offset 0
		.amdhsa_system_sgpr_workgroup_id_x 1
		.amdhsa_system_sgpr_workgroup_id_y 0
		.amdhsa_system_sgpr_workgroup_id_z 0
		.amdhsa_system_sgpr_workgroup_info 0
		.amdhsa_system_vgpr_workitem_id 0
		.amdhsa_next_free_vgpr 46
		.amdhsa_next_free_sgpr 56
		.amdhsa_reserve_vcc 1
		.amdhsa_reserve_flat_scratch 0
		.amdhsa_float_round_mode_32 0
		.amdhsa_float_round_mode_16_64 0
		.amdhsa_float_denorm_mode_32 3
		.amdhsa_float_denorm_mode_16_64 3
		.amdhsa_dx10_clamp 1
		.amdhsa_ieee_mode 1
		.amdhsa_fp16_overflow 0
		.amdhsa_workgroup_processor_mode 1
		.amdhsa_memory_ordered 1
		.amdhsa_forward_progress 1
		.amdhsa_shared_vgpr_count 0
		.amdhsa_exception_fp_ieee_invalid_op 0
		.amdhsa_exception_fp_denorm_src 0
		.amdhsa_exception_fp_ieee_div_zero 0
		.amdhsa_exception_fp_ieee_overflow 0
		.amdhsa_exception_fp_ieee_underflow 0
		.amdhsa_exception_fp_ieee_inexact 0
		.amdhsa_exception_int_div_zero 0
	.end_amdhsa_kernel
	.section	.text._ZN2at6native32elementwise_kernel_manual_unrollILi128ELi4EZNS0_22gpu_kernel_impl_nocastIZZZNS0_19digamma_kernel_cudaERNS_18TensorIteratorBaseEENKUlvE_clEvENKUlvE_clEvEUldE_EEvS4_RKT_EUlibE_EEviT1_,"axG",@progbits,_ZN2at6native32elementwise_kernel_manual_unrollILi128ELi4EZNS0_22gpu_kernel_impl_nocastIZZZNS0_19digamma_kernel_cudaERNS_18TensorIteratorBaseEENKUlvE_clEvENKUlvE_clEvEUldE_EEvS4_RKT_EUlibE_EEviT1_,comdat
.Lfunc_end7:
	.size	_ZN2at6native32elementwise_kernel_manual_unrollILi128ELi4EZNS0_22gpu_kernel_impl_nocastIZZZNS0_19digamma_kernel_cudaERNS_18TensorIteratorBaseEENKUlvE_clEvENKUlvE_clEvEUldE_EEvS4_RKT_EUlibE_EEviT1_, .Lfunc_end7-_ZN2at6native32elementwise_kernel_manual_unrollILi128ELi4EZNS0_22gpu_kernel_impl_nocastIZZZNS0_19digamma_kernel_cudaERNS_18TensorIteratorBaseEENKUlvE_clEvENKUlvE_clEvEUldE_EEvS4_RKT_EUlibE_EEviT1_
                                        ; -- End function
	.set _ZN2at6native32elementwise_kernel_manual_unrollILi128ELi4EZNS0_22gpu_kernel_impl_nocastIZZZNS0_19digamma_kernel_cudaERNS_18TensorIteratorBaseEENKUlvE_clEvENKUlvE_clEvEUldE_EEvS4_RKT_EUlibE_EEviT1_.num_vgpr, 46
	.set _ZN2at6native32elementwise_kernel_manual_unrollILi128ELi4EZNS0_22gpu_kernel_impl_nocastIZZZNS0_19digamma_kernel_cudaERNS_18TensorIteratorBaseEENKUlvE_clEvENKUlvE_clEvEUldE_EEvS4_RKT_EUlibE_EEviT1_.num_agpr, 0
	.set _ZN2at6native32elementwise_kernel_manual_unrollILi128ELi4EZNS0_22gpu_kernel_impl_nocastIZZZNS0_19digamma_kernel_cudaERNS_18TensorIteratorBaseEENKUlvE_clEvENKUlvE_clEvEUldE_EEvS4_RKT_EUlibE_EEviT1_.numbered_sgpr, 56
	.set _ZN2at6native32elementwise_kernel_manual_unrollILi128ELi4EZNS0_22gpu_kernel_impl_nocastIZZZNS0_19digamma_kernel_cudaERNS_18TensorIteratorBaseEENKUlvE_clEvENKUlvE_clEvEUldE_EEvS4_RKT_EUlibE_EEviT1_.num_named_barrier, 0
	.set _ZN2at6native32elementwise_kernel_manual_unrollILi128ELi4EZNS0_22gpu_kernel_impl_nocastIZZZNS0_19digamma_kernel_cudaERNS_18TensorIteratorBaseEENKUlvE_clEvENKUlvE_clEvEUldE_EEvS4_RKT_EUlibE_EEviT1_.private_seg_size, 0
	.set _ZN2at6native32elementwise_kernel_manual_unrollILi128ELi4EZNS0_22gpu_kernel_impl_nocastIZZZNS0_19digamma_kernel_cudaERNS_18TensorIteratorBaseEENKUlvE_clEvENKUlvE_clEvEUldE_EEvS4_RKT_EUlibE_EEviT1_.uses_vcc, 1
	.set _ZN2at6native32elementwise_kernel_manual_unrollILi128ELi4EZNS0_22gpu_kernel_impl_nocastIZZZNS0_19digamma_kernel_cudaERNS_18TensorIteratorBaseEENKUlvE_clEvENKUlvE_clEvEUldE_EEvS4_RKT_EUlibE_EEviT1_.uses_flat_scratch, 0
	.set _ZN2at6native32elementwise_kernel_manual_unrollILi128ELi4EZNS0_22gpu_kernel_impl_nocastIZZZNS0_19digamma_kernel_cudaERNS_18TensorIteratorBaseEENKUlvE_clEvENKUlvE_clEvEUldE_EEvS4_RKT_EUlibE_EEviT1_.has_dyn_sized_stack, 0
	.set _ZN2at6native32elementwise_kernel_manual_unrollILi128ELi4EZNS0_22gpu_kernel_impl_nocastIZZZNS0_19digamma_kernel_cudaERNS_18TensorIteratorBaseEENKUlvE_clEvENKUlvE_clEvEUldE_EEvS4_RKT_EUlibE_EEviT1_.has_recursion, 0
	.set _ZN2at6native32elementwise_kernel_manual_unrollILi128ELi4EZNS0_22gpu_kernel_impl_nocastIZZZNS0_19digamma_kernel_cudaERNS_18TensorIteratorBaseEENKUlvE_clEvENKUlvE_clEvEUldE_EEvS4_RKT_EUlibE_EEviT1_.has_indirect_call, 0
	.section	.AMDGPU.csdata,"",@progbits
; Kernel info:
; codeLenInByte = 31656
; TotalNumSgprs: 58
; NumVgprs: 46
; ScratchSize: 0
; MemoryBound: 0
; FloatMode: 240
; IeeeMode: 1
; LDSByteSize: 0 bytes/workgroup (compile time only)
; SGPRBlocks: 0
; VGPRBlocks: 5
; NumSGPRsForWavesPerEU: 58
; NumVGPRsForWavesPerEU: 46
; Occupancy: 16
; WaveLimiterHint : 1
; COMPUTE_PGM_RSRC2:SCRATCH_EN: 0
; COMPUTE_PGM_RSRC2:USER_SGPR: 6
; COMPUTE_PGM_RSRC2:TRAP_HANDLER: 0
; COMPUTE_PGM_RSRC2:TGID_X_EN: 1
; COMPUTE_PGM_RSRC2:TGID_Y_EN: 0
; COMPUTE_PGM_RSRC2:TGID_Z_EN: 0
; COMPUTE_PGM_RSRC2:TIDIG_COMP_CNT: 0
	.section	.text._ZN2at6native32elementwise_kernel_manual_unrollILi128ELi4EZNS0_15gpu_kernel_implIZZZNS0_19digamma_kernel_cudaERNS_18TensorIteratorBaseEENKUlvE_clEvENKUlvE_clEvEUldE_EEvS4_RKT_EUlibE_EEviT1_,"axG",@progbits,_ZN2at6native32elementwise_kernel_manual_unrollILi128ELi4EZNS0_15gpu_kernel_implIZZZNS0_19digamma_kernel_cudaERNS_18TensorIteratorBaseEENKUlvE_clEvENKUlvE_clEvEUldE_EEvS4_RKT_EUlibE_EEviT1_,comdat
	.globl	_ZN2at6native32elementwise_kernel_manual_unrollILi128ELi4EZNS0_15gpu_kernel_implIZZZNS0_19digamma_kernel_cudaERNS_18TensorIteratorBaseEENKUlvE_clEvENKUlvE_clEvEUldE_EEvS4_RKT_EUlibE_EEviT1_ ; -- Begin function _ZN2at6native32elementwise_kernel_manual_unrollILi128ELi4EZNS0_15gpu_kernel_implIZZZNS0_19digamma_kernel_cudaERNS_18TensorIteratorBaseEENKUlvE_clEvENKUlvE_clEvEUldE_EEvS4_RKT_EUlibE_EEviT1_
	.p2align	8
	.type	_ZN2at6native32elementwise_kernel_manual_unrollILi128ELi4EZNS0_15gpu_kernel_implIZZZNS0_19digamma_kernel_cudaERNS_18TensorIteratorBaseEENKUlvE_clEvENKUlvE_clEvEUldE_EEvS4_RKT_EUlibE_EEviT1_,@function
_ZN2at6native32elementwise_kernel_manual_unrollILi128ELi4EZNS0_15gpu_kernel_implIZZZNS0_19digamma_kernel_cudaERNS_18TensorIteratorBaseEENKUlvE_clEvENKUlvE_clEvEUldE_EEvS4_RKT_EUlibE_EEviT1_: ; @_ZN2at6native32elementwise_kernel_manual_unrollILi128ELi4EZNS0_15gpu_kernel_implIZZZNS0_19digamma_kernel_cudaERNS_18TensorIteratorBaseEENKUlvE_clEvENKUlvE_clEvEUldE_EEvS4_RKT_EUlibE_EEviT1_
; %bb.0:
	v_mov_b32_e32 v1, 0
	s_clause 0x2
	s_load_dword s13, s[4:5], 0x0
	s_load_dwordx2 s[2:3], s[4:5], 0x18
	s_load_dwordx4 s[8:11], s[4:5], 0x8
	v_lshl_or_b32 v14, s6, 9, v0
	s_mov_b32 s12, 0
	global_load_ushort v1, v1, s[4:5] offset:33
	s_mov_b32 s5, 0
	v_or_b32_e32 v0, 0x180, v14
	s_waitcnt vmcnt(0)
	v_readfirstlane_b32 s4, v1
	s_and_b32 s0, 0xffff, s4
	s_lshr_b32 s6, s0, 8
	s_mov_b32 s0, exec_lo
	s_waitcnt lgkmcnt(0)
	v_cmpx_le_i32_e64 s13, v0
	s_xor_b32 s7, exec_lo, s0
	s_cbranch_execz .LBB8_1127
; %bb.1:
	s_mov_b32 s1, -1
	s_mov_b32 s16, 0
	s_mov_b32 s14, 0
	s_mov_b32 s15, exec_lo
	v_cmpx_gt_i32_e64 s13, v14
	s_cbranch_execz .LBB8_276
; %bb.2:
	v_mul_lo_u32 v0, v14, s3
	s_and_b32 s0, 0xffff, s6
	s_cmp_lt_i32 s0, 11
	v_ashrrev_i32_e32 v1, 31, v0
	v_add_co_u32 v0, vcc_lo, s10, v0
	v_add_co_ci_u32_e64 v1, null, s11, v1, vcc_lo
	s_cbranch_scc1 .LBB8_9
; %bb.3:
	s_cmp_gt_i32 s0, 25
	s_cbranch_scc0 .LBB8_42
; %bb.4:
	s_cmp_gt_i32 s0, 28
	s_cbranch_scc0 .LBB8_45
	;; [unrolled: 3-line block ×4, first 2 shown]
; %bb.7:
	s_cmp_eq_u32 s0, 46
	s_cbranch_scc0 .LBB8_51
; %bb.8:
	global_load_dword v2, v[0:1], off
	s_waitcnt vmcnt(0)
	v_lshlrev_b32_e32 v2, 16, v2
	v_cvt_f64_f32_e32 v[2:3], v2
	s_branch .LBB8_53
.LBB8_9:
	s_mov_b32 s1, 0
                                        ; implicit-def: $vgpr2_vgpr3
	s_cbranch_execnz .LBB8_226
.LBB8_10:
	s_andn2_b32 vcc_lo, exec_lo, s1
	s_cbranch_vccnz .LBB8_273
.LBB8_11:
                                        ; implicit-def: $vgpr0_vgpr1
	s_mov_b32 s0, exec_lo
	s_waitcnt vmcnt(0)
	v_cmpx_neq_f64_e32 0, v[2:3]
	s_xor_b32 s12, exec_lo, s0
	s_cbranch_execz .LBB8_33
; %bb.12:
	v_mov_b32_e32 v4, 0
	v_mov_b32_e32 v5, 0
	s_mov_b32 s1, -1
	s_mov_b32 s17, exec_lo
	v_cmpx_gt_f64_e32 0, v[2:3]
	s_cbranch_execz .LBB8_20
; %bb.13:
	v_trunc_f64_e32 v[0:1], v[2:3]
	v_mov_b32_e32 v4, 0
	v_mov_b32_e32 v5, 0
	s_mov_b32 s1, 0
	s_mov_b32 s18, exec_lo
	v_cmpx_neq_f64_e32 v[2:3], v[0:1]
	s_cbranch_execz .LBB8_19
; %bb.14:
	v_add_f64 v[0:1], v[2:3], -v[0:1]
	s_mov_b32 s1, 0xc00921fb
	s_mov_b32 s0, 0x54442d18
	v_cmp_neq_f64_e64 vcc_lo, 0x7ff00000, |v[2:3]|
	s_mov_b32 s19, exec_lo
                                        ; implicit-def: $vgpr8
                                        ; implicit-def: $vgpr4_vgpr5
                                        ; implicit-def: $vgpr6_vgpr7
	v_mul_f64 v[0:1], |v[0:1]|, s[0:1]
	v_cndmask_b32_e32 v1, 0x80000000, v1, vcc_lo
	v_cndmask_b32_e32 v0, 0, v0, vcc_lo
	v_cmpx_ngt_f64_e64 0x41d00000, |v[0:1]|
	s_xor_b32 s19, exec_lo, s19
	s_cbranch_execz .LBB8_16
; %bb.15:
	v_ldexp_f64 v[4:5], |v[0:1]|, 0xffffff80
	v_cmp_le_f64_e64 vcc_lo, 0x7b000000, |v[0:1]|
	v_trig_preop_f64 v[6:7], |v[0:1]|, 0
	v_and_b32_e32 v8, 0x7fffffff, v1
	v_trig_preop_f64 v[19:20], |v[0:1]|, 2
	v_mov_b32_e32 v27, 0
	s_mov_b32 s1, 0x3ff921fb
	s_mov_b32 s20, 0x33145c07
	;; [unrolled: 1-line block ×3, first 2 shown]
	v_cndmask_b32_e32 v5, v8, v5, vcc_lo
	v_cndmask_b32_e32 v4, v0, v4, vcc_lo
	v_trig_preop_f64 v[8:9], |v[0:1]|, 1
	v_mul_f64 v[10:11], v[6:7], v[4:5]
	v_mul_f64 v[25:26], v[19:20], v[4:5]
	;; [unrolled: 1-line block ×3, first 2 shown]
	v_fma_f64 v[6:7], v[6:7], v[4:5], -v[10:11]
	v_fma_f64 v[8:9], v[8:9], v[4:5], -v[12:13]
	;; [unrolled: 1-line block ×3, first 2 shown]
	v_add_f64 v[15:16], v[12:13], v[6:7]
	v_add_f64 v[17:18], v[15:16], -v[12:13]
	v_add_f64 v[23:24], v[10:11], v[15:16]
	v_add_f64 v[21:22], v[15:16], -v[17:18]
	v_add_f64 v[6:7], v[6:7], -v[17:18]
	v_ldexp_f64 v[17:18], v[23:24], -2
	v_add_f64 v[10:11], v[23:24], -v[10:11]
	v_add_f64 v[12:13], v[12:13], -v[21:22]
	v_add_f64 v[21:22], v[25:26], v[8:9]
	v_cmp_neq_f64_e64 vcc_lo, 0x7ff00000, |v[17:18]|
	v_add_f64 v[10:11], v[15:16], -v[10:11]
	v_add_f64 v[6:7], v[6:7], v[12:13]
	v_fract_f64_e32 v[12:13], v[17:18]
	v_add_f64 v[15:16], v[21:22], v[6:7]
	v_ldexp_f64 v[12:13], v[12:13], 2
	v_add_f64 v[17:18], v[10:11], v[15:16]
	v_cndmask_b32_e32 v13, 0, v13, vcc_lo
	v_cndmask_b32_e32 v12, 0, v12, vcc_lo
	v_add_f64 v[23:24], v[17:18], v[12:13]
	v_add_f64 v[10:11], v[17:18], -v[10:11]
	v_cmp_gt_f64_e32 vcc_lo, 0, v[23:24]
	v_add_f64 v[23:24], v[21:22], -v[25:26]
	v_cndmask_b32_e64 v28, 0, 0x40100000, vcc_lo
	v_add_f64 v[32:33], v[21:22], -v[23:24]
	v_add_f64 v[8:9], v[8:9], -v[23:24]
	v_add_f64 v[12:13], v[12:13], v[27:28]
	v_add_f64 v[28:29], v[15:16], -v[21:22]
	v_add_f64 v[23:24], v[25:26], -v[32:33]
	v_add_f64 v[30:31], v[17:18], v[12:13]
	;; [unrolled: 3-line block ×3, first 2 shown]
	v_cvt_i32_f64_e32 v30, v[30:31]
	v_add_f64 v[21:22], v[21:22], -v[34:35]
	v_cvt_f64_i32_e32 v[28:29], v30
	v_add_f64 v[6:7], v[6:7], v[21:22]
	v_add_f64 v[12:13], v[12:13], -v[28:29]
	v_add_f64 v[6:7], v[8:9], v[6:7]
	v_add_f64 v[8:9], v[15:16], -v[10:11]
	v_add_f64 v[19:20], v[17:18], v[12:13]
	v_add_f64 v[4:5], v[4:5], v[6:7]
	v_add_f64 v[6:7], v[19:20], -v[12:13]
	v_cmp_le_f64_e32 vcc_lo, 0.5, v[19:20]
	v_add_f64 v[4:5], v[8:9], v[4:5]
	v_add_f64 v[6:7], v[17:18], -v[6:7]
	v_cndmask_b32_e64 v28, 0, 0x3ff00000, vcc_lo
	v_add_co_ci_u32_e64 v8, null, 0, v30, vcc_lo
	v_add_f64 v[4:5], v[4:5], v[6:7]
	v_add_f64 v[6:7], v[19:20], -v[27:28]
	v_add_f64 v[9:10], v[6:7], v[4:5]
	v_mul_f64 v[11:12], v[9:10], s[0:1]
	v_add_f64 v[6:7], v[9:10], -v[6:7]
	v_fma_f64 v[15:16], v[9:10], s[0:1], -v[11:12]
	v_add_f64 v[4:5], v[4:5], -v[6:7]
	v_fma_f64 v[6:7], v[9:10], s[20:21], v[15:16]
	v_fma_f64 v[6:7], v[4:5], s[0:1], v[6:7]
	v_add_f64 v[4:5], v[11:12], v[6:7]
	v_add_f64 v[9:10], v[4:5], -v[11:12]
	v_add_f64 v[6:7], v[6:7], -v[9:10]
.LBB8_16:
	s_andn2_saveexec_b32 s0, s19
	s_cbranch_execz .LBB8_18
; %bb.17:
	s_mov_b32 s20, 0x6dc9c883
	s_mov_b32 s21, 0x3fe45f30
	;; [unrolled: 1-line block ×3, first 2 shown]
	v_mul_f64 v[4:5], |v[0:1]|, s[20:21]
	s_mov_b32 s20, 0x54442d18
	s_mov_b32 s21, 0xbff921fb
	;; [unrolled: 1-line block ×3, first 2 shown]
	v_rndne_f64_e32 v[8:9], v[4:5]
	v_fma_f64 v[4:5], v[8:9], s[20:21], |v[0:1]|
	v_mul_f64 v[6:7], v[8:9], s[22:23]
	s_mov_b32 s20, 0x252049c0
	s_mov_b32 s21, 0xb97b839a
	v_fma_f64 v[12:13], v[8:9], s[22:23], v[4:5]
	v_add_f64 v[10:11], v[4:5], v[6:7]
	s_mov_b32 s23, 0x3c91a626
	v_add_f64 v[4:5], v[4:5], -v[10:11]
	v_add_f64 v[10:11], v[10:11], -v[12:13]
	v_add_f64 v[4:5], v[4:5], v[6:7]
	v_fma_f64 v[6:7], v[8:9], s[22:23], v[6:7]
	v_add_f64 v[4:5], v[10:11], v[4:5]
	v_add_f64 v[4:5], v[4:5], -v[6:7]
	v_fma_f64 v[6:7], v[8:9], s[20:21], v[4:5]
	v_cvt_i32_f64_e32 v8, v[8:9]
	v_add_f64 v[4:5], v[12:13], v[6:7]
	v_add_f64 v[10:11], v[4:5], -v[12:13]
	v_add_f64 v[6:7], v[6:7], -v[10:11]
.LBB8_18:
	s_or_b32 exec_lo, exec_lo, s0
	v_mul_f64 v[9:10], v[4:5], v[4:5]
	v_add_f64 v[11:12], v[6:7], v[6:7]
	s_mov_b32 s20, 0xa9a29f71
	s_mov_b32 s22, 0xc751c08c
	s_mov_b32 s21, 0xbf078809
	s_mov_b32 s23, 0x3ef5e089
	v_cmp_class_f64_e64 s0, v[0:1], 0x1f8
	v_and_b32_e32 v8, 1, v8
	v_and_b32_e32 v1, 0x80000000, v1
	v_add_f64 v[2:3], -v[2:3], 1.0
	s_mov_b32 s1, exec_lo
	v_cmp_eq_u32_e32 vcc_lo, 0, v8
	v_fma_f64 v[15:16], v[4:5], v[4:5], -v[9:10]
	v_fma_f64 v[11:12], v[4:5], v[11:12], v[15:16]
	v_add_f64 v[9:10], v[9:10], v[11:12]
	v_fma_f64 v[11:12], v[9:10], s[22:23], s[20:21]
	s_mov_b32 s20, 0x90a8aae0
	s_mov_b32 s21, 0x3f17746f
	v_fma_f64 v[11:12], v[9:10], v[11:12], s[20:21]
	s_mov_b32 s20, 0xa6fbf144
	s_mov_b32 s21, 0xbefbb44d
	;; [unrolled: 3-line block ×13, first 2 shown]
	v_mul_f64 v[9:10], v[9:10], v[11:12]
	v_mul_f64 v[11:12], v[4:5], v[9:10]
	v_add_f64 v[15:16], v[4:5], v[11:12]
	v_fma_f64 v[9:10], v[4:5], v[9:10], -v[11:12]
	v_add_f64 v[4:5], v[15:16], -v[4:5]
	v_add_f64 v[6:7], v[6:7], v[9:10]
	v_add_f64 v[4:5], v[11:12], -v[4:5]
	v_add_f64 v[4:5], v[6:7], v[4:5]
	v_add_f64 v[6:7], v[15:16], v[4:5]
	v_rcp_f64_e32 v[9:10], v[6:7]
	v_fma_f64 v[11:12], -v[6:7], v[9:10], 1.0
	v_fma_f64 v[9:10], v[11:12], v[9:10], v[9:10]
	v_fma_f64 v[11:12], -v[6:7], v[9:10], 1.0
	v_fma_f64 v[9:10], v[11:12], v[9:10], v[9:10]
	v_add_f64 v[11:12], v[6:7], -v[15:16]
	v_mul_f64 v[15:16], v[6:7], v[9:10]
	v_add_f64 v[4:5], v[4:5], -v[11:12]
	v_fma_f64 v[11:12], v[9:10], v[6:7], -v[15:16]
	v_fma_f64 v[4:5], v[9:10], v[4:5], v[11:12]
	v_add_f64 v[11:12], v[15:16], v[4:5]
	v_add_f64 v[17:18], -v[11:12], 1.0
	v_add_f64 v[15:16], v[11:12], -v[15:16]
	v_add_f64 v[19:20], -v[17:18], 1.0
	v_add_f64 v[4:5], v[15:16], -v[4:5]
	v_add_f64 v[11:12], v[19:20], -v[11:12]
	v_add_f64 v[4:5], v[4:5], v[11:12]
	v_add_f64 v[4:5], v[17:18], v[4:5]
	v_mul_f64 v[4:5], v[9:10], v[4:5]
	v_add_f64 v[4:5], v[9:10], v[4:5]
	v_xor_b32_e32 v0, 0x80000000, v5
	v_cndmask_b32_e32 v4, v4, v6, vcc_lo
	v_cndmask_b32_e32 v0, v0, v7, vcc_lo
	v_xor_b32_e32 v1, v0, v1
	v_cndmask_b32_e64 v0, 0, v4, s0
	v_cndmask_b32_e64 v1, 0x7ff80000, v1, s0
	v_div_scale_f64 v[4:5], null, v[0:1], v[0:1], s[20:21]
	v_div_scale_f64 v[10:11], vcc_lo, s[20:21], v[0:1], s[20:21]
	v_rcp_f64_e32 v[6:7], v[4:5]
	v_fma_f64 v[8:9], -v[4:5], v[6:7], 1.0
	v_fma_f64 v[6:7], v[6:7], v[8:9], v[6:7]
	v_fma_f64 v[8:9], -v[4:5], v[6:7], 1.0
	v_fma_f64 v[6:7], v[6:7], v[8:9], v[6:7]
	v_mul_f64 v[8:9], v[10:11], v[6:7]
	v_fma_f64 v[4:5], -v[4:5], v[8:9], v[10:11]
	v_div_fmas_f64 v[4:5], v[4:5], v[6:7], v[8:9]
	v_div_fixup_f64 v[4:5], v[4:5], v[0:1], s[20:21]
.LBB8_19:
	s_or_b32 exec_lo, exec_lo, s18
	s_orn2_b32 s1, s1, exec_lo
.LBB8_20:
	s_or_b32 exec_lo, exec_lo, s17
	v_mov_b32_e32 v0, 0
	v_mov_b32_e32 v1, 0x7ff80000
	s_and_saveexec_b32 s0, s1
	s_cbranch_execz .LBB8_32
; %bb.21:
	s_mov_b32 s1, exec_lo
	v_cmpx_gt_f64_e32 0x40240000, v[2:3]
	s_cbranch_execz .LBB8_25
; %bb.22:
	s_mov_b32 s17, 0
	.p2align	6
.LBB8_23:                               ; =>This Inner Loop Header: Depth=1
	v_div_scale_f64 v[0:1], null, v[2:3], v[2:3], 1.0
	v_div_scale_f64 v[10:11], vcc_lo, 1.0, v[2:3], 1.0
	v_rcp_f64_e32 v[6:7], v[0:1]
	v_fma_f64 v[8:9], -v[0:1], v[6:7], 1.0
	v_fma_f64 v[6:7], v[6:7], v[8:9], v[6:7]
	v_fma_f64 v[8:9], -v[0:1], v[6:7], 1.0
	v_fma_f64 v[6:7], v[6:7], v[8:9], v[6:7]
	v_mul_f64 v[8:9], v[10:11], v[6:7]
	v_fma_f64 v[0:1], -v[0:1], v[8:9], v[10:11]
	v_div_fmas_f64 v[0:1], v[0:1], v[6:7], v[8:9]
	v_div_fixup_f64 v[0:1], v[0:1], v[2:3], 1.0
	v_add_f64 v[2:3], v[2:3], 1.0
	v_add_f64 v[4:5], v[4:5], -v[0:1]
	v_cmp_ngt_f64_e32 vcc_lo, 0x40240000, v[2:3]
	s_or_b32 s17, vcc_lo, s17
	s_andn2_b32 exec_lo, exec_lo, s17
	s_cbranch_execnz .LBB8_23
; %bb.24:
	s_or_b32 exec_lo, exec_lo, s17
.LBB8_25:
	s_or_b32 exec_lo, exec_lo, s1
	s_mov_b32 s1, exec_lo
                                        ; implicit-def: $vgpr0_vgpr1
	v_cmpx_neq_f64_e32 0x40240000, v[2:3]
	s_xor_b32 s1, exec_lo, s1
	s_cbranch_execz .LBB8_29
; %bb.26:
	v_mov_b32_e32 v0, 0
	v_mov_b32_e32 v1, 0
	s_mov_b32 s18, 0x85d8a000
	s_mov_b32 s19, 0x43763457
	s_mov_b32 s17, exec_lo
	v_cmpx_gt_f64_e32 s[18:19], v[2:3]
	s_cbranch_execz .LBB8_28
; %bb.27:
	v_mul_f64 v[0:1], v[2:3], v[2:3]
	s_mov_b32 s18, 0x55555555
	s_mov_b32 s19, 0x3fb55555
	;; [unrolled: 1-line block ×6, first 2 shown]
	v_div_scale_f64 v[6:7], null, v[0:1], v[0:1], 1.0
	v_rcp_f64_e32 v[8:9], v[6:7]
	v_fma_f64 v[10:11], -v[6:7], v[8:9], 1.0
	v_fma_f64 v[8:9], v[8:9], v[10:11], v[8:9]
	v_fma_f64 v[10:11], -v[6:7], v[8:9], 1.0
	v_fma_f64 v[8:9], v[8:9], v[10:11], v[8:9]
	v_div_scale_f64 v[10:11], vcc_lo, 1.0, v[0:1], 1.0
	v_mul_f64 v[12:13], v[10:11], v[8:9]
	v_fma_f64 v[6:7], -v[6:7], v[12:13], v[10:11]
	v_div_fmas_f64 v[6:7], v[6:7], v[8:9], v[12:13]
	v_div_fixup_f64 v[0:1], v[6:7], v[0:1], 1.0
	v_fma_f64 v[6:7], v[0:1], 0, s[18:19]
	v_fma_f64 v[6:7], v[0:1], v[6:7], s[20:21]
	s_mov_b32 s20, 0xf07c1f08
	s_mov_b32 s21, 0x3f7f07c1
	v_fma_f64 v[6:7], v[0:1], v[6:7], s[20:21]
	s_mov_b32 s21, 0xbf711111
	s_mov_b32 s20, 0x11111111
	v_fma_f64 v[6:7], v[0:1], v[6:7], s[20:21]
	s_mov_b32 s21, 0xbf811111
	v_fma_f64 v[6:7], v[0:1], v[6:7], s[22:23]
	v_fma_f64 v[6:7], v[0:1], v[6:7], s[20:21]
	;; [unrolled: 1-line block ×3, first 2 shown]
	v_mul_f64 v[0:1], v[0:1], v[6:7]
.LBB8_28:
	s_or_b32 exec_lo, exec_lo, s17
	v_frexp_mant_f64_e32 v[6:7], v[2:3]
	s_mov_b32 s19, 0x3fe55555
	s_mov_b32 s18, 0x55555555
	;; [unrolled: 1-line block ×6, first 2 shown]
	v_div_scale_f64 v[23:24], null, v[2:3], v[2:3], -0.5
	v_cmp_gt_f64_e32 vcc_lo, s[18:19], v[6:7]
	s_mov_b32 s18, 0x55555780
	v_rcp_f64_e32 v[27:28], v[23:24]
	v_cndmask_b32_e64 v8, 0, 1, vcc_lo
	v_ldexp_f64 v[6:7], v[6:7], v8
	v_add_f64 v[8:9], v[6:7], 1.0
	v_add_f64 v[15:16], v[6:7], -1.0
	v_rcp_f64_e32 v[10:11], v[8:9]
	v_add_f64 v[17:18], v[8:9], -1.0
	v_add_f64 v[6:7], v[6:7], -v[17:18]
	v_fma_f64 v[12:13], -v[8:9], v[10:11], 1.0
	v_fma_f64 v[10:11], v[12:13], v[10:11], v[10:11]
	v_fma_f64 v[12:13], -v[8:9], v[10:11], 1.0
	v_fma_f64 v[10:11], v[12:13], v[10:11], v[10:11]
	v_mul_f64 v[12:13], v[15:16], v[10:11]
	v_mul_f64 v[19:20], v[8:9], v[12:13]
	v_fma_f64 v[8:9], v[12:13], v[8:9], -v[19:20]
	v_fma_f64 v[6:7], v[12:13], v[6:7], v[8:9]
	v_add_f64 v[8:9], v[19:20], v[6:7]
	v_add_f64 v[17:18], v[15:16], -v[8:9]
	v_add_f64 v[19:20], v[8:9], -v[19:20]
	;; [unrolled: 1-line block ×4, first 2 shown]
	v_frexp_exp_i32_f64_e32 v19, v[2:3]
	v_add_f64 v[8:9], v[15:16], -v[8:9]
	v_add_f64 v[6:7], v[6:7], v[8:9]
	v_add_f64 v[6:7], v[17:18], v[6:7]
	v_mul_f64 v[6:7], v[10:11], v[6:7]
	v_add_f64 v[8:9], v[12:13], v[6:7]
	v_mul_f64 v[10:11], v[8:9], v[8:9]
	v_fma_f64 v[15:16], v[10:11], s[22:23], s[20:21]
	s_mov_b32 s20, 0xd7f4df2e
	s_mov_b32 s21, 0x3fc7474d
	v_mul_f64 v[17:18], v[8:9], v[10:11]
	v_fma_f64 v[15:16], v[10:11], v[15:16], s[20:21]
	s_mov_b32 s20, 0x16291751
	s_mov_b32 s21, 0x3fcc71c0
	v_fma_f64 v[15:16], v[10:11], v[15:16], s[20:21]
	s_mov_b32 s20, 0x9b27acf1
	s_mov_b32 s21, 0x3fd24924
	;; [unrolled: 3-line block ×3, first 2 shown]
	v_fma_f64 v[15:16], v[10:11], v[15:16], s[20:21]
	v_fma_f64 v[10:11], v[10:11], v[15:16], s[18:19]
	v_ldexp_f64 v[15:16], v[8:9], 1
	v_add_f64 v[8:9], v[8:9], -v[12:13]
	s_mov_b32 s18, 0xfefa39ef
	s_mov_b32 s19, 0x3fe62e42
	v_mul_f64 v[10:11], v[17:18], v[10:11]
	v_subrev_co_ci_u32_e64 v17, null, 0, v19, vcc_lo
	v_add_f64 v[6:7], v[6:7], -v[8:9]
	v_cvt_f64_i32_e32 v[17:18], v17
	v_add_f64 v[12:13], v[15:16], v[10:11]
	v_ldexp_f64 v[6:7], v[6:7], 1
	v_mul_f64 v[19:20], v[17:18], s[18:19]
	v_add_f64 v[8:9], v[12:13], -v[15:16]
	v_fma_f64 v[15:16], v[17:18], s[18:19], -v[19:20]
	s_mov_b32 s18, 0x3b39803f
	s_mov_b32 s19, 0x3c7abc9e
	v_add_f64 v[8:9], v[10:11], -v[8:9]
	v_fma_f64 v[10:11], v[17:18], s[18:19], v[15:16]
	v_add_f64 v[6:7], v[6:7], v[8:9]
	v_add_f64 v[8:9], v[19:20], v[10:11]
	;; [unrolled: 1-line block ×3, first 2 shown]
	v_add_f64 v[19:20], v[8:9], -v[19:20]
	v_add_f64 v[17:18], v[8:9], v[15:16]
	v_add_f64 v[12:13], v[15:16], -v[12:13]
	v_add_f64 v[10:11], v[10:11], -v[19:20]
	;; [unrolled: 1-line block ×6, first 2 shown]
	v_fma_f64 v[15:16], -v[23:24], v[27:28], 1.0
	v_add_f64 v[19:20], v[10:11], v[6:7]
	v_add_f64 v[8:9], v[8:9], -v[25:26]
	v_add_f64 v[8:9], v[12:13], v[8:9]
	v_fma_f64 v[12:13], v[27:28], v[15:16], v[27:28]
	v_add_f64 v[15:16], v[19:20], -v[10:11]
	v_div_scale_f64 v[27:28], vcc_lo, -0.5, v[2:3], -0.5
	v_add_f64 v[8:9], v[19:20], v[8:9]
	v_fma_f64 v[21:22], -v[23:24], v[12:13], 1.0
	v_add_f64 v[19:20], v[19:20], -v[15:16]
	v_add_f64 v[6:7], v[6:7], -v[15:16]
	v_add_f64 v[25:26], v[17:18], v[8:9]
	v_fma_f64 v[12:13], v[12:13], v[21:22], v[12:13]
	v_add_f64 v[10:11], v[10:11], -v[19:20]
	v_add_f64 v[15:16], v[25:26], -v[17:18]
	v_mul_f64 v[17:18], v[27:28], v[12:13]
	v_add_f64 v[6:7], v[6:7], v[10:11]
	v_add_f64 v[8:9], v[8:9], -v[15:16]
	v_fma_f64 v[10:11], -v[23:24], v[17:18], v[27:28]
	v_add_f64 v[6:7], v[6:7], v[8:9]
	v_div_fmas_f64 v[8:9], v[10:11], v[12:13], v[17:18]
	v_cmp_class_f64_e64 vcc_lo, v[2:3], 0x204
	v_add_f64 v[6:7], v[25:26], v[6:7]
	v_div_fixup_f64 v[8:9], v[8:9], v[2:3], -0.5
	v_cndmask_b32_e32 v3, v7, v3, vcc_lo
	v_cndmask_b32_e32 v2, v6, v2, vcc_lo
	v_add_f64 v[2:3], v[2:3], v[8:9]
	v_add_f64 v[0:1], v[2:3], -v[0:1]
	v_add_f64 v[0:1], v[4:5], v[0:1]
                                        ; implicit-def: $vgpr4_vgpr5
.LBB8_29:
	s_andn2_saveexec_b32 s1, s1
; %bb.30:
	s_mov_b32 s18, 0xdc85cc95
	s_mov_b32 s19, 0x40020396
	v_add_f64 v[0:1], v[4:5], s[18:19]
; %bb.31:
	s_or_b32 exec_lo, exec_lo, s1
.LBB8_32:
	s_or_b32 exec_lo, exec_lo, s0
                                        ; implicit-def: $vgpr2_vgpr3
.LBB8_33:
	s_andn2_saveexec_b32 s0, s12
; %bb.34:
	v_xor_b32_e32 v0, 0x80000000, v3
	s_mov_b32 s1, 0x7ff00000
	v_bfi_b32 v1, 0x7fffffff, s1, v0
	v_mov_b32_e32 v0, 0
; %bb.35:
	s_or_b32 exec_lo, exec_lo, s0
	v_mul_lo_u32 v2, v14, s2
	s_and_b32 s1, s4, 0xff
	s_cmp_lt_i32 s1, 11
	v_ashrrev_i32_e32 v3, 31, v2
	v_add_co_u32 v4, vcc_lo, s8, v2
	v_add_co_ci_u32_e64 v5, null, s9, v3, vcc_lo
	s_cbranch_scc1 .LBB8_43
; %bb.36:
	s_and_b32 s12, 0xffff, s1
	s_cmp_gt_i32 s12, 25
	s_cbranch_scc0 .LBB8_46
; %bb.37:
	s_cmp_gt_i32 s12, 28
	s_cbranch_scc0 .LBB8_48
; %bb.38:
	;; [unrolled: 3-line block ×4, first 2 shown]
	s_mov_b32 s18, 0
	s_mov_b32 s0, -1
	s_cmp_eq_u32 s12, 46
	s_mov_b32 s17, 0
	s_cbranch_scc0 .LBB8_57
; %bb.41:
	v_cvt_f32_f64_e32 v2, v[0:1]
	s_mov_b32 s17, -1
	s_mov_b32 s0, 0
	v_bfe_u32 v3, v2, 16, 1
	v_cmp_o_f32_e32 vcc_lo, v2, v2
	v_add3_u32 v2, v2, v3, 0x7fff
	v_mov_b32_e32 v3, 0x7fc0
	v_cndmask_b32_sdwa v2, v3, v2, vcc_lo dst_sel:DWORD dst_unused:UNUSED_PAD src0_sel:DWORD src1_sel:WORD_1
	global_store_dword v[4:5], v2, off
	s_branch .LBB8_57
.LBB8_42:
	s_mov_b32 s1, 0
                                        ; implicit-def: $vgpr2_vgpr3
	s_cbranch_execnz .LBB8_193
	s_branch .LBB8_225
.LBB8_43:
	s_mov_b32 s0, 0
	s_mov_b32 s17, 0
	s_cbranch_execnz .LBB8_126
.LBB8_44:
	s_andn2_b32 vcc_lo, exec_lo, s17
	s_cbranch_vccnz .LBB8_274
	s_branch .LBB8_164
.LBB8_45:
	s_mov_b32 s12, -1
	s_mov_b32 s1, 0
                                        ; implicit-def: $vgpr2_vgpr3
	s_branch .LBB8_172
.LBB8_46:
	s_mov_b32 s18, -1
	s_mov_b32 s0, 0
	s_mov_b32 s17, 0
	s_branch .LBB8_84
.LBB8_47:
	s_mov_b32 s12, -1
	s_mov_b32 s1, 0
                                        ; implicit-def: $vgpr2_vgpr3
	s_branch .LBB8_167
.LBB8_48:
	s_mov_b32 s18, -1
	s_mov_b32 s0, 0
	s_mov_b32 s17, 0
	s_branch .LBB8_67
.LBB8_49:
	s_mov_b32 s12, -1
	s_branch .LBB8_52
.LBB8_50:
	s_mov_b32 s18, -1
	s_mov_b32 s0, 0
	s_mov_b32 s17, 0
	s_branch .LBB8_63
.LBB8_51:
	s_mov_b32 s14, -1
.LBB8_52:
	s_mov_b32 s1, 0
                                        ; implicit-def: $vgpr2_vgpr3
.LBB8_53:
	s_and_b32 vcc_lo, exec_lo, s12
	s_cbranch_vccz .LBB8_166
; %bb.54:
	s_cmp_eq_u32 s0, 44
	s_cbranch_scc0 .LBB8_165
; %bb.55:
	global_load_ubyte v4, v[0:1], off
	s_mov_b32 s14, 0
	s_mov_b32 s1, -1
	s_waitcnt vmcnt(0)
	v_lshlrev_b32_e32 v2, 23, v4
	v_cmp_ne_u32_e32 vcc_lo, 0xff, v4
	v_cvt_f64_f32_e32 v[2:3], v2
	v_cndmask_b32_e32 v2, 0x20000000, v2, vcc_lo
	v_cndmask_b32_e32 v3, 0x7ff80000, v3, vcc_lo
	v_cmp_ne_u32_e32 vcc_lo, 0, v4
	v_cndmask_b32_e32 v3, 0x38000000, v3, vcc_lo
	v_cndmask_b32_e32 v2, 0, v2, vcc_lo
	s_branch .LBB8_166
.LBB8_56:
	s_mov_b32 s18, -1
	s_mov_b32 s0, 0
	s_mov_b32 s17, 0
.LBB8_57:
	s_and_b32 vcc_lo, exec_lo, s18
	s_cbranch_vccz .LBB8_62
; %bb.58:
	s_cmp_eq_u32 s12, 44
	s_mov_b32 s0, -1
	s_cbranch_scc0 .LBB8_62
; %bb.59:
	v_cvt_f32_f64_e32 v2, v[0:1]
	v_mov_b32_e32 v3, 0xff
	s_mov_b32 s17, exec_lo
	v_bfe_u32 v6, v2, 23, 8
	v_cmpx_ne_u32_e32 0xff, v6
	s_cbranch_execz .LBB8_61
; %bb.60:
	v_and_b32_e32 v3, 0x400000, v2
	v_and_or_b32 v6, 0x3fffff, v2, v6
	v_lshrrev_b32_e32 v2, 23, v2
	v_cmp_ne_u32_e32 vcc_lo, 0, v3
	v_cmp_ne_u32_e64 s0, 0, v6
	s_and_b32 s0, vcc_lo, s0
	v_cndmask_b32_e64 v3, 0, 1, s0
	v_add_nc_u32_e32 v3, v2, v3
.LBB8_61:
	s_or_b32 exec_lo, exec_lo, s17
	s_mov_b32 s17, -1
	s_mov_b32 s0, 0
	global_store_byte v[4:5], v3, off
.LBB8_62:
	s_mov_b32 s18, 0
.LBB8_63:
	s_and_b32 vcc_lo, exec_lo, s18
	s_cbranch_vccz .LBB8_66
; %bb.64:
	s_cmp_eq_u32 s12, 29
	s_mov_b32 s0, -1
	s_cbranch_scc0 .LBB8_66
; %bb.65:
	v_trunc_f64_e32 v[2:3], v[0:1]
	s_mov_b32 s17, -1
	s_mov_b32 s0, 0
	s_mov_b32 s18, 0
	v_ldexp_f64 v[6:7], v[2:3], 0xffffffe0
	v_floor_f64_e32 v[6:7], v[6:7]
	v_fma_f64 v[2:3], 0xc1f00000, v[6:7], v[2:3]
	v_cvt_u32_f64_e32 v7, v[6:7]
	v_cvt_u32_f64_e32 v6, v[2:3]
	global_store_dwordx2 v[4:5], v[6:7], off
	s_branch .LBB8_67
.LBB8_66:
	s_mov_b32 s18, 0
.LBB8_67:
	s_and_b32 vcc_lo, exec_lo, s18
	s_cbranch_vccz .LBB8_83
; %bb.68:
	s_cmp_lt_i32 s12, 27
	s_mov_b32 s17, -1
	s_cbranch_scc1 .LBB8_74
; %bb.69:
	v_cvt_u32_f64_e32 v2, v[0:1]
	s_cmp_gt_i32 s12, 27
	s_cbranch_scc0 .LBB8_71
; %bb.70:
	s_mov_b32 s17, 0
	global_store_dword v[4:5], v2, off
.LBB8_71:
	s_andn2_b32 vcc_lo, exec_lo, s17
	s_cbranch_vccnz .LBB8_73
; %bb.72:
	global_store_short v[4:5], v2, off
.LBB8_73:
	s_mov_b32 s17, 0
.LBB8_74:
	s_andn2_b32 vcc_lo, exec_lo, s17
	s_cbranch_vccnz .LBB8_82
; %bb.75:
	v_cvt_f32_f64_e32 v2, v[0:1]
	v_mov_b32_e32 v6, 0x80
	s_mov_b32 s17, exec_lo
	v_and_b32_e32 v3, 0x7fffffff, v2
	v_cmpx_gt_u32_e32 0x43800000, v3
	s_cbranch_execz .LBB8_81
; %bb.76:
	v_cmp_lt_u32_e32 vcc_lo, 0x3bffffff, v3
	s_mov_b32 s18, 0
                                        ; implicit-def: $vgpr3
	s_and_saveexec_b32 s19, vcc_lo
	s_xor_b32 s19, exec_lo, s19
	s_cbranch_execz .LBB8_327
; %bb.77:
	v_bfe_u32 v3, v2, 20, 1
	s_mov_b32 s18, exec_lo
	v_add3_u32 v3, v2, v3, 0x487ffff
	v_lshrrev_b32_e32 v3, 20, v3
	s_andn2_saveexec_b32 s19, s19
	s_cbranch_execnz .LBB8_328
.LBB8_78:
	s_or_b32 exec_lo, exec_lo, s19
	v_mov_b32_e32 v6, 0
	s_and_saveexec_b32 s19, s18
.LBB8_79:
	v_lshrrev_b32_e32 v2, 24, v2
	v_and_or_b32 v6, 0x80, v2, v3
.LBB8_80:
	s_or_b32 exec_lo, exec_lo, s19
.LBB8_81:
	s_or_b32 exec_lo, exec_lo, s17
	global_store_byte v[4:5], v6, off
.LBB8_82:
	s_mov_b32 s17, -1
.LBB8_83:
	s_mov_b32 s18, 0
.LBB8_84:
	s_and_b32 vcc_lo, exec_lo, s18
	s_cbranch_vccz .LBB8_125
; %bb.85:
	s_cmp_gt_i32 s12, 22
	s_mov_b32 s18, -1
	s_cbranch_scc0 .LBB8_117
; %bb.86:
	s_cmp_lt_i32 s12, 24
	s_mov_b32 s17, -1
	s_cbranch_scc1 .LBB8_106
; %bb.87:
	s_cmp_gt_i32 s12, 24
	s_cbranch_scc0 .LBB8_95
; %bb.88:
	v_cvt_f32_f64_e32 v2, v[0:1]
	v_mov_b32_e32 v6, 0x80
	s_mov_b32 s17, exec_lo
	v_and_b32_e32 v3, 0x7fffffff, v2
	v_cmpx_gt_u32_e32 0x47800000, v3
	s_cbranch_execz .LBB8_94
; %bb.89:
	v_cmp_lt_u32_e32 vcc_lo, 0x37ffffff, v3
	s_mov_b32 s18, 0
                                        ; implicit-def: $vgpr3
	s_and_saveexec_b32 s19, vcc_lo
	s_xor_b32 s19, exec_lo, s19
	s_cbranch_execz .LBB8_331
; %bb.90:
	v_bfe_u32 v3, v2, 21, 1
	s_mov_b32 s18, exec_lo
	v_add3_u32 v3, v2, v3, 0x88fffff
	v_lshrrev_b32_e32 v3, 21, v3
	s_andn2_saveexec_b32 s19, s19
	s_cbranch_execnz .LBB8_332
.LBB8_91:
	s_or_b32 exec_lo, exec_lo, s19
	v_mov_b32_e32 v6, 0
	s_and_saveexec_b32 s19, s18
.LBB8_92:
	v_lshrrev_b32_e32 v2, 24, v2
	v_and_or_b32 v6, 0x80, v2, v3
.LBB8_93:
	s_or_b32 exec_lo, exec_lo, s19
.LBB8_94:
	s_or_b32 exec_lo, exec_lo, s17
	s_mov_b32 s17, 0
	global_store_byte v[4:5], v6, off
.LBB8_95:
	s_and_b32 vcc_lo, exec_lo, s17
	s_cbranch_vccz .LBB8_105
; %bb.96:
	v_cvt_f32_f64_e32 v2, v[0:1]
	s_mov_b32 s17, exec_lo
                                        ; implicit-def: $vgpr3
	v_and_b32_e32 v6, 0x7fffffff, v2
	v_cmpx_gt_u32_e32 0x43f00000, v6
	s_xor_b32 s17, exec_lo, s17
	s_cbranch_execz .LBB8_102
; %bb.97:
	s_mov_b32 s18, exec_lo
                                        ; implicit-def: $vgpr3
	v_cmpx_lt_u32_e32 0x3c7fffff, v6
	s_xor_b32 s18, exec_lo, s18
; %bb.98:
	v_bfe_u32 v3, v2, 20, 1
	v_add3_u32 v3, v2, v3, 0x407ffff
	v_and_b32_e32 v6, 0xff00000, v3
	v_lshrrev_b32_e32 v3, 20, v3
	v_cmp_ne_u32_e32 vcc_lo, 0x7f00000, v6
	v_cndmask_b32_e32 v3, 0x7e, v3, vcc_lo
; %bb.99:
	s_andn2_saveexec_b32 s18, s18
; %bb.100:
	v_add_f32_e64 v3, 0x46800000, |v2|
; %bb.101:
	s_or_b32 exec_lo, exec_lo, s18
                                        ; implicit-def: $vgpr6
.LBB8_102:
	s_andn2_saveexec_b32 s17, s17
; %bb.103:
	v_mov_b32_e32 v3, 0x7f
	v_cmp_lt_u32_e32 vcc_lo, 0x7f800000, v6
	v_cndmask_b32_e32 v3, 0x7e, v3, vcc_lo
; %bb.104:
	s_or_b32 exec_lo, exec_lo, s17
	v_lshrrev_b32_e32 v2, 24, v2
	v_and_or_b32 v2, 0x80, v2, v3
	global_store_byte v[4:5], v2, off
.LBB8_105:
	s_mov_b32 s17, 0
.LBB8_106:
	s_andn2_b32 vcc_lo, exec_lo, s17
	s_cbranch_vccnz .LBB8_116
; %bb.107:
	v_cvt_f32_f64_e32 v2, v[0:1]
	s_mov_b32 s17, exec_lo
                                        ; implicit-def: $vgpr3
	v_and_b32_e32 v6, 0x7fffffff, v2
	v_cmpx_gt_u32_e32 0x47800000, v6
	s_xor_b32 s17, exec_lo, s17
	s_cbranch_execz .LBB8_113
; %bb.108:
	s_mov_b32 s18, exec_lo
                                        ; implicit-def: $vgpr3
	v_cmpx_lt_u32_e32 0x387fffff, v6
	s_xor_b32 s18, exec_lo, s18
; %bb.109:
	v_bfe_u32 v3, v2, 21, 1
	v_add3_u32 v3, v2, v3, 0x80fffff
	v_lshrrev_b32_e32 v3, 21, v3
; %bb.110:
	s_andn2_saveexec_b32 s18, s18
; %bb.111:
	v_add_f32_e64 v3, 0x43000000, |v2|
; %bb.112:
	s_or_b32 exec_lo, exec_lo, s18
                                        ; implicit-def: $vgpr6
.LBB8_113:
	s_andn2_saveexec_b32 s17, s17
; %bb.114:
	v_mov_b32_e32 v3, 0x7f
	v_cmp_lt_u32_e32 vcc_lo, 0x7f800000, v6
	v_cndmask_b32_e32 v3, 0x7c, v3, vcc_lo
; %bb.115:
	s_or_b32 exec_lo, exec_lo, s17
	v_lshrrev_b32_e32 v2, 24, v2
	v_and_or_b32 v2, 0x80, v2, v3
	global_store_byte v[4:5], v2, off
.LBB8_116:
	s_mov_b32 s18, 0
	s_mov_b32 s17, -1
.LBB8_117:
	s_andn2_b32 vcc_lo, exec_lo, s18
	s_cbranch_vccnz .LBB8_125
; %bb.118:
	s_cmp_gt_i32 s12, 14
	s_mov_b32 s18, -1
	s_cbranch_scc0 .LBB8_122
; %bb.119:
	s_cmp_eq_u32 s12, 15
	s_mov_b32 s0, -1
	s_cbranch_scc0 .LBB8_121
; %bb.120:
	v_cvt_f32_f64_e32 v2, v[0:1]
	s_mov_b32 s17, -1
	s_mov_b32 s0, 0
	v_bfe_u32 v3, v2, 16, 1
	v_cmp_o_f32_e32 vcc_lo, v2, v2
	v_add3_u32 v2, v2, v3, 0x7fff
	v_mov_b32_e32 v3, 0x7fc0
	v_cndmask_b32_sdwa v2, v3, v2, vcc_lo dst_sel:DWORD dst_unused:UNUSED_PAD src0_sel:DWORD src1_sel:WORD_1
	global_store_short v[4:5], v2, off
.LBB8_121:
	s_mov_b32 s18, 0
.LBB8_122:
	s_and_b32 vcc_lo, exec_lo, s18
	s_cbranch_vccz .LBB8_125
; %bb.123:
	s_cmp_eq_u32 s12, 11
	s_mov_b32 s0, -1
	s_cbranch_scc0 .LBB8_125
; %bb.124:
	v_cmp_neq_f64_e32 vcc_lo, 0, v[0:1]
	s_mov_b32 s17, -1
	s_mov_b32 s0, 0
	v_cndmask_b32_e64 v2, 0, 1, vcc_lo
	global_store_byte v[4:5], v2, off
.LBB8_125:
	s_branch .LBB8_44
.LBB8_126:
	s_and_b32 s1, 0xffff, s1
	s_mov_b32 s12, -1
	s_cmp_lt_i32 s1, 5
	s_cbranch_scc1 .LBB8_147
; %bb.127:
	s_cmp_lt_i32 s1, 8
	s_cbranch_scc1 .LBB8_137
; %bb.128:
	;; [unrolled: 3-line block ×3, first 2 shown]
	s_cmp_gt_i32 s1, 9
	s_cbranch_scc0 .LBB8_131
; %bb.130:
	v_mov_b32_e32 v2, 0
	s_mov_b32 s12, 0
	v_mov_b32_e32 v3, v2
	global_store_dwordx4 v[4:5], v[0:3], off
.LBB8_131:
	s_andn2_b32 vcc_lo, exec_lo, s12
	s_cbranch_vccnz .LBB8_133
; %bb.132:
	v_cvt_f32_f64_e32 v2, v[0:1]
	v_mov_b32_e32 v3, 0
	global_store_dwordx2 v[4:5], v[2:3], off
.LBB8_133:
	s_mov_b32 s12, 0
.LBB8_134:
	s_andn2_b32 vcc_lo, exec_lo, s12
	s_cbranch_vccnz .LBB8_136
; %bb.135:
	v_and_or_b32 v2, 0x1ff, v1, v0
	v_lshrrev_b32_e32 v3, 8, v1
	v_bfe_u32 v6, v1, 20, 11
	v_cmp_ne_u32_e32 vcc_lo, 0, v2
	v_sub_nc_u32_e32 v7, 0x3f1, v6
	v_add_nc_u32_e32 v6, 0xfffffc10, v6
	v_cndmask_b32_e64 v2, 0, 1, vcc_lo
	v_and_or_b32 v2, 0xffe, v3, v2
	v_med3_i32 v3, v7, 0, 13
	v_or_b32_e32 v7, 0x1000, v2
	v_lshrrev_b32_e32 v8, v3, v7
	v_lshlrev_b32_e32 v3, v3, v8
	v_cmp_ne_u32_e32 vcc_lo, v3, v7
	v_lshl_or_b32 v7, v6, 12, v2
	v_cndmask_b32_e64 v3, 0, 1, vcc_lo
	v_cmp_gt_i32_e32 vcc_lo, 1, v6
	v_or_b32_e32 v3, v8, v3
	v_cndmask_b32_e32 v3, v7, v3, vcc_lo
	v_and_b32_e32 v7, 7, v3
	v_lshrrev_b32_e32 v3, 2, v3
	v_cmp_lt_i32_e32 vcc_lo, 5, v7
	v_cndmask_b32_e64 v8, 0, 1, vcc_lo
	v_cmp_eq_u32_e32 vcc_lo, 3, v7
	v_cndmask_b32_e64 v7, 0, 1, vcc_lo
	v_cmp_ne_u32_e32 vcc_lo, 0, v2
	v_or_b32_e32 v7, v7, v8
	v_mov_b32_e32 v8, 0x7e00
	v_add_nc_u32_e32 v3, v3, v7
	v_cndmask_b32_e32 v2, 0x7c00, v8, vcc_lo
	v_cmp_gt_i32_e32 vcc_lo, 31, v6
	v_cndmask_b32_e32 v3, 0x7c00, v3, vcc_lo
	v_cmp_eq_u32_e32 vcc_lo, 0x40f, v6
	v_cndmask_b32_e32 v2, v3, v2, vcc_lo
	v_lshrrev_b32_e32 v3, 16, v1
	v_and_or_b32 v2, 0x8000, v3, v2
	v_and_b32_e32 v2, 0xffff, v2
	global_store_dword v[4:5], v2, off
.LBB8_136:
	s_mov_b32 s12, 0
.LBB8_137:
	s_andn2_b32 vcc_lo, exec_lo, s12
	s_cbranch_vccnz .LBB8_146
; %bb.138:
	s_cmp_lt_i32 s1, 6
	s_mov_b32 s12, -1
	s_cbranch_scc1 .LBB8_144
; %bb.139:
	s_cmp_gt_i32 s1, 6
	s_cbranch_scc0 .LBB8_141
; %bb.140:
	s_mov_b32 s12, 0
	global_store_dwordx2 v[4:5], v[0:1], off
.LBB8_141:
	s_andn2_b32 vcc_lo, exec_lo, s12
	s_cbranch_vccnz .LBB8_143
; %bb.142:
	v_cvt_f32_f64_e32 v2, v[0:1]
	global_store_dword v[4:5], v2, off
.LBB8_143:
	s_mov_b32 s12, 0
.LBB8_144:
	s_andn2_b32 vcc_lo, exec_lo, s12
	s_cbranch_vccnz .LBB8_146
; %bb.145:
	v_and_or_b32 v2, 0x1ff, v1, v0
	v_lshrrev_b32_e32 v3, 8, v1
	v_bfe_u32 v6, v1, 20, 11
	v_cmp_ne_u32_e32 vcc_lo, 0, v2
	v_sub_nc_u32_e32 v7, 0x3f1, v6
	v_add_nc_u32_e32 v6, 0xfffffc10, v6
	v_cndmask_b32_e64 v2, 0, 1, vcc_lo
	v_and_or_b32 v2, 0xffe, v3, v2
	v_med3_i32 v3, v7, 0, 13
	v_or_b32_e32 v7, 0x1000, v2
	v_lshrrev_b32_e32 v8, v3, v7
	v_lshlrev_b32_e32 v3, v3, v8
	v_cmp_ne_u32_e32 vcc_lo, v3, v7
	v_lshl_or_b32 v7, v6, 12, v2
	v_cndmask_b32_e64 v3, 0, 1, vcc_lo
	v_cmp_gt_i32_e32 vcc_lo, 1, v6
	v_or_b32_e32 v3, v8, v3
	v_cndmask_b32_e32 v3, v7, v3, vcc_lo
	v_and_b32_e32 v7, 7, v3
	v_lshrrev_b32_e32 v3, 2, v3
	v_cmp_lt_i32_e32 vcc_lo, 5, v7
	v_cndmask_b32_e64 v8, 0, 1, vcc_lo
	v_cmp_eq_u32_e32 vcc_lo, 3, v7
	v_cndmask_b32_e64 v7, 0, 1, vcc_lo
	v_cmp_ne_u32_e32 vcc_lo, 0, v2
	v_or_b32_e32 v7, v7, v8
	v_mov_b32_e32 v8, 0x7e00
	v_add_nc_u32_e32 v3, v3, v7
	v_cndmask_b32_e32 v2, 0x7c00, v8, vcc_lo
	v_cmp_gt_i32_e32 vcc_lo, 31, v6
	v_cndmask_b32_e32 v3, 0x7c00, v3, vcc_lo
	v_cmp_eq_u32_e32 vcc_lo, 0x40f, v6
	v_cndmask_b32_e32 v2, v3, v2, vcc_lo
	v_lshrrev_b32_e32 v3, 16, v1
	v_and_or_b32 v2, 0x8000, v3, v2
	global_store_short v[4:5], v2, off
.LBB8_146:
	s_mov_b32 s12, 0
.LBB8_147:
	s_andn2_b32 vcc_lo, exec_lo, s12
	s_cbranch_vccnz .LBB8_163
; %bb.148:
	s_cmp_lt_i32 s1, 2
	s_mov_b32 s12, -1
	s_cbranch_scc1 .LBB8_158
; %bb.149:
	s_cmp_lt_i32 s1, 3
	s_cbranch_scc1 .LBB8_155
; %bb.150:
	s_cmp_gt_i32 s1, 3
	s_cbranch_scc0 .LBB8_152
; %bb.151:
	v_trunc_f64_e32 v[2:3], v[0:1]
	s_mov_b32 s12, 0
	v_ldexp_f64 v[6:7], v[2:3], 0xffffffe0
	v_floor_f64_e32 v[6:7], v[6:7]
	v_fma_f64 v[2:3], 0xc1f00000, v[6:7], v[2:3]
	v_cvt_i32_f64_e32 v7, v[6:7]
	v_cvt_u32_f64_e32 v6, v[2:3]
	global_store_dwordx2 v[4:5], v[6:7], off
.LBB8_152:
	s_andn2_b32 vcc_lo, exec_lo, s12
	s_cbranch_vccnz .LBB8_154
; %bb.153:
	v_cvt_i32_f64_e32 v2, v[0:1]
	global_store_dword v[4:5], v2, off
.LBB8_154:
	s_mov_b32 s12, 0
.LBB8_155:
	s_andn2_b32 vcc_lo, exec_lo, s12
	s_cbranch_vccnz .LBB8_157
; %bb.156:
	v_cvt_i32_f64_e32 v2, v[0:1]
	global_store_short v[4:5], v2, off
.LBB8_157:
	s_mov_b32 s12, 0
.LBB8_158:
	s_andn2_b32 vcc_lo, exec_lo, s12
	s_cbranch_vccnz .LBB8_163
; %bb.159:
	s_cmp_gt_i32 s1, 0
	s_mov_b32 s1, -1
	s_cbranch_scc0 .LBB8_161
; %bb.160:
	v_cvt_i32_f64_e32 v2, v[0:1]
	s_mov_b32 s1, 0
	global_store_byte v[4:5], v2, off
.LBB8_161:
	s_andn2_b32 vcc_lo, exec_lo, s1
	s_cbranch_vccnz .LBB8_163
; %bb.162:
	v_trunc_f64_e32 v[0:1], v[0:1]
	v_ldexp_f64 v[2:3], v[0:1], 0xffffffe0
	v_floor_f64_e32 v[2:3], v[2:3]
	v_fma_f64 v[0:1], 0xc1f00000, v[2:3], v[0:1]
	v_cvt_u32_f64_e32 v0, v[0:1]
	global_store_byte v[4:5], v0, off
.LBB8_163:
.LBB8_164:
	v_add_nc_u32_e32 v14, 0x80, v14
	s_mov_b32 s1, -1
	s_branch .LBB8_275
.LBB8_165:
	s_mov_b32 s14, -1
                                        ; implicit-def: $vgpr2_vgpr3
.LBB8_166:
	s_mov_b32 s12, 0
.LBB8_167:
	s_and_b32 vcc_lo, exec_lo, s12
	s_cbranch_vccz .LBB8_171
; %bb.168:
	s_cmp_eq_u32 s0, 29
	s_cbranch_scc0 .LBB8_170
; %bb.169:
	global_load_dwordx2 v[2:3], v[0:1], off
	s_mov_b32 s1, -1
	s_mov_b32 s14, 0
	s_mov_b32 s12, 0
	s_waitcnt vmcnt(0)
	v_cvt_f64_u32_e32 v[3:4], v3
	v_cvt_f64_u32_e32 v[5:6], v2
	v_ldexp_f64 v[3:4], v[3:4], 32
	v_add_f64 v[2:3], v[3:4], v[5:6]
	s_branch .LBB8_172
.LBB8_170:
	s_mov_b32 s14, -1
                                        ; implicit-def: $vgpr2_vgpr3
.LBB8_171:
	s_mov_b32 s12, 0
.LBB8_172:
	s_and_b32 vcc_lo, exec_lo, s12
	s_cbranch_vccz .LBB8_192
; %bb.173:
	s_cmp_lt_i32 s0, 27
	s_cbranch_scc1 .LBB8_176
; %bb.174:
	s_cmp_gt_i32 s0, 27
	s_cbranch_scc0 .LBB8_177
; %bb.175:
	global_load_dword v2, v[0:1], off
	s_mov_b32 s1, 0
	s_waitcnt vmcnt(0)
	v_cvt_f64_u32_e32 v[2:3], v2
	s_branch .LBB8_178
.LBB8_176:
	s_mov_b32 s1, -1
                                        ; implicit-def: $vgpr2_vgpr3
	s_branch .LBB8_181
.LBB8_177:
	s_mov_b32 s1, -1
                                        ; implicit-def: $vgpr2_vgpr3
.LBB8_178:
	s_andn2_b32 vcc_lo, exec_lo, s1
	s_cbranch_vccnz .LBB8_180
; %bb.179:
	global_load_ushort v2, v[0:1], off
	s_waitcnt vmcnt(0)
	v_cvt_f64_u32_e32 v[2:3], v2
.LBB8_180:
	s_mov_b32 s1, 0
.LBB8_181:
	s_andn2_b32 vcc_lo, exec_lo, s1
	s_cbranch_vccnz .LBB8_191
; %bb.182:
	global_load_ubyte v4, v[0:1], off
	s_mov_b32 s1, 0
	s_mov_b32 s12, exec_lo
	s_waitcnt vmcnt(0)
	v_cmpx_lt_i16_e32 0x7f, v4
	s_xor_b32 s12, exec_lo, s12
	s_cbranch_execz .LBB8_186
; %bb.183:
	s_mov_b32 s1, -1
	s_mov_b32 s17, exec_lo
	v_cmpx_eq_u16_e32 0x80, v4
; %bb.184:
	s_xor_b32 s1, exec_lo, -1
; %bb.185:
	s_or_b32 exec_lo, exec_lo, s17
	s_and_b32 s1, s1, exec_lo
.LBB8_186:
	s_or_saveexec_b32 s12, s12
	v_bfrev_b32_e32 v2, 4
	v_mov_b32_e32 v3, 0x7ff80000
	s_xor_b32 exec_lo, exec_lo, s12
; %bb.187:
	v_cmp_ne_u16_e32 vcc_lo, 0, v4
	v_mov_b32_e32 v2, 0
	v_mov_b32_e32 v3, 0
	s_andn2_b32 s1, s1, exec_lo
	s_and_b32 s17, vcc_lo, exec_lo
	s_or_b32 s1, s1, s17
; %bb.188:
	s_or_b32 exec_lo, exec_lo, s12
	s_and_saveexec_b32 s12, s1
	s_cbranch_execz .LBB8_190
; %bb.189:
	v_and_b32_e32 v2, 0xffff, v4
	v_lshlrev_b32_e32 v4, 24, v4
	v_and_b32_e32 v3, 7, v2
	v_bfe_u32 v7, v2, 3, 4
	v_ffbh_u32_e32 v5, v3
	v_cmp_eq_u32_e32 vcc_lo, 0, v7
	v_min_u32_e32 v5, 32, v5
	v_subrev_nc_u32_e32 v6, 28, v5
	v_sub_nc_u32_e32 v5, 29, v5
	v_lshlrev_b32_e32 v2, v6, v2
	v_cndmask_b32_e32 v5, v7, v5, vcc_lo
	v_and_b32_e32 v2, 7, v2
	v_cndmask_b32_e32 v2, v3, v2, vcc_lo
	v_and_b32_e32 v3, 0x80000000, v4
	v_lshl_add_u32 v4, v5, 23, 0x3b800000
	v_lshlrev_b32_e32 v2, 20, v2
	v_or3_b32 v2, v3, v4, v2
	v_cvt_f64_f32_e32 v[2:3], v2
.LBB8_190:
	s_or_b32 exec_lo, exec_lo, s12
.LBB8_191:
	s_mov_b32 s1, -1
.LBB8_192:
	s_branch .LBB8_225
.LBB8_193:
	s_cmp_gt_i32 s0, 22
	s_cbranch_scc0 .LBB8_205
; %bb.194:
	s_cmp_lt_i32 s0, 24
	s_cbranch_scc1 .LBB8_206
; %bb.195:
	s_cmp_gt_i32 s0, 24
	s_cbranch_scc0 .LBB8_207
; %bb.196:
	global_load_ubyte v4, v[0:1], off
	s_mov_b32 s1, 0
	s_mov_b32 s12, exec_lo
	s_waitcnt vmcnt(0)
	v_cmpx_lt_i16_e32 0x7f, v4
	s_xor_b32 s12, exec_lo, s12
	s_cbranch_execz .LBB8_200
; %bb.197:
	s_mov_b32 s1, -1
	s_mov_b32 s17, exec_lo
	v_cmpx_eq_u16_e32 0x80, v4
; %bb.198:
	s_xor_b32 s1, exec_lo, -1
; %bb.199:
	s_or_b32 exec_lo, exec_lo, s17
	s_and_b32 s1, s1, exec_lo
.LBB8_200:
	s_or_saveexec_b32 s12, s12
	v_bfrev_b32_e32 v2, 4
	v_mov_b32_e32 v3, 0x7ff80000
	s_xor_b32 exec_lo, exec_lo, s12
; %bb.201:
	v_cmp_ne_u16_e32 vcc_lo, 0, v4
	v_mov_b32_e32 v2, 0
	v_mov_b32_e32 v3, 0
	s_andn2_b32 s1, s1, exec_lo
	s_and_b32 s17, vcc_lo, exec_lo
	s_or_b32 s1, s1, s17
; %bb.202:
	s_or_b32 exec_lo, exec_lo, s12
	s_and_saveexec_b32 s12, s1
	s_cbranch_execz .LBB8_204
; %bb.203:
	v_and_b32_e32 v2, 0xffff, v4
	v_lshlrev_b32_e32 v4, 24, v4
	v_and_b32_e32 v3, 3, v2
	v_bfe_u32 v7, v2, 2, 5
	v_ffbh_u32_e32 v5, v3
	v_cmp_eq_u32_e32 vcc_lo, 0, v7
	v_min_u32_e32 v5, 32, v5
	v_subrev_nc_u32_e32 v6, 29, v5
	v_sub_nc_u32_e32 v5, 30, v5
	v_lshlrev_b32_e32 v2, v6, v2
	v_cndmask_b32_e32 v5, v7, v5, vcc_lo
	v_and_b32_e32 v2, 3, v2
	v_cndmask_b32_e32 v2, v3, v2, vcc_lo
	v_and_b32_e32 v3, 0x80000000, v4
	v_lshl_add_u32 v4, v5, 23, 0x37800000
	v_lshlrev_b32_e32 v2, 21, v2
	v_or3_b32 v2, v3, v4, v2
	v_cvt_f64_f32_e32 v[2:3], v2
.LBB8_204:
	s_or_b32 exec_lo, exec_lo, s12
	s_mov_b32 s1, 0
	s_branch .LBB8_208
.LBB8_205:
	s_mov_b32 s12, -1
                                        ; implicit-def: $vgpr2_vgpr3
	s_branch .LBB8_214
.LBB8_206:
	s_mov_b32 s1, -1
                                        ; implicit-def: $vgpr2_vgpr3
	s_branch .LBB8_211
.LBB8_207:
	s_mov_b32 s1, -1
                                        ; implicit-def: $vgpr2_vgpr3
.LBB8_208:
	s_and_b32 vcc_lo, exec_lo, s1
	s_cbranch_vccz .LBB8_210
; %bb.209:
	global_load_ubyte v2, v[0:1], off
	s_waitcnt vmcnt(0)
	v_lshlrev_b32_e32 v2, 24, v2
	v_and_b32_e32 v3, 0x7f000000, v2
	v_ffbh_u32_e32 v4, v3
	v_add_nc_u32_e32 v6, 0x1000000, v3
	v_cmp_ne_u32_e32 vcc_lo, 0, v3
	v_min_u32_e32 v4, 32, v4
	v_sub_nc_u32_e64 v4, v4, 4 clamp
	v_lshlrev_b32_e32 v5, v4, v3
	v_lshlrev_b32_e32 v4, 23, v4
	v_lshrrev_b32_e32 v5, 4, v5
	v_sub_nc_u32_e32 v4, v5, v4
	v_ashrrev_i32_e32 v5, 8, v6
	v_add_nc_u32_e32 v4, 0x3c000000, v4
	v_and_or_b32 v4, 0x7f800000, v5, v4
	v_cndmask_b32_e32 v3, 0, v4, vcc_lo
	v_and_or_b32 v2, 0x80000000, v2, v3
	v_cvt_f64_f32_e32 v[2:3], v2
.LBB8_210:
	s_mov_b32 s1, 0
.LBB8_211:
	s_andn2_b32 vcc_lo, exec_lo, s1
	s_cbranch_vccnz .LBB8_213
; %bb.212:
	global_load_ubyte v2, v[0:1], off
	s_waitcnt vmcnt(0)
	v_lshlrev_b32_e32 v3, 25, v2
	v_lshlrev_b16 v2, 8, v2
	v_lshrrev_b32_e32 v4, 4, v3
	v_and_or_b32 v5, 0x7f00, v2, 0.5
	v_cmp_gt_u32_e32 vcc_lo, 0x8000000, v3
	v_bfe_i32 v2, v2, 0, 16
	v_or_b32_e32 v4, 0x70000000, v4
	v_add_f32_e32 v5, -0.5, v5
	v_mul_f32_e32 v4, 0x7800000, v4
	v_cndmask_b32_e32 v3, v4, v5, vcc_lo
	v_and_or_b32 v2, 0x80000000, v2, v3
	v_cvt_f64_f32_e32 v[2:3], v2
.LBB8_213:
	s_mov_b32 s12, 0
	s_mov_b32 s1, -1
.LBB8_214:
	s_andn2_b32 vcc_lo, exec_lo, s12
	s_cbranch_vccnz .LBB8_225
; %bb.215:
	s_cmp_gt_i32 s0, 14
	s_cbranch_scc0 .LBB8_218
; %bb.216:
	s_cmp_eq_u32 s0, 15
	s_cbranch_scc0 .LBB8_219
; %bb.217:
	global_load_ushort v2, v[0:1], off
	s_mov_b32 s1, -1
	s_mov_b32 s14, 0
	s_waitcnt vmcnt(0)
	v_lshlrev_b32_e32 v2, 16, v2
	v_cvt_f64_f32_e32 v[2:3], v2
	s_branch .LBB8_220
.LBB8_218:
	s_mov_b32 s12, -1
                                        ; implicit-def: $vgpr2_vgpr3
	s_branch .LBB8_221
.LBB8_219:
	s_mov_b32 s14, -1
                                        ; implicit-def: $vgpr2_vgpr3
.LBB8_220:
	s_mov_b32 s12, 0
.LBB8_221:
	s_and_b32 vcc_lo, exec_lo, s12
	s_cbranch_vccz .LBB8_225
; %bb.222:
	s_cmp_eq_u32 s0, 11
	s_cbranch_scc0 .LBB8_224
; %bb.223:
	global_load_ubyte v2, v[0:1], off
	s_mov_b32 s14, 0
	s_mov_b32 s1, -1
	s_waitcnt vmcnt(0)
	v_cmp_ne_u16_e32 vcc_lo, 0, v2
	v_mov_b32_e32 v2, 0
	v_cndmask_b32_e64 v3, 0, 0x3ff00000, vcc_lo
	s_branch .LBB8_225
.LBB8_224:
	s_mov_b32 s14, -1
                                        ; implicit-def: $vgpr2_vgpr3
.LBB8_225:
	s_branch .LBB8_10
.LBB8_226:
	s_cmp_lt_i32 s0, 5
	s_cbranch_scc1 .LBB8_231
; %bb.227:
	s_cmp_lt_i32 s0, 8
	s_cbranch_scc1 .LBB8_232
; %bb.228:
	;; [unrolled: 3-line block ×3, first 2 shown]
	s_cmp_gt_i32 s0, 9
	s_cbranch_scc0 .LBB8_234
; %bb.230:
	global_load_dwordx2 v[2:3], v[0:1], off
	s_mov_b32 s1, 0
	s_branch .LBB8_235
.LBB8_231:
                                        ; implicit-def: $vgpr2_vgpr3
	s_branch .LBB8_253
.LBB8_232:
	s_mov_b32 s1, -1
                                        ; implicit-def: $vgpr2_vgpr3
	s_branch .LBB8_241
.LBB8_233:
	s_mov_b32 s1, -1
                                        ; implicit-def: $vgpr2_vgpr3
	s_branch .LBB8_238
.LBB8_234:
	s_mov_b32 s1, -1
                                        ; implicit-def: $vgpr2_vgpr3
.LBB8_235:
	s_andn2_b32 vcc_lo, exec_lo, s1
	s_cbranch_vccnz .LBB8_237
; %bb.236:
	global_load_dword v2, v[0:1], off
	s_waitcnt vmcnt(0)
	v_cvt_f64_f32_e32 v[2:3], v2
.LBB8_237:
	s_mov_b32 s1, 0
.LBB8_238:
	s_andn2_b32 vcc_lo, exec_lo, s1
	s_cbranch_vccnz .LBB8_240
; %bb.239:
	global_load_dword v2, v[0:1], off
	s_waitcnt vmcnt(0)
	v_cvt_f32_f16_e32 v2, v2
	v_cvt_f64_f32_e32 v[2:3], v2
.LBB8_240:
	s_mov_b32 s1, 0
.LBB8_241:
	s_andn2_b32 vcc_lo, exec_lo, s1
	s_cbranch_vccnz .LBB8_252
; %bb.242:
	s_cmp_lt_i32 s0, 6
	s_cbranch_scc1 .LBB8_245
; %bb.243:
	s_cmp_gt_i32 s0, 6
	s_cbranch_scc0 .LBB8_246
; %bb.244:
	global_load_dwordx2 v[2:3], v[0:1], off
	s_mov_b32 s1, 0
	s_branch .LBB8_247
.LBB8_245:
	s_mov_b32 s1, -1
                                        ; implicit-def: $vgpr2_vgpr3
	s_branch .LBB8_250
.LBB8_246:
	s_mov_b32 s1, -1
                                        ; implicit-def: $vgpr2_vgpr3
.LBB8_247:
	s_andn2_b32 vcc_lo, exec_lo, s1
	s_cbranch_vccnz .LBB8_249
; %bb.248:
	global_load_dword v2, v[0:1], off
	s_waitcnt vmcnt(0)
	v_cvt_f64_f32_e32 v[2:3], v2
.LBB8_249:
	s_mov_b32 s1, 0
.LBB8_250:
	s_andn2_b32 vcc_lo, exec_lo, s1
	s_cbranch_vccnz .LBB8_252
; %bb.251:
	global_load_ushort v2, v[0:1], off
	s_waitcnt vmcnt(0)
	v_cvt_f32_f16_e32 v2, v2
	v_cvt_f64_f32_e32 v[2:3], v2
.LBB8_252:
	s_cbranch_execnz .LBB8_272
.LBB8_253:
	s_cmp_lt_i32 s0, 2
	s_cbranch_scc1 .LBB8_257
; %bb.254:
	s_cmp_lt_i32 s0, 3
	s_cbranch_scc1 .LBB8_258
; %bb.255:
	s_cmp_gt_i32 s0, 3
	s_cbranch_scc0 .LBB8_259
; %bb.256:
	global_load_dwordx2 v[2:3], v[0:1], off
	s_mov_b32 s1, 0
	s_waitcnt vmcnt(0)
	v_cvt_f64_i32_e32 v[3:4], v3
	v_cvt_f64_u32_e32 v[5:6], v2
	v_ldexp_f64 v[3:4], v[3:4], 32
	v_add_f64 v[2:3], v[3:4], v[5:6]
	s_branch .LBB8_260
.LBB8_257:
	s_mov_b32 s1, -1
                                        ; implicit-def: $vgpr2_vgpr3
	s_branch .LBB8_266
.LBB8_258:
	s_mov_b32 s1, -1
                                        ; implicit-def: $vgpr2_vgpr3
	s_branch .LBB8_263
.LBB8_259:
	s_mov_b32 s1, -1
                                        ; implicit-def: $vgpr2_vgpr3
.LBB8_260:
	s_andn2_b32 vcc_lo, exec_lo, s1
	s_cbranch_vccnz .LBB8_262
; %bb.261:
	global_load_dword v2, v[0:1], off
	s_waitcnt vmcnt(0)
	v_cvt_f64_i32_e32 v[2:3], v2
.LBB8_262:
	s_mov_b32 s1, 0
.LBB8_263:
	s_andn2_b32 vcc_lo, exec_lo, s1
	s_cbranch_vccnz .LBB8_265
; %bb.264:
	global_load_sshort v2, v[0:1], off
	s_waitcnt vmcnt(0)
	v_cvt_f64_i32_e32 v[2:3], v2
.LBB8_265:
	s_mov_b32 s1, 0
.LBB8_266:
	s_andn2_b32 vcc_lo, exec_lo, s1
	s_cbranch_vccnz .LBB8_272
; %bb.267:
	s_cmp_gt_i32 s0, 0
	s_mov_b32 s0, 0
	s_cbranch_scc0 .LBB8_269
; %bb.268:
	global_load_sbyte v2, v[0:1], off
	s_waitcnt vmcnt(0)
	v_cvt_f64_i32_e32 v[2:3], v2
	s_branch .LBB8_270
.LBB8_269:
	s_mov_b32 s0, -1
                                        ; implicit-def: $vgpr2_vgpr3
.LBB8_270:
	s_andn2_b32 vcc_lo, exec_lo, s0
	s_cbranch_vccnz .LBB8_272
; %bb.271:
	global_load_ubyte v0, v[0:1], off
	s_waitcnt vmcnt(0)
	v_cvt_f64_u32_e32 v[2:3], v0
.LBB8_272:
	s_branch .LBB8_11
.LBB8_273:
	s_mov_b32 s0, 0
.LBB8_274:
	s_mov_b32 s1, 0
                                        ; implicit-def: $vgpr14
.LBB8_275:
	s_and_b32 s12, s0, exec_lo
	s_and_b32 s14, s14, exec_lo
	s_orn2_b32 s1, s1, exec_lo
.LBB8_276:
	s_or_b32 exec_lo, exec_lo, s15
	s_mov_b32 s17, 0
	s_mov_b32 s0, 0
                                        ; implicit-def: $vgpr0_vgpr1
                                        ; implicit-def: $vgpr2_vgpr3
	s_and_saveexec_b32 s15, s1
	s_cbranch_execz .LBB8_285
; %bb.277:
	s_mov_b32 s0, -1
	s_mov_b32 s16, s14
	s_mov_b32 s17, s12
	s_mov_b32 s18, exec_lo
	v_cmpx_gt_i32_e64 s13, v14
	s_cbranch_execz .LBB8_563
; %bb.278:
	v_mul_lo_u32 v0, v14, s3
	s_and_b32 s0, 0xffff, s6
	s_cmp_lt_i32 s0, 11
	v_ashrrev_i32_e32 v1, 31, v0
	v_add_co_u32 v0, vcc_lo, s10, v0
	v_add_co_ci_u32_e64 v1, null, s11, v1, vcc_lo
	s_cbranch_scc1 .LBB8_288
; %bb.279:
	s_cmp_gt_i32 s0, 25
	s_cbranch_scc0 .LBB8_321
; %bb.280:
	s_cmp_gt_i32 s0, 28
	s_cbranch_scc0 .LBB8_323
	;; [unrolled: 3-line block ×4, first 2 shown]
; %bb.283:
	s_cmp_eq_u32 s0, 46
	s_mov_b32 s17, 0
	s_cbranch_scc0 .LBB8_333
; %bb.284:
	global_load_dword v2, v[0:1], off
	s_mov_b32 s1, -1
	s_mov_b32 s16, 0
	s_waitcnt vmcnt(0)
	v_lshlrev_b32_e32 v2, 16, v2
	v_cvt_f64_f32_e32 v[2:3], v2
	s_branch .LBB8_335
.LBB8_285:
	s_or_b32 exec_lo, exec_lo, s15
	s_mov_b32 s13, 0
	s_and_saveexec_b32 s1, s14
	s_cbranch_execnz .LBB8_935
.LBB8_286:
	s_or_b32 exec_lo, exec_lo, s1
	s_and_saveexec_b32 s1, s16
	s_xor_b32 s1, exec_lo, s1
	s_cbranch_execz .LBB8_936
.LBB8_287:
	global_load_ubyte v2, v[0:1], off
	s_or_b32 s0, s0, exec_lo
	s_waitcnt vmcnt(0)
	v_cmp_ne_u16_e32 vcc_lo, 0, v2
	v_mov_b32_e32 v2, 0
	v_cndmask_b32_e64 v3, 0, 0x3ff00000, vcc_lo
	s_or_b32 exec_lo, exec_lo, s1
	s_and_saveexec_b32 s1, s17
	s_cbranch_execz .LBB8_982
	s_branch .LBB8_937
.LBB8_288:
	s_mov_b32 s1, 0
	s_mov_b32 s16, s14
                                        ; implicit-def: $vgpr2_vgpr3
	s_cbranch_execnz .LBB8_512
.LBB8_289:
	s_andn2_b32 vcc_lo, exec_lo, s1
	s_cbranch_vccnz .LBB8_560
.LBB8_290:
                                        ; implicit-def: $vgpr0_vgpr1
	s_mov_b32 s0, exec_lo
	s_waitcnt vmcnt(0)
	v_cmpx_neq_f64_e32 0, v[2:3]
	s_xor_b32 s17, exec_lo, s0
	s_cbranch_execz .LBB8_312
; %bb.291:
	v_mov_b32_e32 v4, 0
	v_mov_b32_e32 v5, 0
	s_mov_b32 s1, -1
	s_mov_b32 s19, exec_lo
	v_cmpx_gt_f64_e32 0, v[2:3]
	s_cbranch_execz .LBB8_299
; %bb.292:
	v_trunc_f64_e32 v[0:1], v[2:3]
	v_mov_b32_e32 v4, 0
	v_mov_b32_e32 v5, 0
	s_mov_b32 s1, 0
	s_mov_b32 s20, exec_lo
	v_cmpx_neq_f64_e32 v[2:3], v[0:1]
	s_cbranch_execz .LBB8_298
; %bb.293:
	v_add_f64 v[0:1], v[2:3], -v[0:1]
	s_mov_b32 s1, 0xc00921fb
	s_mov_b32 s0, 0x54442d18
	v_cmp_neq_f64_e64 vcc_lo, 0x7ff00000, |v[2:3]|
	s_mov_b32 s21, exec_lo
                                        ; implicit-def: $vgpr8
                                        ; implicit-def: $vgpr4_vgpr5
                                        ; implicit-def: $vgpr6_vgpr7
	v_mul_f64 v[0:1], |v[0:1]|, s[0:1]
	v_cndmask_b32_e32 v1, 0x80000000, v1, vcc_lo
	v_cndmask_b32_e32 v0, 0, v0, vcc_lo
	v_cmpx_ngt_f64_e64 0x41d00000, |v[0:1]|
	s_xor_b32 s21, exec_lo, s21
	s_cbranch_execz .LBB8_295
; %bb.294:
	v_ldexp_f64 v[4:5], |v[0:1]|, 0xffffff80
	v_cmp_le_f64_e64 vcc_lo, 0x7b000000, |v[0:1]|
	v_trig_preop_f64 v[6:7], |v[0:1]|, 0
	v_and_b32_e32 v8, 0x7fffffff, v1
	v_trig_preop_f64 v[19:20], |v[0:1]|, 2
	v_mov_b32_e32 v27, 0
	s_mov_b32 s1, 0x3ff921fb
	s_mov_b32 s22, 0x33145c07
	;; [unrolled: 1-line block ×3, first 2 shown]
	v_cndmask_b32_e32 v5, v8, v5, vcc_lo
	v_cndmask_b32_e32 v4, v0, v4, vcc_lo
	v_trig_preop_f64 v[8:9], |v[0:1]|, 1
	v_mul_f64 v[10:11], v[6:7], v[4:5]
	v_mul_f64 v[25:26], v[19:20], v[4:5]
	;; [unrolled: 1-line block ×3, first 2 shown]
	v_fma_f64 v[6:7], v[6:7], v[4:5], -v[10:11]
	v_fma_f64 v[8:9], v[8:9], v[4:5], -v[12:13]
	;; [unrolled: 1-line block ×3, first 2 shown]
	v_add_f64 v[15:16], v[12:13], v[6:7]
	v_add_f64 v[17:18], v[15:16], -v[12:13]
	v_add_f64 v[23:24], v[10:11], v[15:16]
	v_add_f64 v[21:22], v[15:16], -v[17:18]
	v_add_f64 v[6:7], v[6:7], -v[17:18]
	v_ldexp_f64 v[17:18], v[23:24], -2
	v_add_f64 v[10:11], v[23:24], -v[10:11]
	v_add_f64 v[12:13], v[12:13], -v[21:22]
	v_add_f64 v[21:22], v[25:26], v[8:9]
	v_cmp_neq_f64_e64 vcc_lo, 0x7ff00000, |v[17:18]|
	v_add_f64 v[10:11], v[15:16], -v[10:11]
	v_add_f64 v[6:7], v[6:7], v[12:13]
	v_fract_f64_e32 v[12:13], v[17:18]
	v_add_f64 v[15:16], v[21:22], v[6:7]
	v_ldexp_f64 v[12:13], v[12:13], 2
	v_add_f64 v[17:18], v[10:11], v[15:16]
	v_cndmask_b32_e32 v13, 0, v13, vcc_lo
	v_cndmask_b32_e32 v12, 0, v12, vcc_lo
	v_add_f64 v[23:24], v[17:18], v[12:13]
	v_add_f64 v[10:11], v[17:18], -v[10:11]
	v_cmp_gt_f64_e32 vcc_lo, 0, v[23:24]
	v_add_f64 v[23:24], v[21:22], -v[25:26]
	v_cndmask_b32_e64 v28, 0, 0x40100000, vcc_lo
	v_add_f64 v[32:33], v[21:22], -v[23:24]
	v_add_f64 v[8:9], v[8:9], -v[23:24]
	v_add_f64 v[12:13], v[12:13], v[27:28]
	v_add_f64 v[28:29], v[15:16], -v[21:22]
	v_add_f64 v[23:24], v[25:26], -v[32:33]
	v_add_f64 v[30:31], v[17:18], v[12:13]
	;; [unrolled: 3-line block ×3, first 2 shown]
	v_cvt_i32_f64_e32 v30, v[30:31]
	v_add_f64 v[21:22], v[21:22], -v[34:35]
	v_cvt_f64_i32_e32 v[28:29], v30
	v_add_f64 v[6:7], v[6:7], v[21:22]
	v_add_f64 v[12:13], v[12:13], -v[28:29]
	v_add_f64 v[6:7], v[8:9], v[6:7]
	v_add_f64 v[8:9], v[15:16], -v[10:11]
	v_add_f64 v[19:20], v[17:18], v[12:13]
	v_add_f64 v[4:5], v[4:5], v[6:7]
	v_add_f64 v[6:7], v[19:20], -v[12:13]
	v_cmp_le_f64_e32 vcc_lo, 0.5, v[19:20]
	v_add_f64 v[4:5], v[8:9], v[4:5]
	v_add_f64 v[6:7], v[17:18], -v[6:7]
	v_cndmask_b32_e64 v28, 0, 0x3ff00000, vcc_lo
	v_add_co_ci_u32_e64 v8, null, 0, v30, vcc_lo
	v_add_f64 v[4:5], v[4:5], v[6:7]
	v_add_f64 v[6:7], v[19:20], -v[27:28]
	v_add_f64 v[9:10], v[6:7], v[4:5]
	v_mul_f64 v[11:12], v[9:10], s[0:1]
	v_add_f64 v[6:7], v[9:10], -v[6:7]
	v_fma_f64 v[15:16], v[9:10], s[0:1], -v[11:12]
	v_add_f64 v[4:5], v[4:5], -v[6:7]
	v_fma_f64 v[6:7], v[9:10], s[22:23], v[15:16]
	v_fma_f64 v[6:7], v[4:5], s[0:1], v[6:7]
	v_add_f64 v[4:5], v[11:12], v[6:7]
	v_add_f64 v[9:10], v[4:5], -v[11:12]
	v_add_f64 v[6:7], v[6:7], -v[9:10]
.LBB8_295:
	s_andn2_saveexec_b32 s0, s21
	s_cbranch_execz .LBB8_297
; %bb.296:
	s_mov_b32 s22, 0x6dc9c883
	s_mov_b32 s23, 0x3fe45f30
	;; [unrolled: 1-line block ×3, first 2 shown]
	v_mul_f64 v[4:5], |v[0:1]|, s[22:23]
	s_mov_b32 s22, 0x54442d18
	s_mov_b32 s23, 0xbff921fb
	;; [unrolled: 1-line block ×3, first 2 shown]
	v_rndne_f64_e32 v[8:9], v[4:5]
	v_fma_f64 v[4:5], v[8:9], s[22:23], |v[0:1]|
	v_mul_f64 v[6:7], v[8:9], s[24:25]
	s_mov_b32 s22, 0x252049c0
	s_mov_b32 s23, 0xb97b839a
	v_fma_f64 v[12:13], v[8:9], s[24:25], v[4:5]
	v_add_f64 v[10:11], v[4:5], v[6:7]
	s_mov_b32 s25, 0x3c91a626
	v_add_f64 v[4:5], v[4:5], -v[10:11]
	v_add_f64 v[10:11], v[10:11], -v[12:13]
	v_add_f64 v[4:5], v[4:5], v[6:7]
	v_fma_f64 v[6:7], v[8:9], s[24:25], v[6:7]
	v_add_f64 v[4:5], v[10:11], v[4:5]
	v_add_f64 v[4:5], v[4:5], -v[6:7]
	v_fma_f64 v[6:7], v[8:9], s[22:23], v[4:5]
	v_cvt_i32_f64_e32 v8, v[8:9]
	v_add_f64 v[4:5], v[12:13], v[6:7]
	v_add_f64 v[10:11], v[4:5], -v[12:13]
	v_add_f64 v[6:7], v[6:7], -v[10:11]
.LBB8_297:
	s_or_b32 exec_lo, exec_lo, s0
	v_mul_f64 v[9:10], v[4:5], v[4:5]
	v_add_f64 v[11:12], v[6:7], v[6:7]
	s_mov_b32 s22, 0xa9a29f71
	s_mov_b32 s24, 0xc751c08c
	;; [unrolled: 1-line block ×4, first 2 shown]
	v_cmp_class_f64_e64 s0, v[0:1], 0x1f8
	v_and_b32_e32 v8, 1, v8
	v_and_b32_e32 v1, 0x80000000, v1
	v_add_f64 v[2:3], -v[2:3], 1.0
	s_mov_b32 s1, exec_lo
	v_cmp_eq_u32_e32 vcc_lo, 0, v8
	v_fma_f64 v[15:16], v[4:5], v[4:5], -v[9:10]
	v_fma_f64 v[11:12], v[4:5], v[11:12], v[15:16]
	v_add_f64 v[9:10], v[9:10], v[11:12]
	v_fma_f64 v[11:12], v[9:10], s[24:25], s[22:23]
	s_mov_b32 s22, 0x90a8aae0
	s_mov_b32 s23, 0x3f17746f
	v_fma_f64 v[11:12], v[9:10], v[11:12], s[22:23]
	s_mov_b32 s22, 0xa6fbf144
	s_mov_b32 s23, 0xbefbb44d
	;; [unrolled: 3-line block ×13, first 2 shown]
	v_mul_f64 v[9:10], v[9:10], v[11:12]
	v_mul_f64 v[11:12], v[4:5], v[9:10]
	v_add_f64 v[15:16], v[4:5], v[11:12]
	v_fma_f64 v[9:10], v[4:5], v[9:10], -v[11:12]
	v_add_f64 v[4:5], v[15:16], -v[4:5]
	v_add_f64 v[6:7], v[6:7], v[9:10]
	v_add_f64 v[4:5], v[11:12], -v[4:5]
	v_add_f64 v[4:5], v[6:7], v[4:5]
	v_add_f64 v[6:7], v[15:16], v[4:5]
	v_rcp_f64_e32 v[9:10], v[6:7]
	v_fma_f64 v[11:12], -v[6:7], v[9:10], 1.0
	v_fma_f64 v[9:10], v[11:12], v[9:10], v[9:10]
	v_fma_f64 v[11:12], -v[6:7], v[9:10], 1.0
	v_fma_f64 v[9:10], v[11:12], v[9:10], v[9:10]
	v_add_f64 v[11:12], v[6:7], -v[15:16]
	v_mul_f64 v[15:16], v[6:7], v[9:10]
	v_add_f64 v[4:5], v[4:5], -v[11:12]
	v_fma_f64 v[11:12], v[9:10], v[6:7], -v[15:16]
	v_fma_f64 v[4:5], v[9:10], v[4:5], v[11:12]
	v_add_f64 v[11:12], v[15:16], v[4:5]
	v_add_f64 v[17:18], -v[11:12], 1.0
	v_add_f64 v[15:16], v[11:12], -v[15:16]
	v_add_f64 v[19:20], -v[17:18], 1.0
	v_add_f64 v[4:5], v[15:16], -v[4:5]
	v_add_f64 v[11:12], v[19:20], -v[11:12]
	v_add_f64 v[4:5], v[4:5], v[11:12]
	v_add_f64 v[4:5], v[17:18], v[4:5]
	v_mul_f64 v[4:5], v[9:10], v[4:5]
	v_add_f64 v[4:5], v[9:10], v[4:5]
	v_xor_b32_e32 v0, 0x80000000, v5
	v_cndmask_b32_e32 v4, v4, v6, vcc_lo
	v_cndmask_b32_e32 v0, v0, v7, vcc_lo
	v_xor_b32_e32 v1, v0, v1
	v_cndmask_b32_e64 v0, 0, v4, s0
	v_cndmask_b32_e64 v1, 0x7ff80000, v1, s0
	v_div_scale_f64 v[4:5], null, v[0:1], v[0:1], s[22:23]
	v_div_scale_f64 v[10:11], vcc_lo, s[22:23], v[0:1], s[22:23]
	v_rcp_f64_e32 v[6:7], v[4:5]
	v_fma_f64 v[8:9], -v[4:5], v[6:7], 1.0
	v_fma_f64 v[6:7], v[6:7], v[8:9], v[6:7]
	v_fma_f64 v[8:9], -v[4:5], v[6:7], 1.0
	v_fma_f64 v[6:7], v[6:7], v[8:9], v[6:7]
	v_mul_f64 v[8:9], v[10:11], v[6:7]
	v_fma_f64 v[4:5], -v[4:5], v[8:9], v[10:11]
	v_div_fmas_f64 v[4:5], v[4:5], v[6:7], v[8:9]
	v_div_fixup_f64 v[4:5], v[4:5], v[0:1], s[22:23]
.LBB8_298:
	s_or_b32 exec_lo, exec_lo, s20
	s_orn2_b32 s1, s1, exec_lo
.LBB8_299:
	s_or_b32 exec_lo, exec_lo, s19
	v_mov_b32_e32 v0, 0
	v_mov_b32_e32 v1, 0x7ff80000
	s_and_saveexec_b32 s0, s1
	s_cbranch_execz .LBB8_311
; %bb.300:
	s_mov_b32 s1, exec_lo
	v_cmpx_gt_f64_e32 0x40240000, v[2:3]
	s_cbranch_execz .LBB8_304
; %bb.301:
	s_mov_b32 s19, 0
	.p2align	6
.LBB8_302:                              ; =>This Inner Loop Header: Depth=1
	v_div_scale_f64 v[0:1], null, v[2:3], v[2:3], 1.0
	v_div_scale_f64 v[10:11], vcc_lo, 1.0, v[2:3], 1.0
	v_rcp_f64_e32 v[6:7], v[0:1]
	v_fma_f64 v[8:9], -v[0:1], v[6:7], 1.0
	v_fma_f64 v[6:7], v[6:7], v[8:9], v[6:7]
	v_fma_f64 v[8:9], -v[0:1], v[6:7], 1.0
	v_fma_f64 v[6:7], v[6:7], v[8:9], v[6:7]
	v_mul_f64 v[8:9], v[10:11], v[6:7]
	v_fma_f64 v[0:1], -v[0:1], v[8:9], v[10:11]
	v_div_fmas_f64 v[0:1], v[0:1], v[6:7], v[8:9]
	v_div_fixup_f64 v[0:1], v[0:1], v[2:3], 1.0
	v_add_f64 v[2:3], v[2:3], 1.0
	v_add_f64 v[4:5], v[4:5], -v[0:1]
	v_cmp_ngt_f64_e32 vcc_lo, 0x40240000, v[2:3]
	s_or_b32 s19, vcc_lo, s19
	s_andn2_b32 exec_lo, exec_lo, s19
	s_cbranch_execnz .LBB8_302
; %bb.303:
	s_or_b32 exec_lo, exec_lo, s19
.LBB8_304:
	s_or_b32 exec_lo, exec_lo, s1
	s_mov_b32 s1, exec_lo
                                        ; implicit-def: $vgpr0_vgpr1
	v_cmpx_neq_f64_e32 0x40240000, v[2:3]
	s_xor_b32 s1, exec_lo, s1
	s_cbranch_execz .LBB8_308
; %bb.305:
	v_mov_b32_e32 v0, 0
	v_mov_b32_e32 v1, 0
	s_mov_b32 s20, 0x85d8a000
	s_mov_b32 s21, 0x43763457
	s_mov_b32 s19, exec_lo
	v_cmpx_gt_f64_e32 s[20:21], v[2:3]
	s_cbranch_execz .LBB8_307
; %bb.306:
	v_mul_f64 v[0:1], v[2:3], v[2:3]
	s_mov_b32 s20, 0x55555555
	s_mov_b32 s21, 0x3fb55555
	;; [unrolled: 1-line block ×6, first 2 shown]
	v_div_scale_f64 v[6:7], null, v[0:1], v[0:1], 1.0
	v_rcp_f64_e32 v[8:9], v[6:7]
	v_fma_f64 v[10:11], -v[6:7], v[8:9], 1.0
	v_fma_f64 v[8:9], v[8:9], v[10:11], v[8:9]
	v_fma_f64 v[10:11], -v[6:7], v[8:9], 1.0
	v_fma_f64 v[8:9], v[8:9], v[10:11], v[8:9]
	v_div_scale_f64 v[10:11], vcc_lo, 1.0, v[0:1], 1.0
	v_mul_f64 v[12:13], v[10:11], v[8:9]
	v_fma_f64 v[6:7], -v[6:7], v[12:13], v[10:11]
	v_div_fmas_f64 v[6:7], v[6:7], v[8:9], v[12:13]
	v_div_fixup_f64 v[0:1], v[6:7], v[0:1], 1.0
	v_fma_f64 v[6:7], v[0:1], 0, s[20:21]
	v_fma_f64 v[6:7], v[0:1], v[6:7], s[22:23]
	s_mov_b32 s22, 0xf07c1f08
	s_mov_b32 s23, 0x3f7f07c1
	v_fma_f64 v[6:7], v[0:1], v[6:7], s[22:23]
	s_mov_b32 s23, 0xbf711111
	s_mov_b32 s22, 0x11111111
	v_fma_f64 v[6:7], v[0:1], v[6:7], s[22:23]
	s_mov_b32 s23, 0xbf811111
	v_fma_f64 v[6:7], v[0:1], v[6:7], s[24:25]
	v_fma_f64 v[6:7], v[0:1], v[6:7], s[22:23]
	;; [unrolled: 1-line block ×3, first 2 shown]
	v_mul_f64 v[0:1], v[0:1], v[6:7]
.LBB8_307:
	s_or_b32 exec_lo, exec_lo, s19
	v_frexp_mant_f64_e32 v[6:7], v[2:3]
	s_mov_b32 s21, 0x3fe55555
	s_mov_b32 s20, 0x55555555
	;; [unrolled: 1-line block ×6, first 2 shown]
	v_div_scale_f64 v[23:24], null, v[2:3], v[2:3], -0.5
	v_cmp_gt_f64_e32 vcc_lo, s[20:21], v[6:7]
	s_mov_b32 s20, 0x55555780
	v_rcp_f64_e32 v[27:28], v[23:24]
	v_cndmask_b32_e64 v8, 0, 1, vcc_lo
	v_ldexp_f64 v[6:7], v[6:7], v8
	v_add_f64 v[8:9], v[6:7], 1.0
	v_add_f64 v[15:16], v[6:7], -1.0
	v_rcp_f64_e32 v[10:11], v[8:9]
	v_add_f64 v[17:18], v[8:9], -1.0
	v_add_f64 v[6:7], v[6:7], -v[17:18]
	v_fma_f64 v[12:13], -v[8:9], v[10:11], 1.0
	v_fma_f64 v[10:11], v[12:13], v[10:11], v[10:11]
	v_fma_f64 v[12:13], -v[8:9], v[10:11], 1.0
	v_fma_f64 v[10:11], v[12:13], v[10:11], v[10:11]
	v_mul_f64 v[12:13], v[15:16], v[10:11]
	v_mul_f64 v[19:20], v[8:9], v[12:13]
	v_fma_f64 v[8:9], v[12:13], v[8:9], -v[19:20]
	v_fma_f64 v[6:7], v[12:13], v[6:7], v[8:9]
	v_add_f64 v[8:9], v[19:20], v[6:7]
	v_add_f64 v[17:18], v[15:16], -v[8:9]
	v_add_f64 v[19:20], v[8:9], -v[19:20]
	;; [unrolled: 1-line block ×4, first 2 shown]
	v_frexp_exp_i32_f64_e32 v19, v[2:3]
	v_add_f64 v[8:9], v[15:16], -v[8:9]
	v_add_f64 v[6:7], v[6:7], v[8:9]
	v_add_f64 v[6:7], v[17:18], v[6:7]
	v_mul_f64 v[6:7], v[10:11], v[6:7]
	v_add_f64 v[8:9], v[12:13], v[6:7]
	v_mul_f64 v[10:11], v[8:9], v[8:9]
	v_fma_f64 v[15:16], v[10:11], s[24:25], s[22:23]
	s_mov_b32 s22, 0xd7f4df2e
	s_mov_b32 s23, 0x3fc7474d
	v_mul_f64 v[17:18], v[8:9], v[10:11]
	v_fma_f64 v[15:16], v[10:11], v[15:16], s[22:23]
	s_mov_b32 s22, 0x16291751
	s_mov_b32 s23, 0x3fcc71c0
	v_fma_f64 v[15:16], v[10:11], v[15:16], s[22:23]
	s_mov_b32 s22, 0x9b27acf1
	s_mov_b32 s23, 0x3fd24924
	;; [unrolled: 3-line block ×3, first 2 shown]
	v_fma_f64 v[15:16], v[10:11], v[15:16], s[22:23]
	v_fma_f64 v[10:11], v[10:11], v[15:16], s[20:21]
	v_ldexp_f64 v[15:16], v[8:9], 1
	v_add_f64 v[8:9], v[8:9], -v[12:13]
	s_mov_b32 s20, 0xfefa39ef
	s_mov_b32 s21, 0x3fe62e42
	v_mul_f64 v[10:11], v[17:18], v[10:11]
	v_subrev_co_ci_u32_e64 v17, null, 0, v19, vcc_lo
	v_add_f64 v[6:7], v[6:7], -v[8:9]
	v_cvt_f64_i32_e32 v[17:18], v17
	v_add_f64 v[12:13], v[15:16], v[10:11]
	v_ldexp_f64 v[6:7], v[6:7], 1
	v_mul_f64 v[19:20], v[17:18], s[20:21]
	v_add_f64 v[8:9], v[12:13], -v[15:16]
	v_fma_f64 v[15:16], v[17:18], s[20:21], -v[19:20]
	s_mov_b32 s20, 0x3b39803f
	s_mov_b32 s21, 0x3c7abc9e
	v_add_f64 v[8:9], v[10:11], -v[8:9]
	v_fma_f64 v[10:11], v[17:18], s[20:21], v[15:16]
	v_add_f64 v[6:7], v[6:7], v[8:9]
	v_add_f64 v[8:9], v[19:20], v[10:11]
	;; [unrolled: 1-line block ×3, first 2 shown]
	v_add_f64 v[19:20], v[8:9], -v[19:20]
	v_add_f64 v[17:18], v[8:9], v[15:16]
	v_add_f64 v[12:13], v[15:16], -v[12:13]
	v_add_f64 v[10:11], v[10:11], -v[19:20]
	;; [unrolled: 1-line block ×6, first 2 shown]
	v_fma_f64 v[15:16], -v[23:24], v[27:28], 1.0
	v_add_f64 v[19:20], v[10:11], v[6:7]
	v_add_f64 v[8:9], v[8:9], -v[25:26]
	v_add_f64 v[8:9], v[12:13], v[8:9]
	v_fma_f64 v[12:13], v[27:28], v[15:16], v[27:28]
	v_add_f64 v[15:16], v[19:20], -v[10:11]
	v_div_scale_f64 v[27:28], vcc_lo, -0.5, v[2:3], -0.5
	v_add_f64 v[8:9], v[19:20], v[8:9]
	v_fma_f64 v[21:22], -v[23:24], v[12:13], 1.0
	v_add_f64 v[19:20], v[19:20], -v[15:16]
	v_add_f64 v[6:7], v[6:7], -v[15:16]
	v_add_f64 v[25:26], v[17:18], v[8:9]
	v_fma_f64 v[12:13], v[12:13], v[21:22], v[12:13]
	v_add_f64 v[10:11], v[10:11], -v[19:20]
	v_add_f64 v[15:16], v[25:26], -v[17:18]
	v_mul_f64 v[17:18], v[27:28], v[12:13]
	v_add_f64 v[6:7], v[6:7], v[10:11]
	v_add_f64 v[8:9], v[8:9], -v[15:16]
	v_fma_f64 v[10:11], -v[23:24], v[17:18], v[27:28]
	v_add_f64 v[6:7], v[6:7], v[8:9]
	v_div_fmas_f64 v[8:9], v[10:11], v[12:13], v[17:18]
	v_cmp_class_f64_e64 vcc_lo, v[2:3], 0x204
	v_add_f64 v[6:7], v[25:26], v[6:7]
	v_div_fixup_f64 v[8:9], v[8:9], v[2:3], -0.5
	v_cndmask_b32_e32 v3, v7, v3, vcc_lo
	v_cndmask_b32_e32 v2, v6, v2, vcc_lo
	v_add_f64 v[2:3], v[2:3], v[8:9]
	v_add_f64 v[0:1], v[2:3], -v[0:1]
	v_add_f64 v[0:1], v[4:5], v[0:1]
                                        ; implicit-def: $vgpr4_vgpr5
.LBB8_308:
	s_andn2_saveexec_b32 s1, s1
; %bb.309:
	s_mov_b32 s20, 0xdc85cc95
	s_mov_b32 s21, 0x40020396
	v_add_f64 v[0:1], v[4:5], s[20:21]
; %bb.310:
	s_or_b32 exec_lo, exec_lo, s1
.LBB8_311:
	s_or_b32 exec_lo, exec_lo, s0
                                        ; implicit-def: $vgpr2_vgpr3
.LBB8_312:
	s_andn2_saveexec_b32 s0, s17
; %bb.313:
	v_xor_b32_e32 v0, 0x80000000, v3
	s_mov_b32 s1, 0x7ff00000
	v_bfi_b32 v1, 0x7fffffff, s1, v0
	v_mov_b32_e32 v0, 0
; %bb.314:
	s_or_b32 exec_lo, exec_lo, s0
	v_mul_lo_u32 v2, v14, s2
	s_and_b32 s1, s4, 0xff
	s_cmp_lt_i32 s1, 11
	v_ashrrev_i32_e32 v3, 31, v2
	v_add_co_u32 v4, vcc_lo, s8, v2
	v_add_co_ci_u32_e64 v5, null, s9, v3, vcc_lo
	s_cbranch_scc1 .LBB8_322
; %bb.315:
	s_and_b32 s17, 0xffff, s1
	s_cmp_gt_i32 s17, 25
	s_cbranch_scc0 .LBB8_324
; %bb.316:
	s_cmp_gt_i32 s17, 28
	s_cbranch_scc0 .LBB8_326
; %bb.317:
	;; [unrolled: 3-line block ×4, first 2 shown]
	s_mov_b32 s20, 0
	s_mov_b32 s0, -1
	s_cmp_eq_u32 s17, 46
	s_mov_b32 s19, 0
	s_cbranch_scc0 .LBB8_339
; %bb.320:
	v_cvt_f32_f64_e32 v2, v[0:1]
	s_mov_b32 s19, -1
	s_mov_b32 s0, 0
	v_bfe_u32 v3, v2, 16, 1
	v_cmp_o_f32_e32 vcc_lo, v2, v2
	v_add3_u32 v2, v2, v3, 0x7fff
	v_mov_b32_e32 v3, 0x7fc0
	v_cndmask_b32_sdwa v2, v3, v2, vcc_lo dst_sel:DWORD dst_unused:UNUSED_PAD src0_sel:DWORD src1_sel:WORD_1
	global_store_dword v[4:5], v2, off
	s_branch .LBB8_339
.LBB8_321:
	s_mov_b32 s17, -1
	s_mov_b32 s1, 0
	s_mov_b32 s16, s14
                                        ; implicit-def: $vgpr2_vgpr3
	s_branch .LBB8_478
.LBB8_322:
	s_mov_b32 s17, -1
	s_mov_b32 s19, 0
	s_mov_b32 s0, s12
	s_branch .LBB8_408
.LBB8_323:
	s_mov_b32 s17, -1
	s_mov_b32 s1, 0
	s_mov_b32 s16, s14
                                        ; implicit-def: $vgpr2_vgpr3
	s_branch .LBB8_457
.LBB8_324:
	s_mov_b32 s20, -1
	s_mov_b32 s19, 0
	s_mov_b32 s0, s12
	s_branch .LBB8_366
.LBB8_325:
	s_mov_b32 s17, -1
	s_mov_b32 s1, 0
	s_mov_b32 s16, s14
                                        ; implicit-def: $vgpr2_vgpr3
	s_branch .LBB8_452
.LBB8_326:
	s_mov_b32 s20, -1
	s_mov_b32 s19, 0
	s_mov_b32 s0, s12
	s_branch .LBB8_349
.LBB8_327:
	s_andn2_saveexec_b32 s19, s19
	s_cbranch_execz .LBB8_78
.LBB8_328:
	v_add_f32_e64 v3, 0x46000000, |v2|
	s_andn2_b32 s18, s18, exec_lo
	v_and_b32_e32 v3, 0xff, v3
	v_cmp_ne_u32_e32 vcc_lo, 0, v3
	s_and_b32 s20, vcc_lo, exec_lo
	s_or_b32 s18, s18, s20
	s_or_b32 exec_lo, exec_lo, s19
	v_mov_b32_e32 v6, 0
	s_and_saveexec_b32 s19, s18
	s_cbranch_execnz .LBB8_79
	s_branch .LBB8_80
.LBB8_329:
	s_mov_b32 s17, -1
	s_mov_b32 s1, 0
	s_mov_b32 s16, s14
	s_branch .LBB8_334
.LBB8_330:
	s_mov_b32 s20, -1
	s_mov_b32 s19, 0
	s_mov_b32 s0, s12
	s_branch .LBB8_345
.LBB8_331:
	s_andn2_saveexec_b32 s19, s19
	s_cbranch_execz .LBB8_91
.LBB8_332:
	v_add_f32_e64 v3, 0x42800000, |v2|
	s_andn2_b32 s18, s18, exec_lo
	v_and_b32_e32 v3, 0xff, v3
	v_cmp_ne_u32_e32 vcc_lo, 0, v3
	s_and_b32 s20, vcc_lo, exec_lo
	s_or_b32 s18, s18, s20
	s_or_b32 exec_lo, exec_lo, s19
	v_mov_b32_e32 v6, 0
	s_and_saveexec_b32 s19, s18
	s_cbranch_execnz .LBB8_92
	s_branch .LBB8_93
.LBB8_333:
	s_mov_b32 s16, -1
	s_mov_b32 s1, 0
.LBB8_334:
                                        ; implicit-def: $vgpr2_vgpr3
.LBB8_335:
	s_and_b32 vcc_lo, exec_lo, s17
	s_cbranch_vccz .LBB8_451
; %bb.336:
	s_cmp_eq_u32 s0, 44
	s_cbranch_scc0 .LBB8_450
; %bb.337:
	global_load_ubyte v4, v[0:1], off
	s_mov_b32 s16, 0
	s_mov_b32 s1, -1
	s_waitcnt vmcnt(0)
	v_lshlrev_b32_e32 v2, 23, v4
	v_cmp_ne_u32_e32 vcc_lo, 0xff, v4
	v_cvt_f64_f32_e32 v[2:3], v2
	v_cndmask_b32_e32 v2, 0x20000000, v2, vcc_lo
	v_cndmask_b32_e32 v3, 0x7ff80000, v3, vcc_lo
	v_cmp_ne_u32_e32 vcc_lo, 0, v4
	v_cndmask_b32_e32 v3, 0x38000000, v3, vcc_lo
	v_cndmask_b32_e32 v2, 0, v2, vcc_lo
	s_branch .LBB8_451
.LBB8_338:
	s_mov_b32 s20, -1
	s_mov_b32 s19, 0
	s_mov_b32 s0, s12
.LBB8_339:
	s_and_b32 vcc_lo, exec_lo, s20
	s_cbranch_vccz .LBB8_344
; %bb.340:
	s_cmp_eq_u32 s17, 44
	s_mov_b32 s0, -1
	s_cbranch_scc0 .LBB8_344
; %bb.341:
	v_cvt_f32_f64_e32 v2, v[0:1]
	v_mov_b32_e32 v3, 0xff
	s_mov_b32 s19, exec_lo
	v_bfe_u32 v6, v2, 23, 8
	v_cmpx_ne_u32_e32 0xff, v6
	s_cbranch_execz .LBB8_343
; %bb.342:
	v_and_b32_e32 v3, 0x400000, v2
	v_and_or_b32 v6, 0x3fffff, v2, v6
	v_lshrrev_b32_e32 v2, 23, v2
	v_cmp_ne_u32_e32 vcc_lo, 0, v3
	v_cmp_ne_u32_e64 s0, 0, v6
	s_and_b32 s0, vcc_lo, s0
	v_cndmask_b32_e64 v3, 0, 1, s0
	v_add_nc_u32_e32 v3, v2, v3
.LBB8_343:
	s_or_b32 exec_lo, exec_lo, s19
	s_mov_b32 s19, -1
	s_mov_b32 s0, 0
	global_store_byte v[4:5], v3, off
.LBB8_344:
	s_mov_b32 s20, 0
.LBB8_345:
	s_and_b32 vcc_lo, exec_lo, s20
	s_cbranch_vccz .LBB8_348
; %bb.346:
	s_cmp_eq_u32 s17, 29
	s_mov_b32 s0, -1
	s_cbranch_scc0 .LBB8_348
; %bb.347:
	v_trunc_f64_e32 v[2:3], v[0:1]
	s_mov_b32 s19, -1
	s_mov_b32 s0, 0
	s_mov_b32 s20, 0
	v_ldexp_f64 v[6:7], v[2:3], 0xffffffe0
	v_floor_f64_e32 v[6:7], v[6:7]
	v_fma_f64 v[2:3], 0xc1f00000, v[6:7], v[2:3]
	v_cvt_u32_f64_e32 v7, v[6:7]
	v_cvt_u32_f64_e32 v6, v[2:3]
	global_store_dwordx2 v[4:5], v[6:7], off
	s_branch .LBB8_349
.LBB8_348:
	s_mov_b32 s20, 0
.LBB8_349:
	s_and_b32 vcc_lo, exec_lo, s20
	s_cbranch_vccz .LBB8_365
; %bb.350:
	s_cmp_lt_i32 s17, 27
	s_mov_b32 s19, -1
	s_cbranch_scc1 .LBB8_356
; %bb.351:
	v_cvt_u32_f64_e32 v2, v[0:1]
	s_cmp_gt_i32 s17, 27
	s_cbranch_scc0 .LBB8_353
; %bb.352:
	s_mov_b32 s19, 0
	global_store_dword v[4:5], v2, off
.LBB8_353:
	s_andn2_b32 vcc_lo, exec_lo, s19
	s_cbranch_vccnz .LBB8_355
; %bb.354:
	global_store_short v[4:5], v2, off
.LBB8_355:
	s_mov_b32 s19, 0
.LBB8_356:
	s_andn2_b32 vcc_lo, exec_lo, s19
	s_cbranch_vccnz .LBB8_364
; %bb.357:
	v_cvt_f32_f64_e32 v2, v[0:1]
	v_mov_b32_e32 v6, 0x80
	s_mov_b32 s19, exec_lo
	v_and_b32_e32 v3, 0x7fffffff, v2
	v_cmpx_gt_u32_e32 0x43800000, v3
	s_cbranch_execz .LBB8_363
; %bb.358:
	v_cmp_lt_u32_e32 vcc_lo, 0x3bffffff, v3
	s_mov_b32 s20, 0
                                        ; implicit-def: $vgpr3
	s_and_saveexec_b32 s21, vcc_lo
	s_xor_b32 s21, exec_lo, s21
	s_cbranch_execz .LBB8_576
; %bb.359:
	v_bfe_u32 v3, v2, 20, 1
	s_mov_b32 s20, exec_lo
	v_add3_u32 v3, v2, v3, 0x487ffff
	v_lshrrev_b32_e32 v3, 20, v3
	s_andn2_saveexec_b32 s21, s21
	s_cbranch_execnz .LBB8_577
.LBB8_360:
	s_or_b32 exec_lo, exec_lo, s21
	v_mov_b32_e32 v6, 0
	s_and_saveexec_b32 s21, s20
.LBB8_361:
	v_lshrrev_b32_e32 v2, 24, v2
	v_and_or_b32 v6, 0x80, v2, v3
.LBB8_362:
	s_or_b32 exec_lo, exec_lo, s21
.LBB8_363:
	s_or_b32 exec_lo, exec_lo, s19
	global_store_byte v[4:5], v6, off
.LBB8_364:
	s_mov_b32 s19, -1
.LBB8_365:
	s_mov_b32 s20, 0
.LBB8_366:
	s_and_b32 vcc_lo, exec_lo, s20
	s_cbranch_vccz .LBB8_407
; %bb.367:
	s_cmp_gt_i32 s17, 22
	s_mov_b32 s20, -1
	s_cbranch_scc0 .LBB8_399
; %bb.368:
	s_cmp_lt_i32 s17, 24
	s_mov_b32 s19, -1
	s_cbranch_scc1 .LBB8_388
; %bb.369:
	s_cmp_gt_i32 s17, 24
	s_cbranch_scc0 .LBB8_377
; %bb.370:
	v_cvt_f32_f64_e32 v2, v[0:1]
	v_mov_b32_e32 v6, 0x80
	s_mov_b32 s19, exec_lo
	v_and_b32_e32 v3, 0x7fffffff, v2
	v_cmpx_gt_u32_e32 0x47800000, v3
	s_cbranch_execz .LBB8_376
; %bb.371:
	v_cmp_lt_u32_e32 vcc_lo, 0x37ffffff, v3
	s_mov_b32 s20, 0
                                        ; implicit-def: $vgpr3
	s_and_saveexec_b32 s21, vcc_lo
	s_xor_b32 s21, exec_lo, s21
	s_cbranch_execz .LBB8_579
; %bb.372:
	v_bfe_u32 v3, v2, 21, 1
	s_mov_b32 s20, exec_lo
	v_add3_u32 v3, v2, v3, 0x88fffff
	v_lshrrev_b32_e32 v3, 21, v3
	s_andn2_saveexec_b32 s21, s21
	s_cbranch_execnz .LBB8_580
.LBB8_373:
	s_or_b32 exec_lo, exec_lo, s21
	v_mov_b32_e32 v6, 0
	s_and_saveexec_b32 s21, s20
.LBB8_374:
	v_lshrrev_b32_e32 v2, 24, v2
	v_and_or_b32 v6, 0x80, v2, v3
.LBB8_375:
	s_or_b32 exec_lo, exec_lo, s21
.LBB8_376:
	s_or_b32 exec_lo, exec_lo, s19
	s_mov_b32 s19, 0
	global_store_byte v[4:5], v6, off
.LBB8_377:
	s_and_b32 vcc_lo, exec_lo, s19
	s_cbranch_vccz .LBB8_387
; %bb.378:
	v_cvt_f32_f64_e32 v2, v[0:1]
	s_mov_b32 s19, exec_lo
                                        ; implicit-def: $vgpr3
	v_and_b32_e32 v6, 0x7fffffff, v2
	v_cmpx_gt_u32_e32 0x43f00000, v6
	s_xor_b32 s19, exec_lo, s19
	s_cbranch_execz .LBB8_384
; %bb.379:
	s_mov_b32 s20, exec_lo
                                        ; implicit-def: $vgpr3
	v_cmpx_lt_u32_e32 0x3c7fffff, v6
	s_xor_b32 s20, exec_lo, s20
; %bb.380:
	v_bfe_u32 v3, v2, 20, 1
	v_add3_u32 v3, v2, v3, 0x407ffff
	v_and_b32_e32 v6, 0xff00000, v3
	v_lshrrev_b32_e32 v3, 20, v3
	v_cmp_ne_u32_e32 vcc_lo, 0x7f00000, v6
	v_cndmask_b32_e32 v3, 0x7e, v3, vcc_lo
; %bb.381:
	s_andn2_saveexec_b32 s20, s20
; %bb.382:
	v_add_f32_e64 v3, 0x46800000, |v2|
; %bb.383:
	s_or_b32 exec_lo, exec_lo, s20
                                        ; implicit-def: $vgpr6
.LBB8_384:
	s_andn2_saveexec_b32 s19, s19
; %bb.385:
	v_mov_b32_e32 v3, 0x7f
	v_cmp_lt_u32_e32 vcc_lo, 0x7f800000, v6
	v_cndmask_b32_e32 v3, 0x7e, v3, vcc_lo
; %bb.386:
	s_or_b32 exec_lo, exec_lo, s19
	v_lshrrev_b32_e32 v2, 24, v2
	v_and_or_b32 v2, 0x80, v2, v3
	global_store_byte v[4:5], v2, off
.LBB8_387:
	s_mov_b32 s19, 0
.LBB8_388:
	s_andn2_b32 vcc_lo, exec_lo, s19
	s_cbranch_vccnz .LBB8_398
; %bb.389:
	v_cvt_f32_f64_e32 v2, v[0:1]
	s_mov_b32 s19, exec_lo
                                        ; implicit-def: $vgpr3
	v_and_b32_e32 v6, 0x7fffffff, v2
	v_cmpx_gt_u32_e32 0x47800000, v6
	s_xor_b32 s19, exec_lo, s19
	s_cbranch_execz .LBB8_395
; %bb.390:
	s_mov_b32 s20, exec_lo
                                        ; implicit-def: $vgpr3
	v_cmpx_lt_u32_e32 0x387fffff, v6
	s_xor_b32 s20, exec_lo, s20
; %bb.391:
	v_bfe_u32 v3, v2, 21, 1
	v_add3_u32 v3, v2, v3, 0x80fffff
	v_lshrrev_b32_e32 v3, 21, v3
; %bb.392:
	s_andn2_saveexec_b32 s20, s20
; %bb.393:
	v_add_f32_e64 v3, 0x43000000, |v2|
; %bb.394:
	s_or_b32 exec_lo, exec_lo, s20
                                        ; implicit-def: $vgpr6
.LBB8_395:
	s_andn2_saveexec_b32 s19, s19
; %bb.396:
	v_mov_b32_e32 v3, 0x7f
	v_cmp_lt_u32_e32 vcc_lo, 0x7f800000, v6
	v_cndmask_b32_e32 v3, 0x7c, v3, vcc_lo
; %bb.397:
	s_or_b32 exec_lo, exec_lo, s19
	v_lshrrev_b32_e32 v2, 24, v2
	v_and_or_b32 v2, 0x80, v2, v3
	global_store_byte v[4:5], v2, off
.LBB8_398:
	s_mov_b32 s20, 0
	s_mov_b32 s19, -1
.LBB8_399:
	s_andn2_b32 vcc_lo, exec_lo, s20
	s_cbranch_vccnz .LBB8_407
; %bb.400:
	s_cmp_gt_i32 s17, 14
	s_mov_b32 s20, -1
	s_cbranch_scc0 .LBB8_404
; %bb.401:
	s_cmp_eq_u32 s17, 15
	s_mov_b32 s0, -1
	s_cbranch_scc0 .LBB8_403
; %bb.402:
	v_cvt_f32_f64_e32 v2, v[0:1]
	s_mov_b32 s19, -1
	s_mov_b32 s0, 0
	v_bfe_u32 v3, v2, 16, 1
	v_cmp_o_f32_e32 vcc_lo, v2, v2
	v_add3_u32 v2, v2, v3, 0x7fff
	v_mov_b32_e32 v3, 0x7fc0
	v_cndmask_b32_sdwa v2, v3, v2, vcc_lo dst_sel:DWORD dst_unused:UNUSED_PAD src0_sel:DWORD src1_sel:WORD_1
	global_store_short v[4:5], v2, off
.LBB8_403:
	s_mov_b32 s20, 0
.LBB8_404:
	s_and_b32 vcc_lo, exec_lo, s20
	s_cbranch_vccz .LBB8_407
; %bb.405:
	s_cmp_eq_u32 s17, 11
	s_mov_b32 s0, -1
	s_cbranch_scc0 .LBB8_407
; %bb.406:
	v_cmp_neq_f64_e32 vcc_lo, 0, v[0:1]
	s_mov_b32 s19, -1
	s_mov_b32 s0, 0
	v_cndmask_b32_e64 v2, 0, 1, vcc_lo
	global_store_byte v[4:5], v2, off
.LBB8_407:
	s_mov_b32 s17, 0
.LBB8_408:
	s_and_b32 vcc_lo, exec_lo, s17
	s_cbranch_vccz .LBB8_447
; %bb.409:
	s_and_b32 s1, 0xffff, s1
	s_mov_b32 s17, -1
	s_cmp_lt_i32 s1, 5
	s_cbranch_scc1 .LBB8_430
; %bb.410:
	s_cmp_lt_i32 s1, 8
	s_cbranch_scc1 .LBB8_420
; %bb.411:
	;; [unrolled: 3-line block ×3, first 2 shown]
	s_cmp_gt_i32 s1, 9
	s_cbranch_scc0 .LBB8_414
; %bb.413:
	v_mov_b32_e32 v2, 0
	s_mov_b32 s17, 0
	v_mov_b32_e32 v3, v2
	global_store_dwordx4 v[4:5], v[0:3], off
.LBB8_414:
	s_andn2_b32 vcc_lo, exec_lo, s17
	s_cbranch_vccnz .LBB8_416
; %bb.415:
	v_cvt_f32_f64_e32 v2, v[0:1]
	v_mov_b32_e32 v3, 0
	global_store_dwordx2 v[4:5], v[2:3], off
.LBB8_416:
	s_mov_b32 s17, 0
.LBB8_417:
	s_andn2_b32 vcc_lo, exec_lo, s17
	s_cbranch_vccnz .LBB8_419
; %bb.418:
	v_and_or_b32 v2, 0x1ff, v1, v0
	v_lshrrev_b32_e32 v3, 8, v1
	v_bfe_u32 v6, v1, 20, 11
	v_cmp_ne_u32_e32 vcc_lo, 0, v2
	v_sub_nc_u32_e32 v7, 0x3f1, v6
	v_add_nc_u32_e32 v6, 0xfffffc10, v6
	v_cndmask_b32_e64 v2, 0, 1, vcc_lo
	v_and_or_b32 v2, 0xffe, v3, v2
	v_med3_i32 v3, v7, 0, 13
	v_or_b32_e32 v7, 0x1000, v2
	v_lshrrev_b32_e32 v8, v3, v7
	v_lshlrev_b32_e32 v3, v3, v8
	v_cmp_ne_u32_e32 vcc_lo, v3, v7
	v_lshl_or_b32 v7, v6, 12, v2
	v_cndmask_b32_e64 v3, 0, 1, vcc_lo
	v_cmp_gt_i32_e32 vcc_lo, 1, v6
	v_or_b32_e32 v3, v8, v3
	v_cndmask_b32_e32 v3, v7, v3, vcc_lo
	v_and_b32_e32 v7, 7, v3
	v_lshrrev_b32_e32 v3, 2, v3
	v_cmp_lt_i32_e32 vcc_lo, 5, v7
	v_cndmask_b32_e64 v8, 0, 1, vcc_lo
	v_cmp_eq_u32_e32 vcc_lo, 3, v7
	v_cndmask_b32_e64 v7, 0, 1, vcc_lo
	v_cmp_ne_u32_e32 vcc_lo, 0, v2
	v_or_b32_e32 v7, v7, v8
	v_mov_b32_e32 v8, 0x7e00
	v_add_nc_u32_e32 v3, v3, v7
	v_cndmask_b32_e32 v2, 0x7c00, v8, vcc_lo
	v_cmp_gt_i32_e32 vcc_lo, 31, v6
	v_cndmask_b32_e32 v3, 0x7c00, v3, vcc_lo
	v_cmp_eq_u32_e32 vcc_lo, 0x40f, v6
	v_cndmask_b32_e32 v2, v3, v2, vcc_lo
	v_lshrrev_b32_e32 v3, 16, v1
	v_and_or_b32 v2, 0x8000, v3, v2
	v_and_b32_e32 v2, 0xffff, v2
	global_store_dword v[4:5], v2, off
.LBB8_419:
	s_mov_b32 s17, 0
.LBB8_420:
	s_andn2_b32 vcc_lo, exec_lo, s17
	s_cbranch_vccnz .LBB8_429
; %bb.421:
	s_cmp_lt_i32 s1, 6
	s_mov_b32 s17, -1
	s_cbranch_scc1 .LBB8_427
; %bb.422:
	s_cmp_gt_i32 s1, 6
	s_cbranch_scc0 .LBB8_424
; %bb.423:
	s_mov_b32 s17, 0
	global_store_dwordx2 v[4:5], v[0:1], off
.LBB8_424:
	s_andn2_b32 vcc_lo, exec_lo, s17
	s_cbranch_vccnz .LBB8_426
; %bb.425:
	v_cvt_f32_f64_e32 v2, v[0:1]
	global_store_dword v[4:5], v2, off
.LBB8_426:
	s_mov_b32 s17, 0
.LBB8_427:
	s_andn2_b32 vcc_lo, exec_lo, s17
	s_cbranch_vccnz .LBB8_429
; %bb.428:
	v_and_or_b32 v2, 0x1ff, v1, v0
	v_lshrrev_b32_e32 v3, 8, v1
	v_bfe_u32 v6, v1, 20, 11
	v_cmp_ne_u32_e32 vcc_lo, 0, v2
	v_sub_nc_u32_e32 v7, 0x3f1, v6
	v_add_nc_u32_e32 v6, 0xfffffc10, v6
	v_cndmask_b32_e64 v2, 0, 1, vcc_lo
	v_and_or_b32 v2, 0xffe, v3, v2
	v_med3_i32 v3, v7, 0, 13
	v_or_b32_e32 v7, 0x1000, v2
	v_lshrrev_b32_e32 v8, v3, v7
	v_lshlrev_b32_e32 v3, v3, v8
	v_cmp_ne_u32_e32 vcc_lo, v3, v7
	v_lshl_or_b32 v7, v6, 12, v2
	v_cndmask_b32_e64 v3, 0, 1, vcc_lo
	v_cmp_gt_i32_e32 vcc_lo, 1, v6
	v_or_b32_e32 v3, v8, v3
	v_cndmask_b32_e32 v3, v7, v3, vcc_lo
	v_and_b32_e32 v7, 7, v3
	v_lshrrev_b32_e32 v3, 2, v3
	v_cmp_lt_i32_e32 vcc_lo, 5, v7
	v_cndmask_b32_e64 v8, 0, 1, vcc_lo
	v_cmp_eq_u32_e32 vcc_lo, 3, v7
	v_cndmask_b32_e64 v7, 0, 1, vcc_lo
	v_cmp_ne_u32_e32 vcc_lo, 0, v2
	v_or_b32_e32 v7, v7, v8
	v_mov_b32_e32 v8, 0x7e00
	v_add_nc_u32_e32 v3, v3, v7
	v_cndmask_b32_e32 v2, 0x7c00, v8, vcc_lo
	v_cmp_gt_i32_e32 vcc_lo, 31, v6
	v_cndmask_b32_e32 v3, 0x7c00, v3, vcc_lo
	v_cmp_eq_u32_e32 vcc_lo, 0x40f, v6
	v_cndmask_b32_e32 v2, v3, v2, vcc_lo
	v_lshrrev_b32_e32 v3, 16, v1
	v_and_or_b32 v2, 0x8000, v3, v2
	global_store_short v[4:5], v2, off
.LBB8_429:
	s_mov_b32 s17, 0
.LBB8_430:
	s_andn2_b32 vcc_lo, exec_lo, s17
	s_cbranch_vccnz .LBB8_446
; %bb.431:
	s_cmp_lt_i32 s1, 2
	s_mov_b32 s17, -1
	s_cbranch_scc1 .LBB8_441
; %bb.432:
	s_cmp_lt_i32 s1, 3
	s_cbranch_scc1 .LBB8_438
; %bb.433:
	s_cmp_gt_i32 s1, 3
	s_cbranch_scc0 .LBB8_435
; %bb.434:
	v_trunc_f64_e32 v[2:3], v[0:1]
	s_mov_b32 s17, 0
	v_ldexp_f64 v[6:7], v[2:3], 0xffffffe0
	v_floor_f64_e32 v[6:7], v[6:7]
	v_fma_f64 v[2:3], 0xc1f00000, v[6:7], v[2:3]
	v_cvt_i32_f64_e32 v7, v[6:7]
	v_cvt_u32_f64_e32 v6, v[2:3]
	global_store_dwordx2 v[4:5], v[6:7], off
.LBB8_435:
	s_andn2_b32 vcc_lo, exec_lo, s17
	s_cbranch_vccnz .LBB8_437
; %bb.436:
	v_cvt_i32_f64_e32 v2, v[0:1]
	global_store_dword v[4:5], v2, off
.LBB8_437:
	s_mov_b32 s17, 0
.LBB8_438:
	s_andn2_b32 vcc_lo, exec_lo, s17
	s_cbranch_vccnz .LBB8_440
; %bb.439:
	v_cvt_i32_f64_e32 v2, v[0:1]
	global_store_short v[4:5], v2, off
.LBB8_440:
	s_mov_b32 s17, 0
.LBB8_441:
	s_andn2_b32 vcc_lo, exec_lo, s17
	s_cbranch_vccnz .LBB8_446
; %bb.442:
	s_cmp_gt_i32 s1, 0
	s_mov_b32 s1, -1
	s_cbranch_scc0 .LBB8_444
; %bb.443:
	v_cvt_i32_f64_e32 v2, v[0:1]
	s_mov_b32 s1, 0
	global_store_byte v[4:5], v2, off
.LBB8_444:
	s_andn2_b32 vcc_lo, exec_lo, s1
	s_cbranch_vccnz .LBB8_446
; %bb.445:
	v_trunc_f64_e32 v[0:1], v[0:1]
	v_ldexp_f64 v[2:3], v[0:1], 0xffffffe0
	v_floor_f64_e32 v[2:3], v[2:3]
	v_fma_f64 v[0:1], 0xc1f00000, v[2:3], v[0:1]
	v_cvt_u32_f64_e32 v0, v[0:1]
	global_store_byte v[4:5], v0, off
.LBB8_446:
	s_mov_b32 s19, -1
.LBB8_447:
	s_andn2_b32 vcc_lo, exec_lo, s19
	s_cbranch_vccnz .LBB8_449
; %bb.448:
	v_add_nc_u32_e32 v14, 0x80, v14
	s_mov_b32 s1, -1
	s_branch .LBB8_562
.LBB8_449:
	s_mov_b32 s1, 0
	s_branch .LBB8_561
.LBB8_450:
	s_mov_b32 s16, -1
                                        ; implicit-def: $vgpr2_vgpr3
.LBB8_451:
	s_mov_b32 s17, 0
.LBB8_452:
	s_and_b32 vcc_lo, exec_lo, s17
	s_cbranch_vccz .LBB8_456
; %bb.453:
	s_cmp_eq_u32 s0, 29
	s_cbranch_scc0 .LBB8_455
; %bb.454:
	global_load_dwordx2 v[2:3], v[0:1], off
	s_mov_b32 s1, -1
	s_mov_b32 s16, 0
	s_mov_b32 s17, 0
	s_waitcnt vmcnt(0)
	v_cvt_f64_u32_e32 v[3:4], v3
	v_cvt_f64_u32_e32 v[5:6], v2
	v_ldexp_f64 v[3:4], v[3:4], 32
	v_add_f64 v[2:3], v[3:4], v[5:6]
	s_branch .LBB8_457
.LBB8_455:
	s_mov_b32 s16, -1
                                        ; implicit-def: $vgpr2_vgpr3
.LBB8_456:
	s_mov_b32 s17, 0
.LBB8_457:
	s_and_b32 vcc_lo, exec_lo, s17
	s_cbranch_vccz .LBB8_477
; %bb.458:
	s_cmp_lt_i32 s0, 27
	s_cbranch_scc1 .LBB8_461
; %bb.459:
	s_cmp_gt_i32 s0, 27
	s_cbranch_scc0 .LBB8_462
; %bb.460:
	global_load_dword v2, v[0:1], off
	s_mov_b32 s1, 0
	s_waitcnt vmcnt(0)
	v_cvt_f64_u32_e32 v[2:3], v2
	s_branch .LBB8_463
.LBB8_461:
	s_mov_b32 s1, -1
                                        ; implicit-def: $vgpr2_vgpr3
	s_branch .LBB8_466
.LBB8_462:
	s_mov_b32 s1, -1
                                        ; implicit-def: $vgpr2_vgpr3
.LBB8_463:
	s_andn2_b32 vcc_lo, exec_lo, s1
	s_cbranch_vccnz .LBB8_465
; %bb.464:
	global_load_ushort v2, v[0:1], off
	s_waitcnt vmcnt(0)
	v_cvt_f64_u32_e32 v[2:3], v2
.LBB8_465:
	s_mov_b32 s1, 0
.LBB8_466:
	s_andn2_b32 vcc_lo, exec_lo, s1
	s_cbranch_vccnz .LBB8_476
; %bb.467:
	global_load_ubyte v4, v[0:1], off
	s_mov_b32 s1, 0
	s_mov_b32 s17, exec_lo
	s_waitcnt vmcnt(0)
	v_cmpx_lt_i16_e32 0x7f, v4
	s_xor_b32 s17, exec_lo, s17
	s_cbranch_execz .LBB8_471
; %bb.468:
	s_mov_b32 s1, -1
	s_mov_b32 s19, exec_lo
	v_cmpx_eq_u16_e32 0x80, v4
; %bb.469:
	s_xor_b32 s1, exec_lo, -1
; %bb.470:
	s_or_b32 exec_lo, exec_lo, s19
	s_and_b32 s1, s1, exec_lo
.LBB8_471:
	s_or_saveexec_b32 s17, s17
	v_bfrev_b32_e32 v2, 4
	v_mov_b32_e32 v3, 0x7ff80000
	s_xor_b32 exec_lo, exec_lo, s17
; %bb.472:
	v_cmp_ne_u16_e32 vcc_lo, 0, v4
	v_mov_b32_e32 v2, 0
	v_mov_b32_e32 v3, 0
	s_andn2_b32 s1, s1, exec_lo
	s_and_b32 s19, vcc_lo, exec_lo
	s_or_b32 s1, s1, s19
; %bb.473:
	s_or_b32 exec_lo, exec_lo, s17
	s_and_saveexec_b32 s17, s1
	s_cbranch_execz .LBB8_475
; %bb.474:
	v_and_b32_e32 v2, 0xffff, v4
	v_lshlrev_b32_e32 v4, 24, v4
	v_and_b32_e32 v3, 7, v2
	v_bfe_u32 v7, v2, 3, 4
	v_ffbh_u32_e32 v5, v3
	v_cmp_eq_u32_e32 vcc_lo, 0, v7
	v_min_u32_e32 v5, 32, v5
	v_subrev_nc_u32_e32 v6, 28, v5
	v_sub_nc_u32_e32 v5, 29, v5
	v_lshlrev_b32_e32 v2, v6, v2
	v_cndmask_b32_e32 v5, v7, v5, vcc_lo
	v_and_b32_e32 v2, 7, v2
	v_cndmask_b32_e32 v2, v3, v2, vcc_lo
	v_and_b32_e32 v3, 0x80000000, v4
	v_lshl_add_u32 v4, v5, 23, 0x3b800000
	v_lshlrev_b32_e32 v2, 20, v2
	v_or3_b32 v2, v3, v4, v2
	v_cvt_f64_f32_e32 v[2:3], v2
.LBB8_475:
	s_or_b32 exec_lo, exec_lo, s17
.LBB8_476:
	s_mov_b32 s1, -1
.LBB8_477:
	s_mov_b32 s17, 0
.LBB8_478:
	s_and_b32 vcc_lo, exec_lo, s17
	s_cbranch_vccz .LBB8_511
; %bb.479:
	s_cmp_gt_i32 s0, 22
	s_cbranch_scc0 .LBB8_491
; %bb.480:
	s_cmp_lt_i32 s0, 24
	s_cbranch_scc1 .LBB8_492
; %bb.481:
	s_cmp_gt_i32 s0, 24
	s_cbranch_scc0 .LBB8_493
; %bb.482:
	global_load_ubyte v4, v[0:1], off
	s_mov_b32 s1, 0
	s_mov_b32 s17, exec_lo
	s_waitcnt vmcnt(0)
	v_cmpx_lt_i16_e32 0x7f, v4
	s_xor_b32 s17, exec_lo, s17
	s_cbranch_execz .LBB8_486
; %bb.483:
	s_mov_b32 s1, -1
	s_mov_b32 s19, exec_lo
	v_cmpx_eq_u16_e32 0x80, v4
; %bb.484:
	s_xor_b32 s1, exec_lo, -1
; %bb.485:
	s_or_b32 exec_lo, exec_lo, s19
	s_and_b32 s1, s1, exec_lo
.LBB8_486:
	s_or_saveexec_b32 s17, s17
	v_bfrev_b32_e32 v2, 4
	v_mov_b32_e32 v3, 0x7ff80000
	s_xor_b32 exec_lo, exec_lo, s17
; %bb.487:
	v_cmp_ne_u16_e32 vcc_lo, 0, v4
	v_mov_b32_e32 v2, 0
	v_mov_b32_e32 v3, 0
	s_andn2_b32 s1, s1, exec_lo
	s_and_b32 s19, vcc_lo, exec_lo
	s_or_b32 s1, s1, s19
; %bb.488:
	s_or_b32 exec_lo, exec_lo, s17
	s_and_saveexec_b32 s17, s1
	s_cbranch_execz .LBB8_490
; %bb.489:
	v_and_b32_e32 v2, 0xffff, v4
	v_lshlrev_b32_e32 v4, 24, v4
	v_and_b32_e32 v3, 3, v2
	v_bfe_u32 v7, v2, 2, 5
	v_ffbh_u32_e32 v5, v3
	v_cmp_eq_u32_e32 vcc_lo, 0, v7
	v_min_u32_e32 v5, 32, v5
	v_subrev_nc_u32_e32 v6, 29, v5
	v_sub_nc_u32_e32 v5, 30, v5
	v_lshlrev_b32_e32 v2, v6, v2
	v_cndmask_b32_e32 v5, v7, v5, vcc_lo
	v_and_b32_e32 v2, 3, v2
	v_cndmask_b32_e32 v2, v3, v2, vcc_lo
	v_and_b32_e32 v3, 0x80000000, v4
	v_lshl_add_u32 v4, v5, 23, 0x37800000
	v_lshlrev_b32_e32 v2, 21, v2
	v_or3_b32 v2, v3, v4, v2
	v_cvt_f64_f32_e32 v[2:3], v2
.LBB8_490:
	s_or_b32 exec_lo, exec_lo, s17
	s_mov_b32 s1, 0
	s_branch .LBB8_494
.LBB8_491:
	s_mov_b32 s17, -1
                                        ; implicit-def: $vgpr2_vgpr3
	s_branch .LBB8_500
.LBB8_492:
	s_mov_b32 s1, -1
                                        ; implicit-def: $vgpr2_vgpr3
	s_branch .LBB8_497
.LBB8_493:
	s_mov_b32 s1, -1
                                        ; implicit-def: $vgpr2_vgpr3
.LBB8_494:
	s_and_b32 vcc_lo, exec_lo, s1
	s_cbranch_vccz .LBB8_496
; %bb.495:
	global_load_ubyte v2, v[0:1], off
	s_waitcnt vmcnt(0)
	v_lshlrev_b32_e32 v2, 24, v2
	v_and_b32_e32 v3, 0x7f000000, v2
	v_ffbh_u32_e32 v4, v3
	v_add_nc_u32_e32 v6, 0x1000000, v3
	v_cmp_ne_u32_e32 vcc_lo, 0, v3
	v_min_u32_e32 v4, 32, v4
	v_sub_nc_u32_e64 v4, v4, 4 clamp
	v_lshlrev_b32_e32 v5, v4, v3
	v_lshlrev_b32_e32 v4, 23, v4
	v_lshrrev_b32_e32 v5, 4, v5
	v_sub_nc_u32_e32 v4, v5, v4
	v_ashrrev_i32_e32 v5, 8, v6
	v_add_nc_u32_e32 v4, 0x3c000000, v4
	v_and_or_b32 v4, 0x7f800000, v5, v4
	v_cndmask_b32_e32 v3, 0, v4, vcc_lo
	v_and_or_b32 v2, 0x80000000, v2, v3
	v_cvt_f64_f32_e32 v[2:3], v2
.LBB8_496:
	s_mov_b32 s1, 0
.LBB8_497:
	s_andn2_b32 vcc_lo, exec_lo, s1
	s_cbranch_vccnz .LBB8_499
; %bb.498:
	global_load_ubyte v2, v[0:1], off
	s_waitcnt vmcnt(0)
	v_lshlrev_b32_e32 v3, 25, v2
	v_lshlrev_b16 v2, 8, v2
	v_lshrrev_b32_e32 v4, 4, v3
	v_and_or_b32 v5, 0x7f00, v2, 0.5
	v_cmp_gt_u32_e32 vcc_lo, 0x8000000, v3
	v_bfe_i32 v2, v2, 0, 16
	v_or_b32_e32 v4, 0x70000000, v4
	v_add_f32_e32 v5, -0.5, v5
	v_mul_f32_e32 v4, 0x7800000, v4
	v_cndmask_b32_e32 v3, v4, v5, vcc_lo
	v_and_or_b32 v2, 0x80000000, v2, v3
	v_cvt_f64_f32_e32 v[2:3], v2
.LBB8_499:
	s_mov_b32 s17, 0
	s_mov_b32 s1, -1
.LBB8_500:
	s_andn2_b32 vcc_lo, exec_lo, s17
	s_cbranch_vccnz .LBB8_511
; %bb.501:
	s_cmp_gt_i32 s0, 14
	s_cbranch_scc0 .LBB8_504
; %bb.502:
	s_cmp_eq_u32 s0, 15
	s_cbranch_scc0 .LBB8_505
; %bb.503:
	global_load_ushort v2, v[0:1], off
	s_mov_b32 s1, -1
	s_mov_b32 s16, 0
	s_waitcnt vmcnt(0)
	v_lshlrev_b32_e32 v2, 16, v2
	v_cvt_f64_f32_e32 v[2:3], v2
	s_branch .LBB8_506
.LBB8_504:
	s_mov_b32 s17, -1
                                        ; implicit-def: $vgpr2_vgpr3
	s_branch .LBB8_507
.LBB8_505:
	s_mov_b32 s16, -1
                                        ; implicit-def: $vgpr2_vgpr3
.LBB8_506:
	s_mov_b32 s17, 0
.LBB8_507:
	s_and_b32 vcc_lo, exec_lo, s17
	s_cbranch_vccz .LBB8_511
; %bb.508:
	s_cmp_eq_u32 s0, 11
	s_cbranch_scc0 .LBB8_510
; %bb.509:
	global_load_ubyte v2, v[0:1], off
	s_mov_b32 s16, 0
	s_mov_b32 s1, -1
	s_waitcnt vmcnt(0)
	v_cmp_ne_u16_e32 vcc_lo, 0, v2
	v_mov_b32_e32 v2, 0
	v_cndmask_b32_e64 v3, 0, 0x3ff00000, vcc_lo
	s_branch .LBB8_511
.LBB8_510:
	s_mov_b32 s16, -1
                                        ; implicit-def: $vgpr2_vgpr3
.LBB8_511:
	s_branch .LBB8_289
.LBB8_512:
	s_cmp_lt_i32 s0, 5
	s_cbranch_scc1 .LBB8_517
; %bb.513:
	s_cmp_lt_i32 s0, 8
	s_cbranch_scc1 .LBB8_518
; %bb.514:
	;; [unrolled: 3-line block ×3, first 2 shown]
	s_cmp_gt_i32 s0, 9
	s_cbranch_scc0 .LBB8_520
; %bb.516:
	global_load_dwordx2 v[2:3], v[0:1], off
	s_mov_b32 s1, 0
	s_branch .LBB8_521
.LBB8_517:
	s_mov_b32 s1, -1
                                        ; implicit-def: $vgpr2_vgpr3
	s_branch .LBB8_539
.LBB8_518:
	s_mov_b32 s1, -1
                                        ; implicit-def: $vgpr2_vgpr3
	s_branch .LBB8_527
.LBB8_519:
	s_mov_b32 s1, -1
                                        ; implicit-def: $vgpr2_vgpr3
	s_branch .LBB8_524
.LBB8_520:
	s_mov_b32 s1, -1
                                        ; implicit-def: $vgpr2_vgpr3
.LBB8_521:
	s_andn2_b32 vcc_lo, exec_lo, s1
	s_cbranch_vccnz .LBB8_523
; %bb.522:
	global_load_dword v2, v[0:1], off
	s_waitcnt vmcnt(0)
	v_cvt_f64_f32_e32 v[2:3], v2
.LBB8_523:
	s_mov_b32 s1, 0
.LBB8_524:
	s_andn2_b32 vcc_lo, exec_lo, s1
	s_cbranch_vccnz .LBB8_526
; %bb.525:
	global_load_dword v2, v[0:1], off
	s_waitcnt vmcnt(0)
	v_cvt_f32_f16_e32 v2, v2
	v_cvt_f64_f32_e32 v[2:3], v2
.LBB8_526:
	s_mov_b32 s1, 0
.LBB8_527:
	s_andn2_b32 vcc_lo, exec_lo, s1
	s_cbranch_vccnz .LBB8_538
; %bb.528:
	s_cmp_lt_i32 s0, 6
	s_cbranch_scc1 .LBB8_531
; %bb.529:
	s_cmp_gt_i32 s0, 6
	s_cbranch_scc0 .LBB8_532
; %bb.530:
	global_load_dwordx2 v[2:3], v[0:1], off
	s_mov_b32 s1, 0
	s_branch .LBB8_533
.LBB8_531:
	s_mov_b32 s1, -1
                                        ; implicit-def: $vgpr2_vgpr3
	s_branch .LBB8_536
.LBB8_532:
	s_mov_b32 s1, -1
                                        ; implicit-def: $vgpr2_vgpr3
.LBB8_533:
	s_andn2_b32 vcc_lo, exec_lo, s1
	s_cbranch_vccnz .LBB8_535
; %bb.534:
	global_load_dword v2, v[0:1], off
	s_waitcnt vmcnt(0)
	v_cvt_f64_f32_e32 v[2:3], v2
.LBB8_535:
	s_mov_b32 s1, 0
.LBB8_536:
	s_andn2_b32 vcc_lo, exec_lo, s1
	s_cbranch_vccnz .LBB8_538
; %bb.537:
	global_load_ushort v2, v[0:1], off
	s_waitcnt vmcnt(0)
	v_cvt_f32_f16_e32 v2, v2
	v_cvt_f64_f32_e32 v[2:3], v2
.LBB8_538:
	s_mov_b32 s1, 0
.LBB8_539:
	s_andn2_b32 vcc_lo, exec_lo, s1
	s_cbranch_vccnz .LBB8_559
; %bb.540:
	s_cmp_lt_i32 s0, 2
	s_cbranch_scc1 .LBB8_544
; %bb.541:
	s_cmp_lt_i32 s0, 3
	s_cbranch_scc1 .LBB8_545
; %bb.542:
	s_cmp_gt_i32 s0, 3
	s_cbranch_scc0 .LBB8_546
; %bb.543:
	global_load_dwordx2 v[2:3], v[0:1], off
	s_mov_b32 s1, 0
	s_waitcnt vmcnt(0)
	v_cvt_f64_i32_e32 v[3:4], v3
	v_cvt_f64_u32_e32 v[5:6], v2
	v_ldexp_f64 v[3:4], v[3:4], 32
	v_add_f64 v[2:3], v[3:4], v[5:6]
	s_branch .LBB8_547
.LBB8_544:
	s_mov_b32 s1, -1
                                        ; implicit-def: $vgpr2_vgpr3
	s_branch .LBB8_553
.LBB8_545:
	s_mov_b32 s1, -1
                                        ; implicit-def: $vgpr2_vgpr3
	s_branch .LBB8_550
.LBB8_546:
	s_mov_b32 s1, -1
                                        ; implicit-def: $vgpr2_vgpr3
.LBB8_547:
	s_andn2_b32 vcc_lo, exec_lo, s1
	s_cbranch_vccnz .LBB8_549
; %bb.548:
	global_load_dword v2, v[0:1], off
	s_waitcnt vmcnt(0)
	v_cvt_f64_i32_e32 v[2:3], v2
.LBB8_549:
	s_mov_b32 s1, 0
.LBB8_550:
	s_andn2_b32 vcc_lo, exec_lo, s1
	s_cbranch_vccnz .LBB8_552
; %bb.551:
	global_load_sshort v2, v[0:1], off
	s_waitcnt vmcnt(0)
	v_cvt_f64_i32_e32 v[2:3], v2
.LBB8_552:
	s_mov_b32 s1, 0
.LBB8_553:
	s_andn2_b32 vcc_lo, exec_lo, s1
	s_cbranch_vccnz .LBB8_559
; %bb.554:
	s_cmp_gt_i32 s0, 0
	s_mov_b32 s0, 0
	s_cbranch_scc0 .LBB8_556
; %bb.555:
	global_load_sbyte v2, v[0:1], off
	s_waitcnt vmcnt(0)
	v_cvt_f64_i32_e32 v[2:3], v2
	s_branch .LBB8_557
.LBB8_556:
	s_mov_b32 s0, -1
                                        ; implicit-def: $vgpr2_vgpr3
.LBB8_557:
	s_andn2_b32 vcc_lo, exec_lo, s0
	s_cbranch_vccnz .LBB8_559
; %bb.558:
	global_load_ubyte v0, v[0:1], off
	s_waitcnt vmcnt(0)
	v_cvt_f64_u32_e32 v[2:3], v0
.LBB8_559:
	s_branch .LBB8_290
.LBB8_560:
	s_mov_b32 s1, 0
	s_mov_b32 s0, s12
.LBB8_561:
                                        ; implicit-def: $vgpr14
.LBB8_562:
	s_andn2_b32 s17, s12, exec_lo
	s_and_b32 s0, s0, exec_lo
	s_andn2_b32 s19, s14, exec_lo
	s_and_b32 s16, s16, exec_lo
	s_or_b32 s17, s17, s0
	s_or_b32 s16, s19, s16
	s_orn2_b32 s0, s1, exec_lo
.LBB8_563:
	s_or_b32 exec_lo, exec_lo, s18
	s_mov_b32 s1, 0
	s_mov_b32 s19, 0
	;; [unrolled: 1-line block ×3, first 2 shown]
                                        ; implicit-def: $vgpr0_vgpr1
                                        ; implicit-def: $vgpr2_vgpr3
	s_and_saveexec_b32 s18, s0
	s_cbranch_execz .LBB8_934
; %bb.564:
	s_mov_b32 s20, -1
	s_mov_b32 s0, s16
	s_mov_b32 s1, s17
	s_mov_b32 s19, exec_lo
	v_cmpx_gt_i32_e64 s13, v14
	s_cbranch_execz .LBB8_848
; %bb.565:
	v_mul_lo_u32 v0, v14, s3
	s_and_b32 s0, 0xffff, s6
	s_cmp_lt_i32 s0, 11
	v_ashrrev_i32_e32 v1, 31, v0
	v_add_co_u32 v0, vcc_lo, s10, v0
	v_add_co_ci_u32_e64 v1, null, s11, v1, vcc_lo
	s_cbranch_scc1 .LBB8_572
; %bb.566:
	s_cmp_gt_i32 s0, 25
	s_cbranch_scc0 .LBB8_573
; %bb.567:
	s_cmp_gt_i32 s0, 28
	s_cbranch_scc0 .LBB8_574
; %bb.568:
	s_cmp_gt_i32 s0, 43
	s_cbranch_scc0 .LBB8_575
; %bb.569:
	s_cmp_gt_i32 s0, 45
	s_cbranch_scc0 .LBB8_578
; %bb.570:
	s_cmp_eq_u32 s0, 46
	s_mov_b32 s21, 0
	s_cbranch_scc0 .LBB8_581
; %bb.571:
	global_load_dword v2, v[0:1], off
	s_mov_b32 s1, -1
	s_mov_b32 s20, 0
	s_waitcnt vmcnt(0)
	v_lshlrev_b32_e32 v2, 16, v2
	v_cvt_f64_f32_e32 v[2:3], v2
	s_branch .LBB8_583
.LBB8_572:
	s_mov_b32 s21, -1
	s_mov_b32 s1, 0
	s_mov_b32 s20, s16
                                        ; implicit-def: $vgpr2_vgpr3
	s_branch .LBB8_648
.LBB8_573:
	s_mov_b32 s21, -1
	s_mov_b32 s1, 0
	s_mov_b32 s20, s16
                                        ; implicit-def: $vgpr2_vgpr3
	s_branch .LBB8_614
.LBB8_574:
	s_mov_b32 s21, -1
	s_mov_b32 s1, 0
	s_mov_b32 s20, s16
                                        ; implicit-def: $vgpr2_vgpr3
	s_branch .LBB8_593
.LBB8_575:
	s_mov_b32 s21, -1
	s_mov_b32 s1, 0
	s_mov_b32 s20, s16
                                        ; implicit-def: $vgpr2_vgpr3
	s_branch .LBB8_588
.LBB8_576:
	s_andn2_saveexec_b32 s21, s21
	s_cbranch_execz .LBB8_360
.LBB8_577:
	v_add_f32_e64 v3, 0x46000000, |v2|
	s_andn2_b32 s20, s20, exec_lo
	v_and_b32_e32 v3, 0xff, v3
	v_cmp_ne_u32_e32 vcc_lo, 0, v3
	s_and_b32 s22, vcc_lo, exec_lo
	s_or_b32 s20, s20, s22
	s_or_b32 exec_lo, exec_lo, s21
	v_mov_b32_e32 v6, 0
	s_and_saveexec_b32 s21, s20
	s_cbranch_execnz .LBB8_361
	s_branch .LBB8_362
.LBB8_578:
	s_mov_b32 s21, -1
	s_mov_b32 s1, 0
	s_mov_b32 s20, s16
	s_branch .LBB8_582
.LBB8_579:
	s_andn2_saveexec_b32 s21, s21
	s_cbranch_execz .LBB8_373
.LBB8_580:
	v_add_f32_e64 v3, 0x42800000, |v2|
	s_andn2_b32 s20, s20, exec_lo
	v_and_b32_e32 v3, 0xff, v3
	v_cmp_ne_u32_e32 vcc_lo, 0, v3
	s_and_b32 s22, vcc_lo, exec_lo
	s_or_b32 s20, s20, s22
	s_or_b32 exec_lo, exec_lo, s21
	v_mov_b32_e32 v6, 0
	s_and_saveexec_b32 s21, s20
	s_cbranch_execnz .LBB8_374
	s_branch .LBB8_375
.LBB8_581:
	s_mov_b32 s1, 0
.LBB8_582:
                                        ; implicit-def: $vgpr2_vgpr3
.LBB8_583:
	s_and_b32 vcc_lo, exec_lo, s21
	s_cbranch_vccz .LBB8_587
; %bb.584:
	s_cmp_eq_u32 s0, 44
	s_cbranch_scc0 .LBB8_586
; %bb.585:
	global_load_ubyte v4, v[0:1], off
	s_mov_b32 s20, 0
	s_mov_b32 s1, -1
	s_waitcnt vmcnt(0)
	v_lshlrev_b32_e32 v2, 23, v4
	v_cmp_ne_u32_e32 vcc_lo, 0xff, v4
	v_cvt_f64_f32_e32 v[2:3], v2
	v_cndmask_b32_e32 v2, 0x20000000, v2, vcc_lo
	v_cndmask_b32_e32 v3, 0x7ff80000, v3, vcc_lo
	v_cmp_ne_u32_e32 vcc_lo, 0, v4
	v_cndmask_b32_e32 v3, 0x38000000, v3, vcc_lo
	v_cndmask_b32_e32 v2, 0, v2, vcc_lo
	s_branch .LBB8_587
.LBB8_586:
	s_mov_b32 s20, -1
                                        ; implicit-def: $vgpr2_vgpr3
.LBB8_587:
	s_mov_b32 s21, 0
.LBB8_588:
	s_and_b32 vcc_lo, exec_lo, s21
	s_cbranch_vccz .LBB8_592
; %bb.589:
	s_cmp_eq_u32 s0, 29
	s_cbranch_scc0 .LBB8_591
; %bb.590:
	global_load_dwordx2 v[2:3], v[0:1], off
	s_mov_b32 s1, -1
	s_mov_b32 s20, 0
	s_mov_b32 s21, 0
	s_waitcnt vmcnt(0)
	v_cvt_f64_u32_e32 v[3:4], v3
	v_cvt_f64_u32_e32 v[5:6], v2
	v_ldexp_f64 v[3:4], v[3:4], 32
	v_add_f64 v[2:3], v[3:4], v[5:6]
	s_branch .LBB8_593
.LBB8_591:
	s_mov_b32 s20, -1
                                        ; implicit-def: $vgpr2_vgpr3
.LBB8_592:
	s_mov_b32 s21, 0
.LBB8_593:
	s_and_b32 vcc_lo, exec_lo, s21
	s_cbranch_vccz .LBB8_613
; %bb.594:
	s_cmp_lt_i32 s0, 27
	s_cbranch_scc1 .LBB8_597
; %bb.595:
	s_cmp_gt_i32 s0, 27
	s_cbranch_scc0 .LBB8_598
; %bb.596:
	global_load_dword v2, v[0:1], off
	s_mov_b32 s1, 0
	s_waitcnt vmcnt(0)
	v_cvt_f64_u32_e32 v[2:3], v2
	s_branch .LBB8_599
.LBB8_597:
	s_mov_b32 s1, -1
                                        ; implicit-def: $vgpr2_vgpr3
	s_branch .LBB8_602
.LBB8_598:
	s_mov_b32 s1, -1
                                        ; implicit-def: $vgpr2_vgpr3
.LBB8_599:
	s_andn2_b32 vcc_lo, exec_lo, s1
	s_cbranch_vccnz .LBB8_601
; %bb.600:
	global_load_ushort v2, v[0:1], off
	s_waitcnt vmcnt(0)
	v_cvt_f64_u32_e32 v[2:3], v2
.LBB8_601:
	s_mov_b32 s1, 0
.LBB8_602:
	s_andn2_b32 vcc_lo, exec_lo, s1
	s_cbranch_vccnz .LBB8_612
; %bb.603:
	global_load_ubyte v4, v[0:1], off
	s_mov_b32 s1, 0
	s_mov_b32 s21, exec_lo
	s_waitcnt vmcnt(0)
	v_cmpx_lt_i16_e32 0x7f, v4
	s_xor_b32 s21, exec_lo, s21
	s_cbranch_execz .LBB8_607
; %bb.604:
	s_mov_b32 s1, -1
	s_mov_b32 s22, exec_lo
	v_cmpx_eq_u16_e32 0x80, v4
; %bb.605:
	s_xor_b32 s1, exec_lo, -1
; %bb.606:
	s_or_b32 exec_lo, exec_lo, s22
	s_and_b32 s1, s1, exec_lo
.LBB8_607:
	s_or_saveexec_b32 s21, s21
	v_bfrev_b32_e32 v2, 4
	v_mov_b32_e32 v3, 0x7ff80000
	s_xor_b32 exec_lo, exec_lo, s21
; %bb.608:
	v_cmp_ne_u16_e32 vcc_lo, 0, v4
	v_mov_b32_e32 v2, 0
	v_mov_b32_e32 v3, 0
	s_andn2_b32 s1, s1, exec_lo
	s_and_b32 s22, vcc_lo, exec_lo
	s_or_b32 s1, s1, s22
; %bb.609:
	s_or_b32 exec_lo, exec_lo, s21
	s_and_saveexec_b32 s21, s1
	s_cbranch_execz .LBB8_611
; %bb.610:
	v_and_b32_e32 v2, 0xffff, v4
	v_lshlrev_b32_e32 v4, 24, v4
	v_and_b32_e32 v3, 7, v2
	v_bfe_u32 v7, v2, 3, 4
	v_ffbh_u32_e32 v5, v3
	v_cmp_eq_u32_e32 vcc_lo, 0, v7
	v_min_u32_e32 v5, 32, v5
	v_subrev_nc_u32_e32 v6, 28, v5
	v_sub_nc_u32_e32 v5, 29, v5
	v_lshlrev_b32_e32 v2, v6, v2
	v_cndmask_b32_e32 v5, v7, v5, vcc_lo
	v_and_b32_e32 v2, 7, v2
	v_cndmask_b32_e32 v2, v3, v2, vcc_lo
	v_and_b32_e32 v3, 0x80000000, v4
	v_lshl_add_u32 v4, v5, 23, 0x3b800000
	v_lshlrev_b32_e32 v2, 20, v2
	v_or3_b32 v2, v3, v4, v2
	v_cvt_f64_f32_e32 v[2:3], v2
.LBB8_611:
	s_or_b32 exec_lo, exec_lo, s21
.LBB8_612:
	s_mov_b32 s1, -1
.LBB8_613:
	s_mov_b32 s21, 0
.LBB8_614:
	s_and_b32 vcc_lo, exec_lo, s21
	s_cbranch_vccz .LBB8_647
; %bb.615:
	s_cmp_gt_i32 s0, 22
	s_cbranch_scc0 .LBB8_627
; %bb.616:
	s_cmp_lt_i32 s0, 24
	s_cbranch_scc1 .LBB8_628
; %bb.617:
	s_cmp_gt_i32 s0, 24
	s_cbranch_scc0 .LBB8_629
; %bb.618:
	global_load_ubyte v4, v[0:1], off
	s_mov_b32 s1, 0
	s_mov_b32 s21, exec_lo
	s_waitcnt vmcnt(0)
	v_cmpx_lt_i16_e32 0x7f, v4
	s_xor_b32 s21, exec_lo, s21
	s_cbranch_execz .LBB8_622
; %bb.619:
	s_mov_b32 s1, -1
	s_mov_b32 s22, exec_lo
	v_cmpx_eq_u16_e32 0x80, v4
; %bb.620:
	s_xor_b32 s1, exec_lo, -1
; %bb.621:
	s_or_b32 exec_lo, exec_lo, s22
	s_and_b32 s1, s1, exec_lo
.LBB8_622:
	s_or_saveexec_b32 s21, s21
	v_bfrev_b32_e32 v2, 4
	v_mov_b32_e32 v3, 0x7ff80000
	s_xor_b32 exec_lo, exec_lo, s21
; %bb.623:
	v_cmp_ne_u16_e32 vcc_lo, 0, v4
	v_mov_b32_e32 v2, 0
	v_mov_b32_e32 v3, 0
	s_andn2_b32 s1, s1, exec_lo
	s_and_b32 s22, vcc_lo, exec_lo
	s_or_b32 s1, s1, s22
; %bb.624:
	s_or_b32 exec_lo, exec_lo, s21
	s_and_saveexec_b32 s21, s1
	s_cbranch_execz .LBB8_626
; %bb.625:
	v_and_b32_e32 v2, 0xffff, v4
	v_lshlrev_b32_e32 v4, 24, v4
	v_and_b32_e32 v3, 3, v2
	v_bfe_u32 v7, v2, 2, 5
	v_ffbh_u32_e32 v5, v3
	v_cmp_eq_u32_e32 vcc_lo, 0, v7
	v_min_u32_e32 v5, 32, v5
	v_subrev_nc_u32_e32 v6, 29, v5
	v_sub_nc_u32_e32 v5, 30, v5
	v_lshlrev_b32_e32 v2, v6, v2
	v_cndmask_b32_e32 v5, v7, v5, vcc_lo
	v_and_b32_e32 v2, 3, v2
	v_cndmask_b32_e32 v2, v3, v2, vcc_lo
	v_and_b32_e32 v3, 0x80000000, v4
	v_lshl_add_u32 v4, v5, 23, 0x37800000
	v_lshlrev_b32_e32 v2, 21, v2
	v_or3_b32 v2, v3, v4, v2
	v_cvt_f64_f32_e32 v[2:3], v2
.LBB8_626:
	s_or_b32 exec_lo, exec_lo, s21
	s_mov_b32 s1, 0
	s_branch .LBB8_630
.LBB8_627:
	s_mov_b32 s21, -1
                                        ; implicit-def: $vgpr2_vgpr3
	s_branch .LBB8_636
.LBB8_628:
	s_mov_b32 s1, -1
                                        ; implicit-def: $vgpr2_vgpr3
	s_branch .LBB8_633
.LBB8_629:
	s_mov_b32 s1, -1
                                        ; implicit-def: $vgpr2_vgpr3
.LBB8_630:
	s_and_b32 vcc_lo, exec_lo, s1
	s_cbranch_vccz .LBB8_632
; %bb.631:
	global_load_ubyte v2, v[0:1], off
	s_waitcnt vmcnt(0)
	v_lshlrev_b32_e32 v2, 24, v2
	v_and_b32_e32 v3, 0x7f000000, v2
	v_ffbh_u32_e32 v4, v3
	v_add_nc_u32_e32 v6, 0x1000000, v3
	v_cmp_ne_u32_e32 vcc_lo, 0, v3
	v_min_u32_e32 v4, 32, v4
	v_sub_nc_u32_e64 v4, v4, 4 clamp
	v_lshlrev_b32_e32 v5, v4, v3
	v_lshlrev_b32_e32 v4, 23, v4
	v_lshrrev_b32_e32 v5, 4, v5
	v_sub_nc_u32_e32 v4, v5, v4
	v_ashrrev_i32_e32 v5, 8, v6
	v_add_nc_u32_e32 v4, 0x3c000000, v4
	v_and_or_b32 v4, 0x7f800000, v5, v4
	v_cndmask_b32_e32 v3, 0, v4, vcc_lo
	v_and_or_b32 v2, 0x80000000, v2, v3
	v_cvt_f64_f32_e32 v[2:3], v2
.LBB8_632:
	s_mov_b32 s1, 0
.LBB8_633:
	s_andn2_b32 vcc_lo, exec_lo, s1
	s_cbranch_vccnz .LBB8_635
; %bb.634:
	global_load_ubyte v2, v[0:1], off
	s_waitcnt vmcnt(0)
	v_lshlrev_b32_e32 v3, 25, v2
	v_lshlrev_b16 v2, 8, v2
	v_lshrrev_b32_e32 v4, 4, v3
	v_and_or_b32 v5, 0x7f00, v2, 0.5
	v_cmp_gt_u32_e32 vcc_lo, 0x8000000, v3
	v_bfe_i32 v2, v2, 0, 16
	v_or_b32_e32 v4, 0x70000000, v4
	v_add_f32_e32 v5, -0.5, v5
	v_mul_f32_e32 v4, 0x7800000, v4
	v_cndmask_b32_e32 v3, v4, v5, vcc_lo
	v_and_or_b32 v2, 0x80000000, v2, v3
	v_cvt_f64_f32_e32 v[2:3], v2
.LBB8_635:
	s_mov_b32 s21, 0
	s_mov_b32 s1, -1
.LBB8_636:
	s_andn2_b32 vcc_lo, exec_lo, s21
	s_cbranch_vccnz .LBB8_647
; %bb.637:
	s_cmp_gt_i32 s0, 14
	s_cbranch_scc0 .LBB8_640
; %bb.638:
	s_cmp_eq_u32 s0, 15
	s_cbranch_scc0 .LBB8_641
; %bb.639:
	global_load_ushort v2, v[0:1], off
	s_mov_b32 s1, -1
	s_mov_b32 s20, 0
	s_waitcnt vmcnt(0)
	v_lshlrev_b32_e32 v2, 16, v2
	v_cvt_f64_f32_e32 v[2:3], v2
	s_branch .LBB8_642
.LBB8_640:
	s_mov_b32 s21, -1
                                        ; implicit-def: $vgpr2_vgpr3
	s_branch .LBB8_643
.LBB8_641:
	s_mov_b32 s20, -1
                                        ; implicit-def: $vgpr2_vgpr3
.LBB8_642:
	s_mov_b32 s21, 0
.LBB8_643:
	s_and_b32 vcc_lo, exec_lo, s21
	s_cbranch_vccz .LBB8_647
; %bb.644:
	s_cmp_eq_u32 s0, 11
	s_cbranch_scc0 .LBB8_646
; %bb.645:
	global_load_ubyte v2, v[0:1], off
	s_mov_b32 s20, 0
	s_mov_b32 s1, -1
	s_waitcnt vmcnt(0)
	v_cmp_ne_u16_e32 vcc_lo, 0, v2
	v_mov_b32_e32 v2, 0
	v_cndmask_b32_e64 v3, 0, 0x3ff00000, vcc_lo
	s_branch .LBB8_647
.LBB8_646:
	s_mov_b32 s20, -1
                                        ; implicit-def: $vgpr2_vgpr3
.LBB8_647:
	s_mov_b32 s21, 0
.LBB8_648:
	s_and_b32 vcc_lo, exec_lo, s21
	s_cbranch_vccz .LBB8_697
; %bb.649:
	s_cmp_lt_i32 s0, 5
	s_cbranch_scc1 .LBB8_654
; %bb.650:
	s_cmp_lt_i32 s0, 8
	s_cbranch_scc1 .LBB8_655
	;; [unrolled: 3-line block ×3, first 2 shown]
; %bb.652:
	s_cmp_gt_i32 s0, 9
	s_cbranch_scc0 .LBB8_657
; %bb.653:
	global_load_dwordx2 v[2:3], v[0:1], off
	s_mov_b32 s1, 0
	s_branch .LBB8_658
.LBB8_654:
	s_mov_b32 s1, -1
                                        ; implicit-def: $vgpr2_vgpr3
	s_branch .LBB8_676
.LBB8_655:
	s_mov_b32 s1, -1
                                        ; implicit-def: $vgpr2_vgpr3
	s_branch .LBB8_664
.LBB8_656:
	s_mov_b32 s1, -1
                                        ; implicit-def: $vgpr2_vgpr3
	s_branch .LBB8_661
.LBB8_657:
	s_mov_b32 s1, -1
                                        ; implicit-def: $vgpr2_vgpr3
.LBB8_658:
	s_andn2_b32 vcc_lo, exec_lo, s1
	s_cbranch_vccnz .LBB8_660
; %bb.659:
	global_load_dword v2, v[0:1], off
	s_waitcnt vmcnt(0)
	v_cvt_f64_f32_e32 v[2:3], v2
.LBB8_660:
	s_mov_b32 s1, 0
.LBB8_661:
	s_andn2_b32 vcc_lo, exec_lo, s1
	s_cbranch_vccnz .LBB8_663
; %bb.662:
	global_load_dword v2, v[0:1], off
	s_waitcnt vmcnt(0)
	v_cvt_f32_f16_e32 v2, v2
	v_cvt_f64_f32_e32 v[2:3], v2
.LBB8_663:
	s_mov_b32 s1, 0
.LBB8_664:
	s_andn2_b32 vcc_lo, exec_lo, s1
	s_cbranch_vccnz .LBB8_675
; %bb.665:
	s_cmp_lt_i32 s0, 6
	s_cbranch_scc1 .LBB8_668
; %bb.666:
	s_cmp_gt_i32 s0, 6
	s_cbranch_scc0 .LBB8_669
; %bb.667:
	global_load_dwordx2 v[2:3], v[0:1], off
	s_mov_b32 s1, 0
	s_branch .LBB8_670
.LBB8_668:
	s_mov_b32 s1, -1
                                        ; implicit-def: $vgpr2_vgpr3
	s_branch .LBB8_673
.LBB8_669:
	s_mov_b32 s1, -1
                                        ; implicit-def: $vgpr2_vgpr3
.LBB8_670:
	s_andn2_b32 vcc_lo, exec_lo, s1
	s_cbranch_vccnz .LBB8_672
; %bb.671:
	global_load_dword v2, v[0:1], off
	s_waitcnt vmcnt(0)
	v_cvt_f64_f32_e32 v[2:3], v2
.LBB8_672:
	s_mov_b32 s1, 0
.LBB8_673:
	s_andn2_b32 vcc_lo, exec_lo, s1
	s_cbranch_vccnz .LBB8_675
; %bb.674:
	global_load_ushort v2, v[0:1], off
	s_waitcnt vmcnt(0)
	v_cvt_f32_f16_e32 v2, v2
	v_cvt_f64_f32_e32 v[2:3], v2
.LBB8_675:
	s_mov_b32 s1, 0
.LBB8_676:
	s_andn2_b32 vcc_lo, exec_lo, s1
	s_cbranch_vccnz .LBB8_696
; %bb.677:
	s_cmp_lt_i32 s0, 2
	s_cbranch_scc1 .LBB8_681
; %bb.678:
	s_cmp_lt_i32 s0, 3
	s_cbranch_scc1 .LBB8_682
; %bb.679:
	s_cmp_gt_i32 s0, 3
	s_cbranch_scc0 .LBB8_683
; %bb.680:
	global_load_dwordx2 v[2:3], v[0:1], off
	s_mov_b32 s1, 0
	s_waitcnt vmcnt(0)
	v_cvt_f64_i32_e32 v[3:4], v3
	v_cvt_f64_u32_e32 v[5:6], v2
	v_ldexp_f64 v[3:4], v[3:4], 32
	v_add_f64 v[2:3], v[3:4], v[5:6]
	s_branch .LBB8_684
.LBB8_681:
	s_mov_b32 s1, -1
                                        ; implicit-def: $vgpr2_vgpr3
	s_branch .LBB8_690
.LBB8_682:
	s_mov_b32 s1, -1
                                        ; implicit-def: $vgpr2_vgpr3
	s_branch .LBB8_687
.LBB8_683:
	s_mov_b32 s1, -1
                                        ; implicit-def: $vgpr2_vgpr3
.LBB8_684:
	s_andn2_b32 vcc_lo, exec_lo, s1
	s_cbranch_vccnz .LBB8_686
; %bb.685:
	global_load_dword v2, v[0:1], off
	s_waitcnt vmcnt(0)
	v_cvt_f64_i32_e32 v[2:3], v2
.LBB8_686:
	s_mov_b32 s1, 0
.LBB8_687:
	s_andn2_b32 vcc_lo, exec_lo, s1
	s_cbranch_vccnz .LBB8_689
; %bb.688:
	global_load_sshort v2, v[0:1], off
	s_waitcnt vmcnt(0)
	v_cvt_f64_i32_e32 v[2:3], v2
.LBB8_689:
	s_mov_b32 s1, 0
.LBB8_690:
	s_andn2_b32 vcc_lo, exec_lo, s1
	s_cbranch_vccnz .LBB8_696
; %bb.691:
	s_cmp_gt_i32 s0, 0
	s_mov_b32 s0, 0
	s_cbranch_scc0 .LBB8_693
; %bb.692:
	global_load_sbyte v2, v[0:1], off
	s_waitcnt vmcnt(0)
	v_cvt_f64_i32_e32 v[2:3], v2
	s_branch .LBB8_694
.LBB8_693:
	s_mov_b32 s0, -1
                                        ; implicit-def: $vgpr2_vgpr3
.LBB8_694:
	s_andn2_b32 vcc_lo, exec_lo, s0
	s_cbranch_vccnz .LBB8_696
; %bb.695:
	global_load_ubyte v0, v[0:1], off
	s_waitcnt vmcnt(0)
	v_cvt_f64_u32_e32 v[2:3], v0
.LBB8_696:
	s_mov_b32 s1, -1
.LBB8_697:
	s_andn2_b32 vcc_lo, exec_lo, s1
	s_cbranch_vccnz .LBB8_729
; %bb.698:
                                        ; implicit-def: $vgpr0_vgpr1
	s_mov_b32 s0, exec_lo
	s_waitcnt vmcnt(0)
	v_cmpx_neq_f64_e32 0, v[2:3]
	s_xor_b32 s21, exec_lo, s0
	s_cbranch_execz .LBB8_720
; %bb.699:
	v_mov_b32_e32 v4, 0
	v_mov_b32_e32 v5, 0
	s_mov_b32 s1, -1
	s_mov_b32 s22, exec_lo
	v_cmpx_gt_f64_e32 0, v[2:3]
	s_cbranch_execz .LBB8_707
; %bb.700:
	v_trunc_f64_e32 v[0:1], v[2:3]
	v_mov_b32_e32 v4, 0
	v_mov_b32_e32 v5, 0
	s_mov_b32 s1, 0
	s_mov_b32 s23, exec_lo
	v_cmpx_neq_f64_e32 v[2:3], v[0:1]
	s_cbranch_execz .LBB8_706
; %bb.701:
	v_add_f64 v[0:1], v[2:3], -v[0:1]
	s_mov_b32 s1, 0xc00921fb
	s_mov_b32 s0, 0x54442d18
	v_cmp_neq_f64_e64 vcc_lo, 0x7ff00000, |v[2:3]|
	s_mov_b32 s24, exec_lo
                                        ; implicit-def: $vgpr8
                                        ; implicit-def: $vgpr4_vgpr5
                                        ; implicit-def: $vgpr6_vgpr7
	v_mul_f64 v[0:1], |v[0:1]|, s[0:1]
	v_cndmask_b32_e32 v1, 0x80000000, v1, vcc_lo
	v_cndmask_b32_e32 v0, 0, v0, vcc_lo
	v_cmpx_ngt_f64_e64 0x41d00000, |v[0:1]|
	s_xor_b32 s24, exec_lo, s24
	s_cbranch_execz .LBB8_703
; %bb.702:
	v_ldexp_f64 v[4:5], |v[0:1]|, 0xffffff80
	v_cmp_le_f64_e64 vcc_lo, 0x7b000000, |v[0:1]|
	v_trig_preop_f64 v[6:7], |v[0:1]|, 0
	v_and_b32_e32 v8, 0x7fffffff, v1
	v_trig_preop_f64 v[19:20], |v[0:1]|, 2
	v_mov_b32_e32 v27, 0
	s_mov_b32 s1, 0x3ff921fb
	s_mov_b32 s26, 0x33145c07
	;; [unrolled: 1-line block ×3, first 2 shown]
	v_cndmask_b32_e32 v5, v8, v5, vcc_lo
	v_cndmask_b32_e32 v4, v0, v4, vcc_lo
	v_trig_preop_f64 v[8:9], |v[0:1]|, 1
	v_mul_f64 v[10:11], v[6:7], v[4:5]
	v_mul_f64 v[25:26], v[19:20], v[4:5]
	;; [unrolled: 1-line block ×3, first 2 shown]
	v_fma_f64 v[6:7], v[6:7], v[4:5], -v[10:11]
	v_fma_f64 v[8:9], v[8:9], v[4:5], -v[12:13]
	;; [unrolled: 1-line block ×3, first 2 shown]
	v_add_f64 v[15:16], v[12:13], v[6:7]
	v_add_f64 v[17:18], v[15:16], -v[12:13]
	v_add_f64 v[23:24], v[10:11], v[15:16]
	v_add_f64 v[21:22], v[15:16], -v[17:18]
	v_add_f64 v[6:7], v[6:7], -v[17:18]
	v_ldexp_f64 v[17:18], v[23:24], -2
	v_add_f64 v[10:11], v[23:24], -v[10:11]
	v_add_f64 v[12:13], v[12:13], -v[21:22]
	v_add_f64 v[21:22], v[25:26], v[8:9]
	v_cmp_neq_f64_e64 vcc_lo, 0x7ff00000, |v[17:18]|
	v_add_f64 v[10:11], v[15:16], -v[10:11]
	v_add_f64 v[6:7], v[6:7], v[12:13]
	v_fract_f64_e32 v[12:13], v[17:18]
	v_add_f64 v[15:16], v[21:22], v[6:7]
	v_ldexp_f64 v[12:13], v[12:13], 2
	v_add_f64 v[17:18], v[10:11], v[15:16]
	v_cndmask_b32_e32 v13, 0, v13, vcc_lo
	v_cndmask_b32_e32 v12, 0, v12, vcc_lo
	v_add_f64 v[23:24], v[17:18], v[12:13]
	v_add_f64 v[10:11], v[17:18], -v[10:11]
	v_cmp_gt_f64_e32 vcc_lo, 0, v[23:24]
	v_add_f64 v[23:24], v[21:22], -v[25:26]
	v_cndmask_b32_e64 v28, 0, 0x40100000, vcc_lo
	v_add_f64 v[32:33], v[21:22], -v[23:24]
	v_add_f64 v[8:9], v[8:9], -v[23:24]
	v_add_f64 v[12:13], v[12:13], v[27:28]
	v_add_f64 v[28:29], v[15:16], -v[21:22]
	v_add_f64 v[23:24], v[25:26], -v[32:33]
	v_add_f64 v[30:31], v[17:18], v[12:13]
	;; [unrolled: 3-line block ×3, first 2 shown]
	v_cvt_i32_f64_e32 v30, v[30:31]
	v_add_f64 v[21:22], v[21:22], -v[34:35]
	v_cvt_f64_i32_e32 v[28:29], v30
	v_add_f64 v[6:7], v[6:7], v[21:22]
	v_add_f64 v[12:13], v[12:13], -v[28:29]
	v_add_f64 v[6:7], v[8:9], v[6:7]
	v_add_f64 v[8:9], v[15:16], -v[10:11]
	v_add_f64 v[19:20], v[17:18], v[12:13]
	v_add_f64 v[4:5], v[4:5], v[6:7]
	v_add_f64 v[6:7], v[19:20], -v[12:13]
	v_cmp_le_f64_e32 vcc_lo, 0.5, v[19:20]
	v_add_f64 v[4:5], v[8:9], v[4:5]
	v_add_f64 v[6:7], v[17:18], -v[6:7]
	v_cndmask_b32_e64 v28, 0, 0x3ff00000, vcc_lo
	v_add_co_ci_u32_e64 v8, null, 0, v30, vcc_lo
	v_add_f64 v[4:5], v[4:5], v[6:7]
	v_add_f64 v[6:7], v[19:20], -v[27:28]
	v_add_f64 v[9:10], v[6:7], v[4:5]
	v_mul_f64 v[11:12], v[9:10], s[0:1]
	v_add_f64 v[6:7], v[9:10], -v[6:7]
	v_fma_f64 v[15:16], v[9:10], s[0:1], -v[11:12]
	v_add_f64 v[4:5], v[4:5], -v[6:7]
	v_fma_f64 v[6:7], v[9:10], s[26:27], v[15:16]
	v_fma_f64 v[6:7], v[4:5], s[0:1], v[6:7]
	v_add_f64 v[4:5], v[11:12], v[6:7]
	v_add_f64 v[9:10], v[4:5], -v[11:12]
	v_add_f64 v[6:7], v[6:7], -v[9:10]
.LBB8_703:
	s_andn2_saveexec_b32 s0, s24
	s_cbranch_execz .LBB8_705
; %bb.704:
	s_mov_b32 s24, 0x6dc9c883
	s_mov_b32 s25, 0x3fe45f30
	;; [unrolled: 1-line block ×3, first 2 shown]
	v_mul_f64 v[4:5], |v[0:1]|, s[24:25]
	s_mov_b32 s24, 0x54442d18
	s_mov_b32 s25, 0xbff921fb
	;; [unrolled: 1-line block ×3, first 2 shown]
	v_rndne_f64_e32 v[8:9], v[4:5]
	v_fma_f64 v[4:5], v[8:9], s[24:25], |v[0:1]|
	v_mul_f64 v[6:7], v[8:9], s[26:27]
	s_mov_b32 s24, 0x252049c0
	s_mov_b32 s25, 0xb97b839a
	v_fma_f64 v[12:13], v[8:9], s[26:27], v[4:5]
	v_add_f64 v[10:11], v[4:5], v[6:7]
	s_mov_b32 s27, 0x3c91a626
	v_add_f64 v[4:5], v[4:5], -v[10:11]
	v_add_f64 v[10:11], v[10:11], -v[12:13]
	v_add_f64 v[4:5], v[4:5], v[6:7]
	v_fma_f64 v[6:7], v[8:9], s[26:27], v[6:7]
	v_add_f64 v[4:5], v[10:11], v[4:5]
	v_add_f64 v[4:5], v[4:5], -v[6:7]
	v_fma_f64 v[6:7], v[8:9], s[24:25], v[4:5]
	v_cvt_i32_f64_e32 v8, v[8:9]
	v_add_f64 v[4:5], v[12:13], v[6:7]
	v_add_f64 v[10:11], v[4:5], -v[12:13]
	v_add_f64 v[6:7], v[6:7], -v[10:11]
.LBB8_705:
	s_or_b32 exec_lo, exec_lo, s0
	v_mul_f64 v[9:10], v[4:5], v[4:5]
	v_add_f64 v[11:12], v[6:7], v[6:7]
	s_mov_b32 s24, 0xa9a29f71
	s_mov_b32 s26, 0xc751c08c
	;; [unrolled: 1-line block ×4, first 2 shown]
	v_cmp_class_f64_e64 s0, v[0:1], 0x1f8
	v_and_b32_e32 v8, 1, v8
	v_and_b32_e32 v1, 0x80000000, v1
	v_add_f64 v[2:3], -v[2:3], 1.0
	s_mov_b32 s1, exec_lo
	v_cmp_eq_u32_e32 vcc_lo, 0, v8
	v_fma_f64 v[15:16], v[4:5], v[4:5], -v[9:10]
	v_fma_f64 v[11:12], v[4:5], v[11:12], v[15:16]
	v_add_f64 v[9:10], v[9:10], v[11:12]
	v_fma_f64 v[11:12], v[9:10], s[26:27], s[24:25]
	s_mov_b32 s24, 0x90a8aae0
	s_mov_b32 s25, 0x3f17746f
	v_fma_f64 v[11:12], v[9:10], v[11:12], s[24:25]
	s_mov_b32 s24, 0xa6fbf144
	s_mov_b32 s25, 0xbefbb44d
	;; [unrolled: 3-line block ×13, first 2 shown]
	v_mul_f64 v[9:10], v[9:10], v[11:12]
	v_mul_f64 v[11:12], v[4:5], v[9:10]
	v_add_f64 v[15:16], v[4:5], v[11:12]
	v_fma_f64 v[9:10], v[4:5], v[9:10], -v[11:12]
	v_add_f64 v[4:5], v[15:16], -v[4:5]
	v_add_f64 v[6:7], v[6:7], v[9:10]
	v_add_f64 v[4:5], v[11:12], -v[4:5]
	v_add_f64 v[4:5], v[6:7], v[4:5]
	v_add_f64 v[6:7], v[15:16], v[4:5]
	v_rcp_f64_e32 v[9:10], v[6:7]
	v_fma_f64 v[11:12], -v[6:7], v[9:10], 1.0
	v_fma_f64 v[9:10], v[11:12], v[9:10], v[9:10]
	v_fma_f64 v[11:12], -v[6:7], v[9:10], 1.0
	v_fma_f64 v[9:10], v[11:12], v[9:10], v[9:10]
	v_add_f64 v[11:12], v[6:7], -v[15:16]
	v_mul_f64 v[15:16], v[6:7], v[9:10]
	v_add_f64 v[4:5], v[4:5], -v[11:12]
	v_fma_f64 v[11:12], v[9:10], v[6:7], -v[15:16]
	v_fma_f64 v[4:5], v[9:10], v[4:5], v[11:12]
	v_add_f64 v[11:12], v[15:16], v[4:5]
	v_add_f64 v[17:18], -v[11:12], 1.0
	v_add_f64 v[15:16], v[11:12], -v[15:16]
	v_add_f64 v[19:20], -v[17:18], 1.0
	v_add_f64 v[4:5], v[15:16], -v[4:5]
	v_add_f64 v[11:12], v[19:20], -v[11:12]
	v_add_f64 v[4:5], v[4:5], v[11:12]
	v_add_f64 v[4:5], v[17:18], v[4:5]
	v_mul_f64 v[4:5], v[9:10], v[4:5]
	v_add_f64 v[4:5], v[9:10], v[4:5]
	v_xor_b32_e32 v0, 0x80000000, v5
	v_cndmask_b32_e32 v4, v4, v6, vcc_lo
	v_cndmask_b32_e32 v0, v0, v7, vcc_lo
	v_xor_b32_e32 v1, v0, v1
	v_cndmask_b32_e64 v0, 0, v4, s0
	v_cndmask_b32_e64 v1, 0x7ff80000, v1, s0
	v_div_scale_f64 v[4:5], null, v[0:1], v[0:1], s[24:25]
	v_div_scale_f64 v[10:11], vcc_lo, s[24:25], v[0:1], s[24:25]
	v_rcp_f64_e32 v[6:7], v[4:5]
	v_fma_f64 v[8:9], -v[4:5], v[6:7], 1.0
	v_fma_f64 v[6:7], v[6:7], v[8:9], v[6:7]
	v_fma_f64 v[8:9], -v[4:5], v[6:7], 1.0
	v_fma_f64 v[6:7], v[6:7], v[8:9], v[6:7]
	v_mul_f64 v[8:9], v[10:11], v[6:7]
	v_fma_f64 v[4:5], -v[4:5], v[8:9], v[10:11]
	v_div_fmas_f64 v[4:5], v[4:5], v[6:7], v[8:9]
	v_div_fixup_f64 v[4:5], v[4:5], v[0:1], s[24:25]
.LBB8_706:
	s_or_b32 exec_lo, exec_lo, s23
	s_orn2_b32 s1, s1, exec_lo
.LBB8_707:
	s_or_b32 exec_lo, exec_lo, s22
	v_mov_b32_e32 v0, 0
	v_mov_b32_e32 v1, 0x7ff80000
	s_and_saveexec_b32 s0, s1
	s_cbranch_execz .LBB8_719
; %bb.708:
	s_mov_b32 s1, exec_lo
	v_cmpx_gt_f64_e32 0x40240000, v[2:3]
	s_cbranch_execz .LBB8_712
; %bb.709:
	s_mov_b32 s22, 0
.LBB8_710:                              ; =>This Inner Loop Header: Depth=1
	v_div_scale_f64 v[0:1], null, v[2:3], v[2:3], 1.0
	v_div_scale_f64 v[10:11], vcc_lo, 1.0, v[2:3], 1.0
	v_rcp_f64_e32 v[6:7], v[0:1]
	v_fma_f64 v[8:9], -v[0:1], v[6:7], 1.0
	v_fma_f64 v[6:7], v[6:7], v[8:9], v[6:7]
	v_fma_f64 v[8:9], -v[0:1], v[6:7], 1.0
	v_fma_f64 v[6:7], v[6:7], v[8:9], v[6:7]
	v_mul_f64 v[8:9], v[10:11], v[6:7]
	v_fma_f64 v[0:1], -v[0:1], v[8:9], v[10:11]
	v_div_fmas_f64 v[0:1], v[0:1], v[6:7], v[8:9]
	v_div_fixup_f64 v[0:1], v[0:1], v[2:3], 1.0
	v_add_f64 v[2:3], v[2:3], 1.0
	v_add_f64 v[4:5], v[4:5], -v[0:1]
	v_cmp_ngt_f64_e32 vcc_lo, 0x40240000, v[2:3]
	s_or_b32 s22, vcc_lo, s22
	s_andn2_b32 exec_lo, exec_lo, s22
	s_cbranch_execnz .LBB8_710
; %bb.711:
	s_or_b32 exec_lo, exec_lo, s22
.LBB8_712:
	s_or_b32 exec_lo, exec_lo, s1
	s_mov_b32 s1, exec_lo
                                        ; implicit-def: $vgpr0_vgpr1
	v_cmpx_neq_f64_e32 0x40240000, v[2:3]
	s_xor_b32 s1, exec_lo, s1
	s_cbranch_execz .LBB8_716
; %bb.713:
	s_mov_b32 s22, 0x85d8a000
	s_mov_b32 s23, 0x43763457
	v_mov_b32_e32 v0, 0
	v_cmp_gt_f64_e32 vcc_lo, s[22:23], v[2:3]
	v_mov_b32_e32 v1, 0
	s_and_saveexec_b32 s22, vcc_lo
	s_cbranch_execz .LBB8_715
; %bb.714:
	v_mul_f64 v[0:1], v[2:3], v[2:3]
	s_mov_b32 s24, 0x55555555
	s_mov_b32 s25, 0x3fb55555
	;; [unrolled: 1-line block ×6, first 2 shown]
	v_div_scale_f64 v[6:7], null, v[0:1], v[0:1], 1.0
	v_rcp_f64_e32 v[8:9], v[6:7]
	v_fma_f64 v[10:11], -v[6:7], v[8:9], 1.0
	v_fma_f64 v[8:9], v[8:9], v[10:11], v[8:9]
	v_fma_f64 v[10:11], -v[6:7], v[8:9], 1.0
	v_fma_f64 v[8:9], v[8:9], v[10:11], v[8:9]
	v_div_scale_f64 v[10:11], vcc_lo, 1.0, v[0:1], 1.0
	v_mul_f64 v[12:13], v[10:11], v[8:9]
	v_fma_f64 v[6:7], -v[6:7], v[12:13], v[10:11]
	v_div_fmas_f64 v[6:7], v[6:7], v[8:9], v[12:13]
	v_div_fixup_f64 v[0:1], v[6:7], v[0:1], 1.0
	v_fma_f64 v[6:7], v[0:1], 0, s[24:25]
	v_fma_f64 v[6:7], v[0:1], v[6:7], s[26:27]
	s_mov_b32 s26, 0xf07c1f08
	s_mov_b32 s27, 0x3f7f07c1
	v_fma_f64 v[6:7], v[0:1], v[6:7], s[26:27]
	s_mov_b32 s27, 0xbf711111
	s_mov_b32 s26, 0x11111111
	v_fma_f64 v[6:7], v[0:1], v[6:7], s[26:27]
	s_mov_b32 s27, 0xbf811111
	v_fma_f64 v[6:7], v[0:1], v[6:7], s[28:29]
	v_fma_f64 v[6:7], v[0:1], v[6:7], s[26:27]
	;; [unrolled: 1-line block ×3, first 2 shown]
	v_mul_f64 v[0:1], v[0:1], v[6:7]
.LBB8_715:
	s_or_b32 exec_lo, exec_lo, s22
	v_frexp_mant_f64_e32 v[6:7], v[2:3]
	s_mov_b32 s23, 0x3fe55555
	s_mov_b32 s22, 0x55555555
	;; [unrolled: 1-line block ×6, first 2 shown]
	v_div_scale_f64 v[23:24], null, v[2:3], v[2:3], -0.5
	v_cmp_gt_f64_e32 vcc_lo, s[22:23], v[6:7]
	s_mov_b32 s22, 0x55555780
	v_rcp_f64_e32 v[27:28], v[23:24]
	v_cndmask_b32_e64 v8, 0, 1, vcc_lo
	v_ldexp_f64 v[6:7], v[6:7], v8
	v_add_f64 v[8:9], v[6:7], 1.0
	v_add_f64 v[15:16], v[6:7], -1.0
	v_rcp_f64_e32 v[10:11], v[8:9]
	v_add_f64 v[17:18], v[8:9], -1.0
	v_add_f64 v[6:7], v[6:7], -v[17:18]
	v_fma_f64 v[12:13], -v[8:9], v[10:11], 1.0
	v_fma_f64 v[10:11], v[12:13], v[10:11], v[10:11]
	v_fma_f64 v[12:13], -v[8:9], v[10:11], 1.0
	v_fma_f64 v[10:11], v[12:13], v[10:11], v[10:11]
	v_mul_f64 v[12:13], v[15:16], v[10:11]
	v_mul_f64 v[19:20], v[8:9], v[12:13]
	v_fma_f64 v[8:9], v[12:13], v[8:9], -v[19:20]
	v_fma_f64 v[6:7], v[12:13], v[6:7], v[8:9]
	v_add_f64 v[8:9], v[19:20], v[6:7]
	v_add_f64 v[17:18], v[15:16], -v[8:9]
	v_add_f64 v[19:20], v[8:9], -v[19:20]
	;; [unrolled: 1-line block ×4, first 2 shown]
	v_frexp_exp_i32_f64_e32 v19, v[2:3]
	v_add_f64 v[8:9], v[15:16], -v[8:9]
	v_add_f64 v[6:7], v[6:7], v[8:9]
	v_add_f64 v[6:7], v[17:18], v[6:7]
	v_mul_f64 v[6:7], v[10:11], v[6:7]
	v_add_f64 v[8:9], v[12:13], v[6:7]
	v_mul_f64 v[10:11], v[8:9], v[8:9]
	v_fma_f64 v[15:16], v[10:11], s[26:27], s[24:25]
	s_mov_b32 s24, 0xd7f4df2e
	s_mov_b32 s25, 0x3fc7474d
	v_mul_f64 v[17:18], v[8:9], v[10:11]
	v_fma_f64 v[15:16], v[10:11], v[15:16], s[24:25]
	s_mov_b32 s24, 0x16291751
	s_mov_b32 s25, 0x3fcc71c0
	v_fma_f64 v[15:16], v[10:11], v[15:16], s[24:25]
	s_mov_b32 s24, 0x9b27acf1
	s_mov_b32 s25, 0x3fd24924
	;; [unrolled: 3-line block ×3, first 2 shown]
	v_fma_f64 v[15:16], v[10:11], v[15:16], s[24:25]
	v_fma_f64 v[10:11], v[10:11], v[15:16], s[22:23]
	v_ldexp_f64 v[15:16], v[8:9], 1
	v_add_f64 v[8:9], v[8:9], -v[12:13]
	s_mov_b32 s22, 0xfefa39ef
	s_mov_b32 s23, 0x3fe62e42
	v_mul_f64 v[10:11], v[17:18], v[10:11]
	v_subrev_co_ci_u32_e64 v17, null, 0, v19, vcc_lo
	v_add_f64 v[6:7], v[6:7], -v[8:9]
	v_cvt_f64_i32_e32 v[17:18], v17
	v_add_f64 v[12:13], v[15:16], v[10:11]
	v_ldexp_f64 v[6:7], v[6:7], 1
	v_mul_f64 v[19:20], v[17:18], s[22:23]
	v_add_f64 v[8:9], v[12:13], -v[15:16]
	v_fma_f64 v[15:16], v[17:18], s[22:23], -v[19:20]
	s_mov_b32 s22, 0x3b39803f
	s_mov_b32 s23, 0x3c7abc9e
	v_add_f64 v[8:9], v[10:11], -v[8:9]
	v_fma_f64 v[10:11], v[17:18], s[22:23], v[15:16]
	v_add_f64 v[6:7], v[6:7], v[8:9]
	v_add_f64 v[8:9], v[19:20], v[10:11]
	;; [unrolled: 1-line block ×3, first 2 shown]
	v_add_f64 v[19:20], v[8:9], -v[19:20]
	v_add_f64 v[17:18], v[8:9], v[15:16]
	v_add_f64 v[12:13], v[15:16], -v[12:13]
	v_add_f64 v[10:11], v[10:11], -v[19:20]
	;; [unrolled: 1-line block ×6, first 2 shown]
	v_fma_f64 v[15:16], -v[23:24], v[27:28], 1.0
	v_add_f64 v[19:20], v[10:11], v[6:7]
	v_add_f64 v[8:9], v[8:9], -v[25:26]
	v_add_f64 v[8:9], v[12:13], v[8:9]
	v_fma_f64 v[12:13], v[27:28], v[15:16], v[27:28]
	v_add_f64 v[15:16], v[19:20], -v[10:11]
	v_div_scale_f64 v[27:28], vcc_lo, -0.5, v[2:3], -0.5
	v_add_f64 v[8:9], v[19:20], v[8:9]
	v_fma_f64 v[21:22], -v[23:24], v[12:13], 1.0
	v_add_f64 v[19:20], v[19:20], -v[15:16]
	v_add_f64 v[6:7], v[6:7], -v[15:16]
	v_add_f64 v[25:26], v[17:18], v[8:9]
	v_fma_f64 v[12:13], v[12:13], v[21:22], v[12:13]
	v_add_f64 v[10:11], v[10:11], -v[19:20]
	v_add_f64 v[15:16], v[25:26], -v[17:18]
	v_mul_f64 v[17:18], v[27:28], v[12:13]
	v_add_f64 v[6:7], v[6:7], v[10:11]
	v_add_f64 v[8:9], v[8:9], -v[15:16]
	v_fma_f64 v[10:11], -v[23:24], v[17:18], v[27:28]
	v_add_f64 v[6:7], v[6:7], v[8:9]
	v_div_fmas_f64 v[8:9], v[10:11], v[12:13], v[17:18]
	v_cmp_class_f64_e64 vcc_lo, v[2:3], 0x204
	v_add_f64 v[6:7], v[25:26], v[6:7]
	v_div_fixup_f64 v[8:9], v[8:9], v[2:3], -0.5
	v_cndmask_b32_e32 v3, v7, v3, vcc_lo
	v_cndmask_b32_e32 v2, v6, v2, vcc_lo
	v_add_f64 v[2:3], v[2:3], v[8:9]
	v_add_f64 v[0:1], v[2:3], -v[0:1]
	v_add_f64 v[0:1], v[4:5], v[0:1]
                                        ; implicit-def: $vgpr4_vgpr5
.LBB8_716:
	s_andn2_saveexec_b32 s1, s1
; %bb.717:
	s_mov_b32 s22, 0xdc85cc95
	s_mov_b32 s23, 0x40020396
	v_add_f64 v[0:1], v[4:5], s[22:23]
; %bb.718:
	s_or_b32 exec_lo, exec_lo, s1
.LBB8_719:
	s_or_b32 exec_lo, exec_lo, s0
                                        ; implicit-def: $vgpr2_vgpr3
.LBB8_720:
	s_andn2_saveexec_b32 s0, s21
; %bb.721:
	v_xor_b32_e32 v0, 0x80000000, v3
	s_mov_b32 s1, 0x7ff00000
	v_bfi_b32 v1, 0x7fffffff, s1, v0
	v_mov_b32_e32 v0, 0
; %bb.722:
	s_or_b32 exec_lo, exec_lo, s0
	v_mul_lo_u32 v2, v14, s2
	s_and_b32 s1, s4, 0xff
	s_cmp_lt_i32 s1, 11
	v_ashrrev_i32_e32 v3, 31, v2
	v_add_co_u32 v4, vcc_lo, s8, v2
	v_add_co_ci_u32_e64 v5, null, s9, v3, vcc_lo
	s_cbranch_scc1 .LBB8_730
; %bb.723:
	s_and_b32 s21, 0xffff, s1
	s_cmp_gt_i32 s21, 25
	s_cbranch_scc0 .LBB8_731
; %bb.724:
	s_cmp_gt_i32 s21, 28
	s_cbranch_scc0 .LBB8_732
; %bb.725:
	;; [unrolled: 3-line block ×4, first 2 shown]
	s_mov_b32 s23, 0
	s_mov_b32 s0, -1
	s_cmp_eq_u32 s21, 46
	s_mov_b32 s22, 0
	s_cbranch_scc0 .LBB8_735
; %bb.728:
	v_cvt_f32_f64_e32 v2, v[0:1]
	s_mov_b32 s22, -1
	s_mov_b32 s0, 0
	v_bfe_u32 v3, v2, 16, 1
	v_cmp_o_f32_e32 vcc_lo, v2, v2
	v_add3_u32 v2, v2, v3, 0x7fff
	v_mov_b32_e32 v3, 0x7fc0
	v_cndmask_b32_sdwa v2, v3, v2, vcc_lo dst_sel:DWORD dst_unused:UNUSED_PAD src0_sel:DWORD src1_sel:WORD_1
	global_store_dword v[4:5], v2, off
	s_branch .LBB8_735
.LBB8_729:
	s_mov_b32 s21, 0
	s_mov_b32 s0, s17
	s_branch .LBB8_846
.LBB8_730:
	s_mov_b32 s21, -1
	s_mov_b32 s22, 0
	s_mov_b32 s0, s17
	s_branch .LBB8_804
.LBB8_731:
	s_mov_b32 s23, -1
	s_mov_b32 s22, 0
	s_mov_b32 s0, s17
	s_branch .LBB8_762
.LBB8_732:
	s_mov_b32 s23, -1
	s_mov_b32 s22, 0
	s_mov_b32 s0, s17
	s_branch .LBB8_745
.LBB8_733:
	s_mov_b32 s23, -1
	s_mov_b32 s22, 0
	s_mov_b32 s0, s17
	s_branch .LBB8_741
.LBB8_734:
	s_mov_b32 s23, -1
	s_mov_b32 s22, 0
	s_mov_b32 s0, s17
.LBB8_735:
	s_and_b32 vcc_lo, exec_lo, s23
	s_cbranch_vccz .LBB8_740
; %bb.736:
	s_cmp_eq_u32 s21, 44
	s_mov_b32 s0, -1
	s_cbranch_scc0 .LBB8_740
; %bb.737:
	v_cvt_f32_f64_e32 v2, v[0:1]
	v_mov_b32_e32 v3, 0xff
	s_mov_b32 s22, exec_lo
	v_bfe_u32 v6, v2, 23, 8
	v_cmpx_ne_u32_e32 0xff, v6
	s_cbranch_execz .LBB8_739
; %bb.738:
	v_and_b32_e32 v3, 0x400000, v2
	v_and_or_b32 v6, 0x3fffff, v2, v6
	v_lshrrev_b32_e32 v2, 23, v2
	v_cmp_ne_u32_e32 vcc_lo, 0, v3
	v_cmp_ne_u32_e64 s0, 0, v6
	s_and_b32 s0, vcc_lo, s0
	v_cndmask_b32_e64 v3, 0, 1, s0
	v_add_nc_u32_e32 v3, v2, v3
.LBB8_739:
	s_or_b32 exec_lo, exec_lo, s22
	s_mov_b32 s22, -1
	s_mov_b32 s0, 0
	global_store_byte v[4:5], v3, off
.LBB8_740:
	s_mov_b32 s23, 0
.LBB8_741:
	s_and_b32 vcc_lo, exec_lo, s23
	s_cbranch_vccz .LBB8_744
; %bb.742:
	s_cmp_eq_u32 s21, 29
	s_mov_b32 s0, -1
	s_cbranch_scc0 .LBB8_744
; %bb.743:
	v_trunc_f64_e32 v[2:3], v[0:1]
	s_mov_b32 s22, -1
	s_mov_b32 s0, 0
	s_mov_b32 s23, 0
	v_ldexp_f64 v[6:7], v[2:3], 0xffffffe0
	v_floor_f64_e32 v[6:7], v[6:7]
	v_fma_f64 v[2:3], 0xc1f00000, v[6:7], v[2:3]
	v_cvt_u32_f64_e32 v7, v[6:7]
	v_cvt_u32_f64_e32 v6, v[2:3]
	global_store_dwordx2 v[4:5], v[6:7], off
	s_branch .LBB8_745
.LBB8_744:
	s_mov_b32 s23, 0
.LBB8_745:
	s_and_b32 vcc_lo, exec_lo, s23
	s_cbranch_vccz .LBB8_761
; %bb.746:
	s_cmp_lt_i32 s21, 27
	s_mov_b32 s22, -1
	s_cbranch_scc1 .LBB8_752
; %bb.747:
	v_cvt_u32_f64_e32 v2, v[0:1]
	s_cmp_gt_i32 s21, 27
	s_cbranch_scc0 .LBB8_749
; %bb.748:
	s_mov_b32 s22, 0
	global_store_dword v[4:5], v2, off
.LBB8_749:
	s_andn2_b32 vcc_lo, exec_lo, s22
	s_cbranch_vccnz .LBB8_751
; %bb.750:
	global_store_short v[4:5], v2, off
.LBB8_751:
	s_mov_b32 s22, 0
.LBB8_752:
	s_andn2_b32 vcc_lo, exec_lo, s22
	s_cbranch_vccnz .LBB8_760
; %bb.753:
	v_cvt_f32_f64_e32 v2, v[0:1]
	v_mov_b32_e32 v6, 0x80
	s_mov_b32 s22, exec_lo
	v_and_b32_e32 v3, 0x7fffffff, v2
	v_cmpx_gt_u32_e32 0x43800000, v3
	s_cbranch_execz .LBB8_759
; %bb.754:
	v_cmp_lt_u32_e32 vcc_lo, 0x3bffffff, v3
	s_mov_b32 s23, 0
                                        ; implicit-def: $vgpr3
	s_and_saveexec_b32 s24, vcc_lo
	s_xor_b32 s24, exec_lo, s24
	s_cbranch_execz .LBB8_861
; %bb.755:
	v_bfe_u32 v3, v2, 20, 1
	s_mov_b32 s23, exec_lo
	v_add3_u32 v3, v2, v3, 0x487ffff
	v_lshrrev_b32_e32 v3, 20, v3
	s_andn2_saveexec_b32 s24, s24
	s_cbranch_execnz .LBB8_862
.LBB8_756:
	s_or_b32 exec_lo, exec_lo, s24
	v_mov_b32_e32 v6, 0
	s_and_saveexec_b32 s24, s23
.LBB8_757:
	v_lshrrev_b32_e32 v2, 24, v2
	v_and_or_b32 v6, 0x80, v2, v3
.LBB8_758:
	s_or_b32 exec_lo, exec_lo, s24
.LBB8_759:
	s_or_b32 exec_lo, exec_lo, s22
	global_store_byte v[4:5], v6, off
.LBB8_760:
	s_mov_b32 s22, -1
.LBB8_761:
	s_mov_b32 s23, 0
.LBB8_762:
	s_and_b32 vcc_lo, exec_lo, s23
	s_cbranch_vccz .LBB8_803
; %bb.763:
	s_cmp_gt_i32 s21, 22
	s_mov_b32 s23, -1
	s_cbranch_scc0 .LBB8_795
; %bb.764:
	s_cmp_lt_i32 s21, 24
	s_mov_b32 s22, -1
	s_cbranch_scc1 .LBB8_784
; %bb.765:
	s_cmp_gt_i32 s21, 24
	s_cbranch_scc0 .LBB8_773
; %bb.766:
	v_cvt_f32_f64_e32 v2, v[0:1]
	v_mov_b32_e32 v6, 0x80
	s_mov_b32 s22, exec_lo
	v_and_b32_e32 v3, 0x7fffffff, v2
	v_cmpx_gt_u32_e32 0x47800000, v3
	s_cbranch_execz .LBB8_772
; %bb.767:
	v_cmp_lt_u32_e32 vcc_lo, 0x37ffffff, v3
	s_mov_b32 s23, 0
                                        ; implicit-def: $vgpr3
	s_and_saveexec_b32 s24, vcc_lo
	s_xor_b32 s24, exec_lo, s24
	s_cbranch_execz .LBB8_864
; %bb.768:
	v_bfe_u32 v3, v2, 21, 1
	s_mov_b32 s23, exec_lo
	v_add3_u32 v3, v2, v3, 0x88fffff
	v_lshrrev_b32_e32 v3, 21, v3
	s_andn2_saveexec_b32 s24, s24
	s_cbranch_execnz .LBB8_865
.LBB8_769:
	s_or_b32 exec_lo, exec_lo, s24
	v_mov_b32_e32 v6, 0
	s_and_saveexec_b32 s24, s23
.LBB8_770:
	v_lshrrev_b32_e32 v2, 24, v2
	v_and_or_b32 v6, 0x80, v2, v3
.LBB8_771:
	s_or_b32 exec_lo, exec_lo, s24
.LBB8_772:
	s_or_b32 exec_lo, exec_lo, s22
	s_mov_b32 s22, 0
	global_store_byte v[4:5], v6, off
.LBB8_773:
	s_and_b32 vcc_lo, exec_lo, s22
	s_cbranch_vccz .LBB8_783
; %bb.774:
	v_cvt_f32_f64_e32 v2, v[0:1]
	s_mov_b32 s22, exec_lo
                                        ; implicit-def: $vgpr3
	v_and_b32_e32 v6, 0x7fffffff, v2
	v_cmpx_gt_u32_e32 0x43f00000, v6
	s_xor_b32 s22, exec_lo, s22
	s_cbranch_execz .LBB8_780
; %bb.775:
	s_mov_b32 s23, exec_lo
                                        ; implicit-def: $vgpr3
	v_cmpx_lt_u32_e32 0x3c7fffff, v6
	s_xor_b32 s23, exec_lo, s23
; %bb.776:
	v_bfe_u32 v3, v2, 20, 1
	v_add3_u32 v3, v2, v3, 0x407ffff
	v_and_b32_e32 v6, 0xff00000, v3
	v_lshrrev_b32_e32 v3, 20, v3
	v_cmp_ne_u32_e32 vcc_lo, 0x7f00000, v6
	v_cndmask_b32_e32 v3, 0x7e, v3, vcc_lo
; %bb.777:
	s_andn2_saveexec_b32 s23, s23
; %bb.778:
	v_add_f32_e64 v3, 0x46800000, |v2|
; %bb.779:
	s_or_b32 exec_lo, exec_lo, s23
                                        ; implicit-def: $vgpr6
.LBB8_780:
	s_andn2_saveexec_b32 s22, s22
; %bb.781:
	v_mov_b32_e32 v3, 0x7f
	v_cmp_lt_u32_e32 vcc_lo, 0x7f800000, v6
	v_cndmask_b32_e32 v3, 0x7e, v3, vcc_lo
; %bb.782:
	s_or_b32 exec_lo, exec_lo, s22
	v_lshrrev_b32_e32 v2, 24, v2
	v_and_or_b32 v2, 0x80, v2, v3
	global_store_byte v[4:5], v2, off
.LBB8_783:
	s_mov_b32 s22, 0
.LBB8_784:
	s_andn2_b32 vcc_lo, exec_lo, s22
	s_cbranch_vccnz .LBB8_794
; %bb.785:
	v_cvt_f32_f64_e32 v2, v[0:1]
	s_mov_b32 s22, exec_lo
                                        ; implicit-def: $vgpr3
	v_and_b32_e32 v6, 0x7fffffff, v2
	v_cmpx_gt_u32_e32 0x47800000, v6
	s_xor_b32 s22, exec_lo, s22
	s_cbranch_execz .LBB8_791
; %bb.786:
	s_mov_b32 s23, exec_lo
                                        ; implicit-def: $vgpr3
	v_cmpx_lt_u32_e32 0x387fffff, v6
	s_xor_b32 s23, exec_lo, s23
; %bb.787:
	v_bfe_u32 v3, v2, 21, 1
	v_add3_u32 v3, v2, v3, 0x80fffff
	v_lshrrev_b32_e32 v3, 21, v3
; %bb.788:
	s_andn2_saveexec_b32 s23, s23
; %bb.789:
	v_add_f32_e64 v3, 0x43000000, |v2|
; %bb.790:
	s_or_b32 exec_lo, exec_lo, s23
                                        ; implicit-def: $vgpr6
.LBB8_791:
	s_andn2_saveexec_b32 s22, s22
; %bb.792:
	v_mov_b32_e32 v3, 0x7f
	v_cmp_lt_u32_e32 vcc_lo, 0x7f800000, v6
	v_cndmask_b32_e32 v3, 0x7c, v3, vcc_lo
; %bb.793:
	s_or_b32 exec_lo, exec_lo, s22
	v_lshrrev_b32_e32 v2, 24, v2
	v_and_or_b32 v2, 0x80, v2, v3
	global_store_byte v[4:5], v2, off
.LBB8_794:
	s_mov_b32 s23, 0
	s_mov_b32 s22, -1
.LBB8_795:
	s_andn2_b32 vcc_lo, exec_lo, s23
	s_cbranch_vccnz .LBB8_803
; %bb.796:
	s_cmp_gt_i32 s21, 14
	s_mov_b32 s23, -1
	s_cbranch_scc0 .LBB8_800
; %bb.797:
	s_cmp_eq_u32 s21, 15
	s_mov_b32 s0, -1
	s_cbranch_scc0 .LBB8_799
; %bb.798:
	v_cvt_f32_f64_e32 v2, v[0:1]
	s_mov_b32 s22, -1
	s_mov_b32 s0, 0
	v_bfe_u32 v3, v2, 16, 1
	v_cmp_o_f32_e32 vcc_lo, v2, v2
	v_add3_u32 v2, v2, v3, 0x7fff
	v_mov_b32_e32 v3, 0x7fc0
	v_cndmask_b32_sdwa v2, v3, v2, vcc_lo dst_sel:DWORD dst_unused:UNUSED_PAD src0_sel:DWORD src1_sel:WORD_1
	global_store_short v[4:5], v2, off
.LBB8_799:
	s_mov_b32 s23, 0
.LBB8_800:
	s_and_b32 vcc_lo, exec_lo, s23
	s_cbranch_vccz .LBB8_803
; %bb.801:
	s_cmp_eq_u32 s21, 11
	s_mov_b32 s0, -1
	s_cbranch_scc0 .LBB8_803
; %bb.802:
	v_cmp_neq_f64_e32 vcc_lo, 0, v[0:1]
	s_mov_b32 s22, -1
	s_mov_b32 s0, 0
	v_cndmask_b32_e64 v2, 0, 1, vcc_lo
	global_store_byte v[4:5], v2, off
.LBB8_803:
	s_mov_b32 s21, 0
.LBB8_804:
	s_and_b32 vcc_lo, exec_lo, s21
	s_cbranch_vccz .LBB8_843
; %bb.805:
	s_and_b32 s1, 0xffff, s1
	s_mov_b32 s21, -1
	s_cmp_lt_i32 s1, 5
	s_cbranch_scc1 .LBB8_826
; %bb.806:
	s_cmp_lt_i32 s1, 8
	s_cbranch_scc1 .LBB8_816
; %bb.807:
	;; [unrolled: 3-line block ×3, first 2 shown]
	s_cmp_gt_i32 s1, 9
	s_cbranch_scc0 .LBB8_810
; %bb.809:
	v_mov_b32_e32 v2, 0
	s_mov_b32 s21, 0
	v_mov_b32_e32 v3, v2
	global_store_dwordx4 v[4:5], v[0:3], off
.LBB8_810:
	s_andn2_b32 vcc_lo, exec_lo, s21
	s_cbranch_vccnz .LBB8_812
; %bb.811:
	v_cvt_f32_f64_e32 v2, v[0:1]
	v_mov_b32_e32 v3, 0
	global_store_dwordx2 v[4:5], v[2:3], off
.LBB8_812:
	s_mov_b32 s21, 0
.LBB8_813:
	s_andn2_b32 vcc_lo, exec_lo, s21
	s_cbranch_vccnz .LBB8_815
; %bb.814:
	v_and_or_b32 v2, 0x1ff, v1, v0
	v_lshrrev_b32_e32 v3, 8, v1
	v_bfe_u32 v6, v1, 20, 11
	v_cmp_ne_u32_e32 vcc_lo, 0, v2
	v_sub_nc_u32_e32 v7, 0x3f1, v6
	v_add_nc_u32_e32 v6, 0xfffffc10, v6
	v_cndmask_b32_e64 v2, 0, 1, vcc_lo
	v_and_or_b32 v2, 0xffe, v3, v2
	v_med3_i32 v3, v7, 0, 13
	v_or_b32_e32 v7, 0x1000, v2
	v_lshrrev_b32_e32 v8, v3, v7
	v_lshlrev_b32_e32 v3, v3, v8
	v_cmp_ne_u32_e32 vcc_lo, v3, v7
	v_lshl_or_b32 v7, v6, 12, v2
	v_cndmask_b32_e64 v3, 0, 1, vcc_lo
	v_cmp_gt_i32_e32 vcc_lo, 1, v6
	v_or_b32_e32 v3, v8, v3
	v_cndmask_b32_e32 v3, v7, v3, vcc_lo
	v_and_b32_e32 v7, 7, v3
	v_lshrrev_b32_e32 v3, 2, v3
	v_cmp_lt_i32_e32 vcc_lo, 5, v7
	v_cndmask_b32_e64 v8, 0, 1, vcc_lo
	v_cmp_eq_u32_e32 vcc_lo, 3, v7
	v_cndmask_b32_e64 v7, 0, 1, vcc_lo
	v_cmp_ne_u32_e32 vcc_lo, 0, v2
	v_or_b32_e32 v7, v7, v8
	v_mov_b32_e32 v8, 0x7e00
	v_add_nc_u32_e32 v3, v3, v7
	v_cndmask_b32_e32 v2, 0x7c00, v8, vcc_lo
	v_cmp_gt_i32_e32 vcc_lo, 31, v6
	v_cndmask_b32_e32 v3, 0x7c00, v3, vcc_lo
	v_cmp_eq_u32_e32 vcc_lo, 0x40f, v6
	v_cndmask_b32_e32 v2, v3, v2, vcc_lo
	v_lshrrev_b32_e32 v3, 16, v1
	v_and_or_b32 v2, 0x8000, v3, v2
	v_and_b32_e32 v2, 0xffff, v2
	global_store_dword v[4:5], v2, off
.LBB8_815:
	s_mov_b32 s21, 0
.LBB8_816:
	s_andn2_b32 vcc_lo, exec_lo, s21
	s_cbranch_vccnz .LBB8_825
; %bb.817:
	s_cmp_lt_i32 s1, 6
	s_mov_b32 s21, -1
	s_cbranch_scc1 .LBB8_823
; %bb.818:
	s_cmp_gt_i32 s1, 6
	s_cbranch_scc0 .LBB8_820
; %bb.819:
	s_mov_b32 s21, 0
	global_store_dwordx2 v[4:5], v[0:1], off
.LBB8_820:
	s_andn2_b32 vcc_lo, exec_lo, s21
	s_cbranch_vccnz .LBB8_822
; %bb.821:
	v_cvt_f32_f64_e32 v2, v[0:1]
	global_store_dword v[4:5], v2, off
.LBB8_822:
	s_mov_b32 s21, 0
.LBB8_823:
	s_andn2_b32 vcc_lo, exec_lo, s21
	s_cbranch_vccnz .LBB8_825
; %bb.824:
	v_and_or_b32 v2, 0x1ff, v1, v0
	v_lshrrev_b32_e32 v3, 8, v1
	v_bfe_u32 v6, v1, 20, 11
	v_cmp_ne_u32_e32 vcc_lo, 0, v2
	v_sub_nc_u32_e32 v7, 0x3f1, v6
	v_add_nc_u32_e32 v6, 0xfffffc10, v6
	v_cndmask_b32_e64 v2, 0, 1, vcc_lo
	v_and_or_b32 v2, 0xffe, v3, v2
	v_med3_i32 v3, v7, 0, 13
	v_or_b32_e32 v7, 0x1000, v2
	v_lshrrev_b32_e32 v8, v3, v7
	v_lshlrev_b32_e32 v3, v3, v8
	v_cmp_ne_u32_e32 vcc_lo, v3, v7
	v_lshl_or_b32 v7, v6, 12, v2
	v_cndmask_b32_e64 v3, 0, 1, vcc_lo
	v_cmp_gt_i32_e32 vcc_lo, 1, v6
	v_or_b32_e32 v3, v8, v3
	v_cndmask_b32_e32 v3, v7, v3, vcc_lo
	v_and_b32_e32 v7, 7, v3
	v_lshrrev_b32_e32 v3, 2, v3
	v_cmp_lt_i32_e32 vcc_lo, 5, v7
	v_cndmask_b32_e64 v8, 0, 1, vcc_lo
	v_cmp_eq_u32_e32 vcc_lo, 3, v7
	v_cndmask_b32_e64 v7, 0, 1, vcc_lo
	v_cmp_ne_u32_e32 vcc_lo, 0, v2
	v_or_b32_e32 v7, v7, v8
	v_mov_b32_e32 v8, 0x7e00
	v_add_nc_u32_e32 v3, v3, v7
	v_cndmask_b32_e32 v2, 0x7c00, v8, vcc_lo
	v_cmp_gt_i32_e32 vcc_lo, 31, v6
	v_cndmask_b32_e32 v3, 0x7c00, v3, vcc_lo
	v_cmp_eq_u32_e32 vcc_lo, 0x40f, v6
	v_cndmask_b32_e32 v2, v3, v2, vcc_lo
	v_lshrrev_b32_e32 v3, 16, v1
	v_and_or_b32 v2, 0x8000, v3, v2
	global_store_short v[4:5], v2, off
.LBB8_825:
	s_mov_b32 s21, 0
.LBB8_826:
	s_andn2_b32 vcc_lo, exec_lo, s21
	s_cbranch_vccnz .LBB8_842
; %bb.827:
	s_cmp_lt_i32 s1, 2
	s_mov_b32 s21, -1
	s_cbranch_scc1 .LBB8_837
; %bb.828:
	s_cmp_lt_i32 s1, 3
	s_cbranch_scc1 .LBB8_834
; %bb.829:
	s_cmp_gt_i32 s1, 3
	s_cbranch_scc0 .LBB8_831
; %bb.830:
	v_trunc_f64_e32 v[2:3], v[0:1]
	s_mov_b32 s21, 0
	v_ldexp_f64 v[6:7], v[2:3], 0xffffffe0
	v_floor_f64_e32 v[6:7], v[6:7]
	v_fma_f64 v[2:3], 0xc1f00000, v[6:7], v[2:3]
	v_cvt_i32_f64_e32 v7, v[6:7]
	v_cvt_u32_f64_e32 v6, v[2:3]
	global_store_dwordx2 v[4:5], v[6:7], off
.LBB8_831:
	s_andn2_b32 vcc_lo, exec_lo, s21
	s_cbranch_vccnz .LBB8_833
; %bb.832:
	v_cvt_i32_f64_e32 v2, v[0:1]
	global_store_dword v[4:5], v2, off
.LBB8_833:
	s_mov_b32 s21, 0
.LBB8_834:
	s_andn2_b32 vcc_lo, exec_lo, s21
	s_cbranch_vccnz .LBB8_836
; %bb.835:
	v_cvt_i32_f64_e32 v2, v[0:1]
	global_store_short v[4:5], v2, off
.LBB8_836:
	s_mov_b32 s21, 0
.LBB8_837:
	s_andn2_b32 vcc_lo, exec_lo, s21
	s_cbranch_vccnz .LBB8_842
; %bb.838:
	s_cmp_gt_i32 s1, 0
	s_mov_b32 s1, -1
	s_cbranch_scc0 .LBB8_840
; %bb.839:
	v_cvt_i32_f64_e32 v2, v[0:1]
	s_mov_b32 s1, 0
	global_store_byte v[4:5], v2, off
.LBB8_840:
	s_andn2_b32 vcc_lo, exec_lo, s1
	s_cbranch_vccnz .LBB8_842
; %bb.841:
	v_trunc_f64_e32 v[0:1], v[0:1]
	v_ldexp_f64 v[2:3], v[0:1], 0xffffffe0
	v_floor_f64_e32 v[2:3], v[2:3]
	v_fma_f64 v[0:1], 0xc1f00000, v[2:3], v[0:1]
	v_cvt_u32_f64_e32 v0, v[0:1]
	global_store_byte v[4:5], v0, off
.LBB8_842:
	s_mov_b32 s22, -1
.LBB8_843:
	s_andn2_b32 vcc_lo, exec_lo, s22
	s_cbranch_vccnz .LBB8_845
; %bb.844:
	v_add_nc_u32_e32 v14, 0x80, v14
	s_mov_b32 s21, -1
	s_branch .LBB8_847
.LBB8_845:
	s_mov_b32 s21, 0
.LBB8_846:
                                        ; implicit-def: $vgpr14
.LBB8_847:
	s_andn2_b32 s1, s17, exec_lo
	s_and_b32 s0, s0, exec_lo
	s_andn2_b32 s22, s16, exec_lo
	s_and_b32 s20, s20, exec_lo
	s_or_b32 s1, s1, s0
	s_or_b32 s0, s22, s20
	s_orn2_b32 s20, s21, exec_lo
.LBB8_848:
	s_or_b32 exec_lo, exec_lo, s19
	s_mov_b32 s21, 0
	s_mov_b32 s22, 0
	;; [unrolled: 1-line block ×3, first 2 shown]
                                        ; implicit-def: $vgpr0_vgpr1
                                        ; implicit-def: $vgpr2_vgpr3
	s_and_saveexec_b32 s19, s20
	s_cbranch_execz .LBB8_933
; %bb.849:
	v_cmp_gt_i32_e32 vcc_lo, s13, v14
	s_mov_b32 s20, 0
	s_mov_b32 s21, s0
	;; [unrolled: 1-line block ×3, first 2 shown]
                                        ; implicit-def: $vgpr0_vgpr1
                                        ; implicit-def: $vgpr2_vgpr3
	s_and_saveexec_b32 s13, vcc_lo
	s_cbranch_execz .LBB8_932
; %bb.850:
	v_mul_lo_u32 v0, v14, s3
	s_and_b32 s20, 0xffff, s6
	s_cmp_lt_i32 s20, 11
	v_ashrrev_i32_e32 v1, 31, v0
	v_add_co_u32 v0, vcc_lo, s10, v0
	v_add_co_ci_u32_e64 v1, null, s11, v1, vcc_lo
	s_cbranch_scc1 .LBB8_857
; %bb.851:
	s_cmp_gt_i32 s20, 25
	s_cbranch_scc0 .LBB8_858
; %bb.852:
	s_cmp_gt_i32 s20, 28
	s_cbranch_scc0 .LBB8_859
	;; [unrolled: 3-line block ×4, first 2 shown]
; %bb.855:
	s_cmp_eq_u32 s20, 46
	s_cbranch_scc0 .LBB8_866
; %bb.856:
	global_load_dword v2, v[0:1], off
	s_mov_b32 s21, 0
	s_mov_b32 s23, -1
	s_waitcnt vmcnt(0)
	v_lshlrev_b32_e32 v2, 16, v2
	v_cvt_f64_f32_e32 v[2:3], v2
	s_branch .LBB8_868
.LBB8_857:
	s_mov_b32 s20, -1
	s_mov_b32 s21, s0
                                        ; implicit-def: $vgpr2_vgpr3
	s_branch .LBB8_931
.LBB8_858:
	s_mov_b32 s24, -1
	s_mov_b32 s21, s0
                                        ; implicit-def: $vgpr2_vgpr3
	s_branch .LBB8_899
.LBB8_859:
	s_mov_b32 s24, -1
	s_mov_b32 s21, s0
                                        ; implicit-def: $vgpr2_vgpr3
	s_branch .LBB8_878
.LBB8_860:
	s_mov_b32 s24, -1
	s_mov_b32 s21, s0
                                        ; implicit-def: $vgpr2_vgpr3
	s_branch .LBB8_873
.LBB8_861:
	s_andn2_saveexec_b32 s24, s24
	s_cbranch_execz .LBB8_756
.LBB8_862:
	v_add_f32_e64 v3, 0x46000000, |v2|
	s_andn2_b32 s23, s23, exec_lo
	v_and_b32_e32 v3, 0xff, v3
	v_cmp_ne_u32_e32 vcc_lo, 0, v3
	s_and_b32 s25, vcc_lo, exec_lo
	s_or_b32 s23, s23, s25
	s_or_b32 exec_lo, exec_lo, s24
	v_mov_b32_e32 v6, 0
	s_and_saveexec_b32 s24, s23
	s_cbranch_execnz .LBB8_757
	s_branch .LBB8_758
.LBB8_863:
	s_mov_b32 s24, -1
	s_mov_b32 s21, s0
	s_branch .LBB8_867
.LBB8_864:
	s_andn2_saveexec_b32 s24, s24
	s_cbranch_execz .LBB8_769
.LBB8_865:
	v_add_f32_e64 v3, 0x42800000, |v2|
	s_andn2_b32 s23, s23, exec_lo
	v_and_b32_e32 v3, 0xff, v3
	v_cmp_ne_u32_e32 vcc_lo, 0, v3
	s_and_b32 s25, vcc_lo, exec_lo
	s_or_b32 s23, s23, s25
	s_or_b32 exec_lo, exec_lo, s24
	v_mov_b32_e32 v6, 0
	s_and_saveexec_b32 s24, s23
	s_cbranch_execnz .LBB8_770
	s_branch .LBB8_771
.LBB8_866:
	s_mov_b32 s21, -1
.LBB8_867:
                                        ; implicit-def: $vgpr2_vgpr3
.LBB8_868:
	s_and_b32 vcc_lo, exec_lo, s24
	s_cbranch_vccz .LBB8_872
; %bb.869:
	s_cmp_eq_u32 s20, 44
	s_cbranch_scc0 .LBB8_871
; %bb.870:
	global_load_ubyte v4, v[0:1], off
	s_mov_b32 s21, 0
	s_mov_b32 s23, -1
	s_waitcnt vmcnt(0)
	v_lshlrev_b32_e32 v2, 23, v4
	v_cmp_ne_u32_e32 vcc_lo, 0xff, v4
	v_cvt_f64_f32_e32 v[2:3], v2
	v_cndmask_b32_e32 v2, 0x20000000, v2, vcc_lo
	v_cndmask_b32_e32 v3, 0x7ff80000, v3, vcc_lo
	v_cmp_ne_u32_e32 vcc_lo, 0, v4
	v_cndmask_b32_e32 v3, 0x38000000, v3, vcc_lo
	v_cndmask_b32_e32 v2, 0, v2, vcc_lo
	s_branch .LBB8_872
.LBB8_871:
	s_mov_b32 s21, -1
                                        ; implicit-def: $vgpr2_vgpr3
.LBB8_872:
	s_mov_b32 s24, 0
.LBB8_873:
	s_and_b32 vcc_lo, exec_lo, s24
	s_cbranch_vccz .LBB8_877
; %bb.874:
	s_cmp_eq_u32 s20, 29
	s_cbranch_scc0 .LBB8_876
; %bb.875:
	global_load_dwordx2 v[2:3], v[0:1], off
	s_mov_b32 s21, 0
	s_mov_b32 s23, -1
	s_mov_b32 s24, 0
	s_waitcnt vmcnt(0)
	v_cvt_f64_u32_e32 v[3:4], v3
	v_cvt_f64_u32_e32 v[5:6], v2
	v_ldexp_f64 v[3:4], v[3:4], 32
	v_add_f64 v[2:3], v[3:4], v[5:6]
	s_branch .LBB8_878
.LBB8_876:
	s_mov_b32 s21, -1
                                        ; implicit-def: $vgpr2_vgpr3
.LBB8_877:
	s_mov_b32 s24, 0
.LBB8_878:
	s_and_b32 vcc_lo, exec_lo, s24
	s_cbranch_vccz .LBB8_898
; %bb.879:
	s_cmp_lt_i32 s20, 27
	s_cbranch_scc1 .LBB8_882
; %bb.880:
	s_cmp_gt_i32 s20, 27
	s_cbranch_scc0 .LBB8_883
; %bb.881:
	global_load_dword v2, v[0:1], off
	s_mov_b32 s23, 0
	s_waitcnt vmcnt(0)
	v_cvt_f64_u32_e32 v[2:3], v2
	s_branch .LBB8_884
.LBB8_882:
	s_mov_b32 s23, -1
                                        ; implicit-def: $vgpr2_vgpr3
	s_branch .LBB8_887
.LBB8_883:
	s_mov_b32 s23, -1
                                        ; implicit-def: $vgpr2_vgpr3
.LBB8_884:
	s_andn2_b32 vcc_lo, exec_lo, s23
	s_cbranch_vccnz .LBB8_886
; %bb.885:
	global_load_ushort v2, v[0:1], off
	s_waitcnt vmcnt(0)
	v_cvt_f64_u32_e32 v[2:3], v2
.LBB8_886:
	s_mov_b32 s23, 0
.LBB8_887:
	s_andn2_b32 vcc_lo, exec_lo, s23
	s_cbranch_vccnz .LBB8_897
; %bb.888:
	global_load_ubyte v4, v[0:1], off
	s_mov_b32 s23, 0
	s_mov_b32 s24, exec_lo
	s_waitcnt vmcnt(0)
	v_cmpx_lt_i16_e32 0x7f, v4
	s_xor_b32 s24, exec_lo, s24
	s_cbranch_execz .LBB8_892
; %bb.889:
	s_mov_b32 s23, -1
	s_mov_b32 s25, exec_lo
	v_cmpx_eq_u16_e32 0x80, v4
; %bb.890:
	s_xor_b32 s23, exec_lo, -1
; %bb.891:
	s_or_b32 exec_lo, exec_lo, s25
	s_and_b32 s23, s23, exec_lo
.LBB8_892:
	s_or_saveexec_b32 s24, s24
	v_bfrev_b32_e32 v2, 4
	v_mov_b32_e32 v3, 0x7ff80000
	s_xor_b32 exec_lo, exec_lo, s24
; %bb.893:
	v_cmp_ne_u16_e32 vcc_lo, 0, v4
	v_mov_b32_e32 v2, 0
	v_mov_b32_e32 v3, 0
	s_andn2_b32 s23, s23, exec_lo
	s_and_b32 s25, vcc_lo, exec_lo
	s_or_b32 s23, s23, s25
; %bb.894:
	s_or_b32 exec_lo, exec_lo, s24
	s_and_saveexec_b32 s24, s23
	s_cbranch_execz .LBB8_896
; %bb.895:
	v_and_b32_e32 v2, 0xffff, v4
	v_lshlrev_b32_e32 v4, 24, v4
	v_and_b32_e32 v3, 7, v2
	v_bfe_u32 v7, v2, 3, 4
	v_ffbh_u32_e32 v5, v3
	v_cmp_eq_u32_e32 vcc_lo, 0, v7
	v_min_u32_e32 v5, 32, v5
	v_subrev_nc_u32_e32 v6, 28, v5
	v_sub_nc_u32_e32 v5, 29, v5
	v_lshlrev_b32_e32 v2, v6, v2
	v_cndmask_b32_e32 v5, v7, v5, vcc_lo
	v_and_b32_e32 v2, 7, v2
	v_cndmask_b32_e32 v2, v3, v2, vcc_lo
	v_and_b32_e32 v3, 0x80000000, v4
	v_lshl_add_u32 v4, v5, 23, 0x3b800000
	v_lshlrev_b32_e32 v2, 20, v2
	v_or3_b32 v2, v3, v4, v2
	v_cvt_f64_f32_e32 v[2:3], v2
.LBB8_896:
	s_or_b32 exec_lo, exec_lo, s24
.LBB8_897:
	s_mov_b32 s23, -1
.LBB8_898:
	s_mov_b32 s24, 0
.LBB8_899:
	s_and_b32 vcc_lo, exec_lo, s24
	s_cbranch_vccz .LBB8_930
; %bb.900:
	s_cmp_gt_i32 s20, 22
	s_cbranch_scc0 .LBB8_912
; %bb.901:
	s_cmp_lt_i32 s20, 24
	s_cbranch_scc1 .LBB8_913
; %bb.902:
	s_cmp_gt_i32 s20, 24
	s_cbranch_scc0 .LBB8_914
; %bb.903:
	global_load_ubyte v4, v[0:1], off
	s_mov_b32 s23, exec_lo
	s_waitcnt vmcnt(0)
	v_cmpx_lt_i16_e32 0x7f, v4
	s_xor_b32 s23, exec_lo, s23
	s_cbranch_execz .LBB8_907
; %bb.904:
	s_mov_b32 s22, -1
	s_mov_b32 s24, exec_lo
	v_cmpx_eq_u16_e32 0x80, v4
; %bb.905:
	s_xor_b32 s22, exec_lo, -1
; %bb.906:
	s_or_b32 exec_lo, exec_lo, s24
	s_and_b32 s22, s22, exec_lo
.LBB8_907:
	s_or_saveexec_b32 s23, s23
	v_bfrev_b32_e32 v2, 4
	v_mov_b32_e32 v3, 0x7ff80000
	s_xor_b32 exec_lo, exec_lo, s23
; %bb.908:
	v_cmp_ne_u16_e32 vcc_lo, 0, v4
	v_mov_b32_e32 v2, 0
	v_mov_b32_e32 v3, 0
	s_andn2_b32 s22, s22, exec_lo
	s_and_b32 s24, vcc_lo, exec_lo
	s_or_b32 s22, s22, s24
; %bb.909:
	s_or_b32 exec_lo, exec_lo, s23
	s_and_saveexec_b32 s23, s22
	s_cbranch_execz .LBB8_911
; %bb.910:
	v_and_b32_e32 v2, 0xffff, v4
	v_lshlrev_b32_e32 v4, 24, v4
	v_and_b32_e32 v3, 3, v2
	v_bfe_u32 v7, v2, 2, 5
	v_ffbh_u32_e32 v5, v3
	v_cmp_eq_u32_e32 vcc_lo, 0, v7
	v_min_u32_e32 v5, 32, v5
	v_subrev_nc_u32_e32 v6, 29, v5
	v_sub_nc_u32_e32 v5, 30, v5
	v_lshlrev_b32_e32 v2, v6, v2
	v_cndmask_b32_e32 v5, v7, v5, vcc_lo
	v_and_b32_e32 v2, 3, v2
	v_cndmask_b32_e32 v2, v3, v2, vcc_lo
	v_and_b32_e32 v3, 0x80000000, v4
	v_lshl_add_u32 v4, v5, 23, 0x37800000
	v_lshlrev_b32_e32 v2, 21, v2
	v_or3_b32 v2, v3, v4, v2
	v_cvt_f64_f32_e32 v[2:3], v2
.LBB8_911:
	s_or_b32 exec_lo, exec_lo, s23
	s_mov_b32 s22, 0
	s_branch .LBB8_915
.LBB8_912:
	s_mov_b32 s22, -1
                                        ; implicit-def: $vgpr2_vgpr3
	s_branch .LBB8_921
.LBB8_913:
	s_mov_b32 s22, -1
                                        ; implicit-def: $vgpr2_vgpr3
	s_branch .LBB8_918
.LBB8_914:
	s_mov_b32 s22, -1
                                        ; implicit-def: $vgpr2_vgpr3
.LBB8_915:
	s_and_b32 vcc_lo, exec_lo, s22
	s_cbranch_vccz .LBB8_917
; %bb.916:
	global_load_ubyte v2, v[0:1], off
	s_waitcnt vmcnt(0)
	v_lshlrev_b32_e32 v2, 24, v2
	v_and_b32_e32 v3, 0x7f000000, v2
	v_ffbh_u32_e32 v4, v3
	v_add_nc_u32_e32 v6, 0x1000000, v3
	v_cmp_ne_u32_e32 vcc_lo, 0, v3
	v_min_u32_e32 v4, 32, v4
	v_sub_nc_u32_e64 v4, v4, 4 clamp
	v_lshlrev_b32_e32 v5, v4, v3
	v_lshlrev_b32_e32 v4, 23, v4
	v_lshrrev_b32_e32 v5, 4, v5
	v_sub_nc_u32_e32 v4, v5, v4
	v_ashrrev_i32_e32 v5, 8, v6
	v_add_nc_u32_e32 v4, 0x3c000000, v4
	v_and_or_b32 v4, 0x7f800000, v5, v4
	v_cndmask_b32_e32 v3, 0, v4, vcc_lo
	v_and_or_b32 v2, 0x80000000, v2, v3
	v_cvt_f64_f32_e32 v[2:3], v2
.LBB8_917:
	s_mov_b32 s22, 0
.LBB8_918:
	s_andn2_b32 vcc_lo, exec_lo, s22
	s_cbranch_vccnz .LBB8_920
; %bb.919:
	global_load_ubyte v2, v[0:1], off
	s_waitcnt vmcnt(0)
	v_lshlrev_b32_e32 v3, 25, v2
	v_lshlrev_b16 v2, 8, v2
	v_lshrrev_b32_e32 v4, 4, v3
	v_and_or_b32 v5, 0x7f00, v2, 0.5
	v_cmp_gt_u32_e32 vcc_lo, 0x8000000, v3
	v_bfe_i32 v2, v2, 0, 16
	v_or_b32_e32 v4, 0x70000000, v4
	v_add_f32_e32 v5, -0.5, v5
	v_mul_f32_e32 v4, 0x7800000, v4
	v_cndmask_b32_e32 v3, v4, v5, vcc_lo
	v_and_or_b32 v2, 0x80000000, v2, v3
	v_cvt_f64_f32_e32 v[2:3], v2
.LBB8_920:
	s_mov_b32 s22, 0
	s_mov_b32 s23, -1
.LBB8_921:
	s_andn2_b32 vcc_lo, exec_lo, s22
	s_mov_b32 s22, 0
	s_cbranch_vccnz .LBB8_930
; %bb.922:
	s_cmp_gt_i32 s20, 14
	s_cbranch_scc0 .LBB8_925
; %bb.923:
	s_cmp_eq_u32 s20, 15
	s_cbranch_scc0 .LBB8_926
; %bb.924:
	global_load_ushort v2, v[0:1], off
	s_mov_b32 s21, 0
	s_mov_b32 s23, -1
	s_waitcnt vmcnt(0)
	v_lshlrev_b32_e32 v2, 16, v2
	v_cvt_f64_f32_e32 v[2:3], v2
	s_branch .LBB8_928
.LBB8_925:
	s_mov_b32 s22, -1
	s_branch .LBB8_927
.LBB8_926:
	s_mov_b32 s21, -1
.LBB8_927:
                                        ; implicit-def: $vgpr2_vgpr3
.LBB8_928:
	s_and_b32 vcc_lo, exec_lo, s22
	s_mov_b32 s22, 0
	s_cbranch_vccz .LBB8_930
; %bb.929:
	s_cmp_lg_u32 s20, 11
	s_mov_b32 s22, -1
	s_cselect_b32 s20, -1, 0
	s_andn2_b32 s21, s21, exec_lo
	s_and_b32 s20, s20, exec_lo
	s_or_b32 s21, s21, s20
.LBB8_930:
	s_mov_b32 s20, 0
.LBB8_931:
	s_andn2_b32 s25, s0, exec_lo
	s_and_b32 s21, s21, exec_lo
	s_and_b32 s23, s23, exec_lo
	;; [unrolled: 1-line block ×4, first 2 shown]
	s_or_b32 s21, s25, s21
.LBB8_932:
	s_or_b32 exec_lo, exec_lo, s13
	s_andn2_b32 s0, s0, exec_lo
	s_and_b32 s13, s21, exec_lo
	s_and_b32 s23, s23, exec_lo
	;; [unrolled: 1-line block ×4, first 2 shown]
	s_or_b32 s0, s0, s13
.LBB8_933:
	s_or_b32 exec_lo, exec_lo, s19
	s_andn2_b32 s13, s17, exec_lo
	s_and_b32 s1, s1, exec_lo
	s_and_b32 s0, s0, exec_lo
	s_or_b32 s17, s13, s1
	s_andn2_b32 s13, s16, exec_lo
	s_and_b32 s20, s23, exec_lo
	s_and_b32 s19, s22, exec_lo
	;; [unrolled: 1-line block ×3, first 2 shown]
	s_or_b32 s16, s13, s0
.LBB8_934:
	s_or_b32 exec_lo, exec_lo, s18
	s_andn2_b32 s0, s12, exec_lo
	s_and_b32 s12, s17, exec_lo
	s_andn2_b32 s13, s14, exec_lo
	s_and_b32 s14, s16, exec_lo
	s_or_b32 s12, s0, s12
	s_and_b32 s0, s20, exec_lo
	s_and_b32 s17, s19, exec_lo
	;; [unrolled: 1-line block ×3, first 2 shown]
	s_or_b32 s14, s13, s14
	s_or_b32 exec_lo, exec_lo, s15
	s_mov_b32 s13, 0
	s_and_saveexec_b32 s1, s14
	s_cbranch_execz .LBB8_286
.LBB8_935:
	s_mov_b32 s13, exec_lo
	s_andn2_b32 s16, s16, exec_lo
	s_trap 2
	s_or_b32 exec_lo, exec_lo, s1
	s_and_saveexec_b32 s1, s16
	s_xor_b32 s1, exec_lo, s1
	s_cbranch_execnz .LBB8_287
.LBB8_936:
	s_or_b32 exec_lo, exec_lo, s1
	s_and_saveexec_b32 s1, s17
	s_cbranch_execz .LBB8_982
.LBB8_937:
	s_sext_i32_i16 s14, s6
	s_cmp_lt_i32 s14, 5
	s_cbranch_scc1 .LBB8_942
; %bb.938:
	s_cmp_lt_i32 s14, 8
	s_cbranch_scc1 .LBB8_943
; %bb.939:
	;; [unrolled: 3-line block ×3, first 2 shown]
	s_cmp_gt_i32 s14, 9
	s_cbranch_scc0 .LBB8_945
; %bb.941:
	global_load_dwordx2 v[2:3], v[0:1], off
	s_mov_b32 s14, 0
	s_branch .LBB8_946
.LBB8_942:
                                        ; implicit-def: $vgpr2_vgpr3
	s_branch .LBB8_963
.LBB8_943:
                                        ; implicit-def: $vgpr2_vgpr3
	s_branch .LBB8_952
.LBB8_944:
	s_mov_b32 s14, -1
                                        ; implicit-def: $vgpr2_vgpr3
	s_branch .LBB8_949
.LBB8_945:
	s_mov_b32 s14, -1
                                        ; implicit-def: $vgpr2_vgpr3
.LBB8_946:
	s_andn2_b32 vcc_lo, exec_lo, s14
	s_cbranch_vccnz .LBB8_948
; %bb.947:
	global_load_dword v2, v[0:1], off
	s_waitcnt vmcnt(0)
	v_cvt_f64_f32_e32 v[2:3], v2
.LBB8_948:
	s_mov_b32 s14, 0
.LBB8_949:
	s_andn2_b32 vcc_lo, exec_lo, s14
	s_cbranch_vccnz .LBB8_951
; %bb.950:
	global_load_dword v2, v[0:1], off
	s_waitcnt vmcnt(0)
	v_cvt_f32_f16_e32 v2, v2
	v_cvt_f64_f32_e32 v[2:3], v2
.LBB8_951:
	s_cbranch_execnz .LBB8_962
.LBB8_952:
	s_sext_i32_i16 s14, s6
	s_cmp_lt_i32 s14, 6
	s_cbranch_scc1 .LBB8_955
; %bb.953:
	s_cmp_gt_i32 s14, 6
	s_cbranch_scc0 .LBB8_956
; %bb.954:
	global_load_dwordx2 v[2:3], v[0:1], off
	s_mov_b32 s14, 0
	s_branch .LBB8_957
.LBB8_955:
	s_mov_b32 s14, -1
                                        ; implicit-def: $vgpr2_vgpr3
	s_branch .LBB8_960
.LBB8_956:
	s_mov_b32 s14, -1
                                        ; implicit-def: $vgpr2_vgpr3
.LBB8_957:
	s_andn2_b32 vcc_lo, exec_lo, s14
	s_cbranch_vccnz .LBB8_959
; %bb.958:
	global_load_dword v2, v[0:1], off
	s_waitcnt vmcnt(0)
	v_cvt_f64_f32_e32 v[2:3], v2
.LBB8_959:
	s_mov_b32 s14, 0
.LBB8_960:
	s_andn2_b32 vcc_lo, exec_lo, s14
	s_cbranch_vccnz .LBB8_962
; %bb.961:
	global_load_ushort v2, v[0:1], off
	s_waitcnt vmcnt(0)
	v_cvt_f32_f16_e32 v2, v2
	v_cvt_f64_f32_e32 v[2:3], v2
.LBB8_962:
	s_cbranch_execnz .LBB8_981
.LBB8_963:
	s_sext_i32_i16 s14, s6
	s_cmp_lt_i32 s14, 2
	s_cbranch_scc1 .LBB8_967
; %bb.964:
	s_cmp_lt_i32 s14, 3
	s_cbranch_scc1 .LBB8_968
; %bb.965:
	s_cmp_gt_i32 s14, 3
	s_cbranch_scc0 .LBB8_969
; %bb.966:
	global_load_dwordx2 v[2:3], v[0:1], off
	s_mov_b32 s14, 0
	s_waitcnt vmcnt(0)
	v_cvt_f64_i32_e32 v[3:4], v3
	v_cvt_f64_u32_e32 v[5:6], v2
	v_ldexp_f64 v[3:4], v[3:4], 32
	v_add_f64 v[2:3], v[3:4], v[5:6]
	s_branch .LBB8_970
.LBB8_967:
                                        ; implicit-def: $vgpr2_vgpr3
	s_branch .LBB8_976
.LBB8_968:
	s_mov_b32 s14, -1
                                        ; implicit-def: $vgpr2_vgpr3
	s_branch .LBB8_973
.LBB8_969:
	s_mov_b32 s14, -1
                                        ; implicit-def: $vgpr2_vgpr3
.LBB8_970:
	s_andn2_b32 vcc_lo, exec_lo, s14
	s_cbranch_vccnz .LBB8_972
; %bb.971:
	global_load_dword v2, v[0:1], off
	s_waitcnt vmcnt(0)
	v_cvt_f64_i32_e32 v[2:3], v2
.LBB8_972:
	s_mov_b32 s14, 0
.LBB8_973:
	s_andn2_b32 vcc_lo, exec_lo, s14
	s_cbranch_vccnz .LBB8_975
; %bb.974:
	global_load_sshort v2, v[0:1], off
	s_waitcnt vmcnt(0)
	v_cvt_f64_i32_e32 v[2:3], v2
.LBB8_975:
	s_cbranch_execnz .LBB8_981
.LBB8_976:
	s_sext_i32_i16 s14, s6
	s_cmp_gt_i32 s14, 0
	s_mov_b32 s14, 0
	s_cbranch_scc0 .LBB8_978
; %bb.977:
	global_load_sbyte v2, v[0:1], off
	s_waitcnt vmcnt(0)
	v_cvt_f64_i32_e32 v[2:3], v2
	s_branch .LBB8_979
.LBB8_978:
	s_mov_b32 s14, -1
                                        ; implicit-def: $vgpr2_vgpr3
.LBB8_979:
	s_andn2_b32 vcc_lo, exec_lo, s14
	s_cbranch_vccnz .LBB8_981
; %bb.980:
	global_load_ubyte v0, v[0:1], off
	s_waitcnt vmcnt(0)
	v_cvt_f64_u32_e32 v[2:3], v0
.LBB8_981:
	s_or_b32 s0, s0, exec_lo
.LBB8_982:
	s_or_b32 exec_lo, exec_lo, s1
	s_mov_b32 s16, 0
	s_mov_b32 s15, 0
                                        ; implicit-def: $sgpr1
                                        ; implicit-def: $vgpr4_vgpr5
                                        ; implicit-def: $vgpr0_vgpr1
	s_and_saveexec_b32 s14, s0
	s_cbranch_execz .LBB8_1014
; %bb.983:
                                        ; implicit-def: $vgpr0_vgpr1
	s_mov_b32 s0, exec_lo
	s_waitcnt vmcnt(0)
	v_cmpx_neq_f64_e32 0, v[2:3]
	s_xor_b32 s15, exec_lo, s0
	s_cbranch_execz .LBB8_1005
; %bb.984:
	v_mov_b32_e32 v4, 0
	v_mov_b32_e32 v5, 0
	s_mov_b32 s1, -1
	s_mov_b32 s16, exec_lo
	v_cmpx_gt_f64_e32 0, v[2:3]
	s_cbranch_execz .LBB8_992
; %bb.985:
	v_trunc_f64_e32 v[0:1], v[2:3]
	v_mov_b32_e32 v4, 0
	v_mov_b32_e32 v5, 0
	s_mov_b32 s1, 0
	s_mov_b32 s17, exec_lo
	v_cmpx_neq_f64_e32 v[2:3], v[0:1]
	s_cbranch_execz .LBB8_991
; %bb.986:
	v_add_f64 v[0:1], v[2:3], -v[0:1]
	s_mov_b32 s1, 0xc00921fb
	s_mov_b32 s0, 0x54442d18
	v_cmp_neq_f64_e64 vcc_lo, 0x7ff00000, |v[2:3]|
	s_mov_b32 s18, exec_lo
                                        ; implicit-def: $vgpr8
                                        ; implicit-def: $vgpr4_vgpr5
                                        ; implicit-def: $vgpr6_vgpr7
	v_mul_f64 v[0:1], |v[0:1]|, s[0:1]
	v_cndmask_b32_e32 v1, 0x80000000, v1, vcc_lo
	v_cndmask_b32_e32 v0, 0, v0, vcc_lo
	v_cmpx_ngt_f64_e64 0x41d00000, |v[0:1]|
	s_xor_b32 s18, exec_lo, s18
	s_cbranch_execz .LBB8_988
; %bb.987:
	v_ldexp_f64 v[4:5], |v[0:1]|, 0xffffff80
	v_cmp_le_f64_e64 vcc_lo, 0x7b000000, |v[0:1]|
	v_trig_preop_f64 v[6:7], |v[0:1]|, 0
	v_and_b32_e32 v8, 0x7fffffff, v1
	v_trig_preop_f64 v[19:20], |v[0:1]|, 2
	v_mov_b32_e32 v27, 0
	s_mov_b32 s1, 0x3ff921fb
	s_mov_b32 s20, 0x33145c07
	s_mov_b32 s21, 0x3c91a626
	v_cndmask_b32_e32 v5, v8, v5, vcc_lo
	v_cndmask_b32_e32 v4, v0, v4, vcc_lo
	v_trig_preop_f64 v[8:9], |v[0:1]|, 1
	v_mul_f64 v[10:11], v[6:7], v[4:5]
	v_mul_f64 v[25:26], v[19:20], v[4:5]
	v_mul_f64 v[12:13], v[8:9], v[4:5]
	v_fma_f64 v[6:7], v[6:7], v[4:5], -v[10:11]
	v_fma_f64 v[8:9], v[8:9], v[4:5], -v[12:13]
	;; [unrolled: 1-line block ×3, first 2 shown]
	v_add_f64 v[15:16], v[12:13], v[6:7]
	v_add_f64 v[17:18], v[15:16], -v[12:13]
	v_add_f64 v[23:24], v[10:11], v[15:16]
	v_add_f64 v[21:22], v[15:16], -v[17:18]
	v_add_f64 v[6:7], v[6:7], -v[17:18]
	v_ldexp_f64 v[17:18], v[23:24], -2
	v_add_f64 v[10:11], v[23:24], -v[10:11]
	v_add_f64 v[12:13], v[12:13], -v[21:22]
	v_add_f64 v[21:22], v[25:26], v[8:9]
	v_cmp_neq_f64_e64 vcc_lo, 0x7ff00000, |v[17:18]|
	v_add_f64 v[10:11], v[15:16], -v[10:11]
	v_add_f64 v[6:7], v[6:7], v[12:13]
	v_fract_f64_e32 v[12:13], v[17:18]
	v_add_f64 v[15:16], v[21:22], v[6:7]
	v_ldexp_f64 v[12:13], v[12:13], 2
	v_add_f64 v[17:18], v[10:11], v[15:16]
	v_cndmask_b32_e32 v13, 0, v13, vcc_lo
	v_cndmask_b32_e32 v12, 0, v12, vcc_lo
	v_add_f64 v[23:24], v[17:18], v[12:13]
	v_add_f64 v[10:11], v[17:18], -v[10:11]
	v_cmp_gt_f64_e32 vcc_lo, 0, v[23:24]
	v_add_f64 v[23:24], v[21:22], -v[25:26]
	v_cndmask_b32_e64 v28, 0, 0x40100000, vcc_lo
	v_add_f64 v[32:33], v[21:22], -v[23:24]
	v_add_f64 v[8:9], v[8:9], -v[23:24]
	v_add_f64 v[12:13], v[12:13], v[27:28]
	v_add_f64 v[28:29], v[15:16], -v[21:22]
	v_add_f64 v[23:24], v[25:26], -v[32:33]
	v_add_f64 v[30:31], v[17:18], v[12:13]
	;; [unrolled: 3-line block ×3, first 2 shown]
	v_cvt_i32_f64_e32 v30, v[30:31]
	v_add_f64 v[21:22], v[21:22], -v[34:35]
	v_cvt_f64_i32_e32 v[28:29], v30
	v_add_f64 v[6:7], v[6:7], v[21:22]
	v_add_f64 v[12:13], v[12:13], -v[28:29]
	v_add_f64 v[6:7], v[8:9], v[6:7]
	v_add_f64 v[8:9], v[15:16], -v[10:11]
	v_add_f64 v[19:20], v[17:18], v[12:13]
	v_add_f64 v[4:5], v[4:5], v[6:7]
	v_add_f64 v[6:7], v[19:20], -v[12:13]
	v_cmp_le_f64_e32 vcc_lo, 0.5, v[19:20]
	v_add_f64 v[4:5], v[8:9], v[4:5]
	v_add_f64 v[6:7], v[17:18], -v[6:7]
	v_cndmask_b32_e64 v28, 0, 0x3ff00000, vcc_lo
	v_add_co_ci_u32_e64 v8, null, 0, v30, vcc_lo
	v_add_f64 v[4:5], v[4:5], v[6:7]
	v_add_f64 v[6:7], v[19:20], -v[27:28]
	v_add_f64 v[9:10], v[6:7], v[4:5]
	v_mul_f64 v[11:12], v[9:10], s[0:1]
	v_add_f64 v[6:7], v[9:10], -v[6:7]
	v_fma_f64 v[15:16], v[9:10], s[0:1], -v[11:12]
	v_add_f64 v[4:5], v[4:5], -v[6:7]
	v_fma_f64 v[6:7], v[9:10], s[20:21], v[15:16]
	v_fma_f64 v[6:7], v[4:5], s[0:1], v[6:7]
	v_add_f64 v[4:5], v[11:12], v[6:7]
	v_add_f64 v[9:10], v[4:5], -v[11:12]
	v_add_f64 v[6:7], v[6:7], -v[9:10]
.LBB8_988:
	s_andn2_saveexec_b32 s0, s18
	s_cbranch_execz .LBB8_990
; %bb.989:
	s_mov_b32 s18, 0x6dc9c883
	s_mov_b32 s19, 0x3fe45f30
	;; [unrolled: 1-line block ×3, first 2 shown]
	v_mul_f64 v[4:5], |v[0:1]|, s[18:19]
	s_mov_b32 s18, 0x54442d18
	s_mov_b32 s19, 0xbff921fb
	;; [unrolled: 1-line block ×3, first 2 shown]
	v_rndne_f64_e32 v[8:9], v[4:5]
	v_fma_f64 v[4:5], v[8:9], s[18:19], |v[0:1]|
	v_mul_f64 v[6:7], v[8:9], s[20:21]
	s_mov_b32 s18, 0x252049c0
	s_mov_b32 s19, 0xb97b839a
	v_fma_f64 v[12:13], v[8:9], s[20:21], v[4:5]
	v_add_f64 v[10:11], v[4:5], v[6:7]
	s_mov_b32 s21, 0x3c91a626
	v_add_f64 v[4:5], v[4:5], -v[10:11]
	v_add_f64 v[10:11], v[10:11], -v[12:13]
	v_add_f64 v[4:5], v[4:5], v[6:7]
	v_fma_f64 v[6:7], v[8:9], s[20:21], v[6:7]
	v_add_f64 v[4:5], v[10:11], v[4:5]
	v_add_f64 v[4:5], v[4:5], -v[6:7]
	v_fma_f64 v[6:7], v[8:9], s[18:19], v[4:5]
	v_cvt_i32_f64_e32 v8, v[8:9]
	v_add_f64 v[4:5], v[12:13], v[6:7]
	v_add_f64 v[10:11], v[4:5], -v[12:13]
	v_add_f64 v[6:7], v[6:7], -v[10:11]
.LBB8_990:
	s_or_b32 exec_lo, exec_lo, s0
	v_mul_f64 v[9:10], v[4:5], v[4:5]
	v_add_f64 v[11:12], v[6:7], v[6:7]
	s_mov_b32 s18, 0xa9a29f71
	s_mov_b32 s20, 0xc751c08c
	;; [unrolled: 1-line block ×4, first 2 shown]
	v_cmp_class_f64_e64 s0, v[0:1], 0x1f8
	v_and_b32_e32 v8, 1, v8
	v_and_b32_e32 v1, 0x80000000, v1
	v_add_f64 v[2:3], -v[2:3], 1.0
	s_mov_b32 s1, exec_lo
	v_cmp_eq_u32_e32 vcc_lo, 0, v8
	v_fma_f64 v[15:16], v[4:5], v[4:5], -v[9:10]
	v_fma_f64 v[11:12], v[4:5], v[11:12], v[15:16]
	v_add_f64 v[9:10], v[9:10], v[11:12]
	v_fma_f64 v[11:12], v[9:10], s[20:21], s[18:19]
	s_mov_b32 s18, 0x90a8aae0
	s_mov_b32 s19, 0x3f17746f
	v_fma_f64 v[11:12], v[9:10], v[11:12], s[18:19]
	s_mov_b32 s18, 0xa6fbf144
	s_mov_b32 s19, 0xbefbb44d
	;; [unrolled: 3-line block ×13, first 2 shown]
	v_mul_f64 v[9:10], v[9:10], v[11:12]
	v_mul_f64 v[11:12], v[4:5], v[9:10]
	v_add_f64 v[15:16], v[4:5], v[11:12]
	v_fma_f64 v[9:10], v[4:5], v[9:10], -v[11:12]
	v_add_f64 v[4:5], v[15:16], -v[4:5]
	v_add_f64 v[6:7], v[6:7], v[9:10]
	v_add_f64 v[4:5], v[11:12], -v[4:5]
	v_add_f64 v[4:5], v[6:7], v[4:5]
	v_add_f64 v[6:7], v[15:16], v[4:5]
	v_rcp_f64_e32 v[9:10], v[6:7]
	v_fma_f64 v[11:12], -v[6:7], v[9:10], 1.0
	v_fma_f64 v[9:10], v[11:12], v[9:10], v[9:10]
	v_fma_f64 v[11:12], -v[6:7], v[9:10], 1.0
	v_fma_f64 v[9:10], v[11:12], v[9:10], v[9:10]
	v_add_f64 v[11:12], v[6:7], -v[15:16]
	v_mul_f64 v[15:16], v[6:7], v[9:10]
	v_add_f64 v[4:5], v[4:5], -v[11:12]
	v_fma_f64 v[11:12], v[9:10], v[6:7], -v[15:16]
	v_fma_f64 v[4:5], v[9:10], v[4:5], v[11:12]
	v_add_f64 v[11:12], v[15:16], v[4:5]
	v_add_f64 v[17:18], -v[11:12], 1.0
	v_add_f64 v[15:16], v[11:12], -v[15:16]
	v_add_f64 v[19:20], -v[17:18], 1.0
	v_add_f64 v[4:5], v[15:16], -v[4:5]
	v_add_f64 v[11:12], v[19:20], -v[11:12]
	v_add_f64 v[4:5], v[4:5], v[11:12]
	v_add_f64 v[4:5], v[17:18], v[4:5]
	v_mul_f64 v[4:5], v[9:10], v[4:5]
	v_add_f64 v[4:5], v[9:10], v[4:5]
	v_xor_b32_e32 v0, 0x80000000, v5
	v_cndmask_b32_e32 v4, v4, v6, vcc_lo
	v_cndmask_b32_e32 v0, v0, v7, vcc_lo
	v_xor_b32_e32 v1, v0, v1
	v_cndmask_b32_e64 v0, 0, v4, s0
	v_cndmask_b32_e64 v1, 0x7ff80000, v1, s0
	v_div_scale_f64 v[4:5], null, v[0:1], v[0:1], s[18:19]
	v_div_scale_f64 v[10:11], vcc_lo, s[18:19], v[0:1], s[18:19]
	v_rcp_f64_e32 v[6:7], v[4:5]
	v_fma_f64 v[8:9], -v[4:5], v[6:7], 1.0
	v_fma_f64 v[6:7], v[6:7], v[8:9], v[6:7]
	v_fma_f64 v[8:9], -v[4:5], v[6:7], 1.0
	v_fma_f64 v[6:7], v[6:7], v[8:9], v[6:7]
	v_mul_f64 v[8:9], v[10:11], v[6:7]
	v_fma_f64 v[4:5], -v[4:5], v[8:9], v[10:11]
	v_div_fmas_f64 v[4:5], v[4:5], v[6:7], v[8:9]
	v_div_fixup_f64 v[4:5], v[4:5], v[0:1], s[18:19]
.LBB8_991:
	s_or_b32 exec_lo, exec_lo, s17
	s_orn2_b32 s1, s1, exec_lo
.LBB8_992:
	s_or_b32 exec_lo, exec_lo, s16
	v_mov_b32_e32 v0, 0
	v_mov_b32_e32 v1, 0x7ff80000
	s_and_saveexec_b32 s0, s1
	s_cbranch_execz .LBB8_1004
; %bb.993:
	s_mov_b32 s1, exec_lo
	v_cmpx_gt_f64_e32 0x40240000, v[2:3]
	s_cbranch_execz .LBB8_997
; %bb.994:
	s_mov_b32 s16, 0
	.p2align	6
.LBB8_995:                              ; =>This Inner Loop Header: Depth=1
	v_div_scale_f64 v[0:1], null, v[2:3], v[2:3], 1.0
	v_div_scale_f64 v[10:11], vcc_lo, 1.0, v[2:3], 1.0
	v_rcp_f64_e32 v[6:7], v[0:1]
	v_fma_f64 v[8:9], -v[0:1], v[6:7], 1.0
	v_fma_f64 v[6:7], v[6:7], v[8:9], v[6:7]
	v_fma_f64 v[8:9], -v[0:1], v[6:7], 1.0
	v_fma_f64 v[6:7], v[6:7], v[8:9], v[6:7]
	v_mul_f64 v[8:9], v[10:11], v[6:7]
	v_fma_f64 v[0:1], -v[0:1], v[8:9], v[10:11]
	v_div_fmas_f64 v[0:1], v[0:1], v[6:7], v[8:9]
	v_div_fixup_f64 v[0:1], v[0:1], v[2:3], 1.0
	v_add_f64 v[2:3], v[2:3], 1.0
	v_add_f64 v[4:5], v[4:5], -v[0:1]
	v_cmp_ngt_f64_e32 vcc_lo, 0x40240000, v[2:3]
	s_or_b32 s16, vcc_lo, s16
	s_andn2_b32 exec_lo, exec_lo, s16
	s_cbranch_execnz .LBB8_995
; %bb.996:
	s_or_b32 exec_lo, exec_lo, s16
.LBB8_997:
	s_or_b32 exec_lo, exec_lo, s1
	s_mov_b32 s1, exec_lo
                                        ; implicit-def: $vgpr0_vgpr1
	v_cmpx_neq_f64_e32 0x40240000, v[2:3]
	s_xor_b32 s1, exec_lo, s1
	s_cbranch_execz .LBB8_1001
; %bb.998:
	s_mov_b32 s16, 0x85d8a000
	s_mov_b32 s17, 0x43763457
	v_mov_b32_e32 v0, 0
	v_cmp_gt_f64_e32 vcc_lo, s[16:17], v[2:3]
	v_mov_b32_e32 v1, 0
	s_and_saveexec_b32 s16, vcc_lo
	s_cbranch_execz .LBB8_1000
; %bb.999:
	v_mul_f64 v[0:1], v[2:3], v[2:3]
	s_mov_b32 s18, 0x55555555
	s_mov_b32 s19, 0x3fb55555
	;; [unrolled: 1-line block ×6, first 2 shown]
	v_div_scale_f64 v[6:7], null, v[0:1], v[0:1], 1.0
	v_rcp_f64_e32 v[8:9], v[6:7]
	v_fma_f64 v[10:11], -v[6:7], v[8:9], 1.0
	v_fma_f64 v[8:9], v[8:9], v[10:11], v[8:9]
	v_fma_f64 v[10:11], -v[6:7], v[8:9], 1.0
	v_fma_f64 v[8:9], v[8:9], v[10:11], v[8:9]
	v_div_scale_f64 v[10:11], vcc_lo, 1.0, v[0:1], 1.0
	v_mul_f64 v[12:13], v[10:11], v[8:9]
	v_fma_f64 v[6:7], -v[6:7], v[12:13], v[10:11]
	v_div_fmas_f64 v[6:7], v[6:7], v[8:9], v[12:13]
	v_div_fixup_f64 v[0:1], v[6:7], v[0:1], 1.0
	v_fma_f64 v[6:7], v[0:1], 0, s[18:19]
	v_fma_f64 v[6:7], v[0:1], v[6:7], s[20:21]
	s_mov_b32 s20, 0xf07c1f08
	s_mov_b32 s21, 0x3f7f07c1
	v_fma_f64 v[6:7], v[0:1], v[6:7], s[20:21]
	s_mov_b32 s21, 0xbf711111
	s_mov_b32 s20, 0x11111111
	v_fma_f64 v[6:7], v[0:1], v[6:7], s[20:21]
	s_mov_b32 s21, 0xbf811111
	v_fma_f64 v[6:7], v[0:1], v[6:7], s[22:23]
	v_fma_f64 v[6:7], v[0:1], v[6:7], s[20:21]
	v_fma_f64 v[6:7], v[0:1], v[6:7], s[18:19]
	v_mul_f64 v[0:1], v[0:1], v[6:7]
.LBB8_1000:
	s_or_b32 exec_lo, exec_lo, s16
	v_frexp_mant_f64_e32 v[6:7], v[2:3]
	s_mov_b32 s17, 0x3fe55555
	s_mov_b32 s16, 0x55555555
	;; [unrolled: 1-line block ×6, first 2 shown]
	v_div_scale_f64 v[23:24], null, v[2:3], v[2:3], -0.5
	v_cmp_gt_f64_e32 vcc_lo, s[16:17], v[6:7]
	s_mov_b32 s16, 0x55555780
	v_rcp_f64_e32 v[27:28], v[23:24]
	v_cndmask_b32_e64 v8, 0, 1, vcc_lo
	v_ldexp_f64 v[6:7], v[6:7], v8
	v_add_f64 v[8:9], v[6:7], 1.0
	v_add_f64 v[15:16], v[6:7], -1.0
	v_rcp_f64_e32 v[10:11], v[8:9]
	v_add_f64 v[17:18], v[8:9], -1.0
	v_add_f64 v[6:7], v[6:7], -v[17:18]
	v_fma_f64 v[12:13], -v[8:9], v[10:11], 1.0
	v_fma_f64 v[10:11], v[12:13], v[10:11], v[10:11]
	v_fma_f64 v[12:13], -v[8:9], v[10:11], 1.0
	v_fma_f64 v[10:11], v[12:13], v[10:11], v[10:11]
	v_mul_f64 v[12:13], v[15:16], v[10:11]
	v_mul_f64 v[19:20], v[8:9], v[12:13]
	v_fma_f64 v[8:9], v[12:13], v[8:9], -v[19:20]
	v_fma_f64 v[6:7], v[12:13], v[6:7], v[8:9]
	v_add_f64 v[8:9], v[19:20], v[6:7]
	v_add_f64 v[17:18], v[15:16], -v[8:9]
	v_add_f64 v[19:20], v[8:9], -v[19:20]
	;; [unrolled: 1-line block ×4, first 2 shown]
	v_frexp_exp_i32_f64_e32 v19, v[2:3]
	v_add_f64 v[8:9], v[15:16], -v[8:9]
	v_add_f64 v[6:7], v[6:7], v[8:9]
	v_add_f64 v[6:7], v[17:18], v[6:7]
	v_mul_f64 v[6:7], v[10:11], v[6:7]
	v_add_f64 v[8:9], v[12:13], v[6:7]
	v_mul_f64 v[10:11], v[8:9], v[8:9]
	v_fma_f64 v[15:16], v[10:11], s[20:21], s[18:19]
	s_mov_b32 s18, 0xd7f4df2e
	s_mov_b32 s19, 0x3fc7474d
	v_mul_f64 v[17:18], v[8:9], v[10:11]
	v_fma_f64 v[15:16], v[10:11], v[15:16], s[18:19]
	s_mov_b32 s18, 0x16291751
	s_mov_b32 s19, 0x3fcc71c0
	v_fma_f64 v[15:16], v[10:11], v[15:16], s[18:19]
	s_mov_b32 s18, 0x9b27acf1
	s_mov_b32 s19, 0x3fd24924
	;; [unrolled: 3-line block ×3, first 2 shown]
	v_fma_f64 v[15:16], v[10:11], v[15:16], s[18:19]
	v_fma_f64 v[10:11], v[10:11], v[15:16], s[16:17]
	v_ldexp_f64 v[15:16], v[8:9], 1
	v_add_f64 v[8:9], v[8:9], -v[12:13]
	s_mov_b32 s16, 0xfefa39ef
	s_mov_b32 s17, 0x3fe62e42
	v_mul_f64 v[10:11], v[17:18], v[10:11]
	v_subrev_co_ci_u32_e64 v17, null, 0, v19, vcc_lo
	v_add_f64 v[6:7], v[6:7], -v[8:9]
	v_cvt_f64_i32_e32 v[17:18], v17
	v_add_f64 v[12:13], v[15:16], v[10:11]
	v_ldexp_f64 v[6:7], v[6:7], 1
	v_mul_f64 v[19:20], v[17:18], s[16:17]
	v_add_f64 v[8:9], v[12:13], -v[15:16]
	v_fma_f64 v[15:16], v[17:18], s[16:17], -v[19:20]
	s_mov_b32 s16, 0x3b39803f
	s_mov_b32 s17, 0x3c7abc9e
	v_add_f64 v[8:9], v[10:11], -v[8:9]
	v_fma_f64 v[10:11], v[17:18], s[16:17], v[15:16]
	v_add_f64 v[6:7], v[6:7], v[8:9]
	v_add_f64 v[8:9], v[19:20], v[10:11]
	;; [unrolled: 1-line block ×3, first 2 shown]
	v_add_f64 v[19:20], v[8:9], -v[19:20]
	v_add_f64 v[17:18], v[8:9], v[15:16]
	v_add_f64 v[12:13], v[15:16], -v[12:13]
	v_add_f64 v[10:11], v[10:11], -v[19:20]
	;; [unrolled: 1-line block ×6, first 2 shown]
	v_fma_f64 v[15:16], -v[23:24], v[27:28], 1.0
	v_add_f64 v[19:20], v[10:11], v[6:7]
	v_add_f64 v[8:9], v[8:9], -v[25:26]
	v_add_f64 v[8:9], v[12:13], v[8:9]
	v_fma_f64 v[12:13], v[27:28], v[15:16], v[27:28]
	v_add_f64 v[15:16], v[19:20], -v[10:11]
	v_div_scale_f64 v[27:28], vcc_lo, -0.5, v[2:3], -0.5
	v_add_f64 v[8:9], v[19:20], v[8:9]
	v_fma_f64 v[21:22], -v[23:24], v[12:13], 1.0
	v_add_f64 v[19:20], v[19:20], -v[15:16]
	v_add_f64 v[6:7], v[6:7], -v[15:16]
	v_add_f64 v[25:26], v[17:18], v[8:9]
	v_fma_f64 v[12:13], v[12:13], v[21:22], v[12:13]
	v_add_f64 v[10:11], v[10:11], -v[19:20]
	v_add_f64 v[15:16], v[25:26], -v[17:18]
	v_mul_f64 v[17:18], v[27:28], v[12:13]
	v_add_f64 v[6:7], v[6:7], v[10:11]
	v_add_f64 v[8:9], v[8:9], -v[15:16]
	v_fma_f64 v[10:11], -v[23:24], v[17:18], v[27:28]
	v_add_f64 v[6:7], v[6:7], v[8:9]
	v_div_fmas_f64 v[8:9], v[10:11], v[12:13], v[17:18]
	v_cmp_class_f64_e64 vcc_lo, v[2:3], 0x204
	v_add_f64 v[6:7], v[25:26], v[6:7]
	v_div_fixup_f64 v[8:9], v[8:9], v[2:3], -0.5
	v_cndmask_b32_e32 v3, v7, v3, vcc_lo
	v_cndmask_b32_e32 v2, v6, v2, vcc_lo
	v_add_f64 v[2:3], v[2:3], v[8:9]
	v_add_f64 v[0:1], v[2:3], -v[0:1]
	v_add_f64 v[0:1], v[4:5], v[0:1]
                                        ; implicit-def: $vgpr4_vgpr5
.LBB8_1001:
	s_andn2_saveexec_b32 s1, s1
; %bb.1002:
	s_mov_b32 s16, 0xdc85cc95
	s_mov_b32 s17, 0x40020396
	v_add_f64 v[0:1], v[4:5], s[16:17]
; %bb.1003:
	s_or_b32 exec_lo, exec_lo, s1
.LBB8_1004:
	s_or_b32 exec_lo, exec_lo, s0
                                        ; implicit-def: $vgpr2_vgpr3
.LBB8_1005:
	s_andn2_saveexec_b32 s0, s15
; %bb.1006:
	v_xor_b32_e32 v0, 0x80000000, v3
	s_mov_b32 s1, 0x7ff00000
	v_bfi_b32 v1, 0x7fffffff, s1, v0
	v_mov_b32_e32 v0, 0
; %bb.1007:
	s_or_b32 exec_lo, exec_lo, s0
	v_mul_lo_u32 v2, v14, s2
	s_and_b32 s1, s4, 0xff
	s_cmp_lt_i32 s1, 11
	v_ashrrev_i32_e32 v3, 31, v2
	v_add_co_u32 v4, vcc_lo, s8, v2
	v_add_co_ci_u32_e64 v5, null, s9, v3, vcc_lo
	s_cbranch_scc1 .LBB8_1017
; %bb.1008:
	s_and_b32 s15, 0xffff, s1
	s_mov_b32 s16, -1
	s_cmp_gt_i32 s15, 25
	s_mov_b32 s0, s12
	s_cbranch_scc0 .LBB8_1045
; %bb.1009:
	s_cmp_gt_i32 s15, 28
	s_mov_b32 s0, s12
	s_cbranch_scc0 .LBB8_1029
; %bb.1010:
	;; [unrolled: 4-line block ×4, first 2 shown]
	s_cmp_eq_u32 s15, 46
	s_mov_b32 s0, -1
	s_cbranch_scc0 .LBB8_1018
; %bb.1013:
	v_cvt_f32_f64_e32 v2, v[0:1]
	s_mov_b32 s0, 0
	s_mov_b32 s16, 0
	v_bfe_u32 v3, v2, 16, 1
	v_cmp_o_f32_e32 vcc_lo, v2, v2
	v_add3_u32 v2, v2, v3, 0x7fff
	v_mov_b32_e32 v3, 0x7fc0
	v_cndmask_b32_sdwa v2, v3, v2, vcc_lo dst_sel:DWORD dst_unused:UNUSED_PAD src0_sel:DWORD src1_sel:WORD_1
	global_store_dword v[4:5], v2, off
	s_branch .LBB8_1019
.LBB8_1014:
	s_or_b32 exec_lo, exec_lo, s14
	s_and_saveexec_b32 s0, s12
	s_cbranch_execnz .LBB8_1087
.LBB8_1015:
	s_or_b32 exec_lo, exec_lo, s0
	s_and_saveexec_b32 s0, s16
	s_xor_b32 s0, exec_lo, s0
	s_cbranch_execz .LBB8_1088
.LBB8_1016:
	v_cmp_neq_f64_e32 vcc_lo, 0, v[0:1]
	s_waitcnt vmcnt(0)
	v_cndmask_b32_e64 v2, 0, 1, vcc_lo
	global_store_byte v[4:5], v2, off
	s_or_b32 exec_lo, exec_lo, s0
	s_and_saveexec_b32 s0, s15
	s_xor_b32 s0, exec_lo, s0
	s_cbranch_execz .LBB8_1126
	s_branch .LBB8_1089
.LBB8_1017:
	s_mov_b32 s17, 0
	s_mov_b32 s16, -1
	s_mov_b32 s0, s12
	s_branch .LBB8_1086
.LBB8_1018:
	s_mov_b32 s16, 0
.LBB8_1019:
	s_and_b32 vcc_lo, exec_lo, s16
	s_cbranch_vccz .LBB8_1024
; %bb.1020:
	s_cmp_eq_u32 s15, 44
	s_mov_b32 s0, -1
	s_cbranch_scc0 .LBB8_1024
; %bb.1021:
	v_cvt_f32_f64_e32 v2, v[0:1]
	v_mov_b32_e32 v3, 0xff
	s_mov_b32 s16, exec_lo
	v_bfe_u32 v6, v2, 23, 8
	v_cmpx_ne_u32_e32 0xff, v6
	s_cbranch_execz .LBB8_1023
; %bb.1022:
	v_and_b32_e32 v3, 0x400000, v2
	v_and_or_b32 v6, 0x3fffff, v2, v6
	v_lshrrev_b32_e32 v2, 23, v2
	v_cmp_ne_u32_e32 vcc_lo, 0, v3
	v_cmp_ne_u32_e64 s0, 0, v6
	s_and_b32 s0, vcc_lo, s0
	v_cndmask_b32_e64 v3, 0, 1, s0
	v_add_nc_u32_e32 v3, v2, v3
.LBB8_1023:
	s_or_b32 exec_lo, exec_lo, s16
	s_mov_b32 s0, 0
	global_store_byte v[4:5], v3, off
.LBB8_1024:
	s_mov_b32 s16, 0
.LBB8_1025:
	s_and_b32 vcc_lo, exec_lo, s16
	s_cbranch_vccz .LBB8_1028
; %bb.1026:
	s_cmp_eq_u32 s15, 29
	s_mov_b32 s0, -1
	s_cbranch_scc0 .LBB8_1028
; %bb.1027:
	v_trunc_f64_e32 v[2:3], v[0:1]
	s_mov_b32 s0, 0
	s_mov_b32 s16, 0
	v_ldexp_f64 v[6:7], v[2:3], 0xffffffe0
	v_floor_f64_e32 v[6:7], v[6:7]
	v_fma_f64 v[2:3], 0xc1f00000, v[6:7], v[2:3]
	v_cvt_u32_f64_e32 v7, v[6:7]
	v_cvt_u32_f64_e32 v6, v[2:3]
	global_store_dwordx2 v[4:5], v[6:7], off
	s_branch .LBB8_1029
.LBB8_1028:
	s_mov_b32 s16, 0
.LBB8_1029:
	s_and_b32 vcc_lo, exec_lo, s16
	s_cbranch_vccz .LBB8_1044
; %bb.1030:
	s_cmp_lt_i32 s15, 27
	s_mov_b32 s16, -1
	s_cbranch_scc1 .LBB8_1036
; %bb.1031:
	v_cvt_u32_f64_e32 v2, v[0:1]
	s_cmp_gt_i32 s15, 27
	s_cbranch_scc0 .LBB8_1033
; %bb.1032:
	s_mov_b32 s16, 0
	global_store_dword v[4:5], v2, off
.LBB8_1033:
	s_andn2_b32 vcc_lo, exec_lo, s16
	s_cbranch_vccnz .LBB8_1035
; %bb.1034:
	global_store_short v[4:5], v2, off
.LBB8_1035:
	s_mov_b32 s16, 0
.LBB8_1036:
	s_andn2_b32 vcc_lo, exec_lo, s16
	s_cbranch_vccnz .LBB8_1044
; %bb.1037:
	v_cvt_f32_f64_e32 v2, v[0:1]
	v_mov_b32_e32 v6, 0x80
	s_mov_b32 s16, exec_lo
	v_and_b32_e32 v3, 0x7fffffff, v2
	v_cmpx_gt_u32_e32 0x43800000, v3
	s_cbranch_execz .LBB8_1043
; %bb.1038:
	v_cmp_lt_u32_e32 vcc_lo, 0x3bffffff, v3
	s_mov_b32 s17, 0
                                        ; implicit-def: $vgpr3
	s_and_saveexec_b32 s18, vcc_lo
	s_xor_b32 s18, exec_lo, s18
	s_cbranch_execz .LBB8_1141
; %bb.1039:
	v_bfe_u32 v3, v2, 20, 1
	s_mov_b32 s17, exec_lo
	v_add3_u32 v3, v2, v3, 0x487ffff
	v_lshrrev_b32_e32 v3, 20, v3
	s_andn2_saveexec_b32 s18, s18
	s_cbranch_execnz .LBB8_1142
.LBB8_1040:
	s_or_b32 exec_lo, exec_lo, s18
	v_mov_b32_e32 v6, 0
	s_and_saveexec_b32 s18, s17
.LBB8_1041:
	v_lshrrev_b32_e32 v2, 24, v2
	v_and_or_b32 v6, 0x80, v2, v3
.LBB8_1042:
	s_or_b32 exec_lo, exec_lo, s18
.LBB8_1043:
	s_or_b32 exec_lo, exec_lo, s16
	global_store_byte v[4:5], v6, off
.LBB8_1044:
	s_mov_b32 s16, 0
.LBB8_1045:
	s_and_b32 vcc_lo, exec_lo, s16
	s_mov_b32 s16, 0
	s_cbranch_vccz .LBB8_1085
; %bb.1046:
	s_cmp_gt_i32 s15, 22
	s_mov_b32 s17, -1
	s_cbranch_scc0 .LBB8_1078
; %bb.1047:
	s_cmp_lt_i32 s15, 24
	s_cbranch_scc1 .LBB8_1067
; %bb.1048:
	s_cmp_gt_i32 s15, 24
	s_cbranch_scc0 .LBB8_1056
; %bb.1049:
	v_cvt_f32_f64_e32 v2, v[0:1]
	v_mov_b32_e32 v6, 0x80
	s_mov_b32 s17, exec_lo
	v_and_b32_e32 v3, 0x7fffffff, v2
	v_cmpx_gt_u32_e32 0x47800000, v3
	s_cbranch_execz .LBB8_1055
; %bb.1050:
	v_cmp_lt_u32_e32 vcc_lo, 0x37ffffff, v3
	s_mov_b32 s18, 0
                                        ; implicit-def: $vgpr3
	s_and_saveexec_b32 s19, vcc_lo
	s_xor_b32 s19, exec_lo, s19
	s_cbranch_execz .LBB8_1291
; %bb.1051:
	v_bfe_u32 v3, v2, 21, 1
	s_mov_b32 s18, exec_lo
	v_add3_u32 v3, v2, v3, 0x88fffff
	v_lshrrev_b32_e32 v3, 21, v3
	s_andn2_saveexec_b32 s19, s19
	s_cbranch_execnz .LBB8_1292
.LBB8_1052:
	s_or_b32 exec_lo, exec_lo, s19
	v_mov_b32_e32 v6, 0
	s_and_saveexec_b32 s19, s18
.LBB8_1053:
	v_lshrrev_b32_e32 v2, 24, v2
	v_and_or_b32 v6, 0x80, v2, v3
.LBB8_1054:
	s_or_b32 exec_lo, exec_lo, s19
.LBB8_1055:
	s_or_b32 exec_lo, exec_lo, s17
	s_mov_b32 s17, 0
	global_store_byte v[4:5], v6, off
.LBB8_1056:
	s_and_b32 vcc_lo, exec_lo, s17
	s_cbranch_vccz .LBB8_1066
; %bb.1057:
	v_cvt_f32_f64_e32 v2, v[0:1]
	s_mov_b32 s17, exec_lo
                                        ; implicit-def: $vgpr3
	v_and_b32_e32 v6, 0x7fffffff, v2
	v_cmpx_gt_u32_e32 0x43f00000, v6
	s_xor_b32 s17, exec_lo, s17
	s_cbranch_execz .LBB8_1063
; %bb.1058:
	s_mov_b32 s18, exec_lo
                                        ; implicit-def: $vgpr3
	v_cmpx_lt_u32_e32 0x3c7fffff, v6
	s_xor_b32 s18, exec_lo, s18
; %bb.1059:
	v_bfe_u32 v3, v2, 20, 1
	v_add3_u32 v3, v2, v3, 0x407ffff
	v_and_b32_e32 v6, 0xff00000, v3
	v_lshrrev_b32_e32 v3, 20, v3
	v_cmp_ne_u32_e32 vcc_lo, 0x7f00000, v6
	v_cndmask_b32_e32 v3, 0x7e, v3, vcc_lo
; %bb.1060:
	s_andn2_saveexec_b32 s18, s18
; %bb.1061:
	v_add_f32_e64 v3, 0x46800000, |v2|
; %bb.1062:
	s_or_b32 exec_lo, exec_lo, s18
                                        ; implicit-def: $vgpr6
.LBB8_1063:
	s_andn2_saveexec_b32 s17, s17
; %bb.1064:
	v_mov_b32_e32 v3, 0x7f
	v_cmp_lt_u32_e32 vcc_lo, 0x7f800000, v6
	v_cndmask_b32_e32 v3, 0x7e, v3, vcc_lo
; %bb.1065:
	s_or_b32 exec_lo, exec_lo, s17
	v_lshrrev_b32_e32 v2, 24, v2
	v_and_or_b32 v2, 0x80, v2, v3
	global_store_byte v[4:5], v2, off
.LBB8_1066:
	s_mov_b32 s17, 0
.LBB8_1067:
	s_andn2_b32 vcc_lo, exec_lo, s17
	s_cbranch_vccnz .LBB8_1077
; %bb.1068:
	v_cvt_f32_f64_e32 v2, v[0:1]
	s_mov_b32 s17, exec_lo
                                        ; implicit-def: $vgpr3
	v_and_b32_e32 v6, 0x7fffffff, v2
	v_cmpx_gt_u32_e32 0x47800000, v6
	s_xor_b32 s17, exec_lo, s17
	s_cbranch_execz .LBB8_1074
; %bb.1069:
	s_mov_b32 s18, exec_lo
                                        ; implicit-def: $vgpr3
	v_cmpx_lt_u32_e32 0x387fffff, v6
	s_xor_b32 s18, exec_lo, s18
; %bb.1070:
	v_bfe_u32 v3, v2, 21, 1
	v_add3_u32 v3, v2, v3, 0x80fffff
	v_lshrrev_b32_e32 v3, 21, v3
; %bb.1071:
	s_andn2_saveexec_b32 s18, s18
; %bb.1072:
	v_add_f32_e64 v3, 0x43000000, |v2|
; %bb.1073:
	s_or_b32 exec_lo, exec_lo, s18
                                        ; implicit-def: $vgpr6
.LBB8_1074:
	s_andn2_saveexec_b32 s17, s17
; %bb.1075:
	v_mov_b32_e32 v3, 0x7f
	v_cmp_lt_u32_e32 vcc_lo, 0x7f800000, v6
	v_cndmask_b32_e32 v3, 0x7c, v3, vcc_lo
; %bb.1076:
	s_or_b32 exec_lo, exec_lo, s17
	v_lshrrev_b32_e32 v2, 24, v2
	v_and_or_b32 v2, 0x80, v2, v3
	global_store_byte v[4:5], v2, off
.LBB8_1077:
	s_mov_b32 s17, 0
.LBB8_1078:
	s_andn2_b32 vcc_lo, exec_lo, s17
	s_mov_b32 s17, 0
	s_cbranch_vccnz .LBB8_1086
; %bb.1079:
	s_cmp_gt_i32 s15, 14
	s_mov_b32 s17, -1
	s_cbranch_scc0 .LBB8_1083
; %bb.1080:
	s_cmp_eq_u32 s15, 15
	s_mov_b32 s0, -1
	s_cbranch_scc0 .LBB8_1082
; %bb.1081:
	v_cvt_f32_f64_e32 v2, v[0:1]
	s_mov_b32 s0, 0
	v_bfe_u32 v3, v2, 16, 1
	v_cmp_o_f32_e32 vcc_lo, v2, v2
	v_add3_u32 v2, v2, v3, 0x7fff
	v_mov_b32_e32 v3, 0x7fc0
	v_cndmask_b32_sdwa v2, v3, v2, vcc_lo dst_sel:DWORD dst_unused:UNUSED_PAD src0_sel:DWORD src1_sel:WORD_1
	global_store_short v[4:5], v2, off
.LBB8_1082:
	s_mov_b32 s17, 0
.LBB8_1083:
	s_and_b32 vcc_lo, exec_lo, s17
	s_mov_b32 s17, 0
	s_cbranch_vccz .LBB8_1086
; %bb.1084:
	s_cmp_lg_u32 s15, 11
	s_mov_b32 s17, -1
	s_cselect_b32 s15, -1, 0
	s_andn2_b32 s0, s0, exec_lo
	s_and_b32 s15, s15, exec_lo
	s_or_b32 s0, s0, s15
	s_branch .LBB8_1086
.LBB8_1085:
	s_mov_b32 s17, 0
.LBB8_1086:
	s_andn2_b32 s12, s12, exec_lo
	s_and_b32 s0, s0, exec_lo
	s_and_b32 s15, s16, exec_lo
	;; [unrolled: 1-line block ×3, first 2 shown]
	s_or_b32 s12, s12, s0
	s_or_b32 exec_lo, exec_lo, s14
	s_and_saveexec_b32 s0, s12
	s_cbranch_execz .LBB8_1015
.LBB8_1087:
	s_or_b32 s13, s13, exec_lo
	s_andn2_b32 s16, s16, exec_lo
	s_trap 2
	s_or_b32 exec_lo, exec_lo, s0
	s_and_saveexec_b32 s0, s16
	s_xor_b32 s0, exec_lo, s0
	s_cbranch_execnz .LBB8_1016
.LBB8_1088:
	s_or_b32 exec_lo, exec_lo, s0
	s_and_saveexec_b32 s0, s15
	s_xor_b32 s0, exec_lo, s0
	s_cbranch_execz .LBB8_1126
.LBB8_1089:
	s_sext_i32_i16 s14, s1
	s_mov_b32 s12, -1
	s_cmp_lt_i32 s14, 5
	s_cbranch_scc1 .LBB8_1110
; %bb.1090:
	s_cmp_lt_i32 s14, 8
	s_cbranch_scc1 .LBB8_1100
; %bb.1091:
	;; [unrolled: 3-line block ×3, first 2 shown]
	s_cmp_gt_i32 s14, 9
	s_cbranch_scc0 .LBB8_1094
; %bb.1093:
	s_waitcnt vmcnt(0)
	v_mov_b32_e32 v2, 0
	s_mov_b32 s12, 0
	v_mov_b32_e32 v3, v2
	global_store_dwordx4 v[4:5], v[0:3], off
.LBB8_1094:
	s_andn2_b32 vcc_lo, exec_lo, s12
	s_cbranch_vccnz .LBB8_1096
; %bb.1095:
	s_waitcnt vmcnt(0)
	v_cvt_f32_f64_e32 v2, v[0:1]
	v_mov_b32_e32 v3, 0
	global_store_dwordx2 v[4:5], v[2:3], off
.LBB8_1096:
	s_mov_b32 s12, 0
.LBB8_1097:
	s_andn2_b32 vcc_lo, exec_lo, s12
	s_cbranch_vccnz .LBB8_1099
; %bb.1098:
	s_waitcnt vmcnt(0)
	v_and_or_b32 v2, 0x1ff, v1, v0
	v_lshrrev_b32_e32 v3, 8, v1
	v_bfe_u32 v6, v1, 20, 11
	v_cmp_ne_u32_e32 vcc_lo, 0, v2
	v_sub_nc_u32_e32 v7, 0x3f1, v6
	v_add_nc_u32_e32 v6, 0xfffffc10, v6
	v_cndmask_b32_e64 v2, 0, 1, vcc_lo
	v_and_or_b32 v2, 0xffe, v3, v2
	v_med3_i32 v3, v7, 0, 13
	v_or_b32_e32 v7, 0x1000, v2
	v_lshrrev_b32_e32 v8, v3, v7
	v_lshlrev_b32_e32 v3, v3, v8
	v_cmp_ne_u32_e32 vcc_lo, v3, v7
	v_lshl_or_b32 v7, v6, 12, v2
	v_cndmask_b32_e64 v3, 0, 1, vcc_lo
	v_cmp_gt_i32_e32 vcc_lo, 1, v6
	v_or_b32_e32 v3, v8, v3
	v_cndmask_b32_e32 v3, v7, v3, vcc_lo
	v_and_b32_e32 v7, 7, v3
	v_lshrrev_b32_e32 v3, 2, v3
	v_cmp_lt_i32_e32 vcc_lo, 5, v7
	v_cndmask_b32_e64 v8, 0, 1, vcc_lo
	v_cmp_eq_u32_e32 vcc_lo, 3, v7
	v_cndmask_b32_e64 v7, 0, 1, vcc_lo
	v_cmp_ne_u32_e32 vcc_lo, 0, v2
	v_or_b32_e32 v7, v7, v8
	v_mov_b32_e32 v8, 0x7e00
	v_add_nc_u32_e32 v3, v3, v7
	v_cndmask_b32_e32 v2, 0x7c00, v8, vcc_lo
	v_cmp_gt_i32_e32 vcc_lo, 31, v6
	v_cndmask_b32_e32 v3, 0x7c00, v3, vcc_lo
	v_cmp_eq_u32_e32 vcc_lo, 0x40f, v6
	v_cndmask_b32_e32 v2, v3, v2, vcc_lo
	v_lshrrev_b32_e32 v3, 16, v1
	v_and_or_b32 v2, 0x8000, v3, v2
	v_and_b32_e32 v2, 0xffff, v2
	global_store_dword v[4:5], v2, off
.LBB8_1099:
	s_mov_b32 s12, 0
.LBB8_1100:
	s_andn2_b32 vcc_lo, exec_lo, s12
	s_cbranch_vccnz .LBB8_1109
; %bb.1101:
	s_sext_i32_i16 s14, s1
	s_mov_b32 s12, -1
	s_cmp_lt_i32 s14, 6
	s_cbranch_scc1 .LBB8_1107
; %bb.1102:
	s_cmp_gt_i32 s14, 6
	s_cbranch_scc0 .LBB8_1104
; %bb.1103:
	s_mov_b32 s12, 0
	global_store_dwordx2 v[4:5], v[0:1], off
.LBB8_1104:
	s_andn2_b32 vcc_lo, exec_lo, s12
	s_cbranch_vccnz .LBB8_1106
; %bb.1105:
	s_waitcnt vmcnt(0)
	v_cvt_f32_f64_e32 v2, v[0:1]
	global_store_dword v[4:5], v2, off
.LBB8_1106:
	s_mov_b32 s12, 0
.LBB8_1107:
	s_andn2_b32 vcc_lo, exec_lo, s12
	s_cbranch_vccnz .LBB8_1109
; %bb.1108:
	s_waitcnt vmcnt(0)
	v_and_or_b32 v2, 0x1ff, v1, v0
	v_lshrrev_b32_e32 v3, 8, v1
	v_bfe_u32 v6, v1, 20, 11
	v_cmp_ne_u32_e32 vcc_lo, 0, v2
	v_sub_nc_u32_e32 v7, 0x3f1, v6
	v_add_nc_u32_e32 v6, 0xfffffc10, v6
	v_cndmask_b32_e64 v2, 0, 1, vcc_lo
	v_and_or_b32 v2, 0xffe, v3, v2
	v_med3_i32 v3, v7, 0, 13
	v_or_b32_e32 v7, 0x1000, v2
	v_lshrrev_b32_e32 v8, v3, v7
	v_lshlrev_b32_e32 v3, v3, v8
	v_cmp_ne_u32_e32 vcc_lo, v3, v7
	v_lshl_or_b32 v7, v6, 12, v2
	v_cndmask_b32_e64 v3, 0, 1, vcc_lo
	v_cmp_gt_i32_e32 vcc_lo, 1, v6
	v_or_b32_e32 v3, v8, v3
	v_cndmask_b32_e32 v3, v7, v3, vcc_lo
	v_and_b32_e32 v7, 7, v3
	v_lshrrev_b32_e32 v3, 2, v3
	v_cmp_lt_i32_e32 vcc_lo, 5, v7
	v_cndmask_b32_e64 v8, 0, 1, vcc_lo
	v_cmp_eq_u32_e32 vcc_lo, 3, v7
	v_cndmask_b32_e64 v7, 0, 1, vcc_lo
	v_cmp_ne_u32_e32 vcc_lo, 0, v2
	v_or_b32_e32 v7, v7, v8
	v_mov_b32_e32 v8, 0x7e00
	v_add_nc_u32_e32 v3, v3, v7
	v_cndmask_b32_e32 v2, 0x7c00, v8, vcc_lo
	v_cmp_gt_i32_e32 vcc_lo, 31, v6
	v_cndmask_b32_e32 v3, 0x7c00, v3, vcc_lo
	v_cmp_eq_u32_e32 vcc_lo, 0x40f, v6
	v_cndmask_b32_e32 v2, v3, v2, vcc_lo
	v_lshrrev_b32_e32 v3, 16, v1
	v_and_or_b32 v2, 0x8000, v3, v2
	global_store_short v[4:5], v2, off
.LBB8_1109:
	s_mov_b32 s12, 0
.LBB8_1110:
	s_andn2_b32 vcc_lo, exec_lo, s12
	s_cbranch_vccnz .LBB8_1126
; %bb.1111:
	s_sext_i32_i16 s14, s1
	s_mov_b32 s12, -1
	s_cmp_lt_i32 s14, 2
	s_cbranch_scc1 .LBB8_1121
; %bb.1112:
	s_cmp_lt_i32 s14, 3
	s_cbranch_scc1 .LBB8_1118
; %bb.1113:
	s_cmp_gt_i32 s14, 3
	s_cbranch_scc0 .LBB8_1115
; %bb.1114:
	s_waitcnt vmcnt(0)
	v_trunc_f64_e32 v[2:3], v[0:1]
	s_mov_b32 s12, 0
	v_ldexp_f64 v[6:7], v[2:3], 0xffffffe0
	v_floor_f64_e32 v[6:7], v[6:7]
	v_fma_f64 v[2:3], 0xc1f00000, v[6:7], v[2:3]
	v_cvt_i32_f64_e32 v7, v[6:7]
	v_cvt_u32_f64_e32 v6, v[2:3]
	global_store_dwordx2 v[4:5], v[6:7], off
.LBB8_1115:
	s_andn2_b32 vcc_lo, exec_lo, s12
	s_cbranch_vccnz .LBB8_1117
; %bb.1116:
	s_waitcnt vmcnt(0)
	v_cvt_i32_f64_e32 v2, v[0:1]
	global_store_dword v[4:5], v2, off
.LBB8_1117:
	s_mov_b32 s12, 0
.LBB8_1118:
	s_andn2_b32 vcc_lo, exec_lo, s12
	s_cbranch_vccnz .LBB8_1120
; %bb.1119:
	s_waitcnt vmcnt(0)
	v_cvt_i32_f64_e32 v2, v[0:1]
	global_store_short v[4:5], v2, off
.LBB8_1120:
	s_mov_b32 s12, 0
.LBB8_1121:
	s_andn2_b32 vcc_lo, exec_lo, s12
	s_cbranch_vccnz .LBB8_1126
; %bb.1122:
	s_sext_i32_i16 s1, s1
	s_cmp_gt_i32 s1, 0
	s_mov_b32 s1, -1
	s_cbranch_scc0 .LBB8_1124
; %bb.1123:
	s_waitcnt vmcnt(0)
	v_cvt_i32_f64_e32 v2, v[0:1]
	s_mov_b32 s1, 0
	global_store_byte v[4:5], v2, off
.LBB8_1124:
	s_andn2_b32 vcc_lo, exec_lo, s1
	s_cbranch_vccnz .LBB8_1126
; %bb.1125:
	v_trunc_f64_e32 v[0:1], v[0:1]
	s_waitcnt vmcnt(0)
	v_ldexp_f64 v[2:3], v[0:1], 0xffffffe0
	v_floor_f64_e32 v[2:3], v[2:3]
	v_fma_f64 v[0:1], 0xc1f00000, v[2:3], v[0:1]
	v_cvt_u32_f64_e32 v0, v[0:1]
	global_store_byte v[4:5], v0, off
.LBB8_1126:
	s_or_b32 exec_lo, exec_lo, s0
	s_and_b32 s12, s13, exec_lo
                                        ; implicit-def: $vgpr14
.LBB8_1127:
	s_or_saveexec_b32 s7, s7
	s_mov_b32 s0, 0
                                        ; implicit-def: $sgpr1
                                        ; implicit-def: $vgpr0_vgpr1
                                        ; implicit-def: $vgpr12_vgpr13
	s_xor_b32 exec_lo, exec_lo, s7
	s_cbranch_execz .LBB8_1820
; %bb.1128:
	v_mul_lo_u32 v8, s3, v14
	s_and_b32 s6, 0xffff, s6
	s_cmp_lt_i32 s6, 11
	v_ashrrev_i32_e32 v1, 31, v8
	v_add_co_u32 v0, vcc_lo, s10, v8
	v_add_co_ci_u32_e64 v1, null, s11, v1, vcc_lo
	s_cbranch_scc1 .LBB8_1135
; %bb.1129:
	s_cmp_gt_i32 s6, 25
	s_mov_b32 s1, 0
	s_cbranch_scc0 .LBB8_1137
; %bb.1130:
	s_cmp_gt_i32 s6, 28
	s_cbranch_scc0 .LBB8_1138
; %bb.1131:
	s_cmp_gt_i32 s6, 43
	;; [unrolled: 3-line block ×3, first 2 shown]
	s_cbranch_scc0 .LBB8_1140
; %bb.1133:
	s_cmp_eq_u32 s6, 46
	s_mov_b32 s5, 0
	s_cbranch_scc0 .LBB8_1143
; %bb.1134:
	global_load_dword v2, v[0:1], off
	s_mov_b32 s13, -1
	s_waitcnt vmcnt(0)
	v_lshlrev_b32_e32 v2, 16, v2
	v_cvt_f64_f32_e32 v[2:3], v2
	s_branch .LBB8_1145
.LBB8_1135:
	s_mov_b32 s13, 0
	s_mov_b32 s5, s12
                                        ; implicit-def: $vgpr2_vgpr3
	s_cbranch_execnz .LBB8_1208
.LBB8_1136:
	s_andn2_b32 vcc_lo, exec_lo, s13
	s_cbranch_vccz .LBB8_1253
	s_branch .LBB8_1818
.LBB8_1137:
	s_mov_b32 s13, 0
                                        ; implicit-def: $vgpr2_vgpr3
	s_cbranch_execnz .LBB8_1175
	s_branch .LBB8_1204
.LBB8_1138:
	s_mov_b32 s5, -1
	s_mov_b32 s13, 0
                                        ; implicit-def: $vgpr2_vgpr3
	s_branch .LBB8_1154
.LBB8_1139:
	s_mov_b32 s13, 0
                                        ; implicit-def: $vgpr2_vgpr3
	s_cbranch_execnz .LBB8_1150
	s_branch .LBB8_1153
.LBB8_1140:
	s_mov_b32 s5, -1
	s_branch .LBB8_1144
.LBB8_1141:
	s_andn2_saveexec_b32 s18, s18
	s_cbranch_execz .LBB8_1040
.LBB8_1142:
	v_add_f32_e64 v3, 0x46000000, |v2|
	s_andn2_b32 s17, s17, exec_lo
	v_and_b32_e32 v3, 0xff, v3
	v_cmp_ne_u32_e32 vcc_lo, 0, v3
	s_and_b32 s19, vcc_lo, exec_lo
	s_or_b32 s17, s17, s19
	s_or_b32 exec_lo, exec_lo, s18
	v_mov_b32_e32 v6, 0
	s_and_saveexec_b32 s18, s17
	s_cbranch_execnz .LBB8_1041
	s_branch .LBB8_1042
.LBB8_1143:
	s_mov_b32 s0, -1
.LBB8_1144:
	s_mov_b32 s13, 0
                                        ; implicit-def: $vgpr2_vgpr3
.LBB8_1145:
	s_and_b32 vcc_lo, exec_lo, s5
	s_cbranch_vccz .LBB8_1148
; %bb.1146:
	s_cmp_eq_u32 s6, 44
	s_cbranch_scc0 .LBB8_1149
; %bb.1147:
	global_load_ubyte v4, v[0:1], off
	s_mov_b32 s0, 0
	s_mov_b32 s13, -1
	s_waitcnt vmcnt(0)
	v_lshlrev_b32_e32 v2, 23, v4
	v_cmp_ne_u32_e32 vcc_lo, 0xff, v4
	v_cvt_f64_f32_e32 v[2:3], v2
	v_cndmask_b32_e32 v2, 0x20000000, v2, vcc_lo
	v_cndmask_b32_e32 v3, 0x7ff80000, v3, vcc_lo
	v_cmp_ne_u32_e32 vcc_lo, 0, v4
	v_cndmask_b32_e32 v3, 0x38000000, v3, vcc_lo
	v_cndmask_b32_e32 v2, 0, v2, vcc_lo
.LBB8_1148:
	s_branch .LBB8_1153
.LBB8_1149:
	s_mov_b32 s0, -1
                                        ; implicit-def: $vgpr2_vgpr3
	s_branch .LBB8_1153
.LBB8_1150:
	s_cmp_eq_u32 s6, 29
	s_cbranch_scc0 .LBB8_1152
; %bb.1151:
	global_load_dwordx2 v[2:3], v[0:1], off
	s_mov_b32 s0, 0
	s_mov_b32 s13, -1
	s_mov_b32 s5, 0
	s_waitcnt vmcnt(0)
	v_cvt_f64_u32_e32 v[3:4], v3
	v_cvt_f64_u32_e32 v[5:6], v2
	v_ldexp_f64 v[3:4], v[3:4], 32
	v_add_f64 v[2:3], v[3:4], v[5:6]
	s_branch .LBB8_1154
.LBB8_1152:
	s_mov_b32 s0, -1
                                        ; implicit-def: $vgpr2_vgpr3
.LBB8_1153:
	s_mov_b32 s5, 0
.LBB8_1154:
	s_and_b32 vcc_lo, exec_lo, s5
	s_cbranch_vccz .LBB8_1174
; %bb.1155:
	s_cmp_lt_i32 s6, 27
	s_cbranch_scc1 .LBB8_1158
; %bb.1156:
	s_cmp_gt_i32 s6, 27
	s_cbranch_scc0 .LBB8_1159
; %bb.1157:
	global_load_dword v2, v[0:1], off
	s_mov_b32 s5, 0
	s_waitcnt vmcnt(0)
	v_cvt_f64_u32_e32 v[2:3], v2
	s_branch .LBB8_1160
.LBB8_1158:
	s_mov_b32 s5, -1
                                        ; implicit-def: $vgpr2_vgpr3
	s_branch .LBB8_1163
.LBB8_1159:
	s_mov_b32 s5, -1
                                        ; implicit-def: $vgpr2_vgpr3
.LBB8_1160:
	s_andn2_b32 vcc_lo, exec_lo, s5
	s_cbranch_vccnz .LBB8_1162
; %bb.1161:
	global_load_ushort v2, v[0:1], off
	s_waitcnt vmcnt(0)
	v_cvt_f64_u32_e32 v[2:3], v2
.LBB8_1162:
	s_mov_b32 s5, 0
.LBB8_1163:
	s_andn2_b32 vcc_lo, exec_lo, s5
	s_cbranch_vccnz .LBB8_1173
; %bb.1164:
	global_load_ubyte v4, v[0:1], off
	s_mov_b32 s5, 0
	s_mov_b32 s13, exec_lo
	s_waitcnt vmcnt(0)
	v_cmpx_lt_i16_e32 0x7f, v4
	s_xor_b32 s13, exec_lo, s13
	s_cbranch_execz .LBB8_1168
; %bb.1165:
	s_mov_b32 s5, -1
	s_mov_b32 s14, exec_lo
	v_cmpx_eq_u16_e32 0x80, v4
; %bb.1166:
	s_xor_b32 s5, exec_lo, -1
; %bb.1167:
	s_or_b32 exec_lo, exec_lo, s14
	s_and_b32 s5, s5, exec_lo
.LBB8_1168:
	s_or_saveexec_b32 s13, s13
	v_bfrev_b32_e32 v2, 4
	v_mov_b32_e32 v3, 0x7ff80000
	s_xor_b32 exec_lo, exec_lo, s13
; %bb.1169:
	v_cmp_ne_u16_e32 vcc_lo, 0, v4
	v_mov_b32_e32 v2, 0
	v_mov_b32_e32 v3, 0
	s_andn2_b32 s5, s5, exec_lo
	s_and_b32 s14, vcc_lo, exec_lo
	s_or_b32 s5, s5, s14
; %bb.1170:
	s_or_b32 exec_lo, exec_lo, s13
	s_and_saveexec_b32 s13, s5
	s_cbranch_execz .LBB8_1172
; %bb.1171:
	v_and_b32_e32 v2, 0xffff, v4
	v_lshlrev_b32_e32 v4, 24, v4
	v_and_b32_e32 v3, 7, v2
	v_bfe_u32 v7, v2, 3, 4
	v_ffbh_u32_e32 v5, v3
	v_cmp_eq_u32_e32 vcc_lo, 0, v7
	v_min_u32_e32 v5, 32, v5
	v_subrev_nc_u32_e32 v6, 28, v5
	v_sub_nc_u32_e32 v5, 29, v5
	v_lshlrev_b32_e32 v2, v6, v2
	v_cndmask_b32_e32 v5, v7, v5, vcc_lo
	v_and_b32_e32 v2, 7, v2
	v_cndmask_b32_e32 v2, v3, v2, vcc_lo
	v_and_b32_e32 v3, 0x80000000, v4
	v_lshl_add_u32 v4, v5, 23, 0x3b800000
	v_lshlrev_b32_e32 v2, 20, v2
	v_or3_b32 v2, v3, v4, v2
	v_cvt_f64_f32_e32 v[2:3], v2
.LBB8_1172:
	s_or_b32 exec_lo, exec_lo, s13
.LBB8_1173:
	s_mov_b32 s13, -1
.LBB8_1174:
	s_branch .LBB8_1204
.LBB8_1175:
	s_cmp_gt_i32 s6, 22
	s_cbranch_scc0 .LBB8_1187
; %bb.1176:
	s_cmp_lt_i32 s6, 24
	s_cbranch_scc1 .LBB8_1188
; %bb.1177:
	s_cmp_gt_i32 s6, 24
	s_cbranch_scc0 .LBB8_1189
; %bb.1178:
	global_load_ubyte v4, v[0:1], off
	s_mov_b32 s5, exec_lo
	s_waitcnt vmcnt(0)
	v_cmpx_lt_i16_e32 0x7f, v4
	s_xor_b32 s5, exec_lo, s5
	s_cbranch_execz .LBB8_1182
; %bb.1179:
	s_mov_b32 s1, -1
	s_mov_b32 s13, exec_lo
	v_cmpx_eq_u16_e32 0x80, v4
; %bb.1180:
	s_xor_b32 s1, exec_lo, -1
; %bb.1181:
	s_or_b32 exec_lo, exec_lo, s13
	s_and_b32 s1, s1, exec_lo
.LBB8_1182:
	s_or_saveexec_b32 s5, s5
	v_bfrev_b32_e32 v2, 4
	v_mov_b32_e32 v3, 0x7ff80000
	s_xor_b32 exec_lo, exec_lo, s5
; %bb.1183:
	v_cmp_ne_u16_e32 vcc_lo, 0, v4
	v_mov_b32_e32 v2, 0
	v_mov_b32_e32 v3, 0
	s_andn2_b32 s1, s1, exec_lo
	s_and_b32 s13, vcc_lo, exec_lo
	s_or_b32 s1, s1, s13
; %bb.1184:
	s_or_b32 exec_lo, exec_lo, s5
	s_and_saveexec_b32 s5, s1
	s_cbranch_execz .LBB8_1186
; %bb.1185:
	v_and_b32_e32 v2, 0xffff, v4
	v_lshlrev_b32_e32 v4, 24, v4
	v_and_b32_e32 v3, 3, v2
	v_bfe_u32 v7, v2, 2, 5
	v_ffbh_u32_e32 v5, v3
	v_cmp_eq_u32_e32 vcc_lo, 0, v7
	v_min_u32_e32 v5, 32, v5
	v_subrev_nc_u32_e32 v6, 29, v5
	v_sub_nc_u32_e32 v5, 30, v5
	v_lshlrev_b32_e32 v2, v6, v2
	v_cndmask_b32_e32 v5, v7, v5, vcc_lo
	v_and_b32_e32 v2, 3, v2
	v_cndmask_b32_e32 v2, v3, v2, vcc_lo
	v_and_b32_e32 v3, 0x80000000, v4
	v_lshl_add_u32 v4, v5, 23, 0x37800000
	v_lshlrev_b32_e32 v2, 21, v2
	v_or3_b32 v2, v3, v4, v2
	v_cvt_f64_f32_e32 v[2:3], v2
.LBB8_1186:
	s_or_b32 exec_lo, exec_lo, s5
	s_mov_b32 s1, 0
	s_branch .LBB8_1190
.LBB8_1187:
                                        ; implicit-def: $vgpr2_vgpr3
	s_mov_b32 s1, 0
	s_branch .LBB8_1196
.LBB8_1188:
	s_mov_b32 s1, -1
                                        ; implicit-def: $vgpr2_vgpr3
	s_branch .LBB8_1193
.LBB8_1189:
	s_mov_b32 s1, -1
                                        ; implicit-def: $vgpr2_vgpr3
.LBB8_1190:
	s_and_b32 vcc_lo, exec_lo, s1
	s_cbranch_vccz .LBB8_1192
; %bb.1191:
	global_load_ubyte v2, v[0:1], off
	s_waitcnt vmcnt(0)
	v_lshlrev_b32_e32 v2, 24, v2
	v_and_b32_e32 v3, 0x7f000000, v2
	v_ffbh_u32_e32 v4, v3
	v_add_nc_u32_e32 v6, 0x1000000, v3
	v_cmp_ne_u32_e32 vcc_lo, 0, v3
	v_min_u32_e32 v4, 32, v4
	v_sub_nc_u32_e64 v4, v4, 4 clamp
	v_lshlrev_b32_e32 v5, v4, v3
	v_lshlrev_b32_e32 v4, 23, v4
	v_lshrrev_b32_e32 v5, 4, v5
	v_sub_nc_u32_e32 v4, v5, v4
	v_ashrrev_i32_e32 v5, 8, v6
	v_add_nc_u32_e32 v4, 0x3c000000, v4
	v_and_or_b32 v4, 0x7f800000, v5, v4
	v_cndmask_b32_e32 v3, 0, v4, vcc_lo
	v_and_or_b32 v2, 0x80000000, v2, v3
	v_cvt_f64_f32_e32 v[2:3], v2
.LBB8_1192:
	s_mov_b32 s1, 0
.LBB8_1193:
	s_andn2_b32 vcc_lo, exec_lo, s1
	s_cbranch_vccnz .LBB8_1195
; %bb.1194:
	global_load_ubyte v2, v[0:1], off
	s_waitcnt vmcnt(0)
	v_lshlrev_b32_e32 v3, 25, v2
	v_lshlrev_b16 v2, 8, v2
	v_lshrrev_b32_e32 v4, 4, v3
	v_and_or_b32 v5, 0x7f00, v2, 0.5
	v_cmp_gt_u32_e32 vcc_lo, 0x8000000, v3
	v_bfe_i32 v2, v2, 0, 16
	v_or_b32_e32 v4, 0x70000000, v4
	v_add_f32_e32 v5, -0.5, v5
	v_mul_f32_e32 v4, 0x7800000, v4
	v_cndmask_b32_e32 v3, v4, v5, vcc_lo
	v_and_or_b32 v2, 0x80000000, v2, v3
	v_cvt_f64_f32_e32 v[2:3], v2
.LBB8_1195:
	s_mov_b32 s13, -1
	s_mov_b32 s1, 0
	s_cbranch_execnz .LBB8_1204
.LBB8_1196:
	s_cmp_gt_i32 s6, 14
	s_cbranch_scc0 .LBB8_1199
; %bb.1197:
	s_cmp_eq_u32 s6, 15
	s_cbranch_scc0 .LBB8_1200
; %bb.1198:
	global_load_ushort v2, v[0:1], off
	s_mov_b32 s0, 0
	s_mov_b32 s13, -1
	s_waitcnt vmcnt(0)
	v_lshlrev_b32_e32 v2, 16, v2
	v_cvt_f64_f32_e32 v[2:3], v2
	s_branch .LBB8_1202
.LBB8_1199:
	s_mov_b32 s1, -1
	s_branch .LBB8_1201
.LBB8_1200:
	s_mov_b32 s0, -1
.LBB8_1201:
                                        ; implicit-def: $vgpr2_vgpr3
.LBB8_1202:
	s_and_b32 vcc_lo, exec_lo, s1
	s_mov_b32 s1, 0
	s_cbranch_vccz .LBB8_1204
; %bb.1203:
	s_cmp_lg_u32 s6, 11
	s_mov_b32 s1, -1
	s_cselect_b32 s0, -1, 0
.LBB8_1204:
	s_and_b32 vcc_lo, exec_lo, s0
	s_mov_b32 s5, s12
	s_cbranch_vccnz .LBB8_1289
; %bb.1205:
	s_andn2_b32 vcc_lo, exec_lo, s1
	s_cbranch_vccnz .LBB8_1207
.LBB8_1206:
	global_load_ubyte v2, v[0:1], off
	s_mov_b32 s13, -1
	s_waitcnt vmcnt(0)
	v_cmp_ne_u16_e32 vcc_lo, 0, v2
	v_mov_b32_e32 v2, 0
	v_cndmask_b32_e64 v3, 0, 0x3ff00000, vcc_lo
.LBB8_1207:
	s_branch .LBB8_1136
.LBB8_1208:
	s_cmp_lt_i32 s6, 5
	s_cbranch_scc1 .LBB8_1213
; %bb.1209:
	s_cmp_lt_i32 s6, 8
	s_cbranch_scc1 .LBB8_1214
; %bb.1210:
	;; [unrolled: 3-line block ×3, first 2 shown]
	s_cmp_gt_i32 s6, 9
	s_cbranch_scc0 .LBB8_1216
; %bb.1212:
	global_load_dwordx2 v[2:3], v[0:1], off
	s_mov_b32 s0, 0
	s_branch .LBB8_1217
.LBB8_1213:
                                        ; implicit-def: $vgpr2_vgpr3
	s_branch .LBB8_1234
.LBB8_1214:
                                        ; implicit-def: $vgpr2_vgpr3
	s_branch .LBB8_1223
.LBB8_1215:
	s_mov_b32 s0, -1
                                        ; implicit-def: $vgpr2_vgpr3
	s_branch .LBB8_1220
.LBB8_1216:
	s_mov_b32 s0, -1
                                        ; implicit-def: $vgpr2_vgpr3
.LBB8_1217:
	s_andn2_b32 vcc_lo, exec_lo, s0
	s_cbranch_vccnz .LBB8_1219
; %bb.1218:
	global_load_dword v2, v[0:1], off
	s_waitcnt vmcnt(0)
	v_cvt_f64_f32_e32 v[2:3], v2
.LBB8_1219:
	s_mov_b32 s0, 0
.LBB8_1220:
	s_andn2_b32 vcc_lo, exec_lo, s0
	s_cbranch_vccnz .LBB8_1222
; %bb.1221:
	global_load_dword v2, v[0:1], off
	s_waitcnt vmcnt(0)
	v_cvt_f32_f16_e32 v2, v2
	v_cvt_f64_f32_e32 v[2:3], v2
.LBB8_1222:
	s_cbranch_execnz .LBB8_1233
.LBB8_1223:
	s_cmp_lt_i32 s6, 6
	s_cbranch_scc1 .LBB8_1226
; %bb.1224:
	s_cmp_gt_i32 s6, 6
	s_cbranch_scc0 .LBB8_1227
; %bb.1225:
	global_load_dwordx2 v[2:3], v[0:1], off
	s_mov_b32 s0, 0
	s_branch .LBB8_1228
.LBB8_1226:
	s_mov_b32 s0, -1
                                        ; implicit-def: $vgpr2_vgpr3
	s_branch .LBB8_1231
.LBB8_1227:
	s_mov_b32 s0, -1
                                        ; implicit-def: $vgpr2_vgpr3
.LBB8_1228:
	s_andn2_b32 vcc_lo, exec_lo, s0
	s_cbranch_vccnz .LBB8_1230
; %bb.1229:
	global_load_dword v2, v[0:1], off
	s_waitcnt vmcnt(0)
	v_cvt_f64_f32_e32 v[2:3], v2
.LBB8_1230:
	s_mov_b32 s0, 0
.LBB8_1231:
	s_andn2_b32 vcc_lo, exec_lo, s0
	s_cbranch_vccnz .LBB8_1233
; %bb.1232:
	global_load_ushort v2, v[0:1], off
	s_waitcnt vmcnt(0)
	v_cvt_f32_f16_e32 v2, v2
	v_cvt_f64_f32_e32 v[2:3], v2
.LBB8_1233:
	s_cbranch_execnz .LBB8_1252
.LBB8_1234:
	s_cmp_lt_i32 s6, 2
	s_cbranch_scc1 .LBB8_1238
; %bb.1235:
	s_cmp_lt_i32 s6, 3
	s_cbranch_scc1 .LBB8_1239
; %bb.1236:
	s_cmp_gt_i32 s6, 3
	s_cbranch_scc0 .LBB8_1240
; %bb.1237:
	global_load_dwordx2 v[2:3], v[0:1], off
	s_mov_b32 s0, 0
	s_waitcnt vmcnt(0)
	v_cvt_f64_i32_e32 v[3:4], v3
	v_cvt_f64_u32_e32 v[5:6], v2
	v_ldexp_f64 v[3:4], v[3:4], 32
	v_add_f64 v[2:3], v[3:4], v[5:6]
	s_branch .LBB8_1241
.LBB8_1238:
                                        ; implicit-def: $vgpr2_vgpr3
	s_branch .LBB8_1247
.LBB8_1239:
	s_mov_b32 s0, -1
                                        ; implicit-def: $vgpr2_vgpr3
	s_branch .LBB8_1244
.LBB8_1240:
	s_mov_b32 s0, -1
                                        ; implicit-def: $vgpr2_vgpr3
.LBB8_1241:
	s_andn2_b32 vcc_lo, exec_lo, s0
	s_cbranch_vccnz .LBB8_1243
; %bb.1242:
	global_load_dword v2, v[0:1], off
	s_waitcnt vmcnt(0)
	v_cvt_f64_i32_e32 v[2:3], v2
.LBB8_1243:
	s_mov_b32 s0, 0
.LBB8_1244:
	s_andn2_b32 vcc_lo, exec_lo, s0
	s_cbranch_vccnz .LBB8_1246
; %bb.1245:
	global_load_sshort v2, v[0:1], off
	s_waitcnt vmcnt(0)
	v_cvt_f64_i32_e32 v[2:3], v2
.LBB8_1246:
	s_cbranch_execnz .LBB8_1252
.LBB8_1247:
	s_cmp_gt_i32 s6, 0
	s_mov_b32 s0, 0
	s_cbranch_scc0 .LBB8_1249
; %bb.1248:
	global_load_sbyte v2, v[0:1], off
	s_waitcnt vmcnt(0)
	v_cvt_f64_i32_e32 v[2:3], v2
	s_branch .LBB8_1250
.LBB8_1249:
	s_mov_b32 s0, -1
                                        ; implicit-def: $vgpr2_vgpr3
.LBB8_1250:
	s_andn2_b32 vcc_lo, exec_lo, s0
	s_cbranch_vccnz .LBB8_1252
; %bb.1251:
	global_load_ubyte v0, v[0:1], off
	s_waitcnt vmcnt(0)
	v_cvt_f64_u32_e32 v[2:3], v0
.LBB8_1252:
.LBB8_1253:
                                        ; implicit-def: $vgpr0_vgpr1
	s_mov_b32 s0, exec_lo
	s_waitcnt vmcnt(0)
	v_cmpx_neq_f64_e32 0, v[2:3]
	s_xor_b32 s13, exec_lo, s0
	s_cbranch_execz .LBB8_1275
; %bb.1254:
	v_mov_b32_e32 v4, 0
	v_mov_b32_e32 v5, 0
	s_mov_b32 s1, -1
	s_mov_b32 s14, exec_lo
	v_cmpx_gt_f64_e32 0, v[2:3]
	s_cbranch_execz .LBB8_1262
; %bb.1255:
	v_trunc_f64_e32 v[0:1], v[2:3]
	v_mov_b32_e32 v4, 0
	v_mov_b32_e32 v5, 0
	s_mov_b32 s1, 0
	s_mov_b32 s15, exec_lo
	v_cmpx_neq_f64_e32 v[2:3], v[0:1]
	s_cbranch_execz .LBB8_1261
; %bb.1256:
	v_add_f64 v[0:1], v[2:3], -v[0:1]
	s_mov_b32 s1, 0xc00921fb
	s_mov_b32 s0, 0x54442d18
	v_cmp_neq_f64_e64 vcc_lo, 0x7ff00000, |v[2:3]|
	s_mov_b32 s16, exec_lo
                                        ; implicit-def: $vgpr9
                                        ; implicit-def: $vgpr4_vgpr5
                                        ; implicit-def: $vgpr6_vgpr7
	v_mul_f64 v[0:1], |v[0:1]|, s[0:1]
	v_cndmask_b32_e32 v1, 0x80000000, v1, vcc_lo
	v_cndmask_b32_e32 v0, 0, v0, vcc_lo
	v_cmpx_ngt_f64_e64 0x41d00000, |v[0:1]|
	s_xor_b32 s16, exec_lo, s16
	s_cbranch_execz .LBB8_1258
; %bb.1257:
	v_ldexp_f64 v[4:5], |v[0:1]|, 0xffffff80
	v_cmp_le_f64_e64 vcc_lo, 0x7b000000, |v[0:1]|
	v_trig_preop_f64 v[6:7], |v[0:1]|, 0
	v_and_b32_e32 v9, 0x7fffffff, v1
	v_trig_preop_f64 v[21:22], |v[0:1]|, 2
	v_mov_b32_e32 v29, 0
	s_mov_b32 s1, 0x3ff921fb
	s_mov_b32 s18, 0x33145c07
	;; [unrolled: 1-line block ×3, first 2 shown]
	v_cndmask_b32_e32 v5, v9, v5, vcc_lo
	v_cndmask_b32_e32 v4, v0, v4, vcc_lo
	v_trig_preop_f64 v[9:10], |v[0:1]|, 1
	v_mul_f64 v[11:12], v[6:7], v[4:5]
	v_mul_f64 v[27:28], v[21:22], v[4:5]
	;; [unrolled: 1-line block ×3, first 2 shown]
	v_fma_f64 v[6:7], v[6:7], v[4:5], -v[11:12]
	v_fma_f64 v[9:10], v[9:10], v[4:5], -v[15:16]
	;; [unrolled: 1-line block ×3, first 2 shown]
	v_add_f64 v[17:18], v[15:16], v[6:7]
	v_add_f64 v[19:20], v[17:18], -v[15:16]
	v_add_f64 v[25:26], v[11:12], v[17:18]
	v_add_f64 v[23:24], v[17:18], -v[19:20]
	v_add_f64 v[6:7], v[6:7], -v[19:20]
	v_ldexp_f64 v[19:20], v[25:26], -2
	v_add_f64 v[11:12], v[25:26], -v[11:12]
	v_add_f64 v[15:16], v[15:16], -v[23:24]
	v_add_f64 v[23:24], v[27:28], v[9:10]
	v_cmp_neq_f64_e64 vcc_lo, 0x7ff00000, |v[19:20]|
	v_add_f64 v[11:12], v[17:18], -v[11:12]
	v_add_f64 v[6:7], v[6:7], v[15:16]
	v_fract_f64_e32 v[15:16], v[19:20]
	v_add_f64 v[17:18], v[23:24], v[6:7]
	v_ldexp_f64 v[15:16], v[15:16], 2
	v_add_f64 v[19:20], v[11:12], v[17:18]
	v_cndmask_b32_e32 v16, 0, v16, vcc_lo
	v_cndmask_b32_e32 v15, 0, v15, vcc_lo
	v_add_f64 v[25:26], v[19:20], v[15:16]
	v_add_f64 v[11:12], v[19:20], -v[11:12]
	v_cmp_gt_f64_e32 vcc_lo, 0, v[25:26]
	v_add_f64 v[25:26], v[23:24], -v[27:28]
	v_cndmask_b32_e64 v30, 0, 0x40100000, vcc_lo
	v_add_f64 v[34:35], v[23:24], -v[25:26]
	v_add_f64 v[9:10], v[9:10], -v[25:26]
	v_add_f64 v[15:16], v[15:16], v[29:30]
	v_add_f64 v[30:31], v[17:18], -v[23:24]
	v_add_f64 v[25:26], v[27:28], -v[34:35]
	v_add_f64 v[32:33], v[19:20], v[15:16]
	;; [unrolled: 3-line block ×3, first 2 shown]
	v_cvt_i32_f64_e32 v13, v[32:33]
	v_add_f64 v[23:24], v[23:24], -v[36:37]
	v_cvt_f64_i32_e32 v[30:31], v13
	v_add_f64 v[6:7], v[6:7], v[23:24]
	v_add_f64 v[15:16], v[15:16], -v[30:31]
	v_add_f64 v[6:7], v[9:10], v[6:7]
	v_add_f64 v[9:10], v[17:18], -v[11:12]
	v_add_f64 v[21:22], v[19:20], v[15:16]
	v_add_f64 v[4:5], v[4:5], v[6:7]
	v_add_f64 v[6:7], v[21:22], -v[15:16]
	v_cmp_le_f64_e32 vcc_lo, 0.5, v[21:22]
	v_add_f64 v[4:5], v[9:10], v[4:5]
	v_add_f64 v[6:7], v[19:20], -v[6:7]
	v_cndmask_b32_e64 v30, 0, 0x3ff00000, vcc_lo
	v_add_co_ci_u32_e64 v9, null, 0, v13, vcc_lo
	v_add_f64 v[4:5], v[4:5], v[6:7]
	v_add_f64 v[6:7], v[21:22], -v[29:30]
	v_add_f64 v[10:11], v[6:7], v[4:5]
	v_mul_f64 v[12:13], v[10:11], s[0:1]
	v_add_f64 v[6:7], v[10:11], -v[6:7]
	v_fma_f64 v[15:16], v[10:11], s[0:1], -v[12:13]
	v_add_f64 v[4:5], v[4:5], -v[6:7]
	v_fma_f64 v[6:7], v[10:11], s[18:19], v[15:16]
	v_fma_f64 v[6:7], v[4:5], s[0:1], v[6:7]
	v_add_f64 v[4:5], v[12:13], v[6:7]
	v_add_f64 v[10:11], v[4:5], -v[12:13]
	v_add_f64 v[6:7], v[6:7], -v[10:11]
.LBB8_1258:
	s_andn2_saveexec_b32 s0, s16
	s_cbranch_execz .LBB8_1260
; %bb.1259:
	s_mov_b32 s16, 0x6dc9c883
	s_mov_b32 s17, 0x3fe45f30
	s_mov_b32 s19, 0xbc91a626
	v_mul_f64 v[4:5], |v[0:1]|, s[16:17]
	s_mov_b32 s16, 0x54442d18
	s_mov_b32 s17, 0xbff921fb
	;; [unrolled: 1-line block ×3, first 2 shown]
	v_rndne_f64_e32 v[9:10], v[4:5]
	v_fma_f64 v[4:5], v[9:10], s[16:17], |v[0:1]|
	v_mul_f64 v[6:7], v[9:10], s[18:19]
	s_mov_b32 s16, 0x252049c0
	s_mov_b32 s17, 0xb97b839a
	v_fma_f64 v[15:16], v[9:10], s[18:19], v[4:5]
	v_add_f64 v[11:12], v[4:5], v[6:7]
	s_mov_b32 s19, 0x3c91a626
	v_add_f64 v[4:5], v[4:5], -v[11:12]
	v_add_f64 v[11:12], v[11:12], -v[15:16]
	v_add_f64 v[4:5], v[4:5], v[6:7]
	v_fma_f64 v[6:7], v[9:10], s[18:19], v[6:7]
	v_add_f64 v[4:5], v[11:12], v[4:5]
	v_add_f64 v[4:5], v[4:5], -v[6:7]
	v_fma_f64 v[6:7], v[9:10], s[16:17], v[4:5]
	v_cvt_i32_f64_e32 v9, v[9:10]
	v_add_f64 v[4:5], v[15:16], v[6:7]
	v_add_f64 v[11:12], v[4:5], -v[15:16]
	v_add_f64 v[6:7], v[6:7], -v[11:12]
.LBB8_1260:
	s_or_b32 exec_lo, exec_lo, s0
	v_mul_f64 v[10:11], v[4:5], v[4:5]
	v_add_f64 v[12:13], v[6:7], v[6:7]
	s_mov_b32 s16, 0xa9a29f71
	s_mov_b32 s18, 0xc751c08c
	;; [unrolled: 1-line block ×4, first 2 shown]
	v_cmp_class_f64_e64 s0, v[0:1], 0x1f8
	v_and_b32_e32 v9, 1, v9
	v_and_b32_e32 v1, 0x80000000, v1
	v_add_f64 v[2:3], -v[2:3], 1.0
	s_mov_b32 s1, exec_lo
	v_cmp_eq_u32_e32 vcc_lo, 0, v9
	v_fma_f64 v[15:16], v[4:5], v[4:5], -v[10:11]
	v_fma_f64 v[12:13], v[4:5], v[12:13], v[15:16]
	v_add_f64 v[10:11], v[10:11], v[12:13]
	v_fma_f64 v[12:13], v[10:11], s[18:19], s[16:17]
	s_mov_b32 s16, 0x90a8aae0
	s_mov_b32 s17, 0x3f17746f
	v_fma_f64 v[12:13], v[10:11], v[12:13], s[16:17]
	s_mov_b32 s16, 0xa6fbf144
	s_mov_b32 s17, 0xbefbb44d
	;; [unrolled: 3-line block ×13, first 2 shown]
	v_mul_f64 v[10:11], v[10:11], v[12:13]
	v_mul_f64 v[12:13], v[4:5], v[10:11]
	v_add_f64 v[15:16], v[4:5], v[12:13]
	v_fma_f64 v[10:11], v[4:5], v[10:11], -v[12:13]
	v_add_f64 v[4:5], v[15:16], -v[4:5]
	v_add_f64 v[6:7], v[6:7], v[10:11]
	v_add_f64 v[4:5], v[12:13], -v[4:5]
	v_add_f64 v[4:5], v[6:7], v[4:5]
	v_add_f64 v[6:7], v[15:16], v[4:5]
	v_rcp_f64_e32 v[10:11], v[6:7]
	v_fma_f64 v[12:13], -v[6:7], v[10:11], 1.0
	v_fma_f64 v[10:11], v[12:13], v[10:11], v[10:11]
	v_fma_f64 v[12:13], -v[6:7], v[10:11], 1.0
	v_fma_f64 v[10:11], v[12:13], v[10:11], v[10:11]
	v_add_f64 v[12:13], v[6:7], -v[15:16]
	v_mul_f64 v[15:16], v[6:7], v[10:11]
	v_add_f64 v[4:5], v[4:5], -v[12:13]
	v_fma_f64 v[12:13], v[10:11], v[6:7], -v[15:16]
	v_fma_f64 v[4:5], v[10:11], v[4:5], v[12:13]
	v_add_f64 v[12:13], v[15:16], v[4:5]
	v_add_f64 v[17:18], -v[12:13], 1.0
	v_add_f64 v[15:16], v[12:13], -v[15:16]
	v_add_f64 v[19:20], -v[17:18], 1.0
	v_add_f64 v[4:5], v[15:16], -v[4:5]
	v_add_f64 v[12:13], v[19:20], -v[12:13]
	v_add_f64 v[4:5], v[4:5], v[12:13]
	v_add_f64 v[4:5], v[17:18], v[4:5]
	v_mul_f64 v[4:5], v[10:11], v[4:5]
	v_add_f64 v[4:5], v[10:11], v[4:5]
	v_xor_b32_e32 v0, 0x80000000, v5
	v_cndmask_b32_e32 v4, v4, v6, vcc_lo
	v_cndmask_b32_e32 v0, v0, v7, vcc_lo
	v_xor_b32_e32 v1, v0, v1
	v_cndmask_b32_e64 v0, 0, v4, s0
	v_cndmask_b32_e64 v1, 0x7ff80000, v1, s0
	v_div_scale_f64 v[4:5], null, v[0:1], v[0:1], s[16:17]
	v_div_scale_f64 v[11:12], vcc_lo, s[16:17], v[0:1], s[16:17]
	v_rcp_f64_e32 v[6:7], v[4:5]
	v_fma_f64 v[9:10], -v[4:5], v[6:7], 1.0
	v_fma_f64 v[6:7], v[6:7], v[9:10], v[6:7]
	v_fma_f64 v[9:10], -v[4:5], v[6:7], 1.0
	v_fma_f64 v[6:7], v[6:7], v[9:10], v[6:7]
	v_mul_f64 v[9:10], v[11:12], v[6:7]
	v_fma_f64 v[4:5], -v[4:5], v[9:10], v[11:12]
	v_div_fmas_f64 v[4:5], v[4:5], v[6:7], v[9:10]
	v_div_fixup_f64 v[4:5], v[4:5], v[0:1], s[16:17]
.LBB8_1261:
	s_or_b32 exec_lo, exec_lo, s15
	s_orn2_b32 s1, s1, exec_lo
.LBB8_1262:
	s_or_b32 exec_lo, exec_lo, s14
	v_mov_b32_e32 v0, 0
	v_mov_b32_e32 v1, 0x7ff80000
	s_and_saveexec_b32 s0, s1
	s_cbranch_execz .LBB8_1274
; %bb.1263:
	s_mov_b32 s1, exec_lo
	v_cmpx_gt_f64_e32 0x40240000, v[2:3]
	s_cbranch_execz .LBB8_1267
; %bb.1264:
	s_mov_b32 s14, 0
	.p2align	6
.LBB8_1265:                             ; =>This Inner Loop Header: Depth=1
	v_div_scale_f64 v[0:1], null, v[2:3], v[2:3], 1.0
	v_div_scale_f64 v[11:12], vcc_lo, 1.0, v[2:3], 1.0
	v_rcp_f64_e32 v[6:7], v[0:1]
	v_fma_f64 v[9:10], -v[0:1], v[6:7], 1.0
	v_fma_f64 v[6:7], v[6:7], v[9:10], v[6:7]
	v_fma_f64 v[9:10], -v[0:1], v[6:7], 1.0
	v_fma_f64 v[6:7], v[6:7], v[9:10], v[6:7]
	v_mul_f64 v[9:10], v[11:12], v[6:7]
	v_fma_f64 v[0:1], -v[0:1], v[9:10], v[11:12]
	v_div_fmas_f64 v[0:1], v[0:1], v[6:7], v[9:10]
	v_div_fixup_f64 v[0:1], v[0:1], v[2:3], 1.0
	v_add_f64 v[2:3], v[2:3], 1.0
	v_add_f64 v[4:5], v[4:5], -v[0:1]
	v_cmp_ngt_f64_e32 vcc_lo, 0x40240000, v[2:3]
	s_or_b32 s14, vcc_lo, s14
	s_andn2_b32 exec_lo, exec_lo, s14
	s_cbranch_execnz .LBB8_1265
; %bb.1266:
	s_or_b32 exec_lo, exec_lo, s14
.LBB8_1267:
	s_or_b32 exec_lo, exec_lo, s1
	s_mov_b32 s1, exec_lo
                                        ; implicit-def: $vgpr0_vgpr1
	v_cmpx_neq_f64_e32 0x40240000, v[2:3]
	s_xor_b32 s1, exec_lo, s1
	s_cbranch_execz .LBB8_1271
; %bb.1268:
	s_mov_b32 s14, 0x85d8a000
	s_mov_b32 s15, 0x43763457
	v_mov_b32_e32 v0, 0
	v_cmp_gt_f64_e32 vcc_lo, s[14:15], v[2:3]
	v_mov_b32_e32 v1, 0
	s_and_saveexec_b32 s14, vcc_lo
	s_cbranch_execz .LBB8_1270
; %bb.1269:
	v_mul_f64 v[0:1], v[2:3], v[2:3]
	s_mov_b32 s16, 0x55555555
	s_mov_b32 s17, 0x3fb55555
	;; [unrolled: 1-line block ×6, first 2 shown]
	v_div_scale_f64 v[6:7], null, v[0:1], v[0:1], 1.0
	v_rcp_f64_e32 v[9:10], v[6:7]
	v_fma_f64 v[11:12], -v[6:7], v[9:10], 1.0
	v_fma_f64 v[9:10], v[9:10], v[11:12], v[9:10]
	v_fma_f64 v[11:12], -v[6:7], v[9:10], 1.0
	v_fma_f64 v[9:10], v[9:10], v[11:12], v[9:10]
	v_div_scale_f64 v[11:12], vcc_lo, 1.0, v[0:1], 1.0
	v_mul_f64 v[15:16], v[11:12], v[9:10]
	v_fma_f64 v[6:7], -v[6:7], v[15:16], v[11:12]
	v_div_fmas_f64 v[6:7], v[6:7], v[9:10], v[15:16]
	v_div_fixup_f64 v[0:1], v[6:7], v[0:1], 1.0
	v_fma_f64 v[6:7], v[0:1], 0, s[16:17]
	v_fma_f64 v[6:7], v[0:1], v[6:7], s[18:19]
	s_mov_b32 s18, 0xf07c1f08
	s_mov_b32 s19, 0x3f7f07c1
	v_fma_f64 v[6:7], v[0:1], v[6:7], s[18:19]
	s_mov_b32 s19, 0xbf711111
	s_mov_b32 s18, 0x11111111
	v_fma_f64 v[6:7], v[0:1], v[6:7], s[18:19]
	s_mov_b32 s19, 0xbf811111
	v_fma_f64 v[6:7], v[0:1], v[6:7], s[20:21]
	v_fma_f64 v[6:7], v[0:1], v[6:7], s[18:19]
	;; [unrolled: 1-line block ×3, first 2 shown]
	v_mul_f64 v[0:1], v[0:1], v[6:7]
.LBB8_1270:
	s_or_b32 exec_lo, exec_lo, s14
	v_frexp_mant_f64_e32 v[6:7], v[2:3]
	s_mov_b32 s15, 0x3fe55555
	s_mov_b32 s14, 0x55555555
	;; [unrolled: 1-line block ×6, first 2 shown]
	v_frexp_exp_i32_f64_e32 v13, v[2:3]
	v_div_scale_f64 v[25:26], null, v[2:3], v[2:3], -0.5
	v_cmp_gt_f64_e32 vcc_lo, s[14:15], v[6:7]
	s_mov_b32 s14, 0x55555780
	v_rcp_f64_e32 v[29:30], v[25:26]
	v_cndmask_b32_e64 v9, 0, 1, vcc_lo
	v_subrev_co_ci_u32_e64 v13, null, 0, v13, vcc_lo
	v_ldexp_f64 v[6:7], v[6:7], v9
	v_add_f64 v[9:10], v[6:7], 1.0
	v_add_f64 v[17:18], v[6:7], -1.0
	v_rcp_f64_e32 v[11:12], v[9:10]
	v_add_f64 v[19:20], v[9:10], -1.0
	v_add_f64 v[6:7], v[6:7], -v[19:20]
	v_fma_f64 v[15:16], -v[9:10], v[11:12], 1.0
	v_fma_f64 v[11:12], v[15:16], v[11:12], v[11:12]
	v_fma_f64 v[15:16], -v[9:10], v[11:12], 1.0
	v_fma_f64 v[11:12], v[15:16], v[11:12], v[11:12]
	v_mul_f64 v[15:16], v[17:18], v[11:12]
	v_mul_f64 v[21:22], v[9:10], v[15:16]
	v_fma_f64 v[9:10], v[15:16], v[9:10], -v[21:22]
	v_fma_f64 v[6:7], v[15:16], v[6:7], v[9:10]
	v_add_f64 v[9:10], v[21:22], v[6:7]
	v_add_f64 v[19:20], v[17:18], -v[9:10]
	v_add_f64 v[21:22], v[9:10], -v[21:22]
	;; [unrolled: 1-line block ×5, first 2 shown]
	v_add_f64 v[6:7], v[6:7], v[9:10]
	v_add_f64 v[6:7], v[19:20], v[6:7]
	v_mul_f64 v[6:7], v[11:12], v[6:7]
	v_add_f64 v[9:10], v[15:16], v[6:7]
	v_mul_f64 v[11:12], v[9:10], v[9:10]
	v_fma_f64 v[17:18], v[11:12], s[18:19], s[16:17]
	s_mov_b32 s16, 0xd7f4df2e
	s_mov_b32 s17, 0x3fc7474d
	v_mul_f64 v[19:20], v[9:10], v[11:12]
	v_fma_f64 v[17:18], v[11:12], v[17:18], s[16:17]
	s_mov_b32 s16, 0x16291751
	s_mov_b32 s17, 0x3fcc71c0
	v_fma_f64 v[17:18], v[11:12], v[17:18], s[16:17]
	s_mov_b32 s16, 0x9b27acf1
	s_mov_b32 s17, 0x3fd24924
	;; [unrolled: 3-line block ×3, first 2 shown]
	v_fma_f64 v[17:18], v[11:12], v[17:18], s[16:17]
	v_fma_f64 v[11:12], v[11:12], v[17:18], s[14:15]
	v_ldexp_f64 v[17:18], v[9:10], 1
	v_add_f64 v[9:10], v[9:10], -v[15:16]
	s_mov_b32 s14, 0xfefa39ef
	s_mov_b32 s15, 0x3fe62e42
	v_mul_f64 v[11:12], v[19:20], v[11:12]
	v_cvt_f64_i32_e32 v[19:20], v13
	v_add_f64 v[6:7], v[6:7], -v[9:10]
	v_add_f64 v[15:16], v[17:18], v[11:12]
	v_mul_f64 v[21:22], v[19:20], s[14:15]
	v_ldexp_f64 v[6:7], v[6:7], 1
	v_add_f64 v[9:10], v[15:16], -v[17:18]
	v_fma_f64 v[17:18], v[19:20], s[14:15], -v[21:22]
	s_mov_b32 s14, 0x3b39803f
	s_mov_b32 s15, 0x3c7abc9e
	v_add_f64 v[9:10], v[11:12], -v[9:10]
	v_fma_f64 v[11:12], v[19:20], s[14:15], v[17:18]
	v_add_f64 v[6:7], v[6:7], v[9:10]
	v_add_f64 v[9:10], v[21:22], v[11:12]
	;; [unrolled: 1-line block ×3, first 2 shown]
	v_add_f64 v[21:22], v[9:10], -v[21:22]
	v_add_f64 v[19:20], v[9:10], v[17:18]
	v_add_f64 v[15:16], v[17:18], -v[15:16]
	v_add_f64 v[11:12], v[11:12], -v[21:22]
	;; [unrolled: 1-line block ×6, first 2 shown]
	v_fma_f64 v[17:18], -v[25:26], v[29:30], 1.0
	v_add_f64 v[21:22], v[11:12], v[6:7]
	v_add_f64 v[9:10], v[9:10], -v[27:28]
	v_add_f64 v[9:10], v[15:16], v[9:10]
	v_fma_f64 v[15:16], v[29:30], v[17:18], v[29:30]
	v_add_f64 v[17:18], v[21:22], -v[11:12]
	v_div_scale_f64 v[29:30], vcc_lo, -0.5, v[2:3], -0.5
	v_add_f64 v[9:10], v[21:22], v[9:10]
	v_fma_f64 v[23:24], -v[25:26], v[15:16], 1.0
	v_add_f64 v[21:22], v[21:22], -v[17:18]
	v_add_f64 v[6:7], v[6:7], -v[17:18]
	v_add_f64 v[27:28], v[19:20], v[9:10]
	v_fma_f64 v[15:16], v[15:16], v[23:24], v[15:16]
	v_add_f64 v[11:12], v[11:12], -v[21:22]
	v_add_f64 v[17:18], v[27:28], -v[19:20]
	v_mul_f64 v[19:20], v[29:30], v[15:16]
	v_add_f64 v[6:7], v[6:7], v[11:12]
	v_add_f64 v[9:10], v[9:10], -v[17:18]
	v_fma_f64 v[11:12], -v[25:26], v[19:20], v[29:30]
	v_add_f64 v[6:7], v[6:7], v[9:10]
	v_div_fmas_f64 v[9:10], v[11:12], v[15:16], v[19:20]
	v_cmp_class_f64_e64 vcc_lo, v[2:3], 0x204
	v_add_f64 v[6:7], v[27:28], v[6:7]
	v_div_fixup_f64 v[9:10], v[9:10], v[2:3], -0.5
	v_cndmask_b32_e32 v3, v7, v3, vcc_lo
	v_cndmask_b32_e32 v2, v6, v2, vcc_lo
	v_add_f64 v[2:3], v[2:3], v[9:10]
	v_add_f64 v[0:1], v[2:3], -v[0:1]
	v_add_f64 v[0:1], v[4:5], v[0:1]
                                        ; implicit-def: $vgpr4_vgpr5
.LBB8_1271:
	s_andn2_saveexec_b32 s1, s1
; %bb.1272:
	s_mov_b32 s14, 0xdc85cc95
	s_mov_b32 s15, 0x40020396
	v_add_f64 v[0:1], v[4:5], s[14:15]
; %bb.1273:
	s_or_b32 exec_lo, exec_lo, s1
.LBB8_1274:
	s_or_b32 exec_lo, exec_lo, s0
                                        ; implicit-def: $vgpr2_vgpr3
.LBB8_1275:
	s_andn2_saveexec_b32 s0, s13
; %bb.1276:
	v_xor_b32_e32 v0, 0x80000000, v3
	s_mov_b32 s1, 0x7ff00000
	v_bfi_b32 v1, 0x7fffffff, s1, v0
	v_mov_b32_e32 v0, 0
; %bb.1277:
	s_or_b32 exec_lo, exec_lo, s0
	s_lshl_b32 s3, s3, 7
	s_cmp_lt_i32 s6, 11
	v_add_nc_u32_e32 v10, s3, v8
	v_ashrrev_i32_e32 v2, 31, v10
	v_add_co_u32 v4, vcc_lo, s10, v10
	v_add_co_ci_u32_e64 v5, null, s11, v2, vcc_lo
	s_cbranch_scc1 .LBB8_1284
; %bb.1278:
	s_cmp_gt_i32 s6, 25
	s_mov_b32 s1, 0
	s_cbranch_scc0 .LBB8_1286
; %bb.1279:
	s_cmp_gt_i32 s6, 28
	s_cbranch_scc0 .LBB8_1287
; %bb.1280:
	s_cmp_gt_i32 s6, 43
	;; [unrolled: 3-line block ×3, first 2 shown]
	s_cbranch_scc0 .LBB8_1290
; %bb.1282:
	s_cmp_eq_u32 s6, 46
	s_mov_b32 s14, 0
	s_cbranch_scc0 .LBB8_1293
; %bb.1283:
	global_load_dword v2, v[4:5], off
	s_mov_b32 s0, 0
	s_mov_b32 s13, -1
	s_waitcnt vmcnt(0)
	v_lshlrev_b32_e32 v2, 16, v2
	v_cvt_f64_f32_e32 v[2:3], v2
	s_branch .LBB8_1295
.LBB8_1284:
	s_mov_b32 s13, 0
                                        ; implicit-def: $vgpr2_vgpr3
	s_cbranch_execnz .LBB8_1360
.LBB8_1285:
	s_andn2_b32 vcc_lo, exec_lo, s13
	s_cbranch_vccnz .LBB8_1818
	s_branch .LBB8_1407
.LBB8_1286:
	s_mov_b32 s13, 0
	s_mov_b32 s0, 0
                                        ; implicit-def: $vgpr2_vgpr3
	s_cbranch_execnz .LBB8_1326
	s_branch .LBB8_1356
.LBB8_1287:
	s_mov_b32 s14, -1
	s_mov_b32 s13, 0
	s_mov_b32 s0, 0
                                        ; implicit-def: $vgpr2_vgpr3
	s_branch .LBB8_1305
.LBB8_1288:
	s_mov_b32 s14, -1
	s_mov_b32 s13, 0
	s_mov_b32 s0, 0
                                        ; implicit-def: $vgpr2_vgpr3
	s_branch .LBB8_1300
.LBB8_1289:
	s_or_b32 s5, s12, exec_lo
	s_trap 2
	s_cbranch_execz .LBB8_1206
	s_branch .LBB8_1207
.LBB8_1290:
	s_mov_b32 s14, -1
	s_mov_b32 s13, 0
	s_mov_b32 s0, 0
	s_branch .LBB8_1294
.LBB8_1291:
	s_andn2_saveexec_b32 s19, s19
	s_cbranch_execz .LBB8_1052
.LBB8_1292:
	v_add_f32_e64 v3, 0x42800000, |v2|
	s_andn2_b32 s18, s18, exec_lo
	v_and_b32_e32 v3, 0xff, v3
	v_cmp_ne_u32_e32 vcc_lo, 0, v3
	s_and_b32 s20, vcc_lo, exec_lo
	s_or_b32 s18, s18, s20
	s_or_b32 exec_lo, exec_lo, s19
	v_mov_b32_e32 v6, 0
	s_and_saveexec_b32 s19, s18
	s_cbranch_execnz .LBB8_1053
	s_branch .LBB8_1054
.LBB8_1293:
	s_mov_b32 s0, -1
	s_mov_b32 s13, 0
.LBB8_1294:
                                        ; implicit-def: $vgpr2_vgpr3
.LBB8_1295:
	s_and_b32 vcc_lo, exec_lo, s14
	s_cbranch_vccz .LBB8_1299
; %bb.1296:
	s_cmp_eq_u32 s6, 44
	s_cbranch_scc0 .LBB8_1298
; %bb.1297:
	global_load_ubyte v6, v[4:5], off
	s_mov_b32 s0, 0
	s_mov_b32 s13, -1
	s_waitcnt vmcnt(0)
	v_lshlrev_b32_e32 v2, 23, v6
	v_cmp_ne_u32_e32 vcc_lo, 0xff, v6
	v_cvt_f64_f32_e32 v[2:3], v2
	v_cndmask_b32_e32 v2, 0x20000000, v2, vcc_lo
	v_cndmask_b32_e32 v3, 0x7ff80000, v3, vcc_lo
	v_cmp_ne_u32_e32 vcc_lo, 0, v6
	v_cndmask_b32_e32 v3, 0x38000000, v3, vcc_lo
	v_cndmask_b32_e32 v2, 0, v2, vcc_lo
	s_branch .LBB8_1299
.LBB8_1298:
	s_mov_b32 s0, -1
                                        ; implicit-def: $vgpr2_vgpr3
.LBB8_1299:
	s_mov_b32 s14, 0
.LBB8_1300:
	s_and_b32 vcc_lo, exec_lo, s14
	s_cbranch_vccz .LBB8_1304
; %bb.1301:
	s_cmp_eq_u32 s6, 29
	s_cbranch_scc0 .LBB8_1303
; %bb.1302:
	global_load_dwordx2 v[2:3], v[4:5], off
	s_mov_b32 s0, 0
	s_mov_b32 s13, -1
	s_mov_b32 s14, 0
	s_waitcnt vmcnt(0)
	v_cvt_f64_u32_e32 v[6:7], v3
	v_cvt_f64_u32_e32 v[2:3], v2
	v_ldexp_f64 v[6:7], v[6:7], 32
	v_add_f64 v[2:3], v[6:7], v[2:3]
	s_branch .LBB8_1305
.LBB8_1303:
	s_mov_b32 s0, -1
                                        ; implicit-def: $vgpr2_vgpr3
.LBB8_1304:
	s_mov_b32 s14, 0
.LBB8_1305:
	s_and_b32 vcc_lo, exec_lo, s14
	s_cbranch_vccz .LBB8_1325
; %bb.1306:
	s_cmp_lt_i32 s6, 27
	s_cbranch_scc1 .LBB8_1309
; %bb.1307:
	s_cmp_gt_i32 s6, 27
	s_cbranch_scc0 .LBB8_1310
; %bb.1308:
	global_load_dword v2, v[4:5], off
	s_mov_b32 s13, 0
	s_waitcnt vmcnt(0)
	v_cvt_f64_u32_e32 v[2:3], v2
	s_branch .LBB8_1311
.LBB8_1309:
	s_mov_b32 s13, -1
                                        ; implicit-def: $vgpr2_vgpr3
	s_branch .LBB8_1314
.LBB8_1310:
	s_mov_b32 s13, -1
                                        ; implicit-def: $vgpr2_vgpr3
.LBB8_1311:
	s_andn2_b32 vcc_lo, exec_lo, s13
	s_cbranch_vccnz .LBB8_1313
; %bb.1312:
	global_load_ushort v2, v[4:5], off
	s_waitcnt vmcnt(0)
	v_cvt_f64_u32_e32 v[2:3], v2
.LBB8_1313:
	s_mov_b32 s13, 0
.LBB8_1314:
	s_andn2_b32 vcc_lo, exec_lo, s13
	s_cbranch_vccnz .LBB8_1324
; %bb.1315:
	global_load_ubyte v6, v[4:5], off
	s_mov_b32 s13, 0
	s_mov_b32 s14, exec_lo
	s_waitcnt vmcnt(0)
	v_cmpx_lt_i16_e32 0x7f, v6
	s_xor_b32 s14, exec_lo, s14
	s_cbranch_execz .LBB8_1319
; %bb.1316:
	s_mov_b32 s13, -1
	s_mov_b32 s15, exec_lo
	v_cmpx_eq_u16_e32 0x80, v6
; %bb.1317:
	s_xor_b32 s13, exec_lo, -1
; %bb.1318:
	s_or_b32 exec_lo, exec_lo, s15
	s_and_b32 s13, s13, exec_lo
.LBB8_1319:
	s_or_saveexec_b32 s14, s14
	v_bfrev_b32_e32 v2, 4
	v_mov_b32_e32 v3, 0x7ff80000
	s_xor_b32 exec_lo, exec_lo, s14
; %bb.1320:
	v_cmp_ne_u16_e32 vcc_lo, 0, v6
	v_mov_b32_e32 v2, 0
	v_mov_b32_e32 v3, 0
	s_andn2_b32 s13, s13, exec_lo
	s_and_b32 s15, vcc_lo, exec_lo
	s_or_b32 s13, s13, s15
; %bb.1321:
	s_or_b32 exec_lo, exec_lo, s14
	s_and_saveexec_b32 s14, s13
	s_cbranch_execz .LBB8_1323
; %bb.1322:
	v_and_b32_e32 v2, 0xffff, v6
	v_lshlrev_b32_e32 v6, 24, v6
	v_and_b32_e32 v3, 7, v2
	v_bfe_u32 v9, v2, 3, 4
	v_ffbh_u32_e32 v7, v3
	v_cmp_eq_u32_e32 vcc_lo, 0, v9
	v_min_u32_e32 v7, 32, v7
	v_subrev_nc_u32_e32 v8, 28, v7
	v_sub_nc_u32_e32 v7, 29, v7
	v_lshlrev_b32_e32 v2, v8, v2
	v_cndmask_b32_e32 v7, v9, v7, vcc_lo
	v_and_b32_e32 v2, 7, v2
	v_cndmask_b32_e32 v2, v3, v2, vcc_lo
	v_and_b32_e32 v3, 0x80000000, v6
	v_lshl_add_u32 v6, v7, 23, 0x3b800000
	v_lshlrev_b32_e32 v2, 20, v2
	v_or3_b32 v2, v3, v6, v2
	v_cvt_f64_f32_e32 v[2:3], v2
.LBB8_1323:
	s_or_b32 exec_lo, exec_lo, s14
.LBB8_1324:
	s_mov_b32 s13, -1
.LBB8_1325:
	s_branch .LBB8_1356
.LBB8_1326:
	s_cmp_gt_i32 s6, 22
	s_cbranch_scc0 .LBB8_1338
; %bb.1327:
	s_cmp_lt_i32 s6, 24
	s_cbranch_scc1 .LBB8_1339
; %bb.1328:
	s_cmp_gt_i32 s6, 24
	s_cbranch_scc0 .LBB8_1340
; %bb.1329:
	global_load_ubyte v6, v[4:5], off
	s_mov_b32 s13, exec_lo
	s_waitcnt vmcnt(0)
	v_cmpx_lt_i16_e32 0x7f, v6
	s_xor_b32 s13, exec_lo, s13
	s_cbranch_execz .LBB8_1333
; %bb.1330:
	s_mov_b32 s1, -1
	s_mov_b32 s14, exec_lo
	v_cmpx_eq_u16_e32 0x80, v6
; %bb.1331:
	s_xor_b32 s1, exec_lo, -1
; %bb.1332:
	s_or_b32 exec_lo, exec_lo, s14
	s_and_b32 s1, s1, exec_lo
.LBB8_1333:
	s_or_saveexec_b32 s13, s13
	v_bfrev_b32_e32 v2, 4
	v_mov_b32_e32 v3, 0x7ff80000
	s_xor_b32 exec_lo, exec_lo, s13
; %bb.1334:
	v_cmp_ne_u16_e32 vcc_lo, 0, v6
	v_mov_b32_e32 v2, 0
	v_mov_b32_e32 v3, 0
	s_andn2_b32 s1, s1, exec_lo
	s_and_b32 s14, vcc_lo, exec_lo
	s_or_b32 s1, s1, s14
; %bb.1335:
	s_or_b32 exec_lo, exec_lo, s13
	s_and_saveexec_b32 s13, s1
	s_cbranch_execz .LBB8_1337
; %bb.1336:
	v_and_b32_e32 v2, 0xffff, v6
	v_lshlrev_b32_e32 v6, 24, v6
	v_and_b32_e32 v3, 3, v2
	v_bfe_u32 v9, v2, 2, 5
	v_ffbh_u32_e32 v7, v3
	v_cmp_eq_u32_e32 vcc_lo, 0, v9
	v_min_u32_e32 v7, 32, v7
	v_subrev_nc_u32_e32 v8, 29, v7
	v_sub_nc_u32_e32 v7, 30, v7
	v_lshlrev_b32_e32 v2, v8, v2
	v_cndmask_b32_e32 v7, v9, v7, vcc_lo
	v_and_b32_e32 v2, 3, v2
	v_cndmask_b32_e32 v2, v3, v2, vcc_lo
	v_and_b32_e32 v3, 0x80000000, v6
	v_lshl_add_u32 v6, v7, 23, 0x37800000
	v_lshlrev_b32_e32 v2, 21, v2
	v_or3_b32 v2, v3, v6, v2
	v_cvt_f64_f32_e32 v[2:3], v2
.LBB8_1337:
	s_or_b32 exec_lo, exec_lo, s13
	s_mov_b32 s1, 0
	s_branch .LBB8_1341
.LBB8_1338:
	s_mov_b32 s1, -1
                                        ; implicit-def: $vgpr2_vgpr3
	s_branch .LBB8_1347
.LBB8_1339:
	s_mov_b32 s1, -1
                                        ; implicit-def: $vgpr2_vgpr3
	s_branch .LBB8_1344
.LBB8_1340:
	s_mov_b32 s1, -1
                                        ; implicit-def: $vgpr2_vgpr3
.LBB8_1341:
	s_and_b32 vcc_lo, exec_lo, s1
	s_cbranch_vccz .LBB8_1343
; %bb.1342:
	global_load_ubyte v2, v[4:5], off
	s_waitcnt vmcnt(0)
	v_lshlrev_b32_e32 v2, 24, v2
	v_and_b32_e32 v3, 0x7f000000, v2
	v_ffbh_u32_e32 v6, v3
	v_add_nc_u32_e32 v8, 0x1000000, v3
	v_cmp_ne_u32_e32 vcc_lo, 0, v3
	v_min_u32_e32 v6, 32, v6
	v_sub_nc_u32_e64 v6, v6, 4 clamp
	v_lshlrev_b32_e32 v7, v6, v3
	v_lshlrev_b32_e32 v6, 23, v6
	v_lshrrev_b32_e32 v7, 4, v7
	v_sub_nc_u32_e32 v6, v7, v6
	v_ashrrev_i32_e32 v7, 8, v8
	v_add_nc_u32_e32 v6, 0x3c000000, v6
	v_and_or_b32 v6, 0x7f800000, v7, v6
	v_cndmask_b32_e32 v3, 0, v6, vcc_lo
	v_and_or_b32 v2, 0x80000000, v2, v3
	v_cvt_f64_f32_e32 v[2:3], v2
.LBB8_1343:
	s_mov_b32 s1, 0
.LBB8_1344:
	s_andn2_b32 vcc_lo, exec_lo, s1
	s_cbranch_vccnz .LBB8_1346
; %bb.1345:
	global_load_ubyte v2, v[4:5], off
	s_waitcnt vmcnt(0)
	v_lshlrev_b32_e32 v3, 25, v2
	v_lshlrev_b16 v2, 8, v2
	v_lshrrev_b32_e32 v6, 4, v3
	v_and_or_b32 v7, 0x7f00, v2, 0.5
	v_cmp_gt_u32_e32 vcc_lo, 0x8000000, v3
	v_bfe_i32 v2, v2, 0, 16
	v_or_b32_e32 v6, 0x70000000, v6
	v_add_f32_e32 v7, -0.5, v7
	v_mul_f32_e32 v6, 0x7800000, v6
	v_cndmask_b32_e32 v3, v6, v7, vcc_lo
	v_and_or_b32 v2, 0x80000000, v2, v3
	v_cvt_f64_f32_e32 v[2:3], v2
.LBB8_1346:
	s_mov_b32 s1, 0
	s_mov_b32 s13, -1
.LBB8_1347:
	s_andn2_b32 vcc_lo, exec_lo, s1
	s_mov_b32 s1, 0
	s_cbranch_vccnz .LBB8_1356
; %bb.1348:
	s_cmp_gt_i32 s6, 14
	s_cbranch_scc0 .LBB8_1351
; %bb.1349:
	s_cmp_eq_u32 s6, 15
	s_cbranch_scc0 .LBB8_1352
; %bb.1350:
	global_load_ushort v2, v[4:5], off
	s_mov_b32 s0, 0
	s_mov_b32 s13, -1
	s_waitcnt vmcnt(0)
	v_lshlrev_b32_e32 v2, 16, v2
	v_cvt_f64_f32_e32 v[2:3], v2
	s_branch .LBB8_1354
.LBB8_1351:
	s_mov_b32 s1, -1
	s_branch .LBB8_1353
.LBB8_1352:
	s_mov_b32 s0, -1
.LBB8_1353:
                                        ; implicit-def: $vgpr2_vgpr3
.LBB8_1354:
	s_and_b32 vcc_lo, exec_lo, s1
	s_mov_b32 s1, 0
	s_cbranch_vccz .LBB8_1356
; %bb.1355:
	s_cmp_lg_u32 s6, 11
	s_mov_b32 s1, -1
	s_cselect_b32 s0, -1, 0
.LBB8_1356:
	s_and_b32 vcc_lo, exec_lo, s0
	s_cbranch_vccnz .LBB8_1443
; %bb.1357:
	s_andn2_b32 vcc_lo, exec_lo, s1
	s_cbranch_vccnz .LBB8_1359
.LBB8_1358:
	global_load_ubyte v2, v[4:5], off
	s_mov_b32 s13, -1
	s_waitcnt vmcnt(0)
	v_cmp_ne_u16_e32 vcc_lo, 0, v2
	v_mov_b32_e32 v2, 0
	v_cndmask_b32_e64 v3, 0, 0x3ff00000, vcc_lo
.LBB8_1359:
	s_branch .LBB8_1285
.LBB8_1360:
	s_cmp_lt_i32 s6, 5
	s_cbranch_scc1 .LBB8_1365
; %bb.1361:
	s_cmp_lt_i32 s6, 8
	s_cbranch_scc1 .LBB8_1366
; %bb.1362:
	s_cmp_lt_i32 s6, 9
	s_cbranch_scc1 .LBB8_1367
; %bb.1363:
	s_cmp_gt_i32 s6, 9
	s_cbranch_scc0 .LBB8_1368
; %bb.1364:
	global_load_dwordx2 v[2:3], v[4:5], off
	s_mov_b32 s0, 0
	s_branch .LBB8_1369
.LBB8_1365:
                                        ; implicit-def: $vgpr2_vgpr3
	s_branch .LBB8_1387
.LBB8_1366:
	s_mov_b32 s0, -1
                                        ; implicit-def: $vgpr2_vgpr3
	s_branch .LBB8_1375
.LBB8_1367:
	s_mov_b32 s0, -1
                                        ; implicit-def: $vgpr2_vgpr3
	s_branch .LBB8_1372
.LBB8_1368:
	s_mov_b32 s0, -1
                                        ; implicit-def: $vgpr2_vgpr3
.LBB8_1369:
	s_andn2_b32 vcc_lo, exec_lo, s0
	s_cbranch_vccnz .LBB8_1371
; %bb.1370:
	global_load_dword v2, v[4:5], off
	s_waitcnt vmcnt(0)
	v_cvt_f64_f32_e32 v[2:3], v2
.LBB8_1371:
	s_mov_b32 s0, 0
.LBB8_1372:
	s_andn2_b32 vcc_lo, exec_lo, s0
	s_cbranch_vccnz .LBB8_1374
; %bb.1373:
	global_load_dword v2, v[4:5], off
	s_waitcnt vmcnt(0)
	v_cvt_f32_f16_e32 v2, v2
	v_cvt_f64_f32_e32 v[2:3], v2
.LBB8_1374:
	s_mov_b32 s0, 0
.LBB8_1375:
	s_andn2_b32 vcc_lo, exec_lo, s0
	s_cbranch_vccnz .LBB8_1386
; %bb.1376:
	s_cmp_lt_i32 s6, 6
	s_cbranch_scc1 .LBB8_1379
; %bb.1377:
	s_cmp_gt_i32 s6, 6
	s_cbranch_scc0 .LBB8_1380
; %bb.1378:
	global_load_dwordx2 v[2:3], v[4:5], off
	s_mov_b32 s0, 0
	s_branch .LBB8_1381
.LBB8_1379:
	s_mov_b32 s0, -1
                                        ; implicit-def: $vgpr2_vgpr3
	s_branch .LBB8_1384
.LBB8_1380:
	s_mov_b32 s0, -1
                                        ; implicit-def: $vgpr2_vgpr3
.LBB8_1381:
	s_andn2_b32 vcc_lo, exec_lo, s0
	s_cbranch_vccnz .LBB8_1383
; %bb.1382:
	global_load_dword v2, v[4:5], off
	s_waitcnt vmcnt(0)
	v_cvt_f64_f32_e32 v[2:3], v2
.LBB8_1383:
	s_mov_b32 s0, 0
.LBB8_1384:
	s_andn2_b32 vcc_lo, exec_lo, s0
	s_cbranch_vccnz .LBB8_1386
; %bb.1385:
	global_load_ushort v2, v[4:5], off
	s_waitcnt vmcnt(0)
	v_cvt_f32_f16_e32 v2, v2
	v_cvt_f64_f32_e32 v[2:3], v2
.LBB8_1386:
	s_cbranch_execnz .LBB8_1406
.LBB8_1387:
	s_cmp_lt_i32 s6, 2
	s_cbranch_scc1 .LBB8_1391
; %bb.1388:
	s_cmp_lt_i32 s6, 3
	s_cbranch_scc1 .LBB8_1392
; %bb.1389:
	s_cmp_gt_i32 s6, 3
	s_cbranch_scc0 .LBB8_1393
; %bb.1390:
	global_load_dwordx2 v[2:3], v[4:5], off
	s_mov_b32 s0, 0
	s_waitcnt vmcnt(0)
	v_cvt_f64_i32_e32 v[6:7], v3
	v_cvt_f64_u32_e32 v[2:3], v2
	v_ldexp_f64 v[6:7], v[6:7], 32
	v_add_f64 v[2:3], v[6:7], v[2:3]
	s_branch .LBB8_1394
.LBB8_1391:
	s_mov_b32 s0, -1
                                        ; implicit-def: $vgpr2_vgpr3
	s_branch .LBB8_1400
.LBB8_1392:
	s_mov_b32 s0, -1
                                        ; implicit-def: $vgpr2_vgpr3
	s_branch .LBB8_1397
.LBB8_1393:
	s_mov_b32 s0, -1
                                        ; implicit-def: $vgpr2_vgpr3
.LBB8_1394:
	s_andn2_b32 vcc_lo, exec_lo, s0
	s_cbranch_vccnz .LBB8_1396
; %bb.1395:
	global_load_dword v2, v[4:5], off
	s_waitcnt vmcnt(0)
	v_cvt_f64_i32_e32 v[2:3], v2
.LBB8_1396:
	s_mov_b32 s0, 0
.LBB8_1397:
	s_andn2_b32 vcc_lo, exec_lo, s0
	s_cbranch_vccnz .LBB8_1399
; %bb.1398:
	global_load_sshort v2, v[4:5], off
	s_waitcnt vmcnt(0)
	v_cvt_f64_i32_e32 v[2:3], v2
.LBB8_1399:
	s_mov_b32 s0, 0
.LBB8_1400:
	s_andn2_b32 vcc_lo, exec_lo, s0
	s_cbranch_vccnz .LBB8_1406
; %bb.1401:
	s_cmp_gt_i32 s6, 0
	s_mov_b32 s0, 0
	s_cbranch_scc0 .LBB8_1403
; %bb.1402:
	global_load_sbyte v2, v[4:5], off
	s_waitcnt vmcnt(0)
	v_cvt_f64_i32_e32 v[2:3], v2
	s_branch .LBB8_1404
.LBB8_1403:
	s_mov_b32 s0, -1
                                        ; implicit-def: $vgpr2_vgpr3
.LBB8_1404:
	s_andn2_b32 vcc_lo, exec_lo, s0
	s_cbranch_vccnz .LBB8_1406
; %bb.1405:
	global_load_ubyte v2, v[4:5], off
	s_waitcnt vmcnt(0)
	v_cvt_f64_u32_e32 v[2:3], v2
.LBB8_1406:
.LBB8_1407:
                                        ; implicit-def: $vgpr4_vgpr5
	s_mov_b32 s0, exec_lo
	s_waitcnt vmcnt(0)
	v_cmpx_neq_f64_e32 0, v[2:3]
	s_xor_b32 s13, exec_lo, s0
	s_cbranch_execz .LBB8_1429
; %bb.1408:
	v_mov_b32_e32 v6, 0
	v_mov_b32_e32 v7, 0
	s_mov_b32 s1, -1
	s_mov_b32 s14, exec_lo
	v_cmpx_gt_f64_e32 0, v[2:3]
	s_cbranch_execz .LBB8_1416
; %bb.1409:
	v_trunc_f64_e32 v[4:5], v[2:3]
	v_mov_b32_e32 v6, 0
	v_mov_b32_e32 v7, 0
	s_mov_b32 s1, 0
	s_mov_b32 s15, exec_lo
	v_cmpx_neq_f64_e32 v[2:3], v[4:5]
	s_cbranch_execz .LBB8_1415
; %bb.1410:
	v_add_f64 v[4:5], v[2:3], -v[4:5]
	s_mov_b32 s1, 0xc00921fb
	s_mov_b32 s0, 0x54442d18
	v_cmp_neq_f64_e64 vcc_lo, 0x7ff00000, |v[2:3]|
	s_mov_b32 s16, exec_lo
                                        ; implicit-def: $vgpr11
                                        ; implicit-def: $vgpr6_vgpr7
                                        ; implicit-def: $vgpr8_vgpr9
	v_mul_f64 v[4:5], |v[4:5]|, s[0:1]
	v_cndmask_b32_e32 v5, 0x80000000, v5, vcc_lo
	v_cndmask_b32_e32 v4, 0, v4, vcc_lo
	v_cmpx_ngt_f64_e64 0x41d00000, |v[4:5]|
	s_xor_b32 s16, exec_lo, s16
	s_cbranch_execz .LBB8_1412
; %bb.1411:
	v_ldexp_f64 v[6:7], |v[4:5]|, 0xffffff80
	v_cmp_le_f64_e64 vcc_lo, 0x7b000000, |v[4:5]|
	v_trig_preop_f64 v[8:9], |v[4:5]|, 0
	v_and_b32_e32 v11, 0x7fffffff, v5
	v_trig_preop_f64 v[23:24], |v[4:5]|, 2
	v_mov_b32_e32 v31, 0
	s_mov_b32 s1, 0x3ff921fb
	s_mov_b32 s18, 0x33145c07
	;; [unrolled: 1-line block ×3, first 2 shown]
	v_cndmask_b32_e32 v7, v11, v7, vcc_lo
	v_cndmask_b32_e32 v6, v4, v6, vcc_lo
	v_trig_preop_f64 v[11:12], |v[4:5]|, 1
	v_mul_f64 v[15:16], v[8:9], v[6:7]
	v_mul_f64 v[29:30], v[23:24], v[6:7]
	;; [unrolled: 1-line block ×3, first 2 shown]
	v_fma_f64 v[8:9], v[8:9], v[6:7], -v[15:16]
	v_fma_f64 v[11:12], v[11:12], v[6:7], -v[17:18]
	;; [unrolled: 1-line block ×3, first 2 shown]
	v_add_f64 v[19:20], v[17:18], v[8:9]
	v_add_f64 v[21:22], v[19:20], -v[17:18]
	v_add_f64 v[27:28], v[15:16], v[19:20]
	v_add_f64 v[25:26], v[19:20], -v[21:22]
	v_add_f64 v[8:9], v[8:9], -v[21:22]
	v_ldexp_f64 v[21:22], v[27:28], -2
	v_add_f64 v[15:16], v[27:28], -v[15:16]
	v_add_f64 v[17:18], v[17:18], -v[25:26]
	v_add_f64 v[25:26], v[29:30], v[11:12]
	v_cmp_neq_f64_e64 vcc_lo, 0x7ff00000, |v[21:22]|
	v_add_f64 v[15:16], v[19:20], -v[15:16]
	v_add_f64 v[8:9], v[8:9], v[17:18]
	v_fract_f64_e32 v[17:18], v[21:22]
	v_add_f64 v[19:20], v[25:26], v[8:9]
	v_ldexp_f64 v[17:18], v[17:18], 2
	v_add_f64 v[21:22], v[15:16], v[19:20]
	v_cndmask_b32_e32 v18, 0, v18, vcc_lo
	v_cndmask_b32_e32 v17, 0, v17, vcc_lo
	v_add_f64 v[27:28], v[21:22], v[17:18]
	v_add_f64 v[15:16], v[21:22], -v[15:16]
	v_cmp_gt_f64_e32 vcc_lo, 0, v[27:28]
	v_add_f64 v[27:28], v[25:26], -v[29:30]
	v_add_f64 v[15:16], v[19:20], -v[15:16]
	v_cndmask_b32_e64 v32, 0, 0x40100000, vcc_lo
	v_add_f64 v[36:37], v[25:26], -v[27:28]
	v_add_f64 v[11:12], v[11:12], -v[27:28]
	v_add_f64 v[17:18], v[17:18], v[31:32]
	v_add_f64 v[32:33], v[19:20], -v[25:26]
	v_add_f64 v[27:28], v[29:30], -v[36:37]
	v_add_f64 v[34:35], v[21:22], v[17:18]
	;; [unrolled: 3-line block ×3, first 2 shown]
	v_cvt_i32_f64_e32 v34, v[34:35]
	v_add_f64 v[25:26], v[25:26], -v[38:39]
	v_cvt_f64_i32_e32 v[32:33], v34
	v_add_f64 v[8:9], v[8:9], v[25:26]
	v_add_f64 v[17:18], v[17:18], -v[32:33]
	v_add_f64 v[8:9], v[11:12], v[8:9]
	v_add_f64 v[12:13], v[21:22], v[17:18]
	;; [unrolled: 1-line block ×3, first 2 shown]
	v_add_f64 v[8:9], v[12:13], -v[17:18]
	v_cmp_le_f64_e32 vcc_lo, 0.5, v[12:13]
	v_add_f64 v[6:7], v[15:16], v[6:7]
	v_add_f64 v[8:9], v[21:22], -v[8:9]
	v_cndmask_b32_e64 v32, 0, 0x3ff00000, vcc_lo
	v_add_co_ci_u32_e64 v11, null, 0, v34, vcc_lo
	v_add_f64 v[6:7], v[6:7], v[8:9]
	v_add_f64 v[8:9], v[12:13], -v[31:32]
	v_add_f64 v[12:13], v[8:9], v[6:7]
	v_mul_f64 v[15:16], v[12:13], s[0:1]
	v_add_f64 v[8:9], v[12:13], -v[8:9]
	v_fma_f64 v[17:18], v[12:13], s[0:1], -v[15:16]
	v_add_f64 v[6:7], v[6:7], -v[8:9]
	v_fma_f64 v[8:9], v[12:13], s[18:19], v[17:18]
	v_fma_f64 v[8:9], v[6:7], s[0:1], v[8:9]
	v_add_f64 v[6:7], v[15:16], v[8:9]
	v_add_f64 v[12:13], v[6:7], -v[15:16]
	v_add_f64 v[8:9], v[8:9], -v[12:13]
.LBB8_1412:
	s_andn2_saveexec_b32 s0, s16
	s_cbranch_execz .LBB8_1414
; %bb.1413:
	s_mov_b32 s16, 0x6dc9c883
	s_mov_b32 s17, 0x3fe45f30
	;; [unrolled: 1-line block ×3, first 2 shown]
	v_mul_f64 v[6:7], |v[4:5]|, s[16:17]
	s_mov_b32 s16, 0x54442d18
	s_mov_b32 s17, 0xbff921fb
	;; [unrolled: 1-line block ×3, first 2 shown]
	v_rndne_f64_e32 v[11:12], v[6:7]
	v_fma_f64 v[6:7], v[11:12], s[16:17], |v[4:5]|
	v_mul_f64 v[8:9], v[11:12], s[18:19]
	s_mov_b32 s16, 0x252049c0
	s_mov_b32 s17, 0xb97b839a
	v_fma_f64 v[17:18], v[11:12], s[18:19], v[6:7]
	v_add_f64 v[15:16], v[6:7], v[8:9]
	s_mov_b32 s19, 0x3c91a626
	v_add_f64 v[6:7], v[6:7], -v[15:16]
	v_add_f64 v[15:16], v[15:16], -v[17:18]
	v_add_f64 v[6:7], v[6:7], v[8:9]
	v_fma_f64 v[8:9], v[11:12], s[18:19], v[8:9]
	v_add_f64 v[6:7], v[15:16], v[6:7]
	v_add_f64 v[6:7], v[6:7], -v[8:9]
	v_fma_f64 v[8:9], v[11:12], s[16:17], v[6:7]
	v_cvt_i32_f64_e32 v11, v[11:12]
	v_add_f64 v[6:7], v[17:18], v[8:9]
	v_add_f64 v[15:16], v[6:7], -v[17:18]
	v_add_f64 v[8:9], v[8:9], -v[15:16]
.LBB8_1414:
	s_or_b32 exec_lo, exec_lo, s0
	v_mul_f64 v[12:13], v[6:7], v[6:7]
	v_add_f64 v[15:16], v[8:9], v[8:9]
	s_mov_b32 s16, 0xa9a29f71
	s_mov_b32 s18, 0xc751c08c
	;; [unrolled: 1-line block ×4, first 2 shown]
	v_cmp_class_f64_e64 s0, v[4:5], 0x1f8
	v_and_b32_e32 v11, 1, v11
	v_and_b32_e32 v5, 0x80000000, v5
	v_add_f64 v[2:3], -v[2:3], 1.0
	s_mov_b32 s1, exec_lo
	v_cmp_eq_u32_e32 vcc_lo, 0, v11
	v_fma_f64 v[17:18], v[6:7], v[6:7], -v[12:13]
	v_fma_f64 v[15:16], v[6:7], v[15:16], v[17:18]
	v_add_f64 v[12:13], v[12:13], v[15:16]
	v_fma_f64 v[15:16], v[12:13], s[18:19], s[16:17]
	s_mov_b32 s16, 0x90a8aae0
	s_mov_b32 s17, 0x3f17746f
	v_fma_f64 v[15:16], v[12:13], v[15:16], s[16:17]
	s_mov_b32 s16, 0xa6fbf144
	s_mov_b32 s17, 0xbefbb44d
	;; [unrolled: 3-line block ×13, first 2 shown]
	v_mul_f64 v[12:13], v[12:13], v[15:16]
	v_mul_f64 v[15:16], v[6:7], v[12:13]
	v_add_f64 v[17:18], v[6:7], v[15:16]
	v_fma_f64 v[12:13], v[6:7], v[12:13], -v[15:16]
	v_add_f64 v[6:7], v[17:18], -v[6:7]
	v_add_f64 v[8:9], v[8:9], v[12:13]
	v_add_f64 v[6:7], v[15:16], -v[6:7]
	v_add_f64 v[6:7], v[8:9], v[6:7]
	v_add_f64 v[8:9], v[17:18], v[6:7]
	v_rcp_f64_e32 v[12:13], v[8:9]
	v_fma_f64 v[15:16], -v[8:9], v[12:13], 1.0
	v_fma_f64 v[12:13], v[15:16], v[12:13], v[12:13]
	v_fma_f64 v[15:16], -v[8:9], v[12:13], 1.0
	v_fma_f64 v[12:13], v[15:16], v[12:13], v[12:13]
	v_add_f64 v[15:16], v[8:9], -v[17:18]
	v_mul_f64 v[17:18], v[8:9], v[12:13]
	v_add_f64 v[6:7], v[6:7], -v[15:16]
	v_fma_f64 v[15:16], v[12:13], v[8:9], -v[17:18]
	v_fma_f64 v[6:7], v[12:13], v[6:7], v[15:16]
	v_add_f64 v[15:16], v[17:18], v[6:7]
	v_add_f64 v[19:20], -v[15:16], 1.0
	v_add_f64 v[17:18], v[15:16], -v[17:18]
	v_add_f64 v[21:22], -v[19:20], 1.0
	v_add_f64 v[6:7], v[17:18], -v[6:7]
	v_add_f64 v[15:16], v[21:22], -v[15:16]
	v_add_f64 v[6:7], v[6:7], v[15:16]
	v_add_f64 v[6:7], v[19:20], v[6:7]
	v_mul_f64 v[6:7], v[12:13], v[6:7]
	v_add_f64 v[6:7], v[12:13], v[6:7]
	v_xor_b32_e32 v4, 0x80000000, v7
	v_cndmask_b32_e32 v6, v6, v8, vcc_lo
	v_cndmask_b32_e32 v4, v4, v9, vcc_lo
	v_xor_b32_e32 v5, v4, v5
	v_cndmask_b32_e64 v4, 0, v6, s0
	v_cndmask_b32_e64 v5, 0x7ff80000, v5, s0
	v_div_scale_f64 v[6:7], null, v[4:5], v[4:5], s[16:17]
	v_div_scale_f64 v[15:16], vcc_lo, s[16:17], v[4:5], s[16:17]
	v_rcp_f64_e32 v[8:9], v[6:7]
	v_fma_f64 v[11:12], -v[6:7], v[8:9], 1.0
	v_fma_f64 v[8:9], v[8:9], v[11:12], v[8:9]
	v_fma_f64 v[11:12], -v[6:7], v[8:9], 1.0
	v_fma_f64 v[8:9], v[8:9], v[11:12], v[8:9]
	v_mul_f64 v[11:12], v[15:16], v[8:9]
	v_fma_f64 v[6:7], -v[6:7], v[11:12], v[15:16]
	v_div_fmas_f64 v[6:7], v[6:7], v[8:9], v[11:12]
	v_div_fixup_f64 v[6:7], v[6:7], v[4:5], s[16:17]
.LBB8_1415:
	s_or_b32 exec_lo, exec_lo, s15
	s_orn2_b32 s1, s1, exec_lo
.LBB8_1416:
	s_or_b32 exec_lo, exec_lo, s14
	v_mov_b32_e32 v4, 0
	v_mov_b32_e32 v5, 0x7ff80000
	s_and_saveexec_b32 s0, s1
	s_cbranch_execz .LBB8_1428
; %bb.1417:
	s_mov_b32 s1, exec_lo
	v_cmpx_gt_f64_e32 0x40240000, v[2:3]
	s_cbranch_execz .LBB8_1421
; %bb.1418:
	s_mov_b32 s14, 0
	.p2align	6
.LBB8_1419:                             ; =>This Inner Loop Header: Depth=1
	v_div_scale_f64 v[4:5], null, v[2:3], v[2:3], 1.0
	v_div_scale_f64 v[15:16], vcc_lo, 1.0, v[2:3], 1.0
	v_rcp_f64_e32 v[8:9], v[4:5]
	v_fma_f64 v[11:12], -v[4:5], v[8:9], 1.0
	v_fma_f64 v[8:9], v[8:9], v[11:12], v[8:9]
	v_fma_f64 v[11:12], -v[4:5], v[8:9], 1.0
	v_fma_f64 v[8:9], v[8:9], v[11:12], v[8:9]
	v_mul_f64 v[11:12], v[15:16], v[8:9]
	v_fma_f64 v[4:5], -v[4:5], v[11:12], v[15:16]
	v_div_fmas_f64 v[4:5], v[4:5], v[8:9], v[11:12]
	v_div_fixup_f64 v[4:5], v[4:5], v[2:3], 1.0
	v_add_f64 v[2:3], v[2:3], 1.0
	v_add_f64 v[6:7], v[6:7], -v[4:5]
	v_cmp_ngt_f64_e32 vcc_lo, 0x40240000, v[2:3]
	s_or_b32 s14, vcc_lo, s14
	s_andn2_b32 exec_lo, exec_lo, s14
	s_cbranch_execnz .LBB8_1419
; %bb.1420:
	s_or_b32 exec_lo, exec_lo, s14
.LBB8_1421:
	s_or_b32 exec_lo, exec_lo, s1
	s_mov_b32 s1, exec_lo
                                        ; implicit-def: $vgpr4_vgpr5
	v_cmpx_neq_f64_e32 0x40240000, v[2:3]
	s_xor_b32 s1, exec_lo, s1
	s_cbranch_execz .LBB8_1425
; %bb.1422:
	s_mov_b32 s14, 0x85d8a000
	s_mov_b32 s15, 0x43763457
	v_mov_b32_e32 v4, 0
	v_cmp_gt_f64_e32 vcc_lo, s[14:15], v[2:3]
	v_mov_b32_e32 v5, 0
	s_and_saveexec_b32 s14, vcc_lo
	s_cbranch_execz .LBB8_1424
; %bb.1423:
	v_mul_f64 v[4:5], v[2:3], v[2:3]
	s_mov_b32 s16, 0x55555555
	s_mov_b32 s17, 0x3fb55555
	;; [unrolled: 1-line block ×6, first 2 shown]
	v_div_scale_f64 v[8:9], null, v[4:5], v[4:5], 1.0
	v_rcp_f64_e32 v[11:12], v[8:9]
	v_fma_f64 v[15:16], -v[8:9], v[11:12], 1.0
	v_fma_f64 v[11:12], v[11:12], v[15:16], v[11:12]
	v_fma_f64 v[15:16], -v[8:9], v[11:12], 1.0
	v_fma_f64 v[11:12], v[11:12], v[15:16], v[11:12]
	v_div_scale_f64 v[15:16], vcc_lo, 1.0, v[4:5], 1.0
	v_mul_f64 v[17:18], v[15:16], v[11:12]
	v_fma_f64 v[8:9], -v[8:9], v[17:18], v[15:16]
	v_div_fmas_f64 v[8:9], v[8:9], v[11:12], v[17:18]
	v_div_fixup_f64 v[4:5], v[8:9], v[4:5], 1.0
	v_fma_f64 v[8:9], v[4:5], 0, s[16:17]
	v_fma_f64 v[8:9], v[4:5], v[8:9], s[18:19]
	s_mov_b32 s18, 0xf07c1f08
	s_mov_b32 s19, 0x3f7f07c1
	v_fma_f64 v[8:9], v[4:5], v[8:9], s[18:19]
	s_mov_b32 s19, 0xbf711111
	s_mov_b32 s18, 0x11111111
	v_fma_f64 v[8:9], v[4:5], v[8:9], s[18:19]
	s_mov_b32 s19, 0xbf811111
	v_fma_f64 v[8:9], v[4:5], v[8:9], s[20:21]
	v_fma_f64 v[8:9], v[4:5], v[8:9], s[18:19]
	v_fma_f64 v[8:9], v[4:5], v[8:9], s[16:17]
	v_mul_f64 v[4:5], v[4:5], v[8:9]
.LBB8_1424:
	s_or_b32 exec_lo, exec_lo, s14
	v_frexp_mant_f64_e32 v[8:9], v[2:3]
	s_mov_b32 s15, 0x3fe55555
	s_mov_b32 s14, 0x55555555
	;; [unrolled: 1-line block ×6, first 2 shown]
	v_frexp_exp_i32_f64_e32 v13, v[2:3]
	v_div_scale_f64 v[27:28], null, v[2:3], v[2:3], -0.5
	v_cmp_gt_f64_e32 vcc_lo, s[14:15], v[8:9]
	s_mov_b32 s14, 0x55555780
	v_rcp_f64_e32 v[31:32], v[27:28]
	v_cndmask_b32_e64 v11, 0, 1, vcc_lo
	v_subrev_co_ci_u32_e64 v13, null, 0, v13, vcc_lo
	v_ldexp_f64 v[8:9], v[8:9], v11
	v_add_f64 v[11:12], v[8:9], 1.0
	v_add_f64 v[19:20], v[8:9], -1.0
	v_rcp_f64_e32 v[15:16], v[11:12]
	v_add_f64 v[21:22], v[11:12], -1.0
	v_add_f64 v[8:9], v[8:9], -v[21:22]
	v_fma_f64 v[17:18], -v[11:12], v[15:16], 1.0
	v_fma_f64 v[15:16], v[17:18], v[15:16], v[15:16]
	v_fma_f64 v[17:18], -v[11:12], v[15:16], 1.0
	v_fma_f64 v[15:16], v[17:18], v[15:16], v[15:16]
	v_mul_f64 v[17:18], v[19:20], v[15:16]
	v_mul_f64 v[23:24], v[11:12], v[17:18]
	v_fma_f64 v[11:12], v[17:18], v[11:12], -v[23:24]
	v_fma_f64 v[8:9], v[17:18], v[8:9], v[11:12]
	v_add_f64 v[11:12], v[23:24], v[8:9]
	v_add_f64 v[21:22], v[19:20], -v[11:12]
	v_add_f64 v[23:24], v[11:12], -v[23:24]
	;; [unrolled: 1-line block ×5, first 2 shown]
	v_add_f64 v[8:9], v[8:9], v[11:12]
	v_add_f64 v[8:9], v[21:22], v[8:9]
	v_mul_f64 v[8:9], v[15:16], v[8:9]
	v_add_f64 v[11:12], v[17:18], v[8:9]
	v_mul_f64 v[15:16], v[11:12], v[11:12]
	v_fma_f64 v[19:20], v[15:16], s[18:19], s[16:17]
	s_mov_b32 s16, 0xd7f4df2e
	s_mov_b32 s17, 0x3fc7474d
	v_mul_f64 v[21:22], v[11:12], v[15:16]
	v_fma_f64 v[19:20], v[15:16], v[19:20], s[16:17]
	s_mov_b32 s16, 0x16291751
	s_mov_b32 s17, 0x3fcc71c0
	v_fma_f64 v[19:20], v[15:16], v[19:20], s[16:17]
	s_mov_b32 s16, 0x9b27acf1
	s_mov_b32 s17, 0x3fd24924
	;; [unrolled: 3-line block ×3, first 2 shown]
	v_fma_f64 v[19:20], v[15:16], v[19:20], s[16:17]
	v_fma_f64 v[15:16], v[15:16], v[19:20], s[14:15]
	v_ldexp_f64 v[19:20], v[11:12], 1
	v_add_f64 v[11:12], v[11:12], -v[17:18]
	s_mov_b32 s14, 0xfefa39ef
	s_mov_b32 s15, 0x3fe62e42
	v_mul_f64 v[15:16], v[21:22], v[15:16]
	v_cvt_f64_i32_e32 v[21:22], v13
	v_add_f64 v[8:9], v[8:9], -v[11:12]
	v_add_f64 v[17:18], v[19:20], v[15:16]
	v_mul_f64 v[23:24], v[21:22], s[14:15]
	v_ldexp_f64 v[8:9], v[8:9], 1
	v_add_f64 v[11:12], v[17:18], -v[19:20]
	v_fma_f64 v[19:20], v[21:22], s[14:15], -v[23:24]
	s_mov_b32 s14, 0x3b39803f
	s_mov_b32 s15, 0x3c7abc9e
	v_add_f64 v[11:12], v[15:16], -v[11:12]
	v_fma_f64 v[15:16], v[21:22], s[14:15], v[19:20]
	v_add_f64 v[8:9], v[8:9], v[11:12]
	v_add_f64 v[11:12], v[23:24], v[15:16]
	;; [unrolled: 1-line block ×3, first 2 shown]
	v_add_f64 v[23:24], v[11:12], -v[23:24]
	v_add_f64 v[21:22], v[11:12], v[19:20]
	v_add_f64 v[17:18], v[19:20], -v[17:18]
	v_add_f64 v[15:16], v[15:16], -v[23:24]
	;; [unrolled: 1-line block ×6, first 2 shown]
	v_fma_f64 v[19:20], -v[27:28], v[31:32], 1.0
	v_add_f64 v[23:24], v[15:16], v[8:9]
	v_add_f64 v[11:12], v[11:12], -v[29:30]
	v_add_f64 v[11:12], v[17:18], v[11:12]
	v_fma_f64 v[17:18], v[31:32], v[19:20], v[31:32]
	v_add_f64 v[19:20], v[23:24], -v[15:16]
	v_div_scale_f64 v[31:32], vcc_lo, -0.5, v[2:3], -0.5
	v_add_f64 v[11:12], v[23:24], v[11:12]
	v_fma_f64 v[25:26], -v[27:28], v[17:18], 1.0
	v_add_f64 v[23:24], v[23:24], -v[19:20]
	v_add_f64 v[8:9], v[8:9], -v[19:20]
	v_add_f64 v[29:30], v[21:22], v[11:12]
	v_fma_f64 v[17:18], v[17:18], v[25:26], v[17:18]
	v_add_f64 v[15:16], v[15:16], -v[23:24]
	v_add_f64 v[19:20], v[29:30], -v[21:22]
	v_mul_f64 v[21:22], v[31:32], v[17:18]
	v_add_f64 v[8:9], v[8:9], v[15:16]
	v_add_f64 v[11:12], v[11:12], -v[19:20]
	v_fma_f64 v[15:16], -v[27:28], v[21:22], v[31:32]
	v_add_f64 v[8:9], v[8:9], v[11:12]
	v_div_fmas_f64 v[11:12], v[15:16], v[17:18], v[21:22]
	v_cmp_class_f64_e64 vcc_lo, v[2:3], 0x204
	v_add_f64 v[8:9], v[29:30], v[8:9]
	v_div_fixup_f64 v[11:12], v[11:12], v[2:3], -0.5
	v_cndmask_b32_e32 v3, v9, v3, vcc_lo
	v_cndmask_b32_e32 v2, v8, v2, vcc_lo
	v_add_f64 v[2:3], v[2:3], v[11:12]
	v_add_f64 v[2:3], v[2:3], -v[4:5]
	v_add_f64 v[4:5], v[6:7], v[2:3]
                                        ; implicit-def: $vgpr6_vgpr7
.LBB8_1425:
	s_andn2_saveexec_b32 s1, s1
; %bb.1426:
	s_mov_b32 s14, 0xdc85cc95
	s_mov_b32 s15, 0x40020396
	v_add_f64 v[4:5], v[6:7], s[14:15]
; %bb.1427:
	s_or_b32 exec_lo, exec_lo, s1
.LBB8_1428:
	s_or_b32 exec_lo, exec_lo, s0
                                        ; implicit-def: $vgpr2_vgpr3
.LBB8_1429:
	s_andn2_saveexec_b32 s0, s13
; %bb.1430:
	v_xor_b32_e32 v2, 0x80000000, v3
	s_mov_b32 s1, 0x7ff00000
	v_mov_b32_e32 v4, 0
	v_bfi_b32 v5, 0x7fffffff, s1, v2
; %bb.1431:
	s_or_b32 exec_lo, exec_lo, s0
	v_add_nc_u32_e32 v12, s3, v10
	s_cmp_lt_i32 s6, 11
	v_ashrrev_i32_e32 v2, 31, v12
	v_add_co_u32 v6, vcc_lo, s10, v12
	v_add_co_ci_u32_e64 v7, null, s11, v2, vcc_lo
	s_cbranch_scc1 .LBB8_1438
; %bb.1432:
	s_cmp_gt_i32 s6, 25
	s_mov_b32 s1, 0
	s_cbranch_scc0 .LBB8_1440
; %bb.1433:
	s_cmp_gt_i32 s6, 28
	s_cbranch_scc0 .LBB8_1441
; %bb.1434:
	s_cmp_gt_i32 s6, 43
	;; [unrolled: 3-line block ×3, first 2 shown]
	s_cbranch_scc0 .LBB8_1444
; %bb.1436:
	s_cmp_eq_u32 s6, 46
	s_mov_b32 s14, 0
	s_cbranch_scc0 .LBB8_1445
; %bb.1437:
	global_load_dword v2, v[6:7], off
	s_mov_b32 s0, 0
	s_mov_b32 s13, -1
	s_waitcnt vmcnt(0)
	v_lshlrev_b32_e32 v2, 16, v2
	v_cvt_f64_f32_e32 v[2:3], v2
	s_branch .LBB8_1447
.LBB8_1438:
	s_mov_b32 s13, 0
                                        ; implicit-def: $vgpr2_vgpr3
	s_cbranch_execnz .LBB8_1513
.LBB8_1439:
	s_andn2_b32 vcc_lo, exec_lo, s13
	s_cbranch_vccnz .LBB8_1818
	s_branch .LBB8_1561
.LBB8_1440:
	s_mov_b32 s14, -1
	s_mov_b32 s13, 0
	s_mov_b32 s0, 0
                                        ; implicit-def: $vgpr2_vgpr3
	s_branch .LBB8_1478
.LBB8_1441:
	s_mov_b32 s14, -1
	s_mov_b32 s13, 0
	s_mov_b32 s0, 0
                                        ; implicit-def: $vgpr2_vgpr3
	s_branch .LBB8_1457
.LBB8_1442:
	s_mov_b32 s14, -1
	s_mov_b32 s13, 0
	s_mov_b32 s0, 0
                                        ; implicit-def: $vgpr2_vgpr3
	s_branch .LBB8_1452
.LBB8_1443:
	s_or_b32 s5, s5, exec_lo
	s_trap 2
	s_cbranch_execz .LBB8_1358
	s_branch .LBB8_1359
.LBB8_1444:
	s_mov_b32 s14, -1
	s_mov_b32 s13, 0
	s_mov_b32 s0, 0
	s_branch .LBB8_1446
.LBB8_1445:
	s_mov_b32 s0, -1
	s_mov_b32 s13, 0
.LBB8_1446:
                                        ; implicit-def: $vgpr2_vgpr3
.LBB8_1447:
	s_and_b32 vcc_lo, exec_lo, s14
	s_cbranch_vccz .LBB8_1451
; %bb.1448:
	s_cmp_eq_u32 s6, 44
	s_cbranch_scc0 .LBB8_1450
; %bb.1449:
	global_load_ubyte v8, v[6:7], off
	s_mov_b32 s0, 0
	s_mov_b32 s13, -1
	s_waitcnt vmcnt(0)
	v_lshlrev_b32_e32 v2, 23, v8
	v_cmp_ne_u32_e32 vcc_lo, 0xff, v8
	v_cvt_f64_f32_e32 v[2:3], v2
	v_cndmask_b32_e32 v2, 0x20000000, v2, vcc_lo
	v_cndmask_b32_e32 v3, 0x7ff80000, v3, vcc_lo
	v_cmp_ne_u32_e32 vcc_lo, 0, v8
	v_cndmask_b32_e32 v3, 0x38000000, v3, vcc_lo
	v_cndmask_b32_e32 v2, 0, v2, vcc_lo
	s_branch .LBB8_1451
.LBB8_1450:
	s_mov_b32 s0, -1
                                        ; implicit-def: $vgpr2_vgpr3
.LBB8_1451:
	s_mov_b32 s14, 0
.LBB8_1452:
	s_and_b32 vcc_lo, exec_lo, s14
	s_cbranch_vccz .LBB8_1456
; %bb.1453:
	s_cmp_eq_u32 s6, 29
	s_cbranch_scc0 .LBB8_1455
; %bb.1454:
	global_load_dwordx2 v[2:3], v[6:7], off
	s_mov_b32 s0, 0
	s_mov_b32 s13, -1
	s_mov_b32 s14, 0
	s_waitcnt vmcnt(0)
	v_cvt_f64_u32_e32 v[8:9], v3
	v_cvt_f64_u32_e32 v[2:3], v2
	v_ldexp_f64 v[8:9], v[8:9], 32
	v_add_f64 v[2:3], v[8:9], v[2:3]
	s_branch .LBB8_1457
.LBB8_1455:
	s_mov_b32 s0, -1
                                        ; implicit-def: $vgpr2_vgpr3
.LBB8_1456:
	s_mov_b32 s14, 0
.LBB8_1457:
	s_and_b32 vcc_lo, exec_lo, s14
	s_cbranch_vccz .LBB8_1477
; %bb.1458:
	s_cmp_lt_i32 s6, 27
	s_cbranch_scc1 .LBB8_1461
; %bb.1459:
	s_cmp_gt_i32 s6, 27
	s_cbranch_scc0 .LBB8_1462
; %bb.1460:
	global_load_dword v2, v[6:7], off
	s_mov_b32 s13, 0
	s_waitcnt vmcnt(0)
	v_cvt_f64_u32_e32 v[2:3], v2
	s_branch .LBB8_1463
.LBB8_1461:
	s_mov_b32 s13, -1
                                        ; implicit-def: $vgpr2_vgpr3
	s_branch .LBB8_1466
.LBB8_1462:
	s_mov_b32 s13, -1
                                        ; implicit-def: $vgpr2_vgpr3
.LBB8_1463:
	s_andn2_b32 vcc_lo, exec_lo, s13
	s_cbranch_vccnz .LBB8_1465
; %bb.1464:
	global_load_ushort v2, v[6:7], off
	s_waitcnt vmcnt(0)
	v_cvt_f64_u32_e32 v[2:3], v2
.LBB8_1465:
	s_mov_b32 s13, 0
.LBB8_1466:
	s_andn2_b32 vcc_lo, exec_lo, s13
	s_cbranch_vccnz .LBB8_1476
; %bb.1467:
	global_load_ubyte v8, v[6:7], off
	s_mov_b32 s13, 0
	s_mov_b32 s14, exec_lo
	s_waitcnt vmcnt(0)
	v_cmpx_lt_i16_e32 0x7f, v8
	s_xor_b32 s14, exec_lo, s14
	s_cbranch_execz .LBB8_1471
; %bb.1468:
	s_mov_b32 s13, -1
	s_mov_b32 s15, exec_lo
	v_cmpx_eq_u16_e32 0x80, v8
; %bb.1469:
	s_xor_b32 s13, exec_lo, -1
; %bb.1470:
	s_or_b32 exec_lo, exec_lo, s15
	s_and_b32 s13, s13, exec_lo
.LBB8_1471:
	s_or_saveexec_b32 s14, s14
	v_bfrev_b32_e32 v2, 4
	v_mov_b32_e32 v3, 0x7ff80000
	s_xor_b32 exec_lo, exec_lo, s14
; %bb.1472:
	v_cmp_ne_u16_e32 vcc_lo, 0, v8
	v_mov_b32_e32 v2, 0
	v_mov_b32_e32 v3, 0
	s_andn2_b32 s13, s13, exec_lo
	s_and_b32 s15, vcc_lo, exec_lo
	s_or_b32 s13, s13, s15
; %bb.1473:
	s_or_b32 exec_lo, exec_lo, s14
	s_and_saveexec_b32 s14, s13
	s_cbranch_execz .LBB8_1475
; %bb.1474:
	v_and_b32_e32 v2, 0xffff, v8
	v_lshlrev_b32_e32 v8, 24, v8
	v_and_b32_e32 v3, 7, v2
	v_bfe_u32 v11, v2, 3, 4
	v_ffbh_u32_e32 v9, v3
	v_cmp_eq_u32_e32 vcc_lo, 0, v11
	v_min_u32_e32 v9, 32, v9
	v_subrev_nc_u32_e32 v10, 28, v9
	v_sub_nc_u32_e32 v9, 29, v9
	v_lshlrev_b32_e32 v2, v10, v2
	v_cndmask_b32_e32 v9, v11, v9, vcc_lo
	v_and_b32_e32 v2, 7, v2
	v_cndmask_b32_e32 v2, v3, v2, vcc_lo
	v_and_b32_e32 v3, 0x80000000, v8
	v_lshl_add_u32 v8, v9, 23, 0x3b800000
	v_lshlrev_b32_e32 v2, 20, v2
	v_or3_b32 v2, v3, v8, v2
	v_cvt_f64_f32_e32 v[2:3], v2
.LBB8_1475:
	s_or_b32 exec_lo, exec_lo, s14
.LBB8_1476:
	s_mov_b32 s13, -1
.LBB8_1477:
	s_mov_b32 s14, 0
.LBB8_1478:
	s_and_b32 vcc_lo, exec_lo, s14
	s_cbranch_vccz .LBB8_1509
; %bb.1479:
	s_cmp_gt_i32 s6, 22
	s_cbranch_scc0 .LBB8_1491
; %bb.1480:
	s_cmp_lt_i32 s6, 24
	s_cbranch_scc1 .LBB8_1492
; %bb.1481:
	s_cmp_gt_i32 s6, 24
	s_cbranch_scc0 .LBB8_1493
; %bb.1482:
	global_load_ubyte v8, v[6:7], off
	s_mov_b32 s13, exec_lo
	s_waitcnt vmcnt(0)
	v_cmpx_lt_i16_e32 0x7f, v8
	s_xor_b32 s13, exec_lo, s13
	s_cbranch_execz .LBB8_1486
; %bb.1483:
	s_mov_b32 s1, -1
	s_mov_b32 s14, exec_lo
	v_cmpx_eq_u16_e32 0x80, v8
; %bb.1484:
	s_xor_b32 s1, exec_lo, -1
; %bb.1485:
	s_or_b32 exec_lo, exec_lo, s14
	s_and_b32 s1, s1, exec_lo
.LBB8_1486:
	s_or_saveexec_b32 s13, s13
	v_bfrev_b32_e32 v2, 4
	v_mov_b32_e32 v3, 0x7ff80000
	s_xor_b32 exec_lo, exec_lo, s13
; %bb.1487:
	v_cmp_ne_u16_e32 vcc_lo, 0, v8
	v_mov_b32_e32 v2, 0
	v_mov_b32_e32 v3, 0
	s_andn2_b32 s1, s1, exec_lo
	s_and_b32 s14, vcc_lo, exec_lo
	s_or_b32 s1, s1, s14
; %bb.1488:
	s_or_b32 exec_lo, exec_lo, s13
	s_and_saveexec_b32 s13, s1
	s_cbranch_execz .LBB8_1490
; %bb.1489:
	v_and_b32_e32 v2, 0xffff, v8
	v_lshlrev_b32_e32 v8, 24, v8
	v_and_b32_e32 v3, 3, v2
	v_bfe_u32 v11, v2, 2, 5
	v_ffbh_u32_e32 v9, v3
	v_cmp_eq_u32_e32 vcc_lo, 0, v11
	v_min_u32_e32 v9, 32, v9
	v_subrev_nc_u32_e32 v10, 29, v9
	v_sub_nc_u32_e32 v9, 30, v9
	v_lshlrev_b32_e32 v2, v10, v2
	v_cndmask_b32_e32 v9, v11, v9, vcc_lo
	v_and_b32_e32 v2, 3, v2
	v_cndmask_b32_e32 v2, v3, v2, vcc_lo
	v_and_b32_e32 v3, 0x80000000, v8
	v_lshl_add_u32 v8, v9, 23, 0x37800000
	v_lshlrev_b32_e32 v2, 21, v2
	v_or3_b32 v2, v3, v8, v2
	v_cvt_f64_f32_e32 v[2:3], v2
.LBB8_1490:
	s_or_b32 exec_lo, exec_lo, s13
	s_mov_b32 s1, 0
	s_branch .LBB8_1494
.LBB8_1491:
	s_mov_b32 s1, -1
                                        ; implicit-def: $vgpr2_vgpr3
	s_branch .LBB8_1500
.LBB8_1492:
	s_mov_b32 s1, -1
                                        ; implicit-def: $vgpr2_vgpr3
	s_branch .LBB8_1497
.LBB8_1493:
	s_mov_b32 s1, -1
                                        ; implicit-def: $vgpr2_vgpr3
.LBB8_1494:
	s_and_b32 vcc_lo, exec_lo, s1
	s_cbranch_vccz .LBB8_1496
; %bb.1495:
	global_load_ubyte v2, v[6:7], off
	s_waitcnt vmcnt(0)
	v_lshlrev_b32_e32 v2, 24, v2
	v_and_b32_e32 v3, 0x7f000000, v2
	v_ffbh_u32_e32 v8, v3
	v_add_nc_u32_e32 v10, 0x1000000, v3
	v_cmp_ne_u32_e32 vcc_lo, 0, v3
	v_min_u32_e32 v8, 32, v8
	v_sub_nc_u32_e64 v8, v8, 4 clamp
	v_lshlrev_b32_e32 v9, v8, v3
	v_lshlrev_b32_e32 v8, 23, v8
	v_lshrrev_b32_e32 v9, 4, v9
	v_sub_nc_u32_e32 v8, v9, v8
	v_ashrrev_i32_e32 v9, 8, v10
	v_add_nc_u32_e32 v8, 0x3c000000, v8
	v_and_or_b32 v8, 0x7f800000, v9, v8
	v_cndmask_b32_e32 v3, 0, v8, vcc_lo
	v_and_or_b32 v2, 0x80000000, v2, v3
	v_cvt_f64_f32_e32 v[2:3], v2
.LBB8_1496:
	s_mov_b32 s1, 0
.LBB8_1497:
	s_andn2_b32 vcc_lo, exec_lo, s1
	s_cbranch_vccnz .LBB8_1499
; %bb.1498:
	global_load_ubyte v2, v[6:7], off
	s_waitcnt vmcnt(0)
	v_lshlrev_b32_e32 v3, 25, v2
	v_lshlrev_b16 v2, 8, v2
	v_lshrrev_b32_e32 v8, 4, v3
	v_and_or_b32 v9, 0x7f00, v2, 0.5
	v_cmp_gt_u32_e32 vcc_lo, 0x8000000, v3
	v_bfe_i32 v2, v2, 0, 16
	v_or_b32_e32 v8, 0x70000000, v8
	v_add_f32_e32 v9, -0.5, v9
	v_mul_f32_e32 v8, 0x7800000, v8
	v_cndmask_b32_e32 v3, v8, v9, vcc_lo
	v_and_or_b32 v2, 0x80000000, v2, v3
	v_cvt_f64_f32_e32 v[2:3], v2
.LBB8_1499:
	s_mov_b32 s1, 0
	s_mov_b32 s13, -1
.LBB8_1500:
	s_andn2_b32 vcc_lo, exec_lo, s1
	s_mov_b32 s1, 0
	s_cbranch_vccnz .LBB8_1509
; %bb.1501:
	s_cmp_gt_i32 s6, 14
	s_cbranch_scc0 .LBB8_1504
; %bb.1502:
	s_cmp_eq_u32 s6, 15
	s_cbranch_scc0 .LBB8_1505
; %bb.1503:
	global_load_ushort v2, v[6:7], off
	s_mov_b32 s0, 0
	s_mov_b32 s13, -1
	s_waitcnt vmcnt(0)
	v_lshlrev_b32_e32 v2, 16, v2
	v_cvt_f64_f32_e32 v[2:3], v2
	s_branch .LBB8_1507
.LBB8_1504:
	s_mov_b32 s1, -1
	s_branch .LBB8_1506
.LBB8_1505:
	s_mov_b32 s0, -1
.LBB8_1506:
                                        ; implicit-def: $vgpr2_vgpr3
.LBB8_1507:
	s_and_b32 vcc_lo, exec_lo, s1
	s_mov_b32 s1, 0
	s_cbranch_vccz .LBB8_1509
; %bb.1508:
	s_cmp_lg_u32 s6, 11
	s_mov_b32 s1, -1
	s_cselect_b32 s0, -1, 0
.LBB8_1509:
	s_and_b32 vcc_lo, exec_lo, s0
	s_cbranch_vccnz .LBB8_1596
; %bb.1510:
	s_andn2_b32 vcc_lo, exec_lo, s1
	s_cbranch_vccnz .LBB8_1512
.LBB8_1511:
	global_load_ubyte v2, v[6:7], off
	s_mov_b32 s13, -1
	s_waitcnt vmcnt(0)
	v_cmp_ne_u16_e32 vcc_lo, 0, v2
	v_mov_b32_e32 v2, 0
	v_cndmask_b32_e64 v3, 0, 0x3ff00000, vcc_lo
.LBB8_1512:
	s_branch .LBB8_1439
.LBB8_1513:
	s_cmp_lt_i32 s6, 5
	s_cbranch_scc1 .LBB8_1518
; %bb.1514:
	s_cmp_lt_i32 s6, 8
	s_cbranch_scc1 .LBB8_1519
; %bb.1515:
	;; [unrolled: 3-line block ×3, first 2 shown]
	s_cmp_gt_i32 s6, 9
	s_cbranch_scc0 .LBB8_1521
; %bb.1517:
	global_load_dwordx2 v[2:3], v[6:7], off
	s_mov_b32 s0, 0
	s_branch .LBB8_1522
.LBB8_1518:
	s_mov_b32 s0, -1
                                        ; implicit-def: $vgpr2_vgpr3
	s_branch .LBB8_1540
.LBB8_1519:
	s_mov_b32 s0, -1
                                        ; implicit-def: $vgpr2_vgpr3
	s_branch .LBB8_1528
.LBB8_1520:
	s_mov_b32 s0, -1
                                        ; implicit-def: $vgpr2_vgpr3
	s_branch .LBB8_1525
.LBB8_1521:
	s_mov_b32 s0, -1
                                        ; implicit-def: $vgpr2_vgpr3
.LBB8_1522:
	s_andn2_b32 vcc_lo, exec_lo, s0
	s_cbranch_vccnz .LBB8_1524
; %bb.1523:
	global_load_dword v2, v[6:7], off
	s_waitcnt vmcnt(0)
	v_cvt_f64_f32_e32 v[2:3], v2
.LBB8_1524:
	s_mov_b32 s0, 0
.LBB8_1525:
	s_andn2_b32 vcc_lo, exec_lo, s0
	s_cbranch_vccnz .LBB8_1527
; %bb.1526:
	global_load_dword v2, v[6:7], off
	s_waitcnt vmcnt(0)
	v_cvt_f32_f16_e32 v2, v2
	v_cvt_f64_f32_e32 v[2:3], v2
.LBB8_1527:
	s_mov_b32 s0, 0
.LBB8_1528:
	s_andn2_b32 vcc_lo, exec_lo, s0
	s_cbranch_vccnz .LBB8_1539
; %bb.1529:
	s_cmp_lt_i32 s6, 6
	s_cbranch_scc1 .LBB8_1532
; %bb.1530:
	s_cmp_gt_i32 s6, 6
	s_cbranch_scc0 .LBB8_1533
; %bb.1531:
	global_load_dwordx2 v[2:3], v[6:7], off
	s_mov_b32 s0, 0
	s_branch .LBB8_1534
.LBB8_1532:
	s_mov_b32 s0, -1
                                        ; implicit-def: $vgpr2_vgpr3
	s_branch .LBB8_1537
.LBB8_1533:
	s_mov_b32 s0, -1
                                        ; implicit-def: $vgpr2_vgpr3
.LBB8_1534:
	s_andn2_b32 vcc_lo, exec_lo, s0
	s_cbranch_vccnz .LBB8_1536
; %bb.1535:
	global_load_dword v2, v[6:7], off
	s_waitcnt vmcnt(0)
	v_cvt_f64_f32_e32 v[2:3], v2
.LBB8_1536:
	s_mov_b32 s0, 0
.LBB8_1537:
	s_andn2_b32 vcc_lo, exec_lo, s0
	s_cbranch_vccnz .LBB8_1539
; %bb.1538:
	global_load_ushort v2, v[6:7], off
	s_waitcnt vmcnt(0)
	v_cvt_f32_f16_e32 v2, v2
	v_cvt_f64_f32_e32 v[2:3], v2
.LBB8_1539:
	s_mov_b32 s0, 0
.LBB8_1540:
	s_andn2_b32 vcc_lo, exec_lo, s0
	s_cbranch_vccnz .LBB8_1560
; %bb.1541:
	s_cmp_lt_i32 s6, 2
	s_cbranch_scc1 .LBB8_1545
; %bb.1542:
	s_cmp_lt_i32 s6, 3
	s_cbranch_scc1 .LBB8_1546
; %bb.1543:
	s_cmp_gt_i32 s6, 3
	s_cbranch_scc0 .LBB8_1547
; %bb.1544:
	global_load_dwordx2 v[2:3], v[6:7], off
	s_mov_b32 s0, 0
	s_waitcnt vmcnt(0)
	v_cvt_f64_i32_e32 v[8:9], v3
	v_cvt_f64_u32_e32 v[2:3], v2
	v_ldexp_f64 v[8:9], v[8:9], 32
	v_add_f64 v[2:3], v[8:9], v[2:3]
	s_branch .LBB8_1548
.LBB8_1545:
	s_mov_b32 s0, -1
                                        ; implicit-def: $vgpr2_vgpr3
	s_branch .LBB8_1554
.LBB8_1546:
	s_mov_b32 s0, -1
                                        ; implicit-def: $vgpr2_vgpr3
	s_branch .LBB8_1551
.LBB8_1547:
	s_mov_b32 s0, -1
                                        ; implicit-def: $vgpr2_vgpr3
.LBB8_1548:
	s_andn2_b32 vcc_lo, exec_lo, s0
	s_cbranch_vccnz .LBB8_1550
; %bb.1549:
	global_load_dword v2, v[6:7], off
	s_waitcnt vmcnt(0)
	v_cvt_f64_i32_e32 v[2:3], v2
.LBB8_1550:
	s_mov_b32 s0, 0
.LBB8_1551:
	s_andn2_b32 vcc_lo, exec_lo, s0
	s_cbranch_vccnz .LBB8_1553
; %bb.1552:
	global_load_sshort v2, v[6:7], off
	s_waitcnt vmcnt(0)
	v_cvt_f64_i32_e32 v[2:3], v2
.LBB8_1553:
	s_mov_b32 s0, 0
.LBB8_1554:
	s_andn2_b32 vcc_lo, exec_lo, s0
	s_cbranch_vccnz .LBB8_1560
; %bb.1555:
	s_cmp_gt_i32 s6, 0
	s_mov_b32 s0, 0
	s_cbranch_scc0 .LBB8_1557
; %bb.1556:
	global_load_sbyte v2, v[6:7], off
	s_waitcnt vmcnt(0)
	v_cvt_f64_i32_e32 v[2:3], v2
	s_branch .LBB8_1558
.LBB8_1557:
	s_mov_b32 s0, -1
                                        ; implicit-def: $vgpr2_vgpr3
.LBB8_1558:
	s_andn2_b32 vcc_lo, exec_lo, s0
	s_cbranch_vccnz .LBB8_1560
; %bb.1559:
	global_load_ubyte v2, v[6:7], off
	s_waitcnt vmcnt(0)
	v_cvt_f64_u32_e32 v[2:3], v2
.LBB8_1560:
.LBB8_1561:
                                        ; implicit-def: $vgpr8_vgpr9
	s_mov_b32 s0, exec_lo
	s_waitcnt vmcnt(0)
	v_cmpx_neq_f64_e32 0, v[2:3]
	s_xor_b32 s13, exec_lo, s0
	s_cbranch_execz .LBB8_1583
; %bb.1562:
	v_mov_b32_e32 v6, 0
	v_mov_b32_e32 v7, 0
	s_mov_b32 s1, -1
	s_mov_b32 s14, exec_lo
	v_cmpx_gt_f64_e32 0, v[2:3]
	s_cbranch_execz .LBB8_1570
; %bb.1563:
	v_trunc_f64_e32 v[8:9], v[2:3]
	v_mov_b32_e32 v6, 0
	v_mov_b32_e32 v7, 0
	s_mov_b32 s1, 0
	s_mov_b32 s15, exec_lo
	v_cmpx_neq_f64_e32 v[2:3], v[8:9]
	s_cbranch_execz .LBB8_1569
; %bb.1564:
	v_add_f64 v[6:7], v[2:3], -v[8:9]
	s_mov_b32 s1, 0xc00921fb
	s_mov_b32 s0, 0x54442d18
	v_cmp_neq_f64_e64 vcc_lo, 0x7ff00000, |v[2:3]|
	s_mov_b32 s16, exec_lo
                                        ; implicit-def: $vgpr13
                                        ; implicit-def: $vgpr8_vgpr9
                                        ; implicit-def: $vgpr10_vgpr11
	v_mul_f64 v[6:7], |v[6:7]|, s[0:1]
	v_cndmask_b32_e32 v7, 0x80000000, v7, vcc_lo
	v_cndmask_b32_e32 v6, 0, v6, vcc_lo
	v_cmpx_ngt_f64_e64 0x41d00000, |v[6:7]|
	s_xor_b32 s16, exec_lo, s16
	s_cbranch_execz .LBB8_1566
; %bb.1565:
	v_ldexp_f64 v[8:9], |v[6:7]|, 0xffffff80
	v_cmp_le_f64_e64 vcc_lo, 0x7b000000, |v[6:7]|
	v_trig_preop_f64 v[10:11], |v[6:7]|, 0
	v_and_b32_e32 v13, 0x7fffffff, v7
	v_trig_preop_f64 v[15:16], |v[6:7]|, 1
	v_trig_preop_f64 v[25:26], |v[6:7]|, 2
	v_mov_b32_e32 v33, 0
	s_mov_b32 s1, 0x3ff921fb
	s_mov_b32 s18, 0x33145c07
	;; [unrolled: 1-line block ×3, first 2 shown]
	v_cndmask_b32_e32 v9, v13, v9, vcc_lo
	v_cndmask_b32_e32 v8, v6, v8, vcc_lo
	v_mul_f64 v[17:18], v[10:11], v[8:9]
	v_mul_f64 v[19:20], v[15:16], v[8:9]
	;; [unrolled: 1-line block ×3, first 2 shown]
	v_fma_f64 v[10:11], v[10:11], v[8:9], -v[17:18]
	v_fma_f64 v[15:16], v[15:16], v[8:9], -v[19:20]
	;; [unrolled: 1-line block ×3, first 2 shown]
	v_add_f64 v[21:22], v[19:20], v[10:11]
	v_add_f64 v[23:24], v[21:22], -v[19:20]
	v_add_f64 v[29:30], v[17:18], v[21:22]
	v_add_f64 v[27:28], v[21:22], -v[23:24]
	v_add_f64 v[10:11], v[10:11], -v[23:24]
	v_ldexp_f64 v[23:24], v[29:30], -2
	v_add_f64 v[17:18], v[29:30], -v[17:18]
	v_add_f64 v[19:20], v[19:20], -v[27:28]
	v_add_f64 v[27:28], v[31:32], v[15:16]
	v_cmp_neq_f64_e64 vcc_lo, 0x7ff00000, |v[23:24]|
	v_add_f64 v[17:18], v[21:22], -v[17:18]
	v_add_f64 v[10:11], v[10:11], v[19:20]
	v_fract_f64_e32 v[19:20], v[23:24]
	v_add_f64 v[21:22], v[27:28], v[10:11]
	v_ldexp_f64 v[19:20], v[19:20], 2
	v_add_f64 v[23:24], v[17:18], v[21:22]
	v_cndmask_b32_e32 v20, 0, v20, vcc_lo
	v_cndmask_b32_e32 v19, 0, v19, vcc_lo
	v_add_f64 v[29:30], v[23:24], v[19:20]
	v_add_f64 v[17:18], v[23:24], -v[17:18]
	v_cmp_gt_f64_e32 vcc_lo, 0, v[29:30]
	v_add_f64 v[29:30], v[27:28], -v[31:32]
	v_add_f64 v[17:18], v[21:22], -v[17:18]
	v_cndmask_b32_e64 v34, 0, 0x40100000, vcc_lo
	v_add_f64 v[38:39], v[27:28], -v[29:30]
	v_add_f64 v[15:16], v[15:16], -v[29:30]
	v_add_f64 v[19:20], v[19:20], v[33:34]
	v_add_f64 v[34:35], v[21:22], -v[27:28]
	v_add_f64 v[29:30], v[31:32], -v[38:39]
	v_add_f64 v[36:37], v[23:24], v[19:20]
	;; [unrolled: 3-line block ×3, first 2 shown]
	v_cvt_i32_f64_e32 v13, v[36:37]
	v_add_f64 v[27:28], v[27:28], -v[40:41]
	v_cvt_f64_i32_e32 v[34:35], v13
	v_add_f64 v[10:11], v[10:11], v[27:28]
	v_add_f64 v[19:20], v[19:20], -v[34:35]
	v_add_f64 v[10:11], v[15:16], v[10:11]
	v_add_f64 v[15:16], v[23:24], v[19:20]
	;; [unrolled: 1-line block ×3, first 2 shown]
	v_add_f64 v[10:11], v[15:16], -v[19:20]
	v_cmp_le_f64_e32 vcc_lo, 0.5, v[15:16]
	v_add_f64 v[8:9], v[17:18], v[8:9]
	v_add_f64 v[10:11], v[23:24], -v[10:11]
	v_cndmask_b32_e64 v34, 0, 0x3ff00000, vcc_lo
	v_add_co_ci_u32_e64 v13, null, 0, v13, vcc_lo
	v_add_f64 v[8:9], v[8:9], v[10:11]
	v_add_f64 v[10:11], v[15:16], -v[33:34]
	v_add_f64 v[15:16], v[10:11], v[8:9]
	v_mul_f64 v[17:18], v[15:16], s[0:1]
	v_add_f64 v[10:11], v[15:16], -v[10:11]
	v_fma_f64 v[19:20], v[15:16], s[0:1], -v[17:18]
	v_add_f64 v[8:9], v[8:9], -v[10:11]
	v_fma_f64 v[10:11], v[15:16], s[18:19], v[19:20]
	v_fma_f64 v[10:11], v[8:9], s[0:1], v[10:11]
	v_add_f64 v[8:9], v[17:18], v[10:11]
	v_add_f64 v[15:16], v[8:9], -v[17:18]
	v_add_f64 v[10:11], v[10:11], -v[15:16]
.LBB8_1566:
	s_andn2_saveexec_b32 s0, s16
	s_cbranch_execz .LBB8_1568
; %bb.1567:
	s_mov_b32 s16, 0x6dc9c883
	s_mov_b32 s17, 0x3fe45f30
	;; [unrolled: 1-line block ×3, first 2 shown]
	v_mul_f64 v[8:9], |v[6:7]|, s[16:17]
	s_mov_b32 s16, 0x54442d18
	s_mov_b32 s17, 0xbff921fb
	;; [unrolled: 1-line block ×3, first 2 shown]
	v_rndne_f64_e32 v[15:16], v[8:9]
	v_fma_f64 v[8:9], v[15:16], s[16:17], |v[6:7]|
	v_mul_f64 v[10:11], v[15:16], s[18:19]
	s_mov_b32 s16, 0x252049c0
	s_mov_b32 s17, 0xb97b839a
	v_cvt_i32_f64_e32 v13, v[15:16]
	v_fma_f64 v[19:20], v[15:16], s[18:19], v[8:9]
	v_add_f64 v[17:18], v[8:9], v[10:11]
	s_mov_b32 s19, 0x3c91a626
	v_add_f64 v[8:9], v[8:9], -v[17:18]
	v_add_f64 v[17:18], v[17:18], -v[19:20]
	v_add_f64 v[8:9], v[8:9], v[10:11]
	v_fma_f64 v[10:11], v[15:16], s[18:19], v[10:11]
	v_add_f64 v[8:9], v[17:18], v[8:9]
	v_add_f64 v[8:9], v[8:9], -v[10:11]
	v_fma_f64 v[10:11], v[15:16], s[16:17], v[8:9]
	v_add_f64 v[8:9], v[19:20], v[10:11]
	v_add_f64 v[17:18], v[8:9], -v[19:20]
	v_add_f64 v[10:11], v[10:11], -v[17:18]
.LBB8_1568:
	s_or_b32 exec_lo, exec_lo, s0
	v_mul_f64 v[15:16], v[8:9], v[8:9]
	v_add_f64 v[17:18], v[10:11], v[10:11]
	s_mov_b32 s16, 0xa9a29f71
	s_mov_b32 s18, 0xc751c08c
	;; [unrolled: 1-line block ×4, first 2 shown]
	v_cmp_class_f64_e64 s0, v[6:7], 0x1f8
	v_and_b32_e32 v13, 1, v13
	v_and_b32_e32 v7, 0x80000000, v7
	v_add_f64 v[2:3], -v[2:3], 1.0
	s_mov_b32 s1, exec_lo
	v_cmp_eq_u32_e32 vcc_lo, 0, v13
	v_fma_f64 v[19:20], v[8:9], v[8:9], -v[15:16]
	v_fma_f64 v[17:18], v[8:9], v[17:18], v[19:20]
	v_add_f64 v[15:16], v[15:16], v[17:18]
	v_fma_f64 v[17:18], v[15:16], s[18:19], s[16:17]
	s_mov_b32 s16, 0x90a8aae0
	s_mov_b32 s17, 0x3f17746f
	v_fma_f64 v[17:18], v[15:16], v[17:18], s[16:17]
	s_mov_b32 s16, 0xa6fbf144
	s_mov_b32 s17, 0xbefbb44d
	;; [unrolled: 3-line block ×13, first 2 shown]
	v_mul_f64 v[15:16], v[15:16], v[17:18]
	v_mul_f64 v[17:18], v[8:9], v[15:16]
	v_add_f64 v[19:20], v[8:9], v[17:18]
	v_fma_f64 v[15:16], v[8:9], v[15:16], -v[17:18]
	v_add_f64 v[8:9], v[19:20], -v[8:9]
	v_add_f64 v[10:11], v[10:11], v[15:16]
	v_add_f64 v[8:9], v[17:18], -v[8:9]
	v_add_f64 v[8:9], v[10:11], v[8:9]
	v_add_f64 v[10:11], v[19:20], v[8:9]
	v_rcp_f64_e32 v[15:16], v[10:11]
	v_fma_f64 v[17:18], -v[10:11], v[15:16], 1.0
	v_fma_f64 v[15:16], v[17:18], v[15:16], v[15:16]
	v_fma_f64 v[17:18], -v[10:11], v[15:16], 1.0
	v_fma_f64 v[15:16], v[17:18], v[15:16], v[15:16]
	v_add_f64 v[17:18], v[10:11], -v[19:20]
	v_mul_f64 v[19:20], v[10:11], v[15:16]
	v_add_f64 v[8:9], v[8:9], -v[17:18]
	v_fma_f64 v[17:18], v[15:16], v[10:11], -v[19:20]
	v_fma_f64 v[8:9], v[15:16], v[8:9], v[17:18]
	v_add_f64 v[17:18], v[19:20], v[8:9]
	v_add_f64 v[21:22], -v[17:18], 1.0
	v_add_f64 v[19:20], v[17:18], -v[19:20]
	v_add_f64 v[23:24], -v[21:22], 1.0
	v_add_f64 v[8:9], v[19:20], -v[8:9]
	v_add_f64 v[17:18], v[23:24], -v[17:18]
	v_add_f64 v[8:9], v[8:9], v[17:18]
	v_add_f64 v[8:9], v[21:22], v[8:9]
	v_mul_f64 v[8:9], v[15:16], v[8:9]
	v_add_f64 v[8:9], v[15:16], v[8:9]
	v_xor_b32_e32 v6, 0x80000000, v9
	v_cndmask_b32_e32 v8, v8, v10, vcc_lo
	v_cndmask_b32_e32 v6, v6, v11, vcc_lo
	v_xor_b32_e32 v7, v6, v7
	v_cndmask_b32_e64 v6, 0, v8, s0
	v_cndmask_b32_e64 v7, 0x7ff80000, v7, s0
	v_div_scale_f64 v[8:9], null, v[6:7], v[6:7], s[16:17]
	v_div_scale_f64 v[17:18], vcc_lo, s[16:17], v[6:7], s[16:17]
	v_rcp_f64_e32 v[10:11], v[8:9]
	v_fma_f64 v[15:16], -v[8:9], v[10:11], 1.0
	v_fma_f64 v[10:11], v[10:11], v[15:16], v[10:11]
	v_fma_f64 v[15:16], -v[8:9], v[10:11], 1.0
	v_fma_f64 v[10:11], v[10:11], v[15:16], v[10:11]
	v_mul_f64 v[15:16], v[17:18], v[10:11]
	v_fma_f64 v[8:9], -v[8:9], v[15:16], v[17:18]
	v_div_fmas_f64 v[8:9], v[8:9], v[10:11], v[15:16]
	v_div_fixup_f64 v[6:7], v[8:9], v[6:7], s[16:17]
.LBB8_1569:
	s_or_b32 exec_lo, exec_lo, s15
	s_orn2_b32 s1, s1, exec_lo
.LBB8_1570:
	s_or_b32 exec_lo, exec_lo, s14
	v_mov_b32_e32 v8, 0
	v_mov_b32_e32 v9, 0x7ff80000
	s_and_saveexec_b32 s0, s1
	s_cbranch_execz .LBB8_1582
; %bb.1571:
	s_mov_b32 s1, exec_lo
	v_cmpx_gt_f64_e32 0x40240000, v[2:3]
	s_cbranch_execz .LBB8_1575
; %bb.1572:
	s_mov_b32 s14, 0
	.p2align	6
.LBB8_1573:                             ; =>This Inner Loop Header: Depth=1
	v_div_scale_f64 v[8:9], null, v[2:3], v[2:3], 1.0
	v_div_scale_f64 v[17:18], vcc_lo, 1.0, v[2:3], 1.0
	v_rcp_f64_e32 v[10:11], v[8:9]
	v_fma_f64 v[15:16], -v[8:9], v[10:11], 1.0
	v_fma_f64 v[10:11], v[10:11], v[15:16], v[10:11]
	v_fma_f64 v[15:16], -v[8:9], v[10:11], 1.0
	v_fma_f64 v[10:11], v[10:11], v[15:16], v[10:11]
	v_mul_f64 v[15:16], v[17:18], v[10:11]
	v_fma_f64 v[8:9], -v[8:9], v[15:16], v[17:18]
	v_div_fmas_f64 v[8:9], v[8:9], v[10:11], v[15:16]
	v_div_fixup_f64 v[8:9], v[8:9], v[2:3], 1.0
	v_add_f64 v[2:3], v[2:3], 1.0
	v_add_f64 v[6:7], v[6:7], -v[8:9]
	v_cmp_ngt_f64_e32 vcc_lo, 0x40240000, v[2:3]
	s_or_b32 s14, vcc_lo, s14
	s_andn2_b32 exec_lo, exec_lo, s14
	s_cbranch_execnz .LBB8_1573
; %bb.1574:
	s_or_b32 exec_lo, exec_lo, s14
.LBB8_1575:
	s_or_b32 exec_lo, exec_lo, s1
	s_mov_b32 s1, exec_lo
                                        ; implicit-def: $vgpr8_vgpr9
	v_cmpx_neq_f64_e32 0x40240000, v[2:3]
	s_xor_b32 s1, exec_lo, s1
	s_cbranch_execz .LBB8_1579
; %bb.1576:
	s_mov_b32 s14, 0x85d8a000
	s_mov_b32 s15, 0x43763457
	v_mov_b32_e32 v8, 0
	v_cmp_gt_f64_e32 vcc_lo, s[14:15], v[2:3]
	v_mov_b32_e32 v9, 0
	s_and_saveexec_b32 s14, vcc_lo
	s_cbranch_execz .LBB8_1578
; %bb.1577:
	v_mul_f64 v[8:9], v[2:3], v[2:3]
	s_mov_b32 s16, 0x55555555
	s_mov_b32 s17, 0x3fb55555
	s_mov_b32 s18, 0x95995996
	s_mov_b32 s19, 0xbf959959
	s_mov_b32 s20, 0x10410410
	s_mov_b32 s21, 0x3f704104
	v_div_scale_f64 v[10:11], null, v[8:9], v[8:9], 1.0
	v_rcp_f64_e32 v[15:16], v[10:11]
	v_fma_f64 v[17:18], -v[10:11], v[15:16], 1.0
	v_fma_f64 v[15:16], v[15:16], v[17:18], v[15:16]
	v_fma_f64 v[17:18], -v[10:11], v[15:16], 1.0
	v_fma_f64 v[15:16], v[15:16], v[17:18], v[15:16]
	v_div_scale_f64 v[17:18], vcc_lo, 1.0, v[8:9], 1.0
	v_mul_f64 v[19:20], v[17:18], v[15:16]
	v_fma_f64 v[10:11], -v[10:11], v[19:20], v[17:18]
	v_div_fmas_f64 v[10:11], v[10:11], v[15:16], v[19:20]
	v_div_fixup_f64 v[8:9], v[10:11], v[8:9], 1.0
	v_fma_f64 v[10:11], v[8:9], 0, s[16:17]
	v_fma_f64 v[10:11], v[8:9], v[10:11], s[18:19]
	s_mov_b32 s18, 0xf07c1f08
	s_mov_b32 s19, 0x3f7f07c1
	v_fma_f64 v[10:11], v[8:9], v[10:11], s[18:19]
	s_mov_b32 s19, 0xbf711111
	s_mov_b32 s18, 0x11111111
	v_fma_f64 v[10:11], v[8:9], v[10:11], s[18:19]
	s_mov_b32 s19, 0xbf811111
	v_fma_f64 v[10:11], v[8:9], v[10:11], s[20:21]
	v_fma_f64 v[10:11], v[8:9], v[10:11], s[18:19]
	;; [unrolled: 1-line block ×3, first 2 shown]
	v_mul_f64 v[8:9], v[8:9], v[10:11]
.LBB8_1578:
	s_or_b32 exec_lo, exec_lo, s14
	v_frexp_mant_f64_e32 v[10:11], v[2:3]
	s_mov_b32 s15, 0x3fe55555
	s_mov_b32 s14, 0x55555555
	;; [unrolled: 1-line block ×6, first 2 shown]
	v_div_scale_f64 v[29:30], null, v[2:3], v[2:3], -0.5
	v_cmp_gt_f64_e32 vcc_lo, s[14:15], v[10:11]
	s_mov_b32 s14, 0x55555780
	v_rcp_f64_e32 v[33:34], v[29:30]
	v_cndmask_b32_e64 v13, 0, 1, vcc_lo
	v_ldexp_f64 v[10:11], v[10:11], v13
	v_frexp_exp_i32_f64_e32 v13, v[2:3]
	v_add_f64 v[15:16], v[10:11], 1.0
	v_add_f64 v[21:22], v[10:11], -1.0
	v_subrev_co_ci_u32_e64 v13, null, 0, v13, vcc_lo
	v_rcp_f64_e32 v[17:18], v[15:16]
	v_add_f64 v[23:24], v[15:16], -1.0
	v_add_f64 v[10:11], v[10:11], -v[23:24]
	v_fma_f64 v[19:20], -v[15:16], v[17:18], 1.0
	v_fma_f64 v[17:18], v[19:20], v[17:18], v[17:18]
	v_fma_f64 v[19:20], -v[15:16], v[17:18], 1.0
	v_fma_f64 v[17:18], v[19:20], v[17:18], v[17:18]
	v_mul_f64 v[19:20], v[21:22], v[17:18]
	v_mul_f64 v[25:26], v[15:16], v[19:20]
	v_fma_f64 v[15:16], v[19:20], v[15:16], -v[25:26]
	v_fma_f64 v[10:11], v[19:20], v[10:11], v[15:16]
	v_add_f64 v[15:16], v[25:26], v[10:11]
	v_add_f64 v[23:24], v[21:22], -v[15:16]
	v_add_f64 v[25:26], v[15:16], -v[25:26]
	;; [unrolled: 1-line block ×5, first 2 shown]
	v_add_f64 v[10:11], v[10:11], v[15:16]
	v_add_f64 v[10:11], v[23:24], v[10:11]
	v_mul_f64 v[10:11], v[17:18], v[10:11]
	v_add_f64 v[15:16], v[19:20], v[10:11]
	v_mul_f64 v[17:18], v[15:16], v[15:16]
	v_fma_f64 v[21:22], v[17:18], s[18:19], s[16:17]
	s_mov_b32 s16, 0xd7f4df2e
	s_mov_b32 s17, 0x3fc7474d
	v_mul_f64 v[23:24], v[15:16], v[17:18]
	v_fma_f64 v[21:22], v[17:18], v[21:22], s[16:17]
	s_mov_b32 s16, 0x16291751
	s_mov_b32 s17, 0x3fcc71c0
	v_fma_f64 v[21:22], v[17:18], v[21:22], s[16:17]
	s_mov_b32 s16, 0x9b27acf1
	s_mov_b32 s17, 0x3fd24924
	;; [unrolled: 3-line block ×3, first 2 shown]
	v_fma_f64 v[21:22], v[17:18], v[21:22], s[16:17]
	v_fma_f64 v[17:18], v[17:18], v[21:22], s[14:15]
	v_ldexp_f64 v[21:22], v[15:16], 1
	v_add_f64 v[15:16], v[15:16], -v[19:20]
	s_mov_b32 s14, 0xfefa39ef
	s_mov_b32 s15, 0x3fe62e42
	v_mul_f64 v[17:18], v[23:24], v[17:18]
	v_cvt_f64_i32_e32 v[23:24], v13
	v_add_f64 v[10:11], v[10:11], -v[15:16]
	v_add_f64 v[19:20], v[21:22], v[17:18]
	v_mul_f64 v[25:26], v[23:24], s[14:15]
	v_ldexp_f64 v[10:11], v[10:11], 1
	v_add_f64 v[15:16], v[19:20], -v[21:22]
	v_fma_f64 v[21:22], v[23:24], s[14:15], -v[25:26]
	s_mov_b32 s14, 0x3b39803f
	s_mov_b32 s15, 0x3c7abc9e
	v_add_f64 v[15:16], v[17:18], -v[15:16]
	v_fma_f64 v[17:18], v[23:24], s[14:15], v[21:22]
	v_add_f64 v[10:11], v[10:11], v[15:16]
	v_add_f64 v[15:16], v[25:26], v[17:18]
	;; [unrolled: 1-line block ×3, first 2 shown]
	v_add_f64 v[25:26], v[15:16], -v[25:26]
	v_add_f64 v[23:24], v[15:16], v[21:22]
	v_add_f64 v[19:20], v[21:22], -v[19:20]
	v_add_f64 v[17:18], v[17:18], -v[25:26]
	;; [unrolled: 1-line block ×6, first 2 shown]
	v_fma_f64 v[21:22], -v[29:30], v[33:34], 1.0
	v_add_f64 v[25:26], v[17:18], v[10:11]
	v_add_f64 v[15:16], v[15:16], -v[31:32]
	v_add_f64 v[15:16], v[19:20], v[15:16]
	v_fma_f64 v[19:20], v[33:34], v[21:22], v[33:34]
	v_add_f64 v[21:22], v[25:26], -v[17:18]
	v_div_scale_f64 v[33:34], vcc_lo, -0.5, v[2:3], -0.5
	v_add_f64 v[15:16], v[25:26], v[15:16]
	v_fma_f64 v[27:28], -v[29:30], v[19:20], 1.0
	v_add_f64 v[25:26], v[25:26], -v[21:22]
	v_add_f64 v[10:11], v[10:11], -v[21:22]
	v_add_f64 v[31:32], v[23:24], v[15:16]
	v_fma_f64 v[19:20], v[19:20], v[27:28], v[19:20]
	v_add_f64 v[17:18], v[17:18], -v[25:26]
	v_add_f64 v[21:22], v[31:32], -v[23:24]
	v_mul_f64 v[23:24], v[33:34], v[19:20]
	v_add_f64 v[10:11], v[10:11], v[17:18]
	v_add_f64 v[15:16], v[15:16], -v[21:22]
	v_fma_f64 v[17:18], -v[29:30], v[23:24], v[33:34]
	v_add_f64 v[10:11], v[10:11], v[15:16]
	v_div_fmas_f64 v[15:16], v[17:18], v[19:20], v[23:24]
	v_cmp_class_f64_e64 vcc_lo, v[2:3], 0x204
	v_add_f64 v[10:11], v[31:32], v[10:11]
	v_div_fixup_f64 v[15:16], v[15:16], v[2:3], -0.5
	v_cndmask_b32_e32 v3, v11, v3, vcc_lo
	v_cndmask_b32_e32 v2, v10, v2, vcc_lo
	v_add_f64 v[2:3], v[2:3], v[15:16]
	v_add_f64 v[2:3], v[2:3], -v[8:9]
	v_add_f64 v[8:9], v[6:7], v[2:3]
                                        ; implicit-def: $vgpr6_vgpr7
.LBB8_1579:
	s_andn2_saveexec_b32 s1, s1
; %bb.1580:
	s_mov_b32 s14, 0xdc85cc95
	s_mov_b32 s15, 0x40020396
	v_add_f64 v[8:9], v[6:7], s[14:15]
; %bb.1581:
	s_or_b32 exec_lo, exec_lo, s1
.LBB8_1582:
	s_or_b32 exec_lo, exec_lo, s0
                                        ; implicit-def: $vgpr2_vgpr3
.LBB8_1583:
	s_andn2_saveexec_b32 s0, s13
; %bb.1584:
	v_xor_b32_e32 v2, 0x80000000, v3
	s_mov_b32 s1, 0x7ff00000
	v_mov_b32_e32 v8, 0
	v_bfi_b32 v9, 0x7fffffff, s1, v2
; %bb.1585:
	s_or_b32 exec_lo, exec_lo, s0
	v_add_nc_u32_e32 v2, s3, v12
	s_cmp_lt_i32 s6, 11
	v_ashrrev_i32_e32 v3, 31, v2
	v_add_co_u32 v6, vcc_lo, s10, v2
	v_add_co_ci_u32_e64 v7, null, s11, v3, vcc_lo
	s_cbranch_scc1 .LBB8_1592
; %bb.1586:
	s_cmp_gt_i32 s6, 25
	s_mov_b32 s1, 0
	s_cbranch_scc0 .LBB8_1593
; %bb.1587:
	s_cmp_gt_i32 s6, 28
	s_cbranch_scc0 .LBB8_1594
; %bb.1588:
	s_cmp_gt_i32 s6, 43
	;; [unrolled: 3-line block ×3, first 2 shown]
	s_cbranch_scc0 .LBB8_1597
; %bb.1590:
	s_cmp_eq_u32 s6, 46
	s_mov_b32 s10, 0
	s_cbranch_scc0 .LBB8_1598
; %bb.1591:
	global_load_dword v2, v[6:7], off
	s_mov_b32 s0, 0
	s_mov_b32 s3, -1
	s_waitcnt vmcnt(0)
	v_lshlrev_b32_e32 v2, 16, v2
	v_cvt_f64_f32_e32 v[2:3], v2
	s_branch .LBB8_1600
.LBB8_1592:
	s_mov_b32 s0, -1
	s_mov_b32 s3, 0
                                        ; implicit-def: $vgpr2_vgpr3
	s_branch .LBB8_1666
.LBB8_1593:
	s_mov_b32 s10, -1
	s_mov_b32 s3, 0
	s_mov_b32 s0, 0
                                        ; implicit-def: $vgpr2_vgpr3
	s_branch .LBB8_1631
.LBB8_1594:
	s_mov_b32 s10, -1
	s_mov_b32 s3, 0
	s_mov_b32 s0, 0
                                        ; implicit-def: $vgpr2_vgpr3
	s_branch .LBB8_1610
.LBB8_1595:
	s_mov_b32 s10, -1
	s_mov_b32 s3, 0
	s_mov_b32 s0, 0
                                        ; implicit-def: $vgpr2_vgpr3
	s_branch .LBB8_1605
.LBB8_1596:
	s_or_b32 s5, s5, exec_lo
	s_trap 2
	s_cbranch_execz .LBB8_1511
	s_branch .LBB8_1512
.LBB8_1597:
	s_mov_b32 s10, -1
	s_mov_b32 s3, 0
	s_mov_b32 s0, 0
	s_branch .LBB8_1599
.LBB8_1598:
	s_mov_b32 s0, -1
	s_mov_b32 s3, 0
.LBB8_1599:
                                        ; implicit-def: $vgpr2_vgpr3
.LBB8_1600:
	s_and_b32 vcc_lo, exec_lo, s10
	s_cbranch_vccz .LBB8_1604
; %bb.1601:
	s_cmp_eq_u32 s6, 44
	s_cbranch_scc0 .LBB8_1603
; %bb.1602:
	global_load_ubyte v10, v[6:7], off
	s_mov_b32 s0, 0
	s_mov_b32 s3, -1
	s_waitcnt vmcnt(0)
	v_lshlrev_b32_e32 v2, 23, v10
	v_cmp_ne_u32_e32 vcc_lo, 0xff, v10
	v_cvt_f64_f32_e32 v[2:3], v2
	v_cndmask_b32_e32 v2, 0x20000000, v2, vcc_lo
	v_cndmask_b32_e32 v3, 0x7ff80000, v3, vcc_lo
	v_cmp_ne_u32_e32 vcc_lo, 0, v10
	v_cndmask_b32_e32 v3, 0x38000000, v3, vcc_lo
	v_cndmask_b32_e32 v2, 0, v2, vcc_lo
	s_branch .LBB8_1604
.LBB8_1603:
	s_mov_b32 s0, -1
                                        ; implicit-def: $vgpr2_vgpr3
.LBB8_1604:
	s_mov_b32 s10, 0
.LBB8_1605:
	s_and_b32 vcc_lo, exec_lo, s10
	s_cbranch_vccz .LBB8_1609
; %bb.1606:
	s_cmp_eq_u32 s6, 29
	s_cbranch_scc0 .LBB8_1608
; %bb.1607:
	global_load_dwordx2 v[2:3], v[6:7], off
	s_mov_b32 s0, 0
	s_mov_b32 s3, -1
	s_mov_b32 s10, 0
	s_waitcnt vmcnt(0)
	v_cvt_f64_u32_e32 v[10:11], v3
	v_cvt_f64_u32_e32 v[2:3], v2
	v_ldexp_f64 v[10:11], v[10:11], 32
	v_add_f64 v[2:3], v[10:11], v[2:3]
	s_branch .LBB8_1610
.LBB8_1608:
	s_mov_b32 s0, -1
                                        ; implicit-def: $vgpr2_vgpr3
.LBB8_1609:
	s_mov_b32 s10, 0
.LBB8_1610:
	s_and_b32 vcc_lo, exec_lo, s10
	s_cbranch_vccz .LBB8_1630
; %bb.1611:
	s_cmp_lt_i32 s6, 27
	s_cbranch_scc1 .LBB8_1614
; %bb.1612:
	s_cmp_gt_i32 s6, 27
	s_cbranch_scc0 .LBB8_1615
; %bb.1613:
	global_load_dword v2, v[6:7], off
	s_mov_b32 s3, 0
	s_waitcnt vmcnt(0)
	v_cvt_f64_u32_e32 v[2:3], v2
	s_branch .LBB8_1616
.LBB8_1614:
	s_mov_b32 s3, -1
                                        ; implicit-def: $vgpr2_vgpr3
	s_branch .LBB8_1619
.LBB8_1615:
	s_mov_b32 s3, -1
                                        ; implicit-def: $vgpr2_vgpr3
.LBB8_1616:
	s_andn2_b32 vcc_lo, exec_lo, s3
	s_cbranch_vccnz .LBB8_1618
; %bb.1617:
	global_load_ushort v2, v[6:7], off
	s_waitcnt vmcnt(0)
	v_cvt_f64_u32_e32 v[2:3], v2
.LBB8_1618:
	s_mov_b32 s3, 0
.LBB8_1619:
	s_andn2_b32 vcc_lo, exec_lo, s3
	s_cbranch_vccnz .LBB8_1629
; %bb.1620:
	global_load_ubyte v10, v[6:7], off
	s_mov_b32 s3, 0
	s_mov_b32 s10, exec_lo
	s_waitcnt vmcnt(0)
	v_cmpx_lt_i16_e32 0x7f, v10
	s_xor_b32 s10, exec_lo, s10
	s_cbranch_execz .LBB8_1624
; %bb.1621:
	s_mov_b32 s3, -1
	s_mov_b32 s11, exec_lo
	v_cmpx_eq_u16_e32 0x80, v10
; %bb.1622:
	s_xor_b32 s3, exec_lo, -1
; %bb.1623:
	s_or_b32 exec_lo, exec_lo, s11
	s_and_b32 s3, s3, exec_lo
.LBB8_1624:
	s_or_saveexec_b32 s10, s10
	v_bfrev_b32_e32 v2, 4
	v_mov_b32_e32 v3, 0x7ff80000
	s_xor_b32 exec_lo, exec_lo, s10
; %bb.1625:
	v_cmp_ne_u16_e32 vcc_lo, 0, v10
	v_mov_b32_e32 v2, 0
	v_mov_b32_e32 v3, 0
	s_andn2_b32 s3, s3, exec_lo
	s_and_b32 s11, vcc_lo, exec_lo
	s_or_b32 s3, s3, s11
; %bb.1626:
	s_or_b32 exec_lo, exec_lo, s10
	s_and_saveexec_b32 s10, s3
	s_cbranch_execz .LBB8_1628
; %bb.1627:
	v_and_b32_e32 v2, 0xffff, v10
	v_lshlrev_b32_e32 v10, 24, v10
	v_and_b32_e32 v3, 7, v2
	v_bfe_u32 v13, v2, 3, 4
	v_ffbh_u32_e32 v11, v3
	v_cmp_eq_u32_e32 vcc_lo, 0, v13
	v_min_u32_e32 v11, 32, v11
	v_subrev_nc_u32_e32 v12, 28, v11
	v_sub_nc_u32_e32 v11, 29, v11
	v_lshlrev_b32_e32 v2, v12, v2
	v_cndmask_b32_e32 v11, v13, v11, vcc_lo
	v_and_b32_e32 v2, 7, v2
	v_cndmask_b32_e32 v2, v3, v2, vcc_lo
	v_and_b32_e32 v3, 0x80000000, v10
	v_lshl_add_u32 v10, v11, 23, 0x3b800000
	v_lshlrev_b32_e32 v2, 20, v2
	v_or3_b32 v2, v3, v10, v2
	v_cvt_f64_f32_e32 v[2:3], v2
.LBB8_1628:
	s_or_b32 exec_lo, exec_lo, s10
.LBB8_1629:
	s_mov_b32 s3, -1
.LBB8_1630:
	s_mov_b32 s10, 0
.LBB8_1631:
	s_and_b32 vcc_lo, exec_lo, s10
	s_cbranch_vccz .LBB8_1662
; %bb.1632:
	s_cmp_gt_i32 s6, 22
	s_cbranch_scc0 .LBB8_1644
; %bb.1633:
	s_cmp_lt_i32 s6, 24
	s_cbranch_scc1 .LBB8_1645
; %bb.1634:
	s_cmp_gt_i32 s6, 24
	s_cbranch_scc0 .LBB8_1646
; %bb.1635:
	global_load_ubyte v10, v[6:7], off
	s_mov_b32 s3, exec_lo
	s_waitcnt vmcnt(0)
	v_cmpx_lt_i16_e32 0x7f, v10
	s_xor_b32 s3, exec_lo, s3
	s_cbranch_execz .LBB8_1639
; %bb.1636:
	s_mov_b32 s1, -1
	s_mov_b32 s10, exec_lo
	v_cmpx_eq_u16_e32 0x80, v10
; %bb.1637:
	s_xor_b32 s1, exec_lo, -1
; %bb.1638:
	s_or_b32 exec_lo, exec_lo, s10
	s_and_b32 s1, s1, exec_lo
.LBB8_1639:
	s_or_saveexec_b32 s3, s3
	v_bfrev_b32_e32 v2, 4
	v_mov_b32_e32 v3, 0x7ff80000
	s_xor_b32 exec_lo, exec_lo, s3
; %bb.1640:
	v_cmp_ne_u16_e32 vcc_lo, 0, v10
	v_mov_b32_e32 v2, 0
	v_mov_b32_e32 v3, 0
	s_andn2_b32 s1, s1, exec_lo
	s_and_b32 s10, vcc_lo, exec_lo
	s_or_b32 s1, s1, s10
; %bb.1641:
	s_or_b32 exec_lo, exec_lo, s3
	s_and_saveexec_b32 s3, s1
	s_cbranch_execz .LBB8_1643
; %bb.1642:
	v_and_b32_e32 v2, 0xffff, v10
	v_lshlrev_b32_e32 v10, 24, v10
	v_and_b32_e32 v3, 3, v2
	v_bfe_u32 v13, v2, 2, 5
	v_ffbh_u32_e32 v11, v3
	v_cmp_eq_u32_e32 vcc_lo, 0, v13
	v_min_u32_e32 v11, 32, v11
	v_subrev_nc_u32_e32 v12, 29, v11
	v_sub_nc_u32_e32 v11, 30, v11
	v_lshlrev_b32_e32 v2, v12, v2
	v_cndmask_b32_e32 v11, v13, v11, vcc_lo
	v_and_b32_e32 v2, 3, v2
	v_cndmask_b32_e32 v2, v3, v2, vcc_lo
	v_and_b32_e32 v3, 0x80000000, v10
	v_lshl_add_u32 v10, v11, 23, 0x37800000
	v_lshlrev_b32_e32 v2, 21, v2
	v_or3_b32 v2, v3, v10, v2
	v_cvt_f64_f32_e32 v[2:3], v2
.LBB8_1643:
	s_or_b32 exec_lo, exec_lo, s3
	s_mov_b32 s1, 0
	s_branch .LBB8_1647
.LBB8_1644:
	s_mov_b32 s1, -1
                                        ; implicit-def: $vgpr2_vgpr3
	s_branch .LBB8_1653
.LBB8_1645:
	s_mov_b32 s1, -1
                                        ; implicit-def: $vgpr2_vgpr3
	s_branch .LBB8_1650
.LBB8_1646:
	s_mov_b32 s1, -1
                                        ; implicit-def: $vgpr2_vgpr3
.LBB8_1647:
	s_and_b32 vcc_lo, exec_lo, s1
	s_cbranch_vccz .LBB8_1649
; %bb.1648:
	global_load_ubyte v2, v[6:7], off
	s_waitcnt vmcnt(0)
	v_lshlrev_b32_e32 v2, 24, v2
	v_and_b32_e32 v3, 0x7f000000, v2
	v_ffbh_u32_e32 v10, v3
	v_add_nc_u32_e32 v12, 0x1000000, v3
	v_cmp_ne_u32_e32 vcc_lo, 0, v3
	v_min_u32_e32 v10, 32, v10
	v_sub_nc_u32_e64 v10, v10, 4 clamp
	v_lshlrev_b32_e32 v11, v10, v3
	v_lshlrev_b32_e32 v10, 23, v10
	v_lshrrev_b32_e32 v11, 4, v11
	v_sub_nc_u32_e32 v10, v11, v10
	v_ashrrev_i32_e32 v11, 8, v12
	v_add_nc_u32_e32 v10, 0x3c000000, v10
	v_and_or_b32 v10, 0x7f800000, v11, v10
	v_cndmask_b32_e32 v3, 0, v10, vcc_lo
	v_and_or_b32 v2, 0x80000000, v2, v3
	v_cvt_f64_f32_e32 v[2:3], v2
.LBB8_1649:
	s_mov_b32 s1, 0
.LBB8_1650:
	s_andn2_b32 vcc_lo, exec_lo, s1
	s_cbranch_vccnz .LBB8_1652
; %bb.1651:
	global_load_ubyte v2, v[6:7], off
	s_waitcnt vmcnt(0)
	v_lshlrev_b32_e32 v3, 25, v2
	v_lshlrev_b16 v2, 8, v2
	v_lshrrev_b32_e32 v10, 4, v3
	v_and_or_b32 v11, 0x7f00, v2, 0.5
	v_cmp_gt_u32_e32 vcc_lo, 0x8000000, v3
	v_bfe_i32 v2, v2, 0, 16
	v_or_b32_e32 v10, 0x70000000, v10
	v_add_f32_e32 v11, -0.5, v11
	v_mul_f32_e32 v10, 0x7800000, v10
	v_cndmask_b32_e32 v3, v10, v11, vcc_lo
	v_and_or_b32 v2, 0x80000000, v2, v3
	v_cvt_f64_f32_e32 v[2:3], v2
.LBB8_1652:
	s_mov_b32 s1, 0
	s_mov_b32 s3, -1
.LBB8_1653:
	s_andn2_b32 vcc_lo, exec_lo, s1
	s_mov_b32 s1, 0
	s_cbranch_vccnz .LBB8_1662
; %bb.1654:
	s_cmp_gt_i32 s6, 14
	s_cbranch_scc0 .LBB8_1657
; %bb.1655:
	s_cmp_eq_u32 s6, 15
	s_cbranch_scc0 .LBB8_1658
; %bb.1656:
	global_load_ushort v2, v[6:7], off
	s_mov_b32 s0, 0
	s_mov_b32 s3, -1
	s_waitcnt vmcnt(0)
	v_lshlrev_b32_e32 v2, 16, v2
	v_cvt_f64_f32_e32 v[2:3], v2
	s_branch .LBB8_1660
.LBB8_1657:
	s_mov_b32 s1, -1
	s_branch .LBB8_1659
.LBB8_1658:
	s_mov_b32 s0, -1
.LBB8_1659:
                                        ; implicit-def: $vgpr2_vgpr3
.LBB8_1660:
	s_and_b32 vcc_lo, exec_lo, s1
	s_mov_b32 s1, 0
	s_cbranch_vccz .LBB8_1662
; %bb.1661:
	s_cmp_lg_u32 s6, 11
	s_mov_b32 s1, -1
	s_cselect_b32 s0, -1, 0
.LBB8_1662:
	s_and_b32 vcc_lo, exec_lo, s0
	s_cbranch_vccnz .LBB8_2220
; %bb.1663:
	s_andn2_b32 vcc_lo, exec_lo, s1
	s_cbranch_vccnz .LBB8_1665
.LBB8_1664:
	global_load_ubyte v2, v[6:7], off
	s_mov_b32 s3, -1
	s_waitcnt vmcnt(0)
	v_cmp_ne_u16_e32 vcc_lo, 0, v2
	v_mov_b32_e32 v2, 0
	v_cndmask_b32_e64 v3, 0, 0x3ff00000, vcc_lo
.LBB8_1665:
	s_mov_b32 s0, 0
.LBB8_1666:
	s_and_b32 vcc_lo, exec_lo, s0
	s_cbranch_vccz .LBB8_1715
; %bb.1667:
	s_cmp_lt_i32 s6, 5
	s_cbranch_scc1 .LBB8_1672
; %bb.1668:
	s_cmp_lt_i32 s6, 8
	s_cbranch_scc1 .LBB8_1673
	;; [unrolled: 3-line block ×3, first 2 shown]
; %bb.1670:
	s_cmp_gt_i32 s6, 9
	s_cbranch_scc0 .LBB8_1675
; %bb.1671:
	global_load_dwordx2 v[2:3], v[6:7], off
	s_mov_b32 s0, 0
	s_branch .LBB8_1676
.LBB8_1672:
	s_mov_b32 s0, -1
                                        ; implicit-def: $vgpr2_vgpr3
	s_branch .LBB8_1694
.LBB8_1673:
	s_mov_b32 s0, -1
                                        ; implicit-def: $vgpr2_vgpr3
	s_branch .LBB8_1682
.LBB8_1674:
	s_mov_b32 s0, -1
                                        ; implicit-def: $vgpr2_vgpr3
	s_branch .LBB8_1679
.LBB8_1675:
	s_mov_b32 s0, -1
                                        ; implicit-def: $vgpr2_vgpr3
.LBB8_1676:
	s_andn2_b32 vcc_lo, exec_lo, s0
	s_cbranch_vccnz .LBB8_1678
; %bb.1677:
	global_load_dword v2, v[6:7], off
	s_waitcnt vmcnt(0)
	v_cvt_f64_f32_e32 v[2:3], v2
.LBB8_1678:
	s_mov_b32 s0, 0
.LBB8_1679:
	s_andn2_b32 vcc_lo, exec_lo, s0
	s_cbranch_vccnz .LBB8_1681
; %bb.1680:
	global_load_dword v2, v[6:7], off
	s_waitcnt vmcnt(0)
	v_cvt_f32_f16_e32 v2, v2
	v_cvt_f64_f32_e32 v[2:3], v2
.LBB8_1681:
	s_mov_b32 s0, 0
.LBB8_1682:
	s_andn2_b32 vcc_lo, exec_lo, s0
	s_cbranch_vccnz .LBB8_1693
; %bb.1683:
	s_cmp_lt_i32 s6, 6
	s_cbranch_scc1 .LBB8_1686
; %bb.1684:
	s_cmp_gt_i32 s6, 6
	s_cbranch_scc0 .LBB8_1687
; %bb.1685:
	global_load_dwordx2 v[2:3], v[6:7], off
	s_mov_b32 s0, 0
	s_branch .LBB8_1688
.LBB8_1686:
	s_mov_b32 s0, -1
                                        ; implicit-def: $vgpr2_vgpr3
	s_branch .LBB8_1691
.LBB8_1687:
	s_mov_b32 s0, -1
                                        ; implicit-def: $vgpr2_vgpr3
.LBB8_1688:
	s_andn2_b32 vcc_lo, exec_lo, s0
	s_cbranch_vccnz .LBB8_1690
; %bb.1689:
	global_load_dword v2, v[6:7], off
	s_waitcnt vmcnt(0)
	v_cvt_f64_f32_e32 v[2:3], v2
.LBB8_1690:
	s_mov_b32 s0, 0
.LBB8_1691:
	s_andn2_b32 vcc_lo, exec_lo, s0
	s_cbranch_vccnz .LBB8_1693
; %bb.1692:
	global_load_ushort v2, v[6:7], off
	s_waitcnt vmcnt(0)
	v_cvt_f32_f16_e32 v2, v2
	v_cvt_f64_f32_e32 v[2:3], v2
.LBB8_1693:
	s_mov_b32 s0, 0
.LBB8_1694:
	s_andn2_b32 vcc_lo, exec_lo, s0
	s_cbranch_vccnz .LBB8_1714
; %bb.1695:
	s_cmp_lt_i32 s6, 2
	s_cbranch_scc1 .LBB8_1699
; %bb.1696:
	s_cmp_lt_i32 s6, 3
	s_cbranch_scc1 .LBB8_1700
; %bb.1697:
	s_cmp_gt_i32 s6, 3
	s_cbranch_scc0 .LBB8_1701
; %bb.1698:
	global_load_dwordx2 v[2:3], v[6:7], off
	s_mov_b32 s0, 0
	s_waitcnt vmcnt(0)
	v_cvt_f64_i32_e32 v[10:11], v3
	v_cvt_f64_u32_e32 v[2:3], v2
	v_ldexp_f64 v[10:11], v[10:11], 32
	v_add_f64 v[2:3], v[10:11], v[2:3]
	s_branch .LBB8_1702
.LBB8_1699:
	s_mov_b32 s0, -1
                                        ; implicit-def: $vgpr2_vgpr3
	s_branch .LBB8_1708
.LBB8_1700:
	s_mov_b32 s0, -1
                                        ; implicit-def: $vgpr2_vgpr3
	s_branch .LBB8_1705
.LBB8_1701:
	s_mov_b32 s0, -1
                                        ; implicit-def: $vgpr2_vgpr3
.LBB8_1702:
	s_andn2_b32 vcc_lo, exec_lo, s0
	s_cbranch_vccnz .LBB8_1704
; %bb.1703:
	global_load_dword v2, v[6:7], off
	s_waitcnt vmcnt(0)
	v_cvt_f64_i32_e32 v[2:3], v2
.LBB8_1704:
	s_mov_b32 s0, 0
.LBB8_1705:
	s_andn2_b32 vcc_lo, exec_lo, s0
	s_cbranch_vccnz .LBB8_1707
; %bb.1706:
	global_load_sshort v2, v[6:7], off
	s_waitcnt vmcnt(0)
	v_cvt_f64_i32_e32 v[2:3], v2
.LBB8_1707:
	s_mov_b32 s0, 0
.LBB8_1708:
	s_andn2_b32 vcc_lo, exec_lo, s0
	s_cbranch_vccnz .LBB8_1714
; %bb.1709:
	s_cmp_gt_i32 s6, 0
	s_mov_b32 s0, 0
	s_cbranch_scc0 .LBB8_1711
; %bb.1710:
	global_load_sbyte v2, v[6:7], off
	s_waitcnt vmcnt(0)
	v_cvt_f64_i32_e32 v[2:3], v2
	s_branch .LBB8_1712
.LBB8_1711:
	s_mov_b32 s0, -1
                                        ; implicit-def: $vgpr2_vgpr3
.LBB8_1712:
	s_andn2_b32 vcc_lo, exec_lo, s0
	s_cbranch_vccnz .LBB8_1714
; %bb.1713:
	global_load_ubyte v2, v[6:7], off
	s_waitcnt vmcnt(0)
	v_cvt_f64_u32_e32 v[2:3], v2
.LBB8_1714:
	s_mov_b32 s3, -1
.LBB8_1715:
	s_andn2_b32 vcc_lo, exec_lo, s3
	s_cbranch_vccnz .LBB8_1818
; %bb.1716:
                                        ; implicit-def: $vgpr12_vgpr13
	s_mov_b32 s0, exec_lo
	s_waitcnt vmcnt(0)
	v_cmpx_neq_f64_e32 0, v[2:3]
	s_xor_b32 s3, exec_lo, s0
	s_cbranch_execz .LBB8_1738
; %bb.1717:
	v_mov_b32_e32 v6, 0
	v_mov_b32_e32 v7, 0
	s_mov_b32 s1, -1
	s_mov_b32 s6, exec_lo
	v_cmpx_gt_f64_e32 0, v[2:3]
	s_cbranch_execz .LBB8_1725
; %bb.1718:
	v_trunc_f64_e32 v[10:11], v[2:3]
	v_mov_b32_e32 v6, 0
	v_mov_b32_e32 v7, 0
	s_mov_b32 s1, 0
	s_mov_b32 s10, exec_lo
	v_cmpx_neq_f64_e32 v[2:3], v[10:11]
	s_cbranch_execz .LBB8_1724
; %bb.1719:
	v_add_f64 v[6:7], v[2:3], -v[10:11]
	s_mov_b32 s1, 0xc00921fb
	s_mov_b32 s0, 0x54442d18
	v_cmp_neq_f64_e64 vcc_lo, 0x7ff00000, |v[2:3]|
	s_mov_b32 s11, exec_lo
                                        ; implicit-def: $vgpr15
                                        ; implicit-def: $vgpr10_vgpr11
                                        ; implicit-def: $vgpr12_vgpr13
	v_mul_f64 v[6:7], |v[6:7]|, s[0:1]
	v_cndmask_b32_e32 v7, 0x80000000, v7, vcc_lo
	v_cndmask_b32_e32 v6, 0, v6, vcc_lo
	v_cmpx_ngt_f64_e64 0x41d00000, |v[6:7]|
	s_xor_b32 s11, exec_lo, s11
	s_cbranch_execz .LBB8_1721
; %bb.1720:
	v_ldexp_f64 v[10:11], |v[6:7]|, 0xffffff80
	v_cmp_le_f64_e64 vcc_lo, 0x7b000000, |v[6:7]|
	v_trig_preop_f64 v[12:13], |v[6:7]|, 0
	v_and_b32_e32 v15, 0x7fffffff, v7
	v_trig_preop_f64 v[25:26], |v[6:7]|, 2
	v_mov_b32_e32 v33, 0
	s_mov_b32 s1, 0x3ff921fb
	s_mov_b32 s14, 0x33145c07
	;; [unrolled: 1-line block ×3, first 2 shown]
	v_cndmask_b32_e32 v11, v15, v11, vcc_lo
	v_cndmask_b32_e32 v10, v6, v10, vcc_lo
	v_trig_preop_f64 v[15:16], |v[6:7]|, 1
	v_mul_f64 v[17:18], v[12:13], v[10:11]
	v_mul_f64 v[31:32], v[25:26], v[10:11]
	;; [unrolled: 1-line block ×3, first 2 shown]
	v_fma_f64 v[12:13], v[12:13], v[10:11], -v[17:18]
	v_fma_f64 v[15:16], v[15:16], v[10:11], -v[19:20]
	;; [unrolled: 1-line block ×3, first 2 shown]
	v_add_f64 v[21:22], v[19:20], v[12:13]
	v_add_f64 v[23:24], v[21:22], -v[19:20]
	v_add_f64 v[29:30], v[17:18], v[21:22]
	v_add_f64 v[27:28], v[21:22], -v[23:24]
	v_add_f64 v[12:13], v[12:13], -v[23:24]
	v_ldexp_f64 v[23:24], v[29:30], -2
	v_add_f64 v[17:18], v[29:30], -v[17:18]
	v_add_f64 v[19:20], v[19:20], -v[27:28]
	v_add_f64 v[27:28], v[31:32], v[15:16]
	v_cmp_neq_f64_e64 vcc_lo, 0x7ff00000, |v[23:24]|
	v_add_f64 v[17:18], v[21:22], -v[17:18]
	v_add_f64 v[12:13], v[12:13], v[19:20]
	v_fract_f64_e32 v[19:20], v[23:24]
	v_add_f64 v[21:22], v[27:28], v[12:13]
	v_ldexp_f64 v[19:20], v[19:20], 2
	v_add_f64 v[23:24], v[17:18], v[21:22]
	v_cndmask_b32_e32 v20, 0, v20, vcc_lo
	v_cndmask_b32_e32 v19, 0, v19, vcc_lo
	v_add_f64 v[29:30], v[23:24], v[19:20]
	v_add_f64 v[17:18], v[23:24], -v[17:18]
	v_cmp_gt_f64_e32 vcc_lo, 0, v[29:30]
	v_add_f64 v[29:30], v[27:28], -v[31:32]
	v_cndmask_b32_e64 v34, 0, 0x40100000, vcc_lo
	v_add_f64 v[38:39], v[27:28], -v[29:30]
	v_add_f64 v[15:16], v[15:16], -v[29:30]
	v_add_f64 v[19:20], v[19:20], v[33:34]
	v_add_f64 v[34:35], v[21:22], -v[27:28]
	v_add_f64 v[29:30], v[31:32], -v[38:39]
	v_add_f64 v[36:37], v[23:24], v[19:20]
	;; [unrolled: 3-line block ×3, first 2 shown]
	v_cvt_i32_f64_e32 v36, v[36:37]
	v_add_f64 v[27:28], v[27:28], -v[40:41]
	v_cvt_f64_i32_e32 v[34:35], v36
	v_add_f64 v[12:13], v[12:13], v[27:28]
	v_add_f64 v[19:20], v[19:20], -v[34:35]
	v_add_f64 v[12:13], v[15:16], v[12:13]
	v_add_f64 v[15:16], v[21:22], -v[17:18]
	v_add_f64 v[25:26], v[23:24], v[19:20]
	v_add_f64 v[10:11], v[10:11], v[12:13]
	v_add_f64 v[12:13], v[25:26], -v[19:20]
	v_cmp_le_f64_e32 vcc_lo, 0.5, v[25:26]
	v_add_f64 v[10:11], v[15:16], v[10:11]
	v_add_f64 v[12:13], v[23:24], -v[12:13]
	v_cndmask_b32_e64 v34, 0, 0x3ff00000, vcc_lo
	v_add_co_ci_u32_e64 v15, null, 0, v36, vcc_lo
	v_add_f64 v[10:11], v[10:11], v[12:13]
	v_add_f64 v[12:13], v[25:26], -v[33:34]
	v_add_f64 v[16:17], v[12:13], v[10:11]
	v_mul_f64 v[18:19], v[16:17], s[0:1]
	v_add_f64 v[12:13], v[16:17], -v[12:13]
	v_fma_f64 v[20:21], v[16:17], s[0:1], -v[18:19]
	v_add_f64 v[10:11], v[10:11], -v[12:13]
	v_fma_f64 v[12:13], v[16:17], s[14:15], v[20:21]
	v_fma_f64 v[12:13], v[10:11], s[0:1], v[12:13]
	v_add_f64 v[10:11], v[18:19], v[12:13]
	v_add_f64 v[16:17], v[10:11], -v[18:19]
	v_add_f64 v[12:13], v[12:13], -v[16:17]
.LBB8_1721:
	s_andn2_saveexec_b32 s0, s11
	s_cbranch_execz .LBB8_1723
; %bb.1722:
	s_mov_b32 s14, 0x6dc9c883
	s_mov_b32 s15, 0x3fe45f30
	s_mov_b32 s17, 0xbc91a626
	v_mul_f64 v[10:11], |v[6:7]|, s[14:15]
	s_mov_b32 s14, 0x54442d18
	s_mov_b32 s15, 0xbff921fb
	;; [unrolled: 1-line block ×3, first 2 shown]
	v_rndne_f64_e32 v[15:16], v[10:11]
	v_fma_f64 v[10:11], v[15:16], s[14:15], |v[6:7]|
	v_mul_f64 v[12:13], v[15:16], s[16:17]
	s_mov_b32 s14, 0x252049c0
	s_mov_b32 s15, 0xb97b839a
	v_fma_f64 v[19:20], v[15:16], s[16:17], v[10:11]
	v_add_f64 v[17:18], v[10:11], v[12:13]
	s_mov_b32 s17, 0x3c91a626
	v_add_f64 v[10:11], v[10:11], -v[17:18]
	v_add_f64 v[17:18], v[17:18], -v[19:20]
	v_add_f64 v[10:11], v[10:11], v[12:13]
	v_fma_f64 v[12:13], v[15:16], s[16:17], v[12:13]
	v_add_f64 v[10:11], v[17:18], v[10:11]
	v_add_f64 v[10:11], v[10:11], -v[12:13]
	v_fma_f64 v[12:13], v[15:16], s[14:15], v[10:11]
	v_cvt_i32_f64_e32 v15, v[15:16]
	v_add_f64 v[10:11], v[19:20], v[12:13]
	v_add_f64 v[17:18], v[10:11], -v[19:20]
	v_add_f64 v[12:13], v[12:13], -v[17:18]
.LBB8_1723:
	s_or_b32 exec_lo, exec_lo, s0
	v_mul_f64 v[16:17], v[10:11], v[10:11]
	v_add_f64 v[18:19], v[12:13], v[12:13]
	s_mov_b32 s14, 0xa9a29f71
	s_mov_b32 s16, 0xc751c08c
	;; [unrolled: 1-line block ×4, first 2 shown]
	v_cmp_class_f64_e64 s0, v[6:7], 0x1f8
	v_and_b32_e32 v15, 1, v15
	v_and_b32_e32 v7, 0x80000000, v7
	v_add_f64 v[2:3], -v[2:3], 1.0
	s_mov_b32 s1, exec_lo
	v_cmp_eq_u32_e32 vcc_lo, 0, v15
	v_fma_f64 v[20:21], v[10:11], v[10:11], -v[16:17]
	v_fma_f64 v[18:19], v[10:11], v[18:19], v[20:21]
	v_add_f64 v[16:17], v[16:17], v[18:19]
	v_fma_f64 v[18:19], v[16:17], s[16:17], s[14:15]
	s_mov_b32 s14, 0x90a8aae0
	s_mov_b32 s15, 0x3f17746f
	v_fma_f64 v[18:19], v[16:17], v[18:19], s[14:15]
	s_mov_b32 s14, 0xa6fbf144
	s_mov_b32 s15, 0xbefbb44d
	;; [unrolled: 3-line block ×13, first 2 shown]
	v_mul_f64 v[16:17], v[16:17], v[18:19]
	v_mul_f64 v[18:19], v[10:11], v[16:17]
	v_add_f64 v[20:21], v[10:11], v[18:19]
	v_fma_f64 v[16:17], v[10:11], v[16:17], -v[18:19]
	v_add_f64 v[10:11], v[20:21], -v[10:11]
	v_add_f64 v[12:13], v[12:13], v[16:17]
	v_add_f64 v[10:11], v[18:19], -v[10:11]
	v_add_f64 v[10:11], v[12:13], v[10:11]
	v_add_f64 v[12:13], v[20:21], v[10:11]
	v_rcp_f64_e32 v[16:17], v[12:13]
	v_fma_f64 v[18:19], -v[12:13], v[16:17], 1.0
	v_fma_f64 v[16:17], v[18:19], v[16:17], v[16:17]
	v_fma_f64 v[18:19], -v[12:13], v[16:17], 1.0
	v_fma_f64 v[16:17], v[18:19], v[16:17], v[16:17]
	v_add_f64 v[18:19], v[12:13], -v[20:21]
	v_mul_f64 v[20:21], v[12:13], v[16:17]
	v_add_f64 v[10:11], v[10:11], -v[18:19]
	v_fma_f64 v[18:19], v[16:17], v[12:13], -v[20:21]
	v_fma_f64 v[10:11], v[16:17], v[10:11], v[18:19]
	v_add_f64 v[18:19], v[20:21], v[10:11]
	v_add_f64 v[22:23], -v[18:19], 1.0
	v_add_f64 v[20:21], v[18:19], -v[20:21]
	v_add_f64 v[24:25], -v[22:23], 1.0
	v_add_f64 v[10:11], v[20:21], -v[10:11]
	v_add_f64 v[18:19], v[24:25], -v[18:19]
	v_add_f64 v[10:11], v[10:11], v[18:19]
	v_add_f64 v[10:11], v[22:23], v[10:11]
	v_mul_f64 v[10:11], v[16:17], v[10:11]
	v_add_f64 v[10:11], v[16:17], v[10:11]
	v_xor_b32_e32 v6, 0x80000000, v11
	v_cndmask_b32_e32 v10, v10, v12, vcc_lo
	v_cndmask_b32_e32 v6, v6, v13, vcc_lo
	v_xor_b32_e32 v7, v6, v7
	v_cndmask_b32_e64 v6, 0, v10, s0
	v_cndmask_b32_e64 v7, 0x7ff80000, v7, s0
	v_div_scale_f64 v[10:11], null, v[6:7], v[6:7], s[14:15]
	v_div_scale_f64 v[17:18], vcc_lo, s[14:15], v[6:7], s[14:15]
	v_rcp_f64_e32 v[12:13], v[10:11]
	v_fma_f64 v[15:16], -v[10:11], v[12:13], 1.0
	v_fma_f64 v[12:13], v[12:13], v[15:16], v[12:13]
	v_fma_f64 v[15:16], -v[10:11], v[12:13], 1.0
	v_fma_f64 v[12:13], v[12:13], v[15:16], v[12:13]
	v_mul_f64 v[15:16], v[17:18], v[12:13]
	v_fma_f64 v[10:11], -v[10:11], v[15:16], v[17:18]
	v_div_fmas_f64 v[10:11], v[10:11], v[12:13], v[15:16]
	v_div_fixup_f64 v[6:7], v[10:11], v[6:7], s[14:15]
.LBB8_1724:
	s_or_b32 exec_lo, exec_lo, s10
	s_orn2_b32 s1, s1, exec_lo
.LBB8_1725:
	s_or_b32 exec_lo, exec_lo, s6
	v_mov_b32_e32 v12, 0
	v_mov_b32_e32 v13, 0x7ff80000
	s_and_saveexec_b32 s0, s1
	s_cbranch_execz .LBB8_1737
; %bb.1726:
	s_mov_b32 s1, exec_lo
	v_cmpx_gt_f64_e32 0x40240000, v[2:3]
	s_cbranch_execz .LBB8_1730
; %bb.1727:
	s_mov_b32 s6, 0
.LBB8_1728:                             ; =>This Inner Loop Header: Depth=1
	v_div_scale_f64 v[10:11], null, v[2:3], v[2:3], 1.0
	v_div_scale_f64 v[17:18], vcc_lo, 1.0, v[2:3], 1.0
	v_rcp_f64_e32 v[12:13], v[10:11]
	v_fma_f64 v[15:16], -v[10:11], v[12:13], 1.0
	v_fma_f64 v[12:13], v[12:13], v[15:16], v[12:13]
	v_fma_f64 v[15:16], -v[10:11], v[12:13], 1.0
	v_fma_f64 v[12:13], v[12:13], v[15:16], v[12:13]
	v_mul_f64 v[15:16], v[17:18], v[12:13]
	v_fma_f64 v[10:11], -v[10:11], v[15:16], v[17:18]
	v_div_fmas_f64 v[10:11], v[10:11], v[12:13], v[15:16]
	v_div_fixup_f64 v[10:11], v[10:11], v[2:3], 1.0
	v_add_f64 v[2:3], v[2:3], 1.0
	v_add_f64 v[6:7], v[6:7], -v[10:11]
	v_cmp_ngt_f64_e32 vcc_lo, 0x40240000, v[2:3]
	s_or_b32 s6, vcc_lo, s6
	s_andn2_b32 exec_lo, exec_lo, s6
	s_cbranch_execnz .LBB8_1728
; %bb.1729:
	s_or_b32 exec_lo, exec_lo, s6
.LBB8_1730:
	s_or_b32 exec_lo, exec_lo, s1
	s_mov_b32 s1, exec_lo
                                        ; implicit-def: $vgpr12_vgpr13
	v_cmpx_neq_f64_e32 0x40240000, v[2:3]
	s_xor_b32 s1, exec_lo, s1
	s_cbranch_execz .LBB8_1734
; %bb.1731:
	v_mov_b32_e32 v10, 0
	v_mov_b32_e32 v11, 0
	s_mov_b32 s10, 0x85d8a000
	s_mov_b32 s11, 0x43763457
	s_mov_b32 s6, exec_lo
	v_cmpx_gt_f64_e32 s[10:11], v[2:3]
	s_cbranch_execz .LBB8_1733
; %bb.1732:
	v_mul_f64 v[10:11], v[2:3], v[2:3]
	s_mov_b32 s10, 0x55555555
	s_mov_b32 s11, 0x3fb55555
	;; [unrolled: 1-line block ×6, first 2 shown]
	v_div_scale_f64 v[12:13], null, v[10:11], v[10:11], 1.0
	v_rcp_f64_e32 v[15:16], v[12:13]
	v_fma_f64 v[17:18], -v[12:13], v[15:16], 1.0
	v_fma_f64 v[15:16], v[15:16], v[17:18], v[15:16]
	v_fma_f64 v[17:18], -v[12:13], v[15:16], 1.0
	v_fma_f64 v[15:16], v[15:16], v[17:18], v[15:16]
	v_div_scale_f64 v[17:18], vcc_lo, 1.0, v[10:11], 1.0
	v_mul_f64 v[19:20], v[17:18], v[15:16]
	v_fma_f64 v[12:13], -v[12:13], v[19:20], v[17:18]
	v_div_fmas_f64 v[12:13], v[12:13], v[15:16], v[19:20]
	v_div_fixup_f64 v[10:11], v[12:13], v[10:11], 1.0
	v_fma_f64 v[12:13], v[10:11], 0, s[10:11]
	v_fma_f64 v[12:13], v[10:11], v[12:13], s[14:15]
	s_mov_b32 s14, 0xf07c1f08
	s_mov_b32 s15, 0x3f7f07c1
	v_fma_f64 v[12:13], v[10:11], v[12:13], s[14:15]
	s_mov_b32 s15, 0xbf711111
	s_mov_b32 s14, 0x11111111
	v_fma_f64 v[12:13], v[10:11], v[12:13], s[14:15]
	s_mov_b32 s15, 0xbf811111
	v_fma_f64 v[12:13], v[10:11], v[12:13], s[16:17]
	v_fma_f64 v[12:13], v[10:11], v[12:13], s[14:15]
	;; [unrolled: 1-line block ×3, first 2 shown]
	v_mul_f64 v[10:11], v[10:11], v[12:13]
.LBB8_1733:
	s_or_b32 exec_lo, exec_lo, s6
	v_frexp_mant_f64_e32 v[12:13], v[2:3]
	s_mov_b32 s11, 0x3fe55555
	s_mov_b32 s10, 0x55555555
	;; [unrolled: 1-line block ×6, first 2 shown]
	v_div_scale_f64 v[29:30], null, v[2:3], v[2:3], -0.5
	v_cmp_gt_f64_e32 vcc_lo, s[10:11], v[12:13]
	s_mov_b32 s10, 0x55555780
	v_rcp_f64_e32 v[33:34], v[29:30]
	v_cndmask_b32_e64 v15, 0, 1, vcc_lo
	v_ldexp_f64 v[12:13], v[12:13], v15
	v_add_f64 v[15:16], v[12:13], 1.0
	v_add_f64 v[21:22], v[12:13], -1.0
	v_rcp_f64_e32 v[17:18], v[15:16]
	v_add_f64 v[23:24], v[15:16], -1.0
	v_add_f64 v[12:13], v[12:13], -v[23:24]
	v_fma_f64 v[19:20], -v[15:16], v[17:18], 1.0
	v_fma_f64 v[17:18], v[19:20], v[17:18], v[17:18]
	v_fma_f64 v[19:20], -v[15:16], v[17:18], 1.0
	v_fma_f64 v[17:18], v[19:20], v[17:18], v[17:18]
	v_mul_f64 v[19:20], v[21:22], v[17:18]
	v_mul_f64 v[25:26], v[15:16], v[19:20]
	v_fma_f64 v[15:16], v[19:20], v[15:16], -v[25:26]
	v_fma_f64 v[12:13], v[19:20], v[12:13], v[15:16]
	v_add_f64 v[15:16], v[25:26], v[12:13]
	v_add_f64 v[23:24], v[21:22], -v[15:16]
	v_add_f64 v[25:26], v[15:16], -v[25:26]
	;; [unrolled: 1-line block ×4, first 2 shown]
	v_frexp_exp_i32_f64_e32 v25, v[2:3]
	v_add_f64 v[15:16], v[21:22], -v[15:16]
	v_add_f64 v[12:13], v[12:13], v[15:16]
	v_add_f64 v[12:13], v[23:24], v[12:13]
	v_mul_f64 v[12:13], v[17:18], v[12:13]
	v_add_f64 v[15:16], v[19:20], v[12:13]
	v_mul_f64 v[17:18], v[15:16], v[15:16]
	v_fma_f64 v[21:22], v[17:18], s[16:17], s[14:15]
	s_mov_b32 s14, 0xd7f4df2e
	s_mov_b32 s15, 0x3fc7474d
	v_mul_f64 v[23:24], v[15:16], v[17:18]
	v_fma_f64 v[21:22], v[17:18], v[21:22], s[14:15]
	s_mov_b32 s14, 0x16291751
	s_mov_b32 s15, 0x3fcc71c0
	v_fma_f64 v[21:22], v[17:18], v[21:22], s[14:15]
	s_mov_b32 s14, 0x9b27acf1
	s_mov_b32 s15, 0x3fd24924
	;; [unrolled: 3-line block ×3, first 2 shown]
	v_fma_f64 v[21:22], v[17:18], v[21:22], s[14:15]
	v_fma_f64 v[17:18], v[17:18], v[21:22], s[10:11]
	v_ldexp_f64 v[21:22], v[15:16], 1
	v_add_f64 v[15:16], v[15:16], -v[19:20]
	s_mov_b32 s10, 0xfefa39ef
	s_mov_b32 s11, 0x3fe62e42
	v_mul_f64 v[17:18], v[23:24], v[17:18]
	v_subrev_co_ci_u32_e64 v23, null, 0, v25, vcc_lo
	v_add_f64 v[12:13], v[12:13], -v[15:16]
	v_cvt_f64_i32_e32 v[23:24], v23
	v_add_f64 v[19:20], v[21:22], v[17:18]
	v_ldexp_f64 v[12:13], v[12:13], 1
	v_mul_f64 v[25:26], v[23:24], s[10:11]
	v_add_f64 v[15:16], v[19:20], -v[21:22]
	v_fma_f64 v[21:22], v[23:24], s[10:11], -v[25:26]
	s_mov_b32 s10, 0x3b39803f
	s_mov_b32 s11, 0x3c7abc9e
	v_add_f64 v[15:16], v[17:18], -v[15:16]
	v_fma_f64 v[17:18], v[23:24], s[10:11], v[21:22]
	v_add_f64 v[12:13], v[12:13], v[15:16]
	v_add_f64 v[15:16], v[25:26], v[17:18]
	;; [unrolled: 1-line block ×3, first 2 shown]
	v_add_f64 v[25:26], v[15:16], -v[25:26]
	v_add_f64 v[23:24], v[15:16], v[21:22]
	v_add_f64 v[19:20], v[21:22], -v[19:20]
	v_add_f64 v[17:18], v[17:18], -v[25:26]
	;; [unrolled: 1-line block ×6, first 2 shown]
	v_fma_f64 v[21:22], -v[29:30], v[33:34], 1.0
	v_add_f64 v[25:26], v[17:18], v[12:13]
	v_add_f64 v[15:16], v[15:16], -v[31:32]
	v_add_f64 v[15:16], v[19:20], v[15:16]
	v_fma_f64 v[19:20], v[33:34], v[21:22], v[33:34]
	v_add_f64 v[21:22], v[25:26], -v[17:18]
	v_div_scale_f64 v[33:34], vcc_lo, -0.5, v[2:3], -0.5
	v_add_f64 v[15:16], v[25:26], v[15:16]
	v_fma_f64 v[27:28], -v[29:30], v[19:20], 1.0
	v_add_f64 v[25:26], v[25:26], -v[21:22]
	v_add_f64 v[12:13], v[12:13], -v[21:22]
	v_add_f64 v[31:32], v[23:24], v[15:16]
	v_fma_f64 v[19:20], v[19:20], v[27:28], v[19:20]
	v_add_f64 v[17:18], v[17:18], -v[25:26]
	v_add_f64 v[21:22], v[31:32], -v[23:24]
	v_mul_f64 v[23:24], v[33:34], v[19:20]
	v_add_f64 v[12:13], v[12:13], v[17:18]
	v_add_f64 v[15:16], v[15:16], -v[21:22]
	v_fma_f64 v[17:18], -v[29:30], v[23:24], v[33:34]
	v_add_f64 v[12:13], v[12:13], v[15:16]
	v_div_fmas_f64 v[15:16], v[17:18], v[19:20], v[23:24]
	v_cmp_class_f64_e64 vcc_lo, v[2:3], 0x204
	v_add_f64 v[12:13], v[31:32], v[12:13]
	v_div_fixup_f64 v[15:16], v[15:16], v[2:3], -0.5
	v_cndmask_b32_e32 v3, v13, v3, vcc_lo
	v_cndmask_b32_e32 v2, v12, v2, vcc_lo
	v_add_f64 v[2:3], v[2:3], v[15:16]
	v_add_f64 v[2:3], v[2:3], -v[10:11]
	v_add_f64 v[12:13], v[6:7], v[2:3]
                                        ; implicit-def: $vgpr6_vgpr7
.LBB8_1734:
	s_andn2_saveexec_b32 s1, s1
; %bb.1735:
	s_mov_b32 s10, 0xdc85cc95
	s_mov_b32 s11, 0x40020396
	v_add_f64 v[12:13], v[6:7], s[10:11]
; %bb.1736:
	s_or_b32 exec_lo, exec_lo, s1
.LBB8_1737:
	s_or_b32 exec_lo, exec_lo, s0
                                        ; implicit-def: $vgpr2_vgpr3
.LBB8_1738:
	s_andn2_saveexec_b32 s0, s3
; %bb.1739:
	v_xor_b32_e32 v2, 0x80000000, v3
	s_mov_b32 s1, 0x7ff00000
	v_mov_b32_e32 v12, 0
	v_bfi_b32 v13, 0x7fffffff, s1, v2
; %bb.1740:
	s_or_b32 exec_lo, exec_lo, s0
	v_mul_lo_u32 v10, s2, v14
	s_and_b32 s1, s4, 0xff
	s_cmp_lt_i32 s1, 11
	v_ashrrev_i32_e32 v2, 31, v10
	v_add_co_u32 v6, vcc_lo, s8, v10
	v_add_co_ci_u32_e64 v7, null, s9, v2, vcc_lo
	s_cbranch_scc1 .LBB8_1863
; %bb.1741:
	s_and_b32 s3, 0xffff, s1
	s_mov_b32 s10, -1
	s_mov_b32 s4, 0
	s_cmp_gt_i32 s3, 25
	s_mov_b32 s6, 0
	s_mov_b32 s0, 0
	s_cbranch_scc0 .LBB8_1774
; %bb.1742:
	s_cmp_gt_i32 s3, 28
	s_cbranch_scc0 .LBB8_1757
; %bb.1743:
	s_cmp_gt_i32 s3, 43
	;; [unrolled: 3-line block ×3, first 2 shown]
	s_cbranch_scc0 .LBB8_1747
; %bb.1745:
	s_mov_b32 s0, -1
	s_mov_b32 s10, 0
	s_cmp_eq_u32 s3, 46
	s_cbranch_scc0 .LBB8_1747
; %bb.1746:
	v_cvt_f32_f64_e32 v2, v[0:1]
	s_mov_b32 s0, 0
	s_mov_b32 s6, -1
	v_bfe_u32 v3, v2, 16, 1
	v_cmp_o_f32_e32 vcc_lo, v2, v2
	v_add3_u32 v2, v2, v3, 0x7fff
	v_mov_b32_e32 v3, 0x7fc0
	v_cndmask_b32_sdwa v2, v3, v2, vcc_lo dst_sel:DWORD dst_unused:UNUSED_PAD src0_sel:DWORD src1_sel:WORD_1
	global_store_dword v[6:7], v2, off
.LBB8_1747:
	s_and_b32 vcc_lo, exec_lo, s10
	s_cbranch_vccz .LBB8_1752
; %bb.1748:
	s_cmp_eq_u32 s3, 44
	s_mov_b32 s0, -1
	s_cbranch_scc0 .LBB8_1752
; %bb.1749:
	v_cvt_f32_f64_e32 v2, v[0:1]
	v_mov_b32_e32 v3, 0xff
	s_mov_b32 s6, exec_lo
	v_bfe_u32 v11, v2, 23, 8
	v_cmpx_ne_u32_e32 0xff, v11
	s_cbranch_execz .LBB8_1751
; %bb.1750:
	v_and_b32_e32 v3, 0x400000, v2
	v_and_or_b32 v11, 0x3fffff, v2, v11
	v_lshrrev_b32_e32 v2, 23, v2
	v_cmp_ne_u32_e32 vcc_lo, 0, v3
	v_cmp_ne_u32_e64 s0, 0, v11
	s_and_b32 s0, vcc_lo, s0
	v_cndmask_b32_e64 v3, 0, 1, s0
	v_add_nc_u32_e32 v3, v2, v3
.LBB8_1751:
	s_or_b32 exec_lo, exec_lo, s6
	s_mov_b32 s0, 0
	s_mov_b32 s6, -1
	global_store_byte v[6:7], v3, off
.LBB8_1752:
	s_mov_b32 s10, 0
.LBB8_1753:
	s_and_b32 vcc_lo, exec_lo, s10
	s_cbranch_vccz .LBB8_1756
; %bb.1754:
	s_cmp_eq_u32 s3, 29
	s_mov_b32 s0, -1
	s_cbranch_scc0 .LBB8_1756
; %bb.1755:
	v_trunc_f64_e32 v[2:3], v[0:1]
	s_mov_b32 s0, 0
	s_mov_b32 s6, -1
	v_ldexp_f64 v[14:15], v[2:3], 0xffffffe0
	v_floor_f64_e32 v[14:15], v[14:15]
	v_fma_f64 v[2:3], 0xc1f00000, v[14:15], v[2:3]
	v_cvt_u32_f64_e32 v15, v[14:15]
	v_cvt_u32_f64_e32 v14, v[2:3]
	global_store_dwordx2 v[6:7], v[14:15], off
.LBB8_1756:
	s_mov_b32 s10, 0
.LBB8_1757:
	s_and_b32 vcc_lo, exec_lo, s10
	s_cbranch_vccz .LBB8_1773
; %bb.1758:
	s_cmp_lt_i32 s3, 27
	s_mov_b32 s6, -1
	s_cbranch_scc1 .LBB8_1764
; %bb.1759:
	v_cvt_u32_f64_e32 v2, v[0:1]
	s_cmp_gt_i32 s3, 27
	s_cbranch_scc0 .LBB8_1761
; %bb.1760:
	s_mov_b32 s6, 0
	global_store_dword v[6:7], v2, off
.LBB8_1761:
	s_andn2_b32 vcc_lo, exec_lo, s6
	s_cbranch_vccnz .LBB8_1763
; %bb.1762:
	global_store_short v[6:7], v2, off
.LBB8_1763:
	s_mov_b32 s6, 0
.LBB8_1764:
	s_andn2_b32 vcc_lo, exec_lo, s6
	s_cbranch_vccnz .LBB8_1772
; %bb.1765:
	v_cvt_f32_f64_e32 v2, v[0:1]
	v_mov_b32_e32 v11, 0x80
	s_mov_b32 s6, exec_lo
	v_and_b32_e32 v3, 0x7fffffff, v2
	v_cmpx_gt_u32_e32 0x43800000, v3
	s_cbranch_execz .LBB8_1771
; %bb.1766:
	v_cmp_lt_u32_e32 vcc_lo, 0x3bffffff, v3
	s_mov_b32 s10, 0
                                        ; implicit-def: $vgpr3
	s_and_saveexec_b32 s11, vcc_lo
	s_xor_b32 s11, exec_lo, s11
	s_cbranch_execz .LBB8_2221
; %bb.1767:
	v_bfe_u32 v3, v2, 20, 1
	s_mov_b32 s10, exec_lo
	v_add3_u32 v3, v2, v3, 0x487ffff
	v_lshrrev_b32_e32 v3, 20, v3
	s_andn2_saveexec_b32 s11, s11
	s_cbranch_execnz .LBB8_2222
.LBB8_1768:
	s_or_b32 exec_lo, exec_lo, s11
	v_mov_b32_e32 v11, 0
	s_and_saveexec_b32 s11, s10
.LBB8_1769:
	v_lshrrev_b32_e32 v2, 24, v2
	v_and_or_b32 v11, 0x80, v2, v3
.LBB8_1770:
	s_or_b32 exec_lo, exec_lo, s11
.LBB8_1771:
	s_or_b32 exec_lo, exec_lo, s6
	global_store_byte v[6:7], v11, off
.LBB8_1772:
	s_mov_b32 s6, -1
.LBB8_1773:
	s_mov_b32 s10, 0
.LBB8_1774:
	s_and_b32 vcc_lo, exec_lo, s10
	s_cbranch_vccz .LBB8_1814
; %bb.1775:
	s_cmp_gt_i32 s3, 22
	s_mov_b32 s4, -1
	s_cbranch_scc0 .LBB8_1807
; %bb.1776:
	s_cmp_lt_i32 s3, 24
	s_cbranch_scc1 .LBB8_1796
; %bb.1777:
	s_cmp_gt_i32 s3, 24
	s_cbranch_scc0 .LBB8_1785
; %bb.1778:
	v_cvt_f32_f64_e32 v2, v[0:1]
	v_mov_b32_e32 v11, 0x80
	s_mov_b32 s4, exec_lo
	v_and_b32_e32 v3, 0x7fffffff, v2
	v_cmpx_gt_u32_e32 0x47800000, v3
	s_cbranch_execz .LBB8_1784
; %bb.1779:
	v_cmp_lt_u32_e32 vcc_lo, 0x37ffffff, v3
	s_mov_b32 s6, 0
                                        ; implicit-def: $vgpr3
	s_and_saveexec_b32 s10, vcc_lo
	s_xor_b32 s10, exec_lo, s10
	s_cbranch_execz .LBB8_2224
; %bb.1780:
	v_bfe_u32 v3, v2, 21, 1
	s_mov_b32 s6, exec_lo
	v_add3_u32 v3, v2, v3, 0x88fffff
	v_lshrrev_b32_e32 v3, 21, v3
	s_andn2_saveexec_b32 s10, s10
	s_cbranch_execnz .LBB8_2225
.LBB8_1781:
	s_or_b32 exec_lo, exec_lo, s10
	v_mov_b32_e32 v11, 0
	s_and_saveexec_b32 s10, s6
.LBB8_1782:
	v_lshrrev_b32_e32 v2, 24, v2
	v_and_or_b32 v11, 0x80, v2, v3
.LBB8_1783:
	s_or_b32 exec_lo, exec_lo, s10
.LBB8_1784:
	s_or_b32 exec_lo, exec_lo, s4
	s_mov_b32 s4, 0
	global_store_byte v[6:7], v11, off
.LBB8_1785:
	s_and_b32 vcc_lo, exec_lo, s4
	s_cbranch_vccz .LBB8_1795
; %bb.1786:
	v_cvt_f32_f64_e32 v2, v[0:1]
	s_mov_b32 s4, exec_lo
                                        ; implicit-def: $vgpr3
	v_and_b32_e32 v11, 0x7fffffff, v2
	v_cmpx_gt_u32_e32 0x43f00000, v11
	s_xor_b32 s4, exec_lo, s4
	s_cbranch_execz .LBB8_1792
; %bb.1787:
	s_mov_b32 s6, exec_lo
                                        ; implicit-def: $vgpr3
	v_cmpx_lt_u32_e32 0x3c7fffff, v11
	s_xor_b32 s6, exec_lo, s6
; %bb.1788:
	v_bfe_u32 v3, v2, 20, 1
	v_add3_u32 v3, v2, v3, 0x407ffff
	v_and_b32_e32 v11, 0xff00000, v3
	v_lshrrev_b32_e32 v3, 20, v3
	v_cmp_ne_u32_e32 vcc_lo, 0x7f00000, v11
	v_cndmask_b32_e32 v3, 0x7e, v3, vcc_lo
; %bb.1789:
	s_andn2_saveexec_b32 s6, s6
; %bb.1790:
	v_add_f32_e64 v3, 0x46800000, |v2|
; %bb.1791:
	s_or_b32 exec_lo, exec_lo, s6
                                        ; implicit-def: $vgpr11
.LBB8_1792:
	s_andn2_saveexec_b32 s4, s4
; %bb.1793:
	v_mov_b32_e32 v3, 0x7f
	v_cmp_lt_u32_e32 vcc_lo, 0x7f800000, v11
	v_cndmask_b32_e32 v3, 0x7e, v3, vcc_lo
; %bb.1794:
	s_or_b32 exec_lo, exec_lo, s4
	v_lshrrev_b32_e32 v2, 24, v2
	v_and_or_b32 v2, 0x80, v2, v3
	global_store_byte v[6:7], v2, off
.LBB8_1795:
	s_mov_b32 s4, 0
.LBB8_1796:
	s_andn2_b32 vcc_lo, exec_lo, s4
	s_cbranch_vccnz .LBB8_1806
; %bb.1797:
	v_cvt_f32_f64_e32 v2, v[0:1]
	s_mov_b32 s4, exec_lo
                                        ; implicit-def: $vgpr3
	v_and_b32_e32 v11, 0x7fffffff, v2
	v_cmpx_gt_u32_e32 0x47800000, v11
	s_xor_b32 s4, exec_lo, s4
	s_cbranch_execz .LBB8_1803
; %bb.1798:
	s_mov_b32 s6, exec_lo
                                        ; implicit-def: $vgpr3
	v_cmpx_lt_u32_e32 0x387fffff, v11
	s_xor_b32 s6, exec_lo, s6
; %bb.1799:
	v_bfe_u32 v3, v2, 21, 1
	v_add3_u32 v3, v2, v3, 0x80fffff
	v_lshrrev_b32_e32 v3, 21, v3
; %bb.1800:
	s_andn2_saveexec_b32 s6, s6
; %bb.1801:
	v_add_f32_e64 v3, 0x43000000, |v2|
; %bb.1802:
	s_or_b32 exec_lo, exec_lo, s6
                                        ; implicit-def: $vgpr11
.LBB8_1803:
	s_andn2_saveexec_b32 s4, s4
; %bb.1804:
	v_mov_b32_e32 v3, 0x7f
	v_cmp_lt_u32_e32 vcc_lo, 0x7f800000, v11
	v_cndmask_b32_e32 v3, 0x7c, v3, vcc_lo
; %bb.1805:
	s_or_b32 exec_lo, exec_lo, s4
	v_lshrrev_b32_e32 v2, 24, v2
	v_and_or_b32 v2, 0x80, v2, v3
	global_store_byte v[6:7], v2, off
.LBB8_1806:
	s_mov_b32 s4, 0
	s_mov_b32 s6, -1
.LBB8_1807:
	s_andn2_b32 vcc_lo, exec_lo, s4
	s_mov_b32 s4, 0
	s_cbranch_vccnz .LBB8_1814
; %bb.1808:
	s_cmp_gt_i32 s3, 14
	s_mov_b32 s4, -1
	s_cbranch_scc0 .LBB8_1812
; %bb.1809:
	s_cmp_eq_u32 s3, 15
	s_mov_b32 s0, -1
	s_cbranch_scc0 .LBB8_1811
; %bb.1810:
	v_cvt_f32_f64_e32 v2, v[0:1]
	s_mov_b32 s0, 0
	s_mov_b32 s6, -1
	v_bfe_u32 v3, v2, 16, 1
	v_cmp_o_f32_e32 vcc_lo, v2, v2
	v_add3_u32 v2, v2, v3, 0x7fff
	v_mov_b32_e32 v3, 0x7fc0
	v_cndmask_b32_sdwa v2, v3, v2, vcc_lo dst_sel:DWORD dst_unused:UNUSED_PAD src0_sel:DWORD src1_sel:WORD_1
	global_store_short v[6:7], v2, off
.LBB8_1811:
	s_mov_b32 s4, 0
.LBB8_1812:
	s_and_b32 vcc_lo, exec_lo, s4
	s_mov_b32 s4, 0
	s_cbranch_vccz .LBB8_1814
; %bb.1813:
	s_cmp_lg_u32 s3, 11
	s_mov_b32 s4, -1
	s_cselect_b32 s0, -1, 0
.LBB8_1814:
	s_and_b32 vcc_lo, exec_lo, s0
	s_cbranch_vccnz .LBB8_2223
; %bb.1815:
	s_andn2_b32 vcc_lo, exec_lo, s4
	s_cbranch_vccnz .LBB8_1817
.LBB8_1816:
	v_cmp_neq_f64_e32 vcc_lo, 0, v[0:1]
	s_mov_b32 s6, -1
	v_cndmask_b32_e64 v2, 0, 1, vcc_lo
	global_store_byte v[6:7], v2, off
.LBB8_1817:
	s_mov_b32 s0, 0
	s_branch .LBB8_1864
.LBB8_1818:
	s_mov_b32 s0, 0
	s_mov_b32 s3, 0
                                        ; implicit-def: $sgpr1
                                        ; implicit-def: $vgpr0_vgpr1
                                        ; implicit-def: $vgpr12_vgpr13
.LBB8_1819:
	s_andn2_b32 s2, s12, exec_lo
	s_and_b32 s4, s5, exec_lo
	s_and_b32 s0, s0, exec_lo
	;; [unrolled: 1-line block ×3, first 2 shown]
	s_or_b32 s12, s2, s4
.LBB8_1820:
	s_or_b32 exec_lo, exec_lo, s7
	s_and_saveexec_b32 s2, s12
	s_cbranch_execz .LBB8_1823
; %bb.1821:
	; divergent unreachable
	s_or_b32 exec_lo, exec_lo, s2
	s_and_saveexec_b32 s2, s5
	s_xor_b32 s2, exec_lo, s2
	s_cbranch_execnz .LBB8_1824
.LBB8_1822:
	s_or_b32 exec_lo, exec_lo, s2
	s_and_saveexec_b32 s2, s0
	s_cbranch_execnz .LBB8_1825
	s_branch .LBB8_1862
.LBB8_1823:
	s_or_b32 exec_lo, exec_lo, s2
	s_and_saveexec_b32 s2, s5
	s_xor_b32 s2, exec_lo, s2
	s_cbranch_execz .LBB8_1822
.LBB8_1824:
	v_cmp_neq_f64_e32 vcc_lo, 0, v[12:13]
	s_waitcnt vmcnt(0)
	v_cndmask_b32_e64 v2, 0, 1, vcc_lo
	global_store_byte v[0:1], v2, off
	s_or_b32 exec_lo, exec_lo, s2
	s_and_saveexec_b32 s2, s0
	s_cbranch_execz .LBB8_1862
.LBB8_1825:
	s_sext_i32_i16 s2, s1
	s_mov_b32 s0, -1
	s_cmp_lt_i32 s2, 5
	s_cbranch_scc1 .LBB8_1846
; %bb.1826:
	s_cmp_lt_i32 s2, 8
	s_cbranch_scc1 .LBB8_1836
; %bb.1827:
	;; [unrolled: 3-line block ×3, first 2 shown]
	s_cmp_gt_i32 s2, 9
	s_cbranch_scc0 .LBB8_1830
; %bb.1829:
	v_mov_b32_e32 v14, 0
	s_mov_b32 s0, 0
	v_mov_b32_e32 v15, v14
	global_store_dwordx4 v[0:1], v[12:15], off
.LBB8_1830:
	s_andn2_b32 vcc_lo, exec_lo, s0
	s_cbranch_vccnz .LBB8_1832
; %bb.1831:
	s_waitcnt vmcnt(0)
	v_cvt_f32_f64_e32 v2, v[12:13]
	v_mov_b32_e32 v3, 0
	global_store_dwordx2 v[0:1], v[2:3], off
.LBB8_1832:
	s_mov_b32 s0, 0
.LBB8_1833:
	s_andn2_b32 vcc_lo, exec_lo, s0
	s_cbranch_vccnz .LBB8_1835
; %bb.1834:
	s_waitcnt vmcnt(0)
	v_and_or_b32 v2, 0x1ff, v13, v12
	v_lshrrev_b32_e32 v3, 8, v13
	v_bfe_u32 v4, v13, 20, 11
	v_cmp_ne_u32_e32 vcc_lo, 0, v2
	v_sub_nc_u32_e32 v5, 0x3f1, v4
	v_add_nc_u32_e32 v4, 0xfffffc10, v4
	v_cndmask_b32_e64 v2, 0, 1, vcc_lo
	v_and_or_b32 v2, 0xffe, v3, v2
	v_med3_i32 v3, v5, 0, 13
	v_or_b32_e32 v5, 0x1000, v2
	v_lshrrev_b32_e32 v6, v3, v5
	v_lshlrev_b32_e32 v3, v3, v6
	v_cmp_ne_u32_e32 vcc_lo, v3, v5
	v_lshl_or_b32 v5, v4, 12, v2
	v_cndmask_b32_e64 v3, 0, 1, vcc_lo
	v_cmp_gt_i32_e32 vcc_lo, 1, v4
	v_or_b32_e32 v3, v6, v3
	v_cndmask_b32_e32 v3, v5, v3, vcc_lo
	v_and_b32_e32 v5, 7, v3
	v_lshrrev_b32_e32 v3, 2, v3
	v_cmp_lt_i32_e32 vcc_lo, 5, v5
	v_cndmask_b32_e64 v6, 0, 1, vcc_lo
	v_cmp_eq_u32_e32 vcc_lo, 3, v5
	v_cndmask_b32_e64 v5, 0, 1, vcc_lo
	v_cmp_ne_u32_e32 vcc_lo, 0, v2
	v_or_b32_e32 v5, v5, v6
	v_mov_b32_e32 v6, 0x7e00
	v_add_nc_u32_e32 v3, v3, v5
	v_cndmask_b32_e32 v2, 0x7c00, v6, vcc_lo
	v_cmp_gt_i32_e32 vcc_lo, 31, v4
	v_cndmask_b32_e32 v3, 0x7c00, v3, vcc_lo
	v_cmp_eq_u32_e32 vcc_lo, 0x40f, v4
	v_cndmask_b32_e32 v2, v3, v2, vcc_lo
	v_lshrrev_b32_e32 v3, 16, v13
	v_and_or_b32 v2, 0x8000, v3, v2
	v_and_b32_e32 v2, 0xffff, v2
	global_store_dword v[0:1], v2, off
.LBB8_1835:
	s_mov_b32 s0, 0
.LBB8_1836:
	s_andn2_b32 vcc_lo, exec_lo, s0
	s_cbranch_vccnz .LBB8_1845
; %bb.1837:
	s_sext_i32_i16 s2, s1
	s_mov_b32 s0, -1
	s_cmp_lt_i32 s2, 6
	s_cbranch_scc1 .LBB8_1843
; %bb.1838:
	s_cmp_gt_i32 s2, 6
	s_cbranch_scc0 .LBB8_1840
; %bb.1839:
	s_mov_b32 s0, 0
	global_store_dwordx2 v[0:1], v[12:13], off
.LBB8_1840:
	s_andn2_b32 vcc_lo, exec_lo, s0
	s_cbranch_vccnz .LBB8_1842
; %bb.1841:
	s_waitcnt vmcnt(0)
	v_cvt_f32_f64_e32 v2, v[12:13]
	global_store_dword v[0:1], v2, off
.LBB8_1842:
	s_mov_b32 s0, 0
.LBB8_1843:
	s_andn2_b32 vcc_lo, exec_lo, s0
	s_cbranch_vccnz .LBB8_1845
; %bb.1844:
	s_waitcnt vmcnt(0)
	v_and_or_b32 v2, 0x1ff, v13, v12
	v_lshrrev_b32_e32 v3, 8, v13
	v_bfe_u32 v4, v13, 20, 11
	v_cmp_ne_u32_e32 vcc_lo, 0, v2
	v_sub_nc_u32_e32 v5, 0x3f1, v4
	v_add_nc_u32_e32 v4, 0xfffffc10, v4
	v_cndmask_b32_e64 v2, 0, 1, vcc_lo
	v_and_or_b32 v2, 0xffe, v3, v2
	v_med3_i32 v3, v5, 0, 13
	v_or_b32_e32 v5, 0x1000, v2
	v_lshrrev_b32_e32 v6, v3, v5
	v_lshlrev_b32_e32 v3, v3, v6
	v_cmp_ne_u32_e32 vcc_lo, v3, v5
	v_lshl_or_b32 v5, v4, 12, v2
	v_cndmask_b32_e64 v3, 0, 1, vcc_lo
	v_cmp_gt_i32_e32 vcc_lo, 1, v4
	v_or_b32_e32 v3, v6, v3
	v_cndmask_b32_e32 v3, v5, v3, vcc_lo
	v_and_b32_e32 v5, 7, v3
	v_lshrrev_b32_e32 v3, 2, v3
	v_cmp_lt_i32_e32 vcc_lo, 5, v5
	v_cndmask_b32_e64 v6, 0, 1, vcc_lo
	v_cmp_eq_u32_e32 vcc_lo, 3, v5
	v_cndmask_b32_e64 v5, 0, 1, vcc_lo
	v_cmp_ne_u32_e32 vcc_lo, 0, v2
	v_or_b32_e32 v5, v5, v6
	v_mov_b32_e32 v6, 0x7e00
	v_add_nc_u32_e32 v3, v3, v5
	v_cndmask_b32_e32 v2, 0x7c00, v6, vcc_lo
	v_cmp_gt_i32_e32 vcc_lo, 31, v4
	v_cndmask_b32_e32 v3, 0x7c00, v3, vcc_lo
	v_cmp_eq_u32_e32 vcc_lo, 0x40f, v4
	v_cndmask_b32_e32 v2, v3, v2, vcc_lo
	v_lshrrev_b32_e32 v3, 16, v13
	v_and_or_b32 v2, 0x8000, v3, v2
	global_store_short v[0:1], v2, off
.LBB8_1845:
	s_mov_b32 s0, 0
.LBB8_1846:
	s_andn2_b32 vcc_lo, exec_lo, s0
	s_cbranch_vccnz .LBB8_1862
; %bb.1847:
	s_sext_i32_i16 s2, s1
	s_mov_b32 s0, -1
	s_cmp_lt_i32 s2, 2
	s_cbranch_scc1 .LBB8_1857
; %bb.1848:
	s_cmp_lt_i32 s2, 3
	s_cbranch_scc1 .LBB8_1854
; %bb.1849:
	s_cmp_gt_i32 s2, 3
	s_cbranch_scc0 .LBB8_1851
; %bb.1850:
	s_waitcnt vmcnt(0)
	v_trunc_f64_e32 v[2:3], v[12:13]
	s_mov_b32 s0, 0
	v_ldexp_f64 v[4:5], v[2:3], 0xffffffe0
	v_floor_f64_e32 v[4:5], v[4:5]
	v_fma_f64 v[2:3], 0xc1f00000, v[4:5], v[2:3]
	v_cvt_i32_f64_e32 v4, v[4:5]
	v_cvt_u32_f64_e32 v3, v[2:3]
	global_store_dwordx2 v[0:1], v[3:4], off
.LBB8_1851:
	s_andn2_b32 vcc_lo, exec_lo, s0
	s_cbranch_vccnz .LBB8_1853
; %bb.1852:
	s_waitcnt vmcnt(0)
	v_cvt_i32_f64_e32 v2, v[12:13]
	global_store_dword v[0:1], v2, off
.LBB8_1853:
	s_mov_b32 s0, 0
.LBB8_1854:
	s_andn2_b32 vcc_lo, exec_lo, s0
	s_cbranch_vccnz .LBB8_1856
; %bb.1855:
	s_waitcnt vmcnt(0)
	v_cvt_i32_f64_e32 v2, v[12:13]
	global_store_short v[0:1], v2, off
.LBB8_1856:
	s_mov_b32 s0, 0
.LBB8_1857:
	s_andn2_b32 vcc_lo, exec_lo, s0
	s_cbranch_vccnz .LBB8_1862
; %bb.1858:
	s_sext_i32_i16 s0, s1
	s_cmp_gt_i32 s0, 0
	s_mov_b32 s0, -1
	s_cbranch_scc0 .LBB8_1860
; %bb.1859:
	s_waitcnt vmcnt(0)
	v_cvt_i32_f64_e32 v2, v[12:13]
	s_mov_b32 s0, 0
	global_store_byte v[0:1], v2, off
.LBB8_1860:
	s_andn2_b32 vcc_lo, exec_lo, s0
	s_cbranch_vccnz .LBB8_1862
; %bb.1861:
	s_waitcnt vmcnt(0)
	v_trunc_f64_e32 v[2:3], v[12:13]
	v_ldexp_f64 v[4:5], v[2:3], 0xffffffe0
	v_floor_f64_e32 v[4:5], v[4:5]
	v_fma_f64 v[2:3], 0xc1f00000, v[4:5], v[2:3]
	v_cvt_u32_f64_e32 v2, v[2:3]
	global_store_byte v[0:1], v2, off
	s_endpgm
.LBB8_1862:
	s_endpgm
.LBB8_1863:
	s_mov_b32 s0, -1
	s_mov_b32 s6, 0
.LBB8_1864:
	s_and_b32 vcc_lo, exec_lo, s0
	s_cbranch_vccz .LBB8_1903
; %bb.1865:
	s_and_b32 s0, 0xffff, s1
	s_mov_b32 s3, -1
	s_cmp_lt_i32 s0, 5
	s_cbranch_scc1 .LBB8_1886
; %bb.1866:
	s_cmp_lt_i32 s0, 8
	s_cbranch_scc1 .LBB8_1876
; %bb.1867:
	;; [unrolled: 3-line block ×3, first 2 shown]
	s_cmp_gt_i32 s0, 9
	s_cbranch_scc0 .LBB8_1870
; %bb.1869:
	v_mov_b32_e32 v2, 0
	s_mov_b32 s3, 0
	v_mov_b32_e32 v3, v2
	global_store_dwordx4 v[6:7], v[0:3], off
.LBB8_1870:
	s_andn2_b32 vcc_lo, exec_lo, s3
	s_cbranch_vccnz .LBB8_1872
; %bb.1871:
	v_cvt_f32_f64_e32 v2, v[0:1]
	v_mov_b32_e32 v3, 0
	global_store_dwordx2 v[6:7], v[2:3], off
.LBB8_1872:
	s_mov_b32 s3, 0
.LBB8_1873:
	s_andn2_b32 vcc_lo, exec_lo, s3
	s_cbranch_vccnz .LBB8_1875
; %bb.1874:
	v_and_or_b32 v2, 0x1ff, v1, v0
	v_lshrrev_b32_e32 v3, 8, v1
	v_bfe_u32 v11, v1, 20, 11
	v_cmp_ne_u32_e32 vcc_lo, 0, v2
	v_sub_nc_u32_e32 v14, 0x3f1, v11
	v_add_nc_u32_e32 v11, 0xfffffc10, v11
	v_cndmask_b32_e64 v2, 0, 1, vcc_lo
	v_and_or_b32 v2, 0xffe, v3, v2
	v_med3_i32 v3, v14, 0, 13
	v_or_b32_e32 v14, 0x1000, v2
	v_lshrrev_b32_e32 v15, v3, v14
	v_lshlrev_b32_e32 v3, v3, v15
	v_cmp_ne_u32_e32 vcc_lo, v3, v14
	v_lshl_or_b32 v14, v11, 12, v2
	v_cndmask_b32_e64 v3, 0, 1, vcc_lo
	v_cmp_gt_i32_e32 vcc_lo, 1, v11
	v_or_b32_e32 v3, v15, v3
	v_cndmask_b32_e32 v3, v14, v3, vcc_lo
	v_and_b32_e32 v14, 7, v3
	v_lshrrev_b32_e32 v3, 2, v3
	v_cmp_lt_i32_e32 vcc_lo, 5, v14
	v_cndmask_b32_e64 v15, 0, 1, vcc_lo
	v_cmp_eq_u32_e32 vcc_lo, 3, v14
	v_cndmask_b32_e64 v14, 0, 1, vcc_lo
	v_cmp_ne_u32_e32 vcc_lo, 0, v2
	v_or_b32_e32 v14, v14, v15
	v_mov_b32_e32 v15, 0x7e00
	v_add_nc_u32_e32 v3, v3, v14
	v_cndmask_b32_e32 v2, 0x7c00, v15, vcc_lo
	v_cmp_gt_i32_e32 vcc_lo, 31, v11
	v_cndmask_b32_e32 v3, 0x7c00, v3, vcc_lo
	v_cmp_eq_u32_e32 vcc_lo, 0x40f, v11
	v_cndmask_b32_e32 v2, v3, v2, vcc_lo
	v_lshrrev_b32_e32 v3, 16, v1
	v_and_or_b32 v2, 0x8000, v3, v2
	v_and_b32_e32 v2, 0xffff, v2
	global_store_dword v[6:7], v2, off
.LBB8_1875:
	s_mov_b32 s3, 0
.LBB8_1876:
	s_andn2_b32 vcc_lo, exec_lo, s3
	s_cbranch_vccnz .LBB8_1885
; %bb.1877:
	s_cmp_lt_i32 s0, 6
	s_mov_b32 s3, -1
	s_cbranch_scc1 .LBB8_1883
; %bb.1878:
	s_cmp_gt_i32 s0, 6
	s_cbranch_scc0 .LBB8_1880
; %bb.1879:
	s_mov_b32 s3, 0
	global_store_dwordx2 v[6:7], v[0:1], off
.LBB8_1880:
	s_andn2_b32 vcc_lo, exec_lo, s3
	s_cbranch_vccnz .LBB8_1882
; %bb.1881:
	v_cvt_f32_f64_e32 v2, v[0:1]
	global_store_dword v[6:7], v2, off
.LBB8_1882:
	s_mov_b32 s3, 0
.LBB8_1883:
	s_andn2_b32 vcc_lo, exec_lo, s3
	s_cbranch_vccnz .LBB8_1885
; %bb.1884:
	v_and_or_b32 v2, 0x1ff, v1, v0
	v_lshrrev_b32_e32 v3, 8, v1
	v_bfe_u32 v11, v1, 20, 11
	v_cmp_ne_u32_e32 vcc_lo, 0, v2
	v_sub_nc_u32_e32 v14, 0x3f1, v11
	v_add_nc_u32_e32 v11, 0xfffffc10, v11
	v_cndmask_b32_e64 v2, 0, 1, vcc_lo
	v_and_or_b32 v2, 0xffe, v3, v2
	v_med3_i32 v3, v14, 0, 13
	v_or_b32_e32 v14, 0x1000, v2
	v_lshrrev_b32_e32 v15, v3, v14
	v_lshlrev_b32_e32 v3, v3, v15
	v_cmp_ne_u32_e32 vcc_lo, v3, v14
	v_lshl_or_b32 v14, v11, 12, v2
	v_cndmask_b32_e64 v3, 0, 1, vcc_lo
	v_cmp_gt_i32_e32 vcc_lo, 1, v11
	v_or_b32_e32 v3, v15, v3
	v_cndmask_b32_e32 v3, v14, v3, vcc_lo
	v_and_b32_e32 v14, 7, v3
	v_lshrrev_b32_e32 v3, 2, v3
	v_cmp_lt_i32_e32 vcc_lo, 5, v14
	v_cndmask_b32_e64 v15, 0, 1, vcc_lo
	v_cmp_eq_u32_e32 vcc_lo, 3, v14
	v_cndmask_b32_e64 v14, 0, 1, vcc_lo
	v_cmp_ne_u32_e32 vcc_lo, 0, v2
	v_or_b32_e32 v14, v14, v15
	v_mov_b32_e32 v15, 0x7e00
	v_add_nc_u32_e32 v3, v3, v14
	v_cndmask_b32_e32 v2, 0x7c00, v15, vcc_lo
	v_cmp_gt_i32_e32 vcc_lo, 31, v11
	v_cndmask_b32_e32 v3, 0x7c00, v3, vcc_lo
	v_cmp_eq_u32_e32 vcc_lo, 0x40f, v11
	v_cndmask_b32_e32 v2, v3, v2, vcc_lo
	v_lshrrev_b32_e32 v3, 16, v1
	v_and_or_b32 v2, 0x8000, v3, v2
	global_store_short v[6:7], v2, off
.LBB8_1885:
	s_mov_b32 s3, 0
.LBB8_1886:
	s_andn2_b32 vcc_lo, exec_lo, s3
	s_cbranch_vccnz .LBB8_1902
; %bb.1887:
	s_cmp_lt_i32 s0, 2
	s_mov_b32 s3, -1
	s_cbranch_scc1 .LBB8_1897
; %bb.1888:
	s_cmp_lt_i32 s0, 3
	s_cbranch_scc1 .LBB8_1894
; %bb.1889:
	s_cmp_gt_i32 s0, 3
	s_cbranch_scc0 .LBB8_1891
; %bb.1890:
	v_trunc_f64_e32 v[2:3], v[0:1]
	s_mov_b32 s3, 0
	v_ldexp_f64 v[14:15], v[2:3], 0xffffffe0
	v_floor_f64_e32 v[14:15], v[14:15]
	v_fma_f64 v[2:3], 0xc1f00000, v[14:15], v[2:3]
	v_cvt_i32_f64_e32 v15, v[14:15]
	v_cvt_u32_f64_e32 v14, v[2:3]
	global_store_dwordx2 v[6:7], v[14:15], off
.LBB8_1891:
	s_andn2_b32 vcc_lo, exec_lo, s3
	s_cbranch_vccnz .LBB8_1893
; %bb.1892:
	v_cvt_i32_f64_e32 v2, v[0:1]
	global_store_dword v[6:7], v2, off
.LBB8_1893:
	s_mov_b32 s3, 0
.LBB8_1894:
	s_andn2_b32 vcc_lo, exec_lo, s3
	s_cbranch_vccnz .LBB8_1896
; %bb.1895:
	v_cvt_i32_f64_e32 v2, v[0:1]
	global_store_short v[6:7], v2, off
.LBB8_1896:
	s_mov_b32 s3, 0
.LBB8_1897:
	s_andn2_b32 vcc_lo, exec_lo, s3
	s_cbranch_vccnz .LBB8_1902
; %bb.1898:
	s_cmp_gt_i32 s0, 0
	s_mov_b32 s0, -1
	s_cbranch_scc0 .LBB8_1900
; %bb.1899:
	v_cvt_i32_f64_e32 v2, v[0:1]
	s_mov_b32 s0, 0
	global_store_byte v[6:7], v2, off
.LBB8_1900:
	s_andn2_b32 vcc_lo, exec_lo, s0
	s_cbranch_vccnz .LBB8_1902
; %bb.1901:
	v_trunc_f64_e32 v[0:1], v[0:1]
	v_ldexp_f64 v[2:3], v[0:1], 0xffffffe0
	v_floor_f64_e32 v[2:3], v[2:3]
	v_fma_f64 v[0:1], 0xc1f00000, v[2:3], v[0:1]
	v_cvt_u32_f64_e32 v0, v[0:1]
	global_store_byte v[6:7], v0, off
.LBB8_1902:
	s_mov_b32 s6, -1
.LBB8_1903:
	s_andn2_b32 vcc_lo, exec_lo, s6
	s_cbranch_vccnz .LBB8_2218
; %bb.1904:
	s_lshl_b32 s2, s2, 7
	s_cmp_lt_i32 s1, 11
	v_add_nc_u32_e32 v2, s2, v10
	v_ashrrev_i32_e32 v1, 31, v2
	v_add_co_u32 v0, vcc_lo, s8, v2
	v_add_co_ci_u32_e64 v1, null, s9, v1, vcc_lo
	s_cbranch_scc1 .LBB8_1982
; %bb.1905:
	s_and_b32 s3, 0xffff, s1
	s_mov_b32 s10, -1
	s_mov_b32 s4, 0
	s_cmp_gt_i32 s3, 25
	s_mov_b32 s6, 0
	s_mov_b32 s0, 0
	s_cbranch_scc0 .LBB8_1938
; %bb.1906:
	s_cmp_gt_i32 s3, 28
	s_cbranch_scc0 .LBB8_1921
; %bb.1907:
	s_cmp_gt_i32 s3, 43
	;; [unrolled: 3-line block ×3, first 2 shown]
	s_cbranch_scc0 .LBB8_1911
; %bb.1909:
	s_mov_b32 s0, -1
	s_mov_b32 s10, 0
	s_cmp_eq_u32 s3, 46
	s_cbranch_scc0 .LBB8_1911
; %bb.1910:
	v_cvt_f32_f64_e32 v3, v[4:5]
	s_mov_b32 s0, 0
	s_mov_b32 s6, -1
	v_bfe_u32 v6, v3, 16, 1
	v_cmp_o_f32_e32 vcc_lo, v3, v3
	v_add3_u32 v3, v3, v6, 0x7fff
	v_mov_b32_e32 v6, 0x7fc0
	v_cndmask_b32_sdwa v3, v6, v3, vcc_lo dst_sel:DWORD dst_unused:UNUSED_PAD src0_sel:DWORD src1_sel:WORD_1
	global_store_dword v[0:1], v3, off
.LBB8_1911:
	s_and_b32 vcc_lo, exec_lo, s10
	s_cbranch_vccz .LBB8_1916
; %bb.1912:
	s_cmp_eq_u32 s3, 44
	s_mov_b32 s0, -1
	s_cbranch_scc0 .LBB8_1916
; %bb.1913:
	v_cvt_f32_f64_e32 v3, v[4:5]
	v_mov_b32_e32 v6, 0xff
	s_mov_b32 s6, exec_lo
	v_bfe_u32 v7, v3, 23, 8
	v_cmpx_ne_u32_e32 0xff, v7
	s_cbranch_execz .LBB8_1915
; %bb.1914:
	v_and_b32_e32 v6, 0x400000, v3
	v_and_or_b32 v7, 0x3fffff, v3, v7
	v_lshrrev_b32_e32 v3, 23, v3
	v_cmp_ne_u32_e32 vcc_lo, 0, v6
	v_cmp_ne_u32_e64 s0, 0, v7
	s_and_b32 s0, vcc_lo, s0
	v_cndmask_b32_e64 v6, 0, 1, s0
	v_add_nc_u32_e32 v6, v3, v6
.LBB8_1915:
	s_or_b32 exec_lo, exec_lo, s6
	s_mov_b32 s0, 0
	s_mov_b32 s6, -1
	global_store_byte v[0:1], v6, off
.LBB8_1916:
	s_mov_b32 s10, 0
.LBB8_1917:
	s_and_b32 vcc_lo, exec_lo, s10
	s_cbranch_vccz .LBB8_1920
; %bb.1918:
	s_cmp_eq_u32 s3, 29
	s_mov_b32 s0, -1
	s_cbranch_scc0 .LBB8_1920
; %bb.1919:
	v_trunc_f64_e32 v[6:7], v[4:5]
	s_mov_b32 s0, 0
	s_mov_b32 s6, -1
	v_ldexp_f64 v[10:11], v[6:7], 0xffffffe0
	v_floor_f64_e32 v[10:11], v[10:11]
	v_fma_f64 v[6:7], 0xc1f00000, v[10:11], v[6:7]
	v_cvt_u32_f64_e32 v11, v[10:11]
	v_cvt_u32_f64_e32 v10, v[6:7]
	global_store_dwordx2 v[0:1], v[10:11], off
.LBB8_1920:
	s_mov_b32 s10, 0
.LBB8_1921:
	s_and_b32 vcc_lo, exec_lo, s10
	s_cbranch_vccz .LBB8_1937
; %bb.1922:
	s_cmp_lt_i32 s3, 27
	s_mov_b32 s6, -1
	s_cbranch_scc1 .LBB8_1928
; %bb.1923:
	v_cvt_u32_f64_e32 v3, v[4:5]
	s_cmp_gt_i32 s3, 27
	s_cbranch_scc0 .LBB8_1925
; %bb.1924:
	s_mov_b32 s6, 0
	global_store_dword v[0:1], v3, off
.LBB8_1925:
	s_andn2_b32 vcc_lo, exec_lo, s6
	s_cbranch_vccnz .LBB8_1927
; %bb.1926:
	global_store_short v[0:1], v3, off
.LBB8_1927:
	s_mov_b32 s6, 0
.LBB8_1928:
	s_andn2_b32 vcc_lo, exec_lo, s6
	s_cbranch_vccnz .LBB8_1936
; %bb.1929:
	v_cvt_f32_f64_e32 v3, v[4:5]
	v_mov_b32_e32 v7, 0x80
	s_mov_b32 s6, exec_lo
	v_and_b32_e32 v6, 0x7fffffff, v3
	v_cmpx_gt_u32_e32 0x43800000, v6
	s_cbranch_execz .LBB8_1935
; %bb.1930:
	v_cmp_lt_u32_e32 vcc_lo, 0x3bffffff, v6
	s_mov_b32 s10, 0
                                        ; implicit-def: $vgpr6
	s_and_saveexec_b32 s11, vcc_lo
	s_xor_b32 s11, exec_lo, s11
	s_cbranch_execz .LBB8_2226
; %bb.1931:
	v_bfe_u32 v6, v3, 20, 1
	s_mov_b32 s10, exec_lo
	v_add3_u32 v6, v3, v6, 0x487ffff
	v_lshrrev_b32_e32 v6, 20, v6
	s_andn2_saveexec_b32 s11, s11
	s_cbranch_execnz .LBB8_2227
.LBB8_1932:
	s_or_b32 exec_lo, exec_lo, s11
	v_mov_b32_e32 v7, 0
	s_and_saveexec_b32 s11, s10
.LBB8_1933:
	v_lshrrev_b32_e32 v3, 24, v3
	v_and_or_b32 v7, 0x80, v3, v6
.LBB8_1934:
	s_or_b32 exec_lo, exec_lo, s11
.LBB8_1935:
	s_or_b32 exec_lo, exec_lo, s6
	global_store_byte v[0:1], v7, off
.LBB8_1936:
	s_mov_b32 s6, -1
.LBB8_1937:
	s_mov_b32 s10, 0
.LBB8_1938:
	s_and_b32 vcc_lo, exec_lo, s10
	s_cbranch_vccz .LBB8_1978
; %bb.1939:
	s_cmp_gt_i32 s3, 22
	s_mov_b32 s4, -1
	s_cbranch_scc0 .LBB8_1971
; %bb.1940:
	s_cmp_lt_i32 s3, 24
	s_cbranch_scc1 .LBB8_1960
; %bb.1941:
	s_cmp_gt_i32 s3, 24
	s_cbranch_scc0 .LBB8_1949
; %bb.1942:
	v_cvt_f32_f64_e32 v3, v[4:5]
	v_mov_b32_e32 v7, 0x80
	s_mov_b32 s4, exec_lo
	v_and_b32_e32 v6, 0x7fffffff, v3
	v_cmpx_gt_u32_e32 0x47800000, v6
	s_cbranch_execz .LBB8_1948
; %bb.1943:
	v_cmp_lt_u32_e32 vcc_lo, 0x37ffffff, v6
	s_mov_b32 s6, 0
                                        ; implicit-def: $vgpr6
	s_and_saveexec_b32 s10, vcc_lo
	s_xor_b32 s10, exec_lo, s10
	s_cbranch_execz .LBB8_2229
; %bb.1944:
	v_bfe_u32 v6, v3, 21, 1
	s_mov_b32 s6, exec_lo
	v_add3_u32 v6, v3, v6, 0x88fffff
	v_lshrrev_b32_e32 v6, 21, v6
	s_andn2_saveexec_b32 s10, s10
	s_cbranch_execnz .LBB8_2230
.LBB8_1945:
	s_or_b32 exec_lo, exec_lo, s10
	v_mov_b32_e32 v7, 0
	s_and_saveexec_b32 s10, s6
.LBB8_1946:
	v_lshrrev_b32_e32 v3, 24, v3
	v_and_or_b32 v7, 0x80, v3, v6
.LBB8_1947:
	s_or_b32 exec_lo, exec_lo, s10
.LBB8_1948:
	s_or_b32 exec_lo, exec_lo, s4
	s_mov_b32 s4, 0
	global_store_byte v[0:1], v7, off
.LBB8_1949:
	s_and_b32 vcc_lo, exec_lo, s4
	s_cbranch_vccz .LBB8_1959
; %bb.1950:
	v_cvt_f32_f64_e32 v3, v[4:5]
	s_mov_b32 s4, exec_lo
                                        ; implicit-def: $vgpr6
	v_and_b32_e32 v7, 0x7fffffff, v3
	v_cmpx_gt_u32_e32 0x43f00000, v7
	s_xor_b32 s4, exec_lo, s4
	s_cbranch_execz .LBB8_1956
; %bb.1951:
	s_mov_b32 s6, exec_lo
                                        ; implicit-def: $vgpr6
	v_cmpx_lt_u32_e32 0x3c7fffff, v7
	s_xor_b32 s6, exec_lo, s6
; %bb.1952:
	v_bfe_u32 v6, v3, 20, 1
	v_add3_u32 v6, v3, v6, 0x407ffff
	v_and_b32_e32 v7, 0xff00000, v6
	v_lshrrev_b32_e32 v6, 20, v6
	v_cmp_ne_u32_e32 vcc_lo, 0x7f00000, v7
	v_cndmask_b32_e32 v6, 0x7e, v6, vcc_lo
; %bb.1953:
	s_andn2_saveexec_b32 s6, s6
; %bb.1954:
	v_add_f32_e64 v6, 0x46800000, |v3|
; %bb.1955:
	s_or_b32 exec_lo, exec_lo, s6
                                        ; implicit-def: $vgpr7
.LBB8_1956:
	s_andn2_saveexec_b32 s4, s4
; %bb.1957:
	v_mov_b32_e32 v6, 0x7f
	v_cmp_lt_u32_e32 vcc_lo, 0x7f800000, v7
	v_cndmask_b32_e32 v6, 0x7e, v6, vcc_lo
; %bb.1958:
	s_or_b32 exec_lo, exec_lo, s4
	v_lshrrev_b32_e32 v3, 24, v3
	v_and_or_b32 v3, 0x80, v3, v6
	global_store_byte v[0:1], v3, off
.LBB8_1959:
	s_mov_b32 s4, 0
.LBB8_1960:
	s_andn2_b32 vcc_lo, exec_lo, s4
	s_cbranch_vccnz .LBB8_1970
; %bb.1961:
	v_cvt_f32_f64_e32 v3, v[4:5]
	s_mov_b32 s4, exec_lo
                                        ; implicit-def: $vgpr6
	v_and_b32_e32 v7, 0x7fffffff, v3
	v_cmpx_gt_u32_e32 0x47800000, v7
	s_xor_b32 s4, exec_lo, s4
	s_cbranch_execz .LBB8_1967
; %bb.1962:
	s_mov_b32 s6, exec_lo
                                        ; implicit-def: $vgpr6
	v_cmpx_lt_u32_e32 0x387fffff, v7
	s_xor_b32 s6, exec_lo, s6
; %bb.1963:
	v_bfe_u32 v6, v3, 21, 1
	v_add3_u32 v6, v3, v6, 0x80fffff
	v_lshrrev_b32_e32 v6, 21, v6
; %bb.1964:
	s_andn2_saveexec_b32 s6, s6
; %bb.1965:
	v_add_f32_e64 v6, 0x43000000, |v3|
; %bb.1966:
	s_or_b32 exec_lo, exec_lo, s6
                                        ; implicit-def: $vgpr7
.LBB8_1967:
	s_andn2_saveexec_b32 s4, s4
; %bb.1968:
	v_mov_b32_e32 v6, 0x7f
	v_cmp_lt_u32_e32 vcc_lo, 0x7f800000, v7
	v_cndmask_b32_e32 v6, 0x7c, v6, vcc_lo
; %bb.1969:
	s_or_b32 exec_lo, exec_lo, s4
	v_lshrrev_b32_e32 v3, 24, v3
	v_and_or_b32 v3, 0x80, v3, v6
	global_store_byte v[0:1], v3, off
.LBB8_1970:
	s_mov_b32 s4, 0
	s_mov_b32 s6, -1
.LBB8_1971:
	s_andn2_b32 vcc_lo, exec_lo, s4
	s_mov_b32 s4, 0
	s_cbranch_vccnz .LBB8_1978
; %bb.1972:
	s_cmp_gt_i32 s3, 14
	s_mov_b32 s4, -1
	s_cbranch_scc0 .LBB8_1976
; %bb.1973:
	s_cmp_eq_u32 s3, 15
	s_mov_b32 s0, -1
	s_cbranch_scc0 .LBB8_1975
; %bb.1974:
	v_cvt_f32_f64_e32 v3, v[4:5]
	s_mov_b32 s0, 0
	s_mov_b32 s6, -1
	v_bfe_u32 v6, v3, 16, 1
	v_cmp_o_f32_e32 vcc_lo, v3, v3
	v_add3_u32 v3, v3, v6, 0x7fff
	v_mov_b32_e32 v6, 0x7fc0
	v_cndmask_b32_sdwa v3, v6, v3, vcc_lo dst_sel:DWORD dst_unused:UNUSED_PAD src0_sel:DWORD src1_sel:WORD_1
	global_store_short v[0:1], v3, off
.LBB8_1975:
	s_mov_b32 s4, 0
.LBB8_1976:
	s_and_b32 vcc_lo, exec_lo, s4
	s_mov_b32 s4, 0
	s_cbranch_vccz .LBB8_1978
; %bb.1977:
	s_cmp_lg_u32 s3, 11
	s_mov_b32 s4, -1
	s_cselect_b32 s0, -1, 0
.LBB8_1978:
	s_and_b32 vcc_lo, exec_lo, s0
	s_cbranch_vccnz .LBB8_2228
; %bb.1979:
	s_andn2_b32 vcc_lo, exec_lo, s4
	s_cbranch_vccnz .LBB8_1981
.LBB8_1980:
	v_cmp_neq_f64_e32 vcc_lo, 0, v[4:5]
	s_mov_b32 s6, -1
	v_cndmask_b32_e64 v3, 0, 1, vcc_lo
	global_store_byte v[0:1], v3, off
.LBB8_1981:
	s_mov_b32 s0, 0
	s_branch .LBB8_1983
.LBB8_1982:
	s_mov_b32 s0, -1
	s_mov_b32 s6, 0
.LBB8_1983:
	s_and_b32 vcc_lo, exec_lo, s0
	s_cbranch_vccz .LBB8_2022
; %bb.1984:
	s_and_b32 s0, 0xffff, s1
	s_mov_b32 s3, -1
	s_cmp_lt_i32 s0, 5
	s_cbranch_scc1 .LBB8_2005
; %bb.1985:
	s_cmp_lt_i32 s0, 8
	s_cbranch_scc1 .LBB8_1995
; %bb.1986:
	s_cmp_lt_i32 s0, 9
	s_cbranch_scc1 .LBB8_1992
; %bb.1987:
	s_cmp_gt_i32 s0, 9
	s_cbranch_scc0 .LBB8_1989
; %bb.1988:
	v_mov_b32_e32 v6, 0
	s_mov_b32 s3, 0
	v_mov_b32_e32 v7, v6
	global_store_dwordx4 v[0:1], v[4:7], off
.LBB8_1989:
	s_andn2_b32 vcc_lo, exec_lo, s3
	s_cbranch_vccnz .LBB8_1991
; %bb.1990:
	v_cvt_f32_f64_e32 v6, v[4:5]
	v_mov_b32_e32 v7, 0
	global_store_dwordx2 v[0:1], v[6:7], off
.LBB8_1991:
	s_mov_b32 s3, 0
.LBB8_1992:
	s_andn2_b32 vcc_lo, exec_lo, s3
	s_cbranch_vccnz .LBB8_1994
; %bb.1993:
	v_and_or_b32 v3, 0x1ff, v5, v4
	v_lshrrev_b32_e32 v6, 8, v5
	v_bfe_u32 v7, v5, 20, 11
	v_cmp_ne_u32_e32 vcc_lo, 0, v3
	v_sub_nc_u32_e32 v10, 0x3f1, v7
	v_add_nc_u32_e32 v7, 0xfffffc10, v7
	v_cndmask_b32_e64 v3, 0, 1, vcc_lo
	v_and_or_b32 v3, 0xffe, v6, v3
	v_med3_i32 v6, v10, 0, 13
	v_or_b32_e32 v10, 0x1000, v3
	v_lshrrev_b32_e32 v11, v6, v10
	v_lshlrev_b32_e32 v6, v6, v11
	v_cmp_ne_u32_e32 vcc_lo, v6, v10
	v_lshl_or_b32 v10, v7, 12, v3
	v_cndmask_b32_e64 v6, 0, 1, vcc_lo
	v_cmp_gt_i32_e32 vcc_lo, 1, v7
	v_or_b32_e32 v6, v11, v6
	v_cndmask_b32_e32 v6, v10, v6, vcc_lo
	v_and_b32_e32 v10, 7, v6
	v_lshrrev_b32_e32 v6, 2, v6
	v_cmp_lt_i32_e32 vcc_lo, 5, v10
	v_cndmask_b32_e64 v11, 0, 1, vcc_lo
	v_cmp_eq_u32_e32 vcc_lo, 3, v10
	v_cndmask_b32_e64 v10, 0, 1, vcc_lo
	v_cmp_ne_u32_e32 vcc_lo, 0, v3
	v_or_b32_e32 v10, v10, v11
	v_mov_b32_e32 v11, 0x7e00
	v_add_nc_u32_e32 v6, v6, v10
	v_cndmask_b32_e32 v3, 0x7c00, v11, vcc_lo
	v_cmp_gt_i32_e32 vcc_lo, 31, v7
	v_cndmask_b32_e32 v6, 0x7c00, v6, vcc_lo
	v_cmp_eq_u32_e32 vcc_lo, 0x40f, v7
	v_cndmask_b32_e32 v3, v6, v3, vcc_lo
	v_lshrrev_b32_e32 v6, 16, v5
	v_and_or_b32 v3, 0x8000, v6, v3
	v_and_b32_e32 v3, 0xffff, v3
	global_store_dword v[0:1], v3, off
.LBB8_1994:
	s_mov_b32 s3, 0
.LBB8_1995:
	s_andn2_b32 vcc_lo, exec_lo, s3
	s_cbranch_vccnz .LBB8_2004
; %bb.1996:
	s_cmp_lt_i32 s0, 6
	s_mov_b32 s3, -1
	s_cbranch_scc1 .LBB8_2002
; %bb.1997:
	s_cmp_gt_i32 s0, 6
	s_cbranch_scc0 .LBB8_1999
; %bb.1998:
	s_mov_b32 s3, 0
	global_store_dwordx2 v[0:1], v[4:5], off
.LBB8_1999:
	s_andn2_b32 vcc_lo, exec_lo, s3
	s_cbranch_vccnz .LBB8_2001
; %bb.2000:
	v_cvt_f32_f64_e32 v3, v[4:5]
	global_store_dword v[0:1], v3, off
.LBB8_2001:
	s_mov_b32 s3, 0
.LBB8_2002:
	s_andn2_b32 vcc_lo, exec_lo, s3
	s_cbranch_vccnz .LBB8_2004
; %bb.2003:
	v_and_or_b32 v3, 0x1ff, v5, v4
	v_lshrrev_b32_e32 v6, 8, v5
	v_bfe_u32 v7, v5, 20, 11
	v_cmp_ne_u32_e32 vcc_lo, 0, v3
	v_sub_nc_u32_e32 v10, 0x3f1, v7
	v_add_nc_u32_e32 v7, 0xfffffc10, v7
	v_cndmask_b32_e64 v3, 0, 1, vcc_lo
	v_and_or_b32 v3, 0xffe, v6, v3
	v_med3_i32 v6, v10, 0, 13
	v_or_b32_e32 v10, 0x1000, v3
	v_lshrrev_b32_e32 v11, v6, v10
	v_lshlrev_b32_e32 v6, v6, v11
	v_cmp_ne_u32_e32 vcc_lo, v6, v10
	v_lshl_or_b32 v10, v7, 12, v3
	v_cndmask_b32_e64 v6, 0, 1, vcc_lo
	v_cmp_gt_i32_e32 vcc_lo, 1, v7
	v_or_b32_e32 v6, v11, v6
	v_cndmask_b32_e32 v6, v10, v6, vcc_lo
	v_and_b32_e32 v10, 7, v6
	v_lshrrev_b32_e32 v6, 2, v6
	v_cmp_lt_i32_e32 vcc_lo, 5, v10
	v_cndmask_b32_e64 v11, 0, 1, vcc_lo
	v_cmp_eq_u32_e32 vcc_lo, 3, v10
	v_cndmask_b32_e64 v10, 0, 1, vcc_lo
	v_cmp_ne_u32_e32 vcc_lo, 0, v3
	v_or_b32_e32 v10, v10, v11
	v_mov_b32_e32 v11, 0x7e00
	v_add_nc_u32_e32 v6, v6, v10
	v_cndmask_b32_e32 v3, 0x7c00, v11, vcc_lo
	v_cmp_gt_i32_e32 vcc_lo, 31, v7
	v_cndmask_b32_e32 v6, 0x7c00, v6, vcc_lo
	v_cmp_eq_u32_e32 vcc_lo, 0x40f, v7
	v_cndmask_b32_e32 v3, v6, v3, vcc_lo
	v_lshrrev_b32_e32 v6, 16, v5
	v_and_or_b32 v3, 0x8000, v6, v3
	global_store_short v[0:1], v3, off
.LBB8_2004:
	s_mov_b32 s3, 0
.LBB8_2005:
	s_andn2_b32 vcc_lo, exec_lo, s3
	s_cbranch_vccnz .LBB8_2021
; %bb.2006:
	s_cmp_lt_i32 s0, 2
	s_mov_b32 s3, -1
	s_cbranch_scc1 .LBB8_2016
; %bb.2007:
	s_cmp_lt_i32 s0, 3
	s_cbranch_scc1 .LBB8_2013
; %bb.2008:
	s_cmp_gt_i32 s0, 3
	s_cbranch_scc0 .LBB8_2010
; %bb.2009:
	v_trunc_f64_e32 v[6:7], v[4:5]
	s_mov_b32 s3, 0
	v_ldexp_f64 v[10:11], v[6:7], 0xffffffe0
	v_floor_f64_e32 v[10:11], v[10:11]
	v_fma_f64 v[6:7], 0xc1f00000, v[10:11], v[6:7]
	v_cvt_i32_f64_e32 v11, v[10:11]
	v_cvt_u32_f64_e32 v10, v[6:7]
	global_store_dwordx2 v[0:1], v[10:11], off
.LBB8_2010:
	s_andn2_b32 vcc_lo, exec_lo, s3
	s_cbranch_vccnz .LBB8_2012
; %bb.2011:
	v_cvt_i32_f64_e32 v3, v[4:5]
	global_store_dword v[0:1], v3, off
.LBB8_2012:
	s_mov_b32 s3, 0
.LBB8_2013:
	s_andn2_b32 vcc_lo, exec_lo, s3
	s_cbranch_vccnz .LBB8_2015
; %bb.2014:
	v_cvt_i32_f64_e32 v3, v[4:5]
	global_store_short v[0:1], v3, off
.LBB8_2015:
	s_mov_b32 s3, 0
.LBB8_2016:
	s_andn2_b32 vcc_lo, exec_lo, s3
	s_cbranch_vccnz .LBB8_2021
; %bb.2017:
	s_cmp_gt_i32 s0, 0
	s_mov_b32 s0, -1
	s_cbranch_scc0 .LBB8_2019
; %bb.2018:
	v_cvt_i32_f64_e32 v3, v[4:5]
	s_mov_b32 s0, 0
	global_store_byte v[0:1], v3, off
.LBB8_2019:
	s_andn2_b32 vcc_lo, exec_lo, s0
	s_cbranch_vccnz .LBB8_2021
; %bb.2020:
	v_trunc_f64_e32 v[3:4], v[4:5]
	v_ldexp_f64 v[5:6], v[3:4], 0xffffffe0
	v_floor_f64_e32 v[5:6], v[5:6]
	v_fma_f64 v[3:4], 0xc1f00000, v[5:6], v[3:4]
	v_cvt_u32_f64_e32 v3, v[3:4]
	global_store_byte v[0:1], v3, off
.LBB8_2021:
	s_mov_b32 s6, -1
.LBB8_2022:
	s_andn2_b32 vcc_lo, exec_lo, s6
	s_cbranch_vccnz .LBB8_2218
; %bb.2023:
	v_add_nc_u32_e32 v2, s2, v2
	s_cmp_lt_i32 s1, 11
	v_ashrrev_i32_e32 v1, 31, v2
	v_add_co_u32 v0, vcc_lo, s8, v2
	v_add_co_ci_u32_e64 v1, null, s9, v1, vcc_lo
	s_cbranch_scc1 .LBB8_2101
; %bb.2024:
	s_and_b32 s3, 0xffff, s1
	s_mov_b32 s10, -1
	s_mov_b32 s4, 0
	s_cmp_gt_i32 s3, 25
	s_mov_b32 s6, 0
	s_mov_b32 s0, 0
	s_cbranch_scc0 .LBB8_2057
; %bb.2025:
	s_cmp_gt_i32 s3, 28
	s_cbranch_scc0 .LBB8_2040
; %bb.2026:
	s_cmp_gt_i32 s3, 43
	s_cbranch_scc0 .LBB8_2036
; %bb.2027:
	s_cmp_gt_i32 s3, 45
	s_cbranch_scc0 .LBB8_2030
; %bb.2028:
	s_mov_b32 s0, -1
	s_mov_b32 s10, 0
	s_cmp_eq_u32 s3, 46
	s_cbranch_scc0 .LBB8_2030
; %bb.2029:
	v_cvt_f32_f64_e32 v3, v[8:9]
	s_mov_b32 s0, 0
	s_mov_b32 s6, -1
	v_bfe_u32 v4, v3, 16, 1
	v_cmp_o_f32_e32 vcc_lo, v3, v3
	v_add3_u32 v3, v3, v4, 0x7fff
	v_mov_b32_e32 v4, 0x7fc0
	v_cndmask_b32_sdwa v3, v4, v3, vcc_lo dst_sel:DWORD dst_unused:UNUSED_PAD src0_sel:DWORD src1_sel:WORD_1
	global_store_dword v[0:1], v3, off
.LBB8_2030:
	s_and_b32 vcc_lo, exec_lo, s10
	s_cbranch_vccz .LBB8_2035
; %bb.2031:
	s_cmp_eq_u32 s3, 44
	s_mov_b32 s0, -1
	s_cbranch_scc0 .LBB8_2035
; %bb.2032:
	v_cvt_f32_f64_e32 v3, v[8:9]
	v_mov_b32_e32 v4, 0xff
	s_mov_b32 s6, exec_lo
	v_bfe_u32 v5, v3, 23, 8
	v_cmpx_ne_u32_e32 0xff, v5
	s_cbranch_execz .LBB8_2034
; %bb.2033:
	v_and_b32_e32 v4, 0x400000, v3
	v_and_or_b32 v5, 0x3fffff, v3, v5
	v_lshrrev_b32_e32 v3, 23, v3
	v_cmp_ne_u32_e32 vcc_lo, 0, v4
	v_cmp_ne_u32_e64 s0, 0, v5
	s_and_b32 s0, vcc_lo, s0
	v_cndmask_b32_e64 v4, 0, 1, s0
	v_add_nc_u32_e32 v4, v3, v4
.LBB8_2034:
	s_or_b32 exec_lo, exec_lo, s6
	s_mov_b32 s0, 0
	s_mov_b32 s6, -1
	global_store_byte v[0:1], v4, off
.LBB8_2035:
	s_mov_b32 s10, 0
.LBB8_2036:
	s_and_b32 vcc_lo, exec_lo, s10
	s_cbranch_vccz .LBB8_2039
; %bb.2037:
	s_cmp_eq_u32 s3, 29
	s_mov_b32 s0, -1
	s_cbranch_scc0 .LBB8_2039
; %bb.2038:
	v_trunc_f64_e32 v[3:4], v[8:9]
	s_mov_b32 s0, 0
	s_mov_b32 s6, -1
	v_ldexp_f64 v[5:6], v[3:4], 0xffffffe0
	v_floor_f64_e32 v[5:6], v[5:6]
	v_fma_f64 v[3:4], 0xc1f00000, v[5:6], v[3:4]
	v_cvt_u32_f64_e32 v5, v[5:6]
	v_cvt_u32_f64_e32 v4, v[3:4]
	global_store_dwordx2 v[0:1], v[4:5], off
.LBB8_2039:
	s_mov_b32 s10, 0
.LBB8_2040:
	s_and_b32 vcc_lo, exec_lo, s10
	s_cbranch_vccz .LBB8_2056
; %bb.2041:
	s_cmp_lt_i32 s3, 27
	s_mov_b32 s6, -1
	s_cbranch_scc1 .LBB8_2047
; %bb.2042:
	v_cvt_u32_f64_e32 v3, v[8:9]
	s_cmp_gt_i32 s3, 27
	s_cbranch_scc0 .LBB8_2044
; %bb.2043:
	s_mov_b32 s6, 0
	global_store_dword v[0:1], v3, off
.LBB8_2044:
	s_andn2_b32 vcc_lo, exec_lo, s6
	s_cbranch_vccnz .LBB8_2046
; %bb.2045:
	global_store_short v[0:1], v3, off
.LBB8_2046:
	s_mov_b32 s6, 0
.LBB8_2047:
	s_andn2_b32 vcc_lo, exec_lo, s6
	s_cbranch_vccnz .LBB8_2055
; %bb.2048:
	v_cvt_f32_f64_e32 v3, v[8:9]
	v_mov_b32_e32 v5, 0x80
	s_mov_b32 s6, exec_lo
	v_and_b32_e32 v4, 0x7fffffff, v3
	v_cmpx_gt_u32_e32 0x43800000, v4
	s_cbranch_execz .LBB8_2054
; %bb.2049:
	v_cmp_lt_u32_e32 vcc_lo, 0x3bffffff, v4
	s_mov_b32 s10, 0
                                        ; implicit-def: $vgpr4
	s_and_saveexec_b32 s11, vcc_lo
	s_xor_b32 s11, exec_lo, s11
	s_cbranch_execz .LBB8_2231
; %bb.2050:
	v_bfe_u32 v4, v3, 20, 1
	s_mov_b32 s10, exec_lo
	v_add3_u32 v4, v3, v4, 0x487ffff
	v_lshrrev_b32_e32 v4, 20, v4
	s_andn2_saveexec_b32 s11, s11
	s_cbranch_execnz .LBB8_2232
.LBB8_2051:
	s_or_b32 exec_lo, exec_lo, s11
	v_mov_b32_e32 v5, 0
	s_and_saveexec_b32 s11, s10
.LBB8_2052:
	v_lshrrev_b32_e32 v3, 24, v3
	v_and_or_b32 v5, 0x80, v3, v4
.LBB8_2053:
	s_or_b32 exec_lo, exec_lo, s11
.LBB8_2054:
	s_or_b32 exec_lo, exec_lo, s6
	global_store_byte v[0:1], v5, off
.LBB8_2055:
	s_mov_b32 s6, -1
.LBB8_2056:
	s_mov_b32 s10, 0
.LBB8_2057:
	s_and_b32 vcc_lo, exec_lo, s10
	s_cbranch_vccz .LBB8_2097
; %bb.2058:
	s_cmp_gt_i32 s3, 22
	s_mov_b32 s4, -1
	s_cbranch_scc0 .LBB8_2090
; %bb.2059:
	s_cmp_lt_i32 s3, 24
	s_cbranch_scc1 .LBB8_2079
; %bb.2060:
	s_cmp_gt_i32 s3, 24
	s_cbranch_scc0 .LBB8_2068
; %bb.2061:
	v_cvt_f32_f64_e32 v3, v[8:9]
	v_mov_b32_e32 v5, 0x80
	s_mov_b32 s4, exec_lo
	v_and_b32_e32 v4, 0x7fffffff, v3
	v_cmpx_gt_u32_e32 0x47800000, v4
	s_cbranch_execz .LBB8_2067
; %bb.2062:
	v_cmp_lt_u32_e32 vcc_lo, 0x37ffffff, v4
	s_mov_b32 s6, 0
                                        ; implicit-def: $vgpr4
	s_and_saveexec_b32 s10, vcc_lo
	s_xor_b32 s10, exec_lo, s10
	s_cbranch_execz .LBB8_2234
; %bb.2063:
	v_bfe_u32 v4, v3, 21, 1
	s_mov_b32 s6, exec_lo
	v_add3_u32 v4, v3, v4, 0x88fffff
	v_lshrrev_b32_e32 v4, 21, v4
	s_andn2_saveexec_b32 s10, s10
	s_cbranch_execnz .LBB8_2235
.LBB8_2064:
	s_or_b32 exec_lo, exec_lo, s10
	v_mov_b32_e32 v5, 0
	s_and_saveexec_b32 s10, s6
.LBB8_2065:
	v_lshrrev_b32_e32 v3, 24, v3
	v_and_or_b32 v5, 0x80, v3, v4
.LBB8_2066:
	s_or_b32 exec_lo, exec_lo, s10
.LBB8_2067:
	s_or_b32 exec_lo, exec_lo, s4
	s_mov_b32 s4, 0
	global_store_byte v[0:1], v5, off
.LBB8_2068:
	s_and_b32 vcc_lo, exec_lo, s4
	s_cbranch_vccz .LBB8_2078
; %bb.2069:
	v_cvt_f32_f64_e32 v3, v[8:9]
	s_mov_b32 s4, exec_lo
                                        ; implicit-def: $vgpr4
	v_and_b32_e32 v5, 0x7fffffff, v3
	v_cmpx_gt_u32_e32 0x43f00000, v5
	s_xor_b32 s4, exec_lo, s4
	s_cbranch_execz .LBB8_2075
; %bb.2070:
	s_mov_b32 s6, exec_lo
                                        ; implicit-def: $vgpr4
	v_cmpx_lt_u32_e32 0x3c7fffff, v5
	s_xor_b32 s6, exec_lo, s6
; %bb.2071:
	v_bfe_u32 v4, v3, 20, 1
	v_add3_u32 v4, v3, v4, 0x407ffff
	v_and_b32_e32 v5, 0xff00000, v4
	v_lshrrev_b32_e32 v4, 20, v4
	v_cmp_ne_u32_e32 vcc_lo, 0x7f00000, v5
	v_cndmask_b32_e32 v4, 0x7e, v4, vcc_lo
; %bb.2072:
	s_andn2_saveexec_b32 s6, s6
; %bb.2073:
	v_add_f32_e64 v4, 0x46800000, |v3|
; %bb.2074:
	s_or_b32 exec_lo, exec_lo, s6
                                        ; implicit-def: $vgpr5
.LBB8_2075:
	s_andn2_saveexec_b32 s4, s4
; %bb.2076:
	v_mov_b32_e32 v4, 0x7f
	v_cmp_lt_u32_e32 vcc_lo, 0x7f800000, v5
	v_cndmask_b32_e32 v4, 0x7e, v4, vcc_lo
; %bb.2077:
	s_or_b32 exec_lo, exec_lo, s4
	v_lshrrev_b32_e32 v3, 24, v3
	v_and_or_b32 v3, 0x80, v3, v4
	global_store_byte v[0:1], v3, off
.LBB8_2078:
	s_mov_b32 s4, 0
.LBB8_2079:
	s_andn2_b32 vcc_lo, exec_lo, s4
	s_cbranch_vccnz .LBB8_2089
; %bb.2080:
	v_cvt_f32_f64_e32 v3, v[8:9]
	s_mov_b32 s4, exec_lo
                                        ; implicit-def: $vgpr4
	v_and_b32_e32 v5, 0x7fffffff, v3
	v_cmpx_gt_u32_e32 0x47800000, v5
	s_xor_b32 s4, exec_lo, s4
	s_cbranch_execz .LBB8_2086
; %bb.2081:
	s_mov_b32 s6, exec_lo
                                        ; implicit-def: $vgpr4
	v_cmpx_lt_u32_e32 0x387fffff, v5
	s_xor_b32 s6, exec_lo, s6
; %bb.2082:
	v_bfe_u32 v4, v3, 21, 1
	v_add3_u32 v4, v3, v4, 0x80fffff
	v_lshrrev_b32_e32 v4, 21, v4
; %bb.2083:
	s_andn2_saveexec_b32 s6, s6
; %bb.2084:
	v_add_f32_e64 v4, 0x43000000, |v3|
; %bb.2085:
	s_or_b32 exec_lo, exec_lo, s6
                                        ; implicit-def: $vgpr5
.LBB8_2086:
	s_andn2_saveexec_b32 s4, s4
; %bb.2087:
	v_mov_b32_e32 v4, 0x7f
	v_cmp_lt_u32_e32 vcc_lo, 0x7f800000, v5
	v_cndmask_b32_e32 v4, 0x7c, v4, vcc_lo
; %bb.2088:
	s_or_b32 exec_lo, exec_lo, s4
	v_lshrrev_b32_e32 v3, 24, v3
	v_and_or_b32 v3, 0x80, v3, v4
	global_store_byte v[0:1], v3, off
.LBB8_2089:
	s_mov_b32 s4, 0
	s_mov_b32 s6, -1
.LBB8_2090:
	s_andn2_b32 vcc_lo, exec_lo, s4
	s_mov_b32 s4, 0
	s_cbranch_vccnz .LBB8_2097
; %bb.2091:
	s_cmp_gt_i32 s3, 14
	s_mov_b32 s4, -1
	s_cbranch_scc0 .LBB8_2095
; %bb.2092:
	s_cmp_eq_u32 s3, 15
	s_mov_b32 s0, -1
	s_cbranch_scc0 .LBB8_2094
; %bb.2093:
	v_cvt_f32_f64_e32 v3, v[8:9]
	s_mov_b32 s0, 0
	s_mov_b32 s6, -1
	v_bfe_u32 v4, v3, 16, 1
	v_cmp_o_f32_e32 vcc_lo, v3, v3
	v_add3_u32 v3, v3, v4, 0x7fff
	v_mov_b32_e32 v4, 0x7fc0
	v_cndmask_b32_sdwa v3, v4, v3, vcc_lo dst_sel:DWORD dst_unused:UNUSED_PAD src0_sel:DWORD src1_sel:WORD_1
	global_store_short v[0:1], v3, off
.LBB8_2094:
	s_mov_b32 s4, 0
.LBB8_2095:
	s_and_b32 vcc_lo, exec_lo, s4
	s_mov_b32 s4, 0
	s_cbranch_vccz .LBB8_2097
; %bb.2096:
	s_cmp_lg_u32 s3, 11
	s_mov_b32 s4, -1
	s_cselect_b32 s0, -1, 0
.LBB8_2097:
	s_and_b32 vcc_lo, exec_lo, s0
	s_cbranch_vccnz .LBB8_2233
; %bb.2098:
	s_andn2_b32 vcc_lo, exec_lo, s4
	s_cbranch_vccnz .LBB8_2100
.LBB8_2099:
	v_cmp_neq_f64_e32 vcc_lo, 0, v[8:9]
	s_mov_b32 s6, -1
	v_cndmask_b32_e64 v3, 0, 1, vcc_lo
	global_store_byte v[0:1], v3, off
.LBB8_2100:
	s_mov_b32 s0, 0
	s_branch .LBB8_2102
.LBB8_2101:
	s_mov_b32 s0, -1
	s_mov_b32 s6, 0
.LBB8_2102:
	s_and_b32 vcc_lo, exec_lo, s0
	s_cbranch_vccz .LBB8_2141
; %bb.2103:
	s_and_b32 s0, 0xffff, s1
	s_mov_b32 s3, -1
	s_cmp_lt_i32 s0, 5
	s_cbranch_scc1 .LBB8_2124
; %bb.2104:
	s_cmp_lt_i32 s0, 8
	s_cbranch_scc1 .LBB8_2114
; %bb.2105:
	;; [unrolled: 3-line block ×3, first 2 shown]
	s_cmp_gt_i32 s0, 9
	s_cbranch_scc0 .LBB8_2108
; %bb.2107:
	v_mov_b32_e32 v10, 0
	s_mov_b32 s3, 0
	v_mov_b32_e32 v11, v10
	global_store_dwordx4 v[0:1], v[8:11], off
.LBB8_2108:
	s_andn2_b32 vcc_lo, exec_lo, s3
	s_cbranch_vccnz .LBB8_2110
; %bb.2109:
	v_cvt_f32_f64_e32 v3, v[8:9]
	v_mov_b32_e32 v4, 0
	global_store_dwordx2 v[0:1], v[3:4], off
.LBB8_2110:
	s_mov_b32 s3, 0
.LBB8_2111:
	s_andn2_b32 vcc_lo, exec_lo, s3
	s_cbranch_vccnz .LBB8_2113
; %bb.2112:
	v_and_or_b32 v3, 0x1ff, v9, v8
	v_lshrrev_b32_e32 v4, 8, v9
	v_bfe_u32 v5, v9, 20, 11
	v_cmp_ne_u32_e32 vcc_lo, 0, v3
	v_sub_nc_u32_e32 v6, 0x3f1, v5
	v_add_nc_u32_e32 v5, 0xfffffc10, v5
	v_cndmask_b32_e64 v3, 0, 1, vcc_lo
	v_and_or_b32 v3, 0xffe, v4, v3
	v_med3_i32 v4, v6, 0, 13
	v_or_b32_e32 v6, 0x1000, v3
	v_lshrrev_b32_e32 v7, v4, v6
	v_lshlrev_b32_e32 v4, v4, v7
	v_cmp_ne_u32_e32 vcc_lo, v4, v6
	v_lshl_or_b32 v6, v5, 12, v3
	v_cndmask_b32_e64 v4, 0, 1, vcc_lo
	v_cmp_gt_i32_e32 vcc_lo, 1, v5
	v_or_b32_e32 v4, v7, v4
	v_cndmask_b32_e32 v4, v6, v4, vcc_lo
	v_and_b32_e32 v6, 7, v4
	v_lshrrev_b32_e32 v4, 2, v4
	v_cmp_lt_i32_e32 vcc_lo, 5, v6
	v_cndmask_b32_e64 v7, 0, 1, vcc_lo
	v_cmp_eq_u32_e32 vcc_lo, 3, v6
	v_cndmask_b32_e64 v6, 0, 1, vcc_lo
	v_cmp_ne_u32_e32 vcc_lo, 0, v3
	v_or_b32_e32 v6, v6, v7
	v_mov_b32_e32 v7, 0x7e00
	v_add_nc_u32_e32 v4, v4, v6
	v_cndmask_b32_e32 v3, 0x7c00, v7, vcc_lo
	v_cmp_gt_i32_e32 vcc_lo, 31, v5
	v_cndmask_b32_e32 v4, 0x7c00, v4, vcc_lo
	v_cmp_eq_u32_e32 vcc_lo, 0x40f, v5
	v_cndmask_b32_e32 v3, v4, v3, vcc_lo
	v_lshrrev_b32_e32 v4, 16, v9
	v_and_or_b32 v3, 0x8000, v4, v3
	v_and_b32_e32 v3, 0xffff, v3
	global_store_dword v[0:1], v3, off
.LBB8_2113:
	s_mov_b32 s3, 0
.LBB8_2114:
	s_andn2_b32 vcc_lo, exec_lo, s3
	s_cbranch_vccnz .LBB8_2123
; %bb.2115:
	s_cmp_lt_i32 s0, 6
	s_mov_b32 s3, -1
	s_cbranch_scc1 .LBB8_2121
; %bb.2116:
	s_cmp_gt_i32 s0, 6
	s_cbranch_scc0 .LBB8_2118
; %bb.2117:
	s_mov_b32 s3, 0
	global_store_dwordx2 v[0:1], v[8:9], off
.LBB8_2118:
	s_andn2_b32 vcc_lo, exec_lo, s3
	s_cbranch_vccnz .LBB8_2120
; %bb.2119:
	v_cvt_f32_f64_e32 v3, v[8:9]
	global_store_dword v[0:1], v3, off
.LBB8_2120:
	s_mov_b32 s3, 0
.LBB8_2121:
	s_andn2_b32 vcc_lo, exec_lo, s3
	s_cbranch_vccnz .LBB8_2123
; %bb.2122:
	v_and_or_b32 v3, 0x1ff, v9, v8
	v_lshrrev_b32_e32 v4, 8, v9
	v_bfe_u32 v5, v9, 20, 11
	v_cmp_ne_u32_e32 vcc_lo, 0, v3
	v_sub_nc_u32_e32 v6, 0x3f1, v5
	v_add_nc_u32_e32 v5, 0xfffffc10, v5
	v_cndmask_b32_e64 v3, 0, 1, vcc_lo
	v_and_or_b32 v3, 0xffe, v4, v3
	v_med3_i32 v4, v6, 0, 13
	v_or_b32_e32 v6, 0x1000, v3
	v_lshrrev_b32_e32 v7, v4, v6
	v_lshlrev_b32_e32 v4, v4, v7
	v_cmp_ne_u32_e32 vcc_lo, v4, v6
	v_lshl_or_b32 v6, v5, 12, v3
	v_cndmask_b32_e64 v4, 0, 1, vcc_lo
	v_cmp_gt_i32_e32 vcc_lo, 1, v5
	v_or_b32_e32 v4, v7, v4
	v_cndmask_b32_e32 v4, v6, v4, vcc_lo
	v_and_b32_e32 v6, 7, v4
	v_lshrrev_b32_e32 v4, 2, v4
	v_cmp_lt_i32_e32 vcc_lo, 5, v6
	v_cndmask_b32_e64 v7, 0, 1, vcc_lo
	v_cmp_eq_u32_e32 vcc_lo, 3, v6
	v_cndmask_b32_e64 v6, 0, 1, vcc_lo
	v_cmp_ne_u32_e32 vcc_lo, 0, v3
	v_or_b32_e32 v6, v6, v7
	v_mov_b32_e32 v7, 0x7e00
	v_add_nc_u32_e32 v4, v4, v6
	v_cndmask_b32_e32 v3, 0x7c00, v7, vcc_lo
	v_cmp_gt_i32_e32 vcc_lo, 31, v5
	v_cndmask_b32_e32 v4, 0x7c00, v4, vcc_lo
	v_cmp_eq_u32_e32 vcc_lo, 0x40f, v5
	v_cndmask_b32_e32 v3, v4, v3, vcc_lo
	v_lshrrev_b32_e32 v4, 16, v9
	v_and_or_b32 v3, 0x8000, v4, v3
	global_store_short v[0:1], v3, off
.LBB8_2123:
	s_mov_b32 s3, 0
.LBB8_2124:
	s_andn2_b32 vcc_lo, exec_lo, s3
	s_cbranch_vccnz .LBB8_2140
; %bb.2125:
	s_cmp_lt_i32 s0, 2
	s_mov_b32 s3, -1
	s_cbranch_scc1 .LBB8_2135
; %bb.2126:
	s_cmp_lt_i32 s0, 3
	s_cbranch_scc1 .LBB8_2132
; %bb.2127:
	s_cmp_gt_i32 s0, 3
	s_cbranch_scc0 .LBB8_2129
; %bb.2128:
	v_trunc_f64_e32 v[3:4], v[8:9]
	s_mov_b32 s3, 0
	v_ldexp_f64 v[5:6], v[3:4], 0xffffffe0
	v_floor_f64_e32 v[5:6], v[5:6]
	v_fma_f64 v[3:4], 0xc1f00000, v[5:6], v[3:4]
	v_cvt_i32_f64_e32 v5, v[5:6]
	v_cvt_u32_f64_e32 v4, v[3:4]
	global_store_dwordx2 v[0:1], v[4:5], off
.LBB8_2129:
	s_andn2_b32 vcc_lo, exec_lo, s3
	s_cbranch_vccnz .LBB8_2131
; %bb.2130:
	v_cvt_i32_f64_e32 v3, v[8:9]
	global_store_dword v[0:1], v3, off
.LBB8_2131:
	s_mov_b32 s3, 0
.LBB8_2132:
	s_andn2_b32 vcc_lo, exec_lo, s3
	s_cbranch_vccnz .LBB8_2134
; %bb.2133:
	v_cvt_i32_f64_e32 v3, v[8:9]
	global_store_short v[0:1], v3, off
.LBB8_2134:
	s_mov_b32 s3, 0
.LBB8_2135:
	s_andn2_b32 vcc_lo, exec_lo, s3
	s_cbranch_vccnz .LBB8_2140
; %bb.2136:
	s_cmp_gt_i32 s0, 0
	s_mov_b32 s0, -1
	s_cbranch_scc0 .LBB8_2138
; %bb.2137:
	v_cvt_i32_f64_e32 v3, v[8:9]
	s_mov_b32 s0, 0
	global_store_byte v[0:1], v3, off
.LBB8_2138:
	s_andn2_b32 vcc_lo, exec_lo, s0
	s_cbranch_vccnz .LBB8_2140
; %bb.2139:
	v_trunc_f64_e32 v[3:4], v[8:9]
	v_ldexp_f64 v[5:6], v[3:4], 0xffffffe0
	v_floor_f64_e32 v[5:6], v[5:6]
	v_fma_f64 v[3:4], 0xc1f00000, v[5:6], v[3:4]
	v_cvt_u32_f64_e32 v3, v[3:4]
	global_store_byte v[0:1], v3, off
.LBB8_2140:
	s_mov_b32 s6, -1
.LBB8_2141:
	s_andn2_b32 vcc_lo, exec_lo, s6
	s_cbranch_vccnz .LBB8_2218
; %bb.2142:
	v_add_nc_u32_e32 v0, s2, v2
	s_cmp_lt_i32 s1, 11
	v_ashrrev_i32_e32 v1, 31, v0
	v_add_co_u32 v0, vcc_lo, s8, v0
	v_add_co_ci_u32_e64 v1, null, s9, v1, vcc_lo
	s_cbranch_scc1 .LBB8_2219
; %bb.2143:
	s_and_b32 s2, 0xffff, s1
	s_mov_b32 s4, -1
	s_mov_b32 s3, 0
	s_cmp_gt_i32 s2, 25
	s_mov_b32 s0, 0
	s_cbranch_scc0 .LBB8_2176
; %bb.2144:
	s_cmp_gt_i32 s2, 28
	s_cbranch_scc0 .LBB8_2160
; %bb.2145:
	s_cmp_gt_i32 s2, 43
	;; [unrolled: 3-line block ×3, first 2 shown]
	s_cbranch_scc0 .LBB8_2150
; %bb.2147:
	s_cmp_eq_u32 s2, 46
	s_mov_b32 s0, -1
	s_cbranch_scc0 .LBB8_2149
; %bb.2148:
	v_cvt_f32_f64_e32 v2, v[12:13]
	s_mov_b32 s0, 0
	v_bfe_u32 v3, v2, 16, 1
	v_cmp_o_f32_e32 vcc_lo, v2, v2
	v_add3_u32 v2, v2, v3, 0x7fff
	v_mov_b32_e32 v3, 0x7fc0
	v_cndmask_b32_sdwa v2, v3, v2, vcc_lo dst_sel:DWORD dst_unused:UNUSED_PAD src0_sel:DWORD src1_sel:WORD_1
	global_store_dword v[0:1], v2, off
.LBB8_2149:
	s_mov_b32 s4, 0
.LBB8_2150:
	s_and_b32 vcc_lo, exec_lo, s4
	s_cbranch_vccz .LBB8_2155
; %bb.2151:
	s_cmp_eq_u32 s2, 44
	s_mov_b32 s0, -1
	s_cbranch_scc0 .LBB8_2155
; %bb.2152:
	v_cvt_f32_f64_e32 v2, v[12:13]
	v_mov_b32_e32 v3, 0xff
	s_mov_b32 s4, exec_lo
	v_bfe_u32 v4, v2, 23, 8
	v_cmpx_ne_u32_e32 0xff, v4
	s_cbranch_execz .LBB8_2154
; %bb.2153:
	v_and_b32_e32 v3, 0x400000, v2
	v_and_or_b32 v4, 0x3fffff, v2, v4
	v_lshrrev_b32_e32 v2, 23, v2
	v_cmp_ne_u32_e32 vcc_lo, 0, v3
	v_cmp_ne_u32_e64 s0, 0, v4
	s_and_b32 s0, vcc_lo, s0
	v_cndmask_b32_e64 v3, 0, 1, s0
	v_add_nc_u32_e32 v3, v2, v3
.LBB8_2154:
	s_or_b32 exec_lo, exec_lo, s4
	s_mov_b32 s0, 0
	global_store_byte v[0:1], v3, off
.LBB8_2155:
	s_mov_b32 s4, 0
.LBB8_2156:
	s_and_b32 vcc_lo, exec_lo, s4
	s_cbranch_vccz .LBB8_2159
; %bb.2157:
	s_cmp_eq_u32 s2, 29
	s_mov_b32 s0, -1
	s_cbranch_scc0 .LBB8_2159
; %bb.2158:
	v_trunc_f64_e32 v[2:3], v[12:13]
	s_mov_b32 s0, 0
	v_ldexp_f64 v[4:5], v[2:3], 0xffffffe0
	v_floor_f64_e32 v[4:5], v[4:5]
	v_fma_f64 v[2:3], 0xc1f00000, v[4:5], v[2:3]
	v_cvt_u32_f64_e32 v4, v[4:5]
	v_cvt_u32_f64_e32 v3, v[2:3]
	global_store_dwordx2 v[0:1], v[3:4], off
.LBB8_2159:
	s_mov_b32 s4, 0
.LBB8_2160:
	s_and_b32 vcc_lo, exec_lo, s4
	s_cbranch_vccz .LBB8_2175
; %bb.2161:
	s_cmp_lt_i32 s2, 27
	s_mov_b32 s4, -1
	s_cbranch_scc1 .LBB8_2167
; %bb.2162:
	v_cvt_u32_f64_e32 v2, v[12:13]
	s_cmp_gt_i32 s2, 27
	s_cbranch_scc0 .LBB8_2164
; %bb.2163:
	s_mov_b32 s4, 0
	global_store_dword v[0:1], v2, off
.LBB8_2164:
	s_andn2_b32 vcc_lo, exec_lo, s4
	s_cbranch_vccnz .LBB8_2166
; %bb.2165:
	global_store_short v[0:1], v2, off
.LBB8_2166:
	s_mov_b32 s4, 0
.LBB8_2167:
	s_andn2_b32 vcc_lo, exec_lo, s4
	s_cbranch_vccnz .LBB8_2175
; %bb.2168:
	v_cvt_f32_f64_e32 v2, v[12:13]
	v_mov_b32_e32 v4, 0x80
	s_mov_b32 s4, exec_lo
	v_and_b32_e32 v3, 0x7fffffff, v2
	v_cmpx_gt_u32_e32 0x43800000, v3
	s_cbranch_execz .LBB8_2174
; %bb.2169:
	v_cmp_lt_u32_e32 vcc_lo, 0x3bffffff, v3
	s_mov_b32 s6, 0
                                        ; implicit-def: $vgpr3
	s_and_saveexec_b32 s8, vcc_lo
	s_xor_b32 s8, exec_lo, s8
	s_cbranch_execz .LBB8_2236
; %bb.2170:
	v_bfe_u32 v3, v2, 20, 1
	s_mov_b32 s6, exec_lo
	v_add3_u32 v3, v2, v3, 0x487ffff
	v_lshrrev_b32_e32 v3, 20, v3
	s_andn2_saveexec_b32 s8, s8
	s_cbranch_execnz .LBB8_2237
.LBB8_2171:
	s_or_b32 exec_lo, exec_lo, s8
	v_mov_b32_e32 v4, 0
	s_and_saveexec_b32 s8, s6
.LBB8_2172:
	v_lshrrev_b32_e32 v2, 24, v2
	v_and_or_b32 v4, 0x80, v2, v3
.LBB8_2173:
	s_or_b32 exec_lo, exec_lo, s8
.LBB8_2174:
	s_or_b32 exec_lo, exec_lo, s4
	global_store_byte v[0:1], v4, off
.LBB8_2175:
	s_mov_b32 s4, 0
.LBB8_2176:
	s_and_b32 vcc_lo, exec_lo, s4
	s_cbranch_vccz .LBB8_2216
; %bb.2177:
	s_cmp_gt_i32 s2, 22
	s_mov_b32 s3, -1
	s_cbranch_scc0 .LBB8_2209
; %bb.2178:
	s_cmp_lt_i32 s2, 24
	s_cbranch_scc1 .LBB8_2198
; %bb.2179:
	s_cmp_gt_i32 s2, 24
	s_cbranch_scc0 .LBB8_2187
; %bb.2180:
	v_cvt_f32_f64_e32 v2, v[12:13]
	v_mov_b32_e32 v4, 0x80
	s_mov_b32 s3, exec_lo
	v_and_b32_e32 v3, 0x7fffffff, v2
	v_cmpx_gt_u32_e32 0x47800000, v3
	s_cbranch_execz .LBB8_2186
; %bb.2181:
	v_cmp_lt_u32_e32 vcc_lo, 0x37ffffff, v3
	s_mov_b32 s4, 0
                                        ; implicit-def: $vgpr3
	s_and_saveexec_b32 s6, vcc_lo
	s_xor_b32 s6, exec_lo, s6
	s_cbranch_execz .LBB8_2239
; %bb.2182:
	v_bfe_u32 v3, v2, 21, 1
	s_mov_b32 s4, exec_lo
	v_add3_u32 v3, v2, v3, 0x88fffff
	v_lshrrev_b32_e32 v3, 21, v3
	s_andn2_saveexec_b32 s6, s6
	s_cbranch_execnz .LBB8_2240
.LBB8_2183:
	s_or_b32 exec_lo, exec_lo, s6
	v_mov_b32_e32 v4, 0
	s_and_saveexec_b32 s6, s4
.LBB8_2184:
	v_lshrrev_b32_e32 v2, 24, v2
	v_and_or_b32 v4, 0x80, v2, v3
.LBB8_2185:
	s_or_b32 exec_lo, exec_lo, s6
.LBB8_2186:
	s_or_b32 exec_lo, exec_lo, s3
	s_mov_b32 s3, 0
	global_store_byte v[0:1], v4, off
.LBB8_2187:
	s_and_b32 vcc_lo, exec_lo, s3
	s_cbranch_vccz .LBB8_2197
; %bb.2188:
	v_cvt_f32_f64_e32 v2, v[12:13]
	s_mov_b32 s3, exec_lo
                                        ; implicit-def: $vgpr3
	v_and_b32_e32 v4, 0x7fffffff, v2
	v_cmpx_gt_u32_e32 0x43f00000, v4
	s_xor_b32 s3, exec_lo, s3
	s_cbranch_execz .LBB8_2194
; %bb.2189:
	s_mov_b32 s4, exec_lo
                                        ; implicit-def: $vgpr3
	v_cmpx_lt_u32_e32 0x3c7fffff, v4
	s_xor_b32 s4, exec_lo, s4
; %bb.2190:
	v_bfe_u32 v3, v2, 20, 1
	v_add3_u32 v3, v2, v3, 0x407ffff
	v_and_b32_e32 v4, 0xff00000, v3
	v_lshrrev_b32_e32 v3, 20, v3
	v_cmp_ne_u32_e32 vcc_lo, 0x7f00000, v4
	v_cndmask_b32_e32 v3, 0x7e, v3, vcc_lo
; %bb.2191:
	s_andn2_saveexec_b32 s4, s4
; %bb.2192:
	v_add_f32_e64 v3, 0x46800000, |v2|
; %bb.2193:
	s_or_b32 exec_lo, exec_lo, s4
                                        ; implicit-def: $vgpr4
.LBB8_2194:
	s_andn2_saveexec_b32 s3, s3
; %bb.2195:
	v_mov_b32_e32 v3, 0x7f
	v_cmp_lt_u32_e32 vcc_lo, 0x7f800000, v4
	v_cndmask_b32_e32 v3, 0x7e, v3, vcc_lo
; %bb.2196:
	s_or_b32 exec_lo, exec_lo, s3
	v_lshrrev_b32_e32 v2, 24, v2
	v_and_or_b32 v2, 0x80, v2, v3
	global_store_byte v[0:1], v2, off
.LBB8_2197:
	s_mov_b32 s3, 0
.LBB8_2198:
	s_andn2_b32 vcc_lo, exec_lo, s3
	s_cbranch_vccnz .LBB8_2208
; %bb.2199:
	v_cvt_f32_f64_e32 v2, v[12:13]
	s_mov_b32 s3, exec_lo
                                        ; implicit-def: $vgpr3
	v_and_b32_e32 v4, 0x7fffffff, v2
	v_cmpx_gt_u32_e32 0x47800000, v4
	s_xor_b32 s3, exec_lo, s3
	s_cbranch_execz .LBB8_2205
; %bb.2200:
	s_mov_b32 s4, exec_lo
                                        ; implicit-def: $vgpr3
	v_cmpx_lt_u32_e32 0x387fffff, v4
	s_xor_b32 s4, exec_lo, s4
; %bb.2201:
	v_bfe_u32 v3, v2, 21, 1
	v_add3_u32 v3, v2, v3, 0x80fffff
	v_lshrrev_b32_e32 v3, 21, v3
; %bb.2202:
	s_andn2_saveexec_b32 s4, s4
; %bb.2203:
	v_add_f32_e64 v3, 0x43000000, |v2|
; %bb.2204:
	s_or_b32 exec_lo, exec_lo, s4
                                        ; implicit-def: $vgpr4
.LBB8_2205:
	s_andn2_saveexec_b32 s3, s3
; %bb.2206:
	v_mov_b32_e32 v3, 0x7f
	v_cmp_lt_u32_e32 vcc_lo, 0x7f800000, v4
	v_cndmask_b32_e32 v3, 0x7c, v3, vcc_lo
; %bb.2207:
	s_or_b32 exec_lo, exec_lo, s3
	v_lshrrev_b32_e32 v2, 24, v2
	v_and_or_b32 v2, 0x80, v2, v3
	global_store_byte v[0:1], v2, off
.LBB8_2208:
	s_mov_b32 s3, 0
.LBB8_2209:
	s_andn2_b32 vcc_lo, exec_lo, s3
	s_mov_b32 s3, 0
	s_cbranch_vccnz .LBB8_2216
; %bb.2210:
	s_cmp_gt_i32 s2, 14
	s_mov_b32 s3, -1
	s_cbranch_scc0 .LBB8_2214
; %bb.2211:
	s_cmp_eq_u32 s2, 15
	s_mov_b32 s0, -1
	s_cbranch_scc0 .LBB8_2213
; %bb.2212:
	v_cvt_f32_f64_e32 v2, v[12:13]
	s_mov_b32 s0, 0
	v_bfe_u32 v3, v2, 16, 1
	v_cmp_o_f32_e32 vcc_lo, v2, v2
	v_add3_u32 v2, v2, v3, 0x7fff
	v_mov_b32_e32 v3, 0x7fc0
	v_cndmask_b32_sdwa v2, v3, v2, vcc_lo dst_sel:DWORD dst_unused:UNUSED_PAD src0_sel:DWORD src1_sel:WORD_1
	global_store_short v[0:1], v2, off
.LBB8_2213:
	s_mov_b32 s3, 0
.LBB8_2214:
	s_and_b32 vcc_lo, exec_lo, s3
	s_mov_b32 s3, 0
	s_cbranch_vccz .LBB8_2216
; %bb.2215:
	s_cmp_lg_u32 s2, 11
	s_mov_b32 s3, -1
	s_cselect_b32 s0, -1, 0
.LBB8_2216:
	s_and_b32 vcc_lo, exec_lo, s0
	s_cbranch_vccnz .LBB8_2238
.LBB8_2217:
	s_mov_b32 s0, 0
	s_branch .LBB8_1819
.LBB8_2218:
	s_mov_b32 s0, 0
	s_mov_b32 s3, 0
                                        ; implicit-def: $sgpr1
                                        ; implicit-def: $vgpr0_vgpr1
	s_branch .LBB8_1819
.LBB8_2219:
	s_mov_b32 s3, 0
	s_mov_b32 s0, -1
	s_branch .LBB8_1819
.LBB8_2220:
	s_or_b32 s5, s5, exec_lo
	s_trap 2
	s_cbranch_execz .LBB8_1664
	s_branch .LBB8_1665
.LBB8_2221:
	s_andn2_saveexec_b32 s11, s11
	s_cbranch_execz .LBB8_1768
.LBB8_2222:
	v_add_f32_e64 v3, 0x46000000, |v2|
	s_andn2_b32 s10, s10, exec_lo
	v_and_b32_e32 v3, 0xff, v3
	v_cmp_ne_u32_e32 vcc_lo, 0, v3
	s_and_b32 s13, vcc_lo, exec_lo
	s_or_b32 s10, s10, s13
	s_or_b32 exec_lo, exec_lo, s11
	v_mov_b32_e32 v11, 0
	s_and_saveexec_b32 s11, s10
	s_cbranch_execnz .LBB8_1769
	s_branch .LBB8_1770
.LBB8_2223:
	s_or_b32 s5, s5, exec_lo
	s_trap 2
	s_cbranch_execz .LBB8_1816
	s_branch .LBB8_1817
.LBB8_2224:
	s_andn2_saveexec_b32 s10, s10
	s_cbranch_execz .LBB8_1781
.LBB8_2225:
	v_add_f32_e64 v3, 0x42800000, |v2|
	s_andn2_b32 s6, s6, exec_lo
	v_and_b32_e32 v3, 0xff, v3
	v_cmp_ne_u32_e32 vcc_lo, 0, v3
	s_and_b32 s11, vcc_lo, exec_lo
	s_or_b32 s6, s6, s11
	s_or_b32 exec_lo, exec_lo, s10
	v_mov_b32_e32 v11, 0
	s_and_saveexec_b32 s10, s6
	s_cbranch_execnz .LBB8_1782
	s_branch .LBB8_1783
.LBB8_2226:
	s_andn2_saveexec_b32 s11, s11
	s_cbranch_execz .LBB8_1932
.LBB8_2227:
	v_add_f32_e64 v6, 0x46000000, |v3|
	s_andn2_b32 s10, s10, exec_lo
	v_and_b32_e32 v6, 0xff, v6
	v_cmp_ne_u32_e32 vcc_lo, 0, v6
	s_and_b32 s13, vcc_lo, exec_lo
	s_or_b32 s10, s10, s13
	s_or_b32 exec_lo, exec_lo, s11
	v_mov_b32_e32 v7, 0
	s_and_saveexec_b32 s11, s10
	s_cbranch_execnz .LBB8_1933
	s_branch .LBB8_1934
.LBB8_2228:
	s_or_b32 s5, s5, exec_lo
	s_trap 2
	s_cbranch_execz .LBB8_1980
	s_branch .LBB8_1981
.LBB8_2229:
	s_andn2_saveexec_b32 s10, s10
	s_cbranch_execz .LBB8_1945
.LBB8_2230:
	v_add_f32_e64 v6, 0x42800000, |v3|
	s_andn2_b32 s6, s6, exec_lo
	v_and_b32_e32 v6, 0xff, v6
	v_cmp_ne_u32_e32 vcc_lo, 0, v6
	s_and_b32 s11, vcc_lo, exec_lo
	s_or_b32 s6, s6, s11
	s_or_b32 exec_lo, exec_lo, s10
	v_mov_b32_e32 v7, 0
	s_and_saveexec_b32 s10, s6
	s_cbranch_execnz .LBB8_1946
	s_branch .LBB8_1947
.LBB8_2231:
	s_andn2_saveexec_b32 s11, s11
	s_cbranch_execz .LBB8_2051
.LBB8_2232:
	v_add_f32_e64 v4, 0x46000000, |v3|
	s_andn2_b32 s10, s10, exec_lo
	v_and_b32_e32 v4, 0xff, v4
	v_cmp_ne_u32_e32 vcc_lo, 0, v4
	s_and_b32 s13, vcc_lo, exec_lo
	s_or_b32 s10, s10, s13
	s_or_b32 exec_lo, exec_lo, s11
	v_mov_b32_e32 v5, 0
	s_and_saveexec_b32 s11, s10
	s_cbranch_execnz .LBB8_2052
	s_branch .LBB8_2053
.LBB8_2233:
	s_or_b32 s5, s5, exec_lo
	s_trap 2
	s_cbranch_execz .LBB8_2099
	s_branch .LBB8_2100
.LBB8_2234:
	s_andn2_saveexec_b32 s10, s10
	s_cbranch_execz .LBB8_2064
.LBB8_2235:
	v_add_f32_e64 v4, 0x42800000, |v3|
	s_andn2_b32 s6, s6, exec_lo
	v_and_b32_e32 v4, 0xff, v4
	v_cmp_ne_u32_e32 vcc_lo, 0, v4
	s_and_b32 s11, vcc_lo, exec_lo
	s_or_b32 s6, s6, s11
	s_or_b32 exec_lo, exec_lo, s10
	v_mov_b32_e32 v5, 0
	s_and_saveexec_b32 s10, s6
	s_cbranch_execnz .LBB8_2065
	s_branch .LBB8_2066
.LBB8_2236:
	s_andn2_saveexec_b32 s8, s8
	s_cbranch_execz .LBB8_2171
.LBB8_2237:
	v_add_f32_e64 v3, 0x46000000, |v2|
	s_andn2_b32 s6, s6, exec_lo
	v_and_b32_e32 v3, 0xff, v3
	v_cmp_ne_u32_e32 vcc_lo, 0, v3
	s_and_b32 s9, vcc_lo, exec_lo
	s_or_b32 s6, s6, s9
	s_or_b32 exec_lo, exec_lo, s8
	v_mov_b32_e32 v4, 0
	s_and_saveexec_b32 s8, s6
	s_cbranch_execnz .LBB8_2172
	s_branch .LBB8_2173
.LBB8_2238:
	s_mov_b32 s3, 0
	s_or_b32 s5, s5, exec_lo
	s_trap 2
	s_branch .LBB8_2217
.LBB8_2239:
	s_andn2_saveexec_b32 s6, s6
	s_cbranch_execz .LBB8_2183
.LBB8_2240:
	v_add_f32_e64 v3, 0x42800000, |v2|
	s_andn2_b32 s4, s4, exec_lo
	v_and_b32_e32 v3, 0xff, v3
	v_cmp_ne_u32_e32 vcc_lo, 0, v3
	s_and_b32 s8, vcc_lo, exec_lo
	s_or_b32 s4, s4, s8
	s_or_b32 exec_lo, exec_lo, s6
	v_mov_b32_e32 v4, 0
	s_and_saveexec_b32 s6, s4
	s_cbranch_execnz .LBB8_2184
	s_branch .LBB8_2185
	.section	.rodata,"a",@progbits
	.p2align	6, 0x0
	.amdhsa_kernel _ZN2at6native32elementwise_kernel_manual_unrollILi128ELi4EZNS0_15gpu_kernel_implIZZZNS0_19digamma_kernel_cudaERNS_18TensorIteratorBaseEENKUlvE_clEvENKUlvE_clEvEUldE_EEvS4_RKT_EUlibE_EEviT1_
		.amdhsa_group_segment_fixed_size 0
		.amdhsa_private_segment_fixed_size 0
		.amdhsa_kernarg_size 40
		.amdhsa_user_sgpr_count 6
		.amdhsa_user_sgpr_private_segment_buffer 1
		.amdhsa_user_sgpr_dispatch_ptr 0
		.amdhsa_user_sgpr_queue_ptr 0
		.amdhsa_user_sgpr_kernarg_segment_ptr 1
		.amdhsa_user_sgpr_dispatch_id 0
		.amdhsa_user_sgpr_flat_scratch_init 0
		.amdhsa_user_sgpr_private_segment_size 0
		.amdhsa_wavefront_size32 1
		.amdhsa_uses_dynamic_stack 0
		.amdhsa_system_sgpr_private_segment_wavefront_offset 0
		.amdhsa_system_sgpr_workgroup_id_x 1
		.amdhsa_system_sgpr_workgroup_id_y 0
		.amdhsa_system_sgpr_workgroup_id_z 0
		.amdhsa_system_sgpr_workgroup_info 0
		.amdhsa_system_vgpr_workitem_id 0
		.amdhsa_next_free_vgpr 42
		.amdhsa_next_free_sgpr 30
		.amdhsa_reserve_vcc 1
		.amdhsa_reserve_flat_scratch 0
		.amdhsa_float_round_mode_32 0
		.amdhsa_float_round_mode_16_64 0
		.amdhsa_float_denorm_mode_32 3
		.amdhsa_float_denorm_mode_16_64 3
		.amdhsa_dx10_clamp 1
		.amdhsa_ieee_mode 1
		.amdhsa_fp16_overflow 0
		.amdhsa_workgroup_processor_mode 1
		.amdhsa_memory_ordered 1
		.amdhsa_forward_progress 1
		.amdhsa_shared_vgpr_count 0
		.amdhsa_exception_fp_ieee_invalid_op 0
		.amdhsa_exception_fp_denorm_src 0
		.amdhsa_exception_fp_ieee_div_zero 0
		.amdhsa_exception_fp_ieee_overflow 0
		.amdhsa_exception_fp_ieee_underflow 0
		.amdhsa_exception_fp_ieee_inexact 0
		.amdhsa_exception_int_div_zero 0
	.end_amdhsa_kernel
	.section	.text._ZN2at6native32elementwise_kernel_manual_unrollILi128ELi4EZNS0_15gpu_kernel_implIZZZNS0_19digamma_kernel_cudaERNS_18TensorIteratorBaseEENKUlvE_clEvENKUlvE_clEvEUldE_EEvS4_RKT_EUlibE_EEviT1_,"axG",@progbits,_ZN2at6native32elementwise_kernel_manual_unrollILi128ELi4EZNS0_15gpu_kernel_implIZZZNS0_19digamma_kernel_cudaERNS_18TensorIteratorBaseEENKUlvE_clEvENKUlvE_clEvEUldE_EEvS4_RKT_EUlibE_EEviT1_,comdat
.Lfunc_end8:
	.size	_ZN2at6native32elementwise_kernel_manual_unrollILi128ELi4EZNS0_15gpu_kernel_implIZZZNS0_19digamma_kernel_cudaERNS_18TensorIteratorBaseEENKUlvE_clEvENKUlvE_clEvEUldE_EEvS4_RKT_EUlibE_EEviT1_, .Lfunc_end8-_ZN2at6native32elementwise_kernel_manual_unrollILi128ELi4EZNS0_15gpu_kernel_implIZZZNS0_19digamma_kernel_cudaERNS_18TensorIteratorBaseEENKUlvE_clEvENKUlvE_clEvEUldE_EEvS4_RKT_EUlibE_EEviT1_
                                        ; -- End function
	.set _ZN2at6native32elementwise_kernel_manual_unrollILi128ELi4EZNS0_15gpu_kernel_implIZZZNS0_19digamma_kernel_cudaERNS_18TensorIteratorBaseEENKUlvE_clEvENKUlvE_clEvEUldE_EEvS4_RKT_EUlibE_EEviT1_.num_vgpr, 42
	.set _ZN2at6native32elementwise_kernel_manual_unrollILi128ELi4EZNS0_15gpu_kernel_implIZZZNS0_19digamma_kernel_cudaERNS_18TensorIteratorBaseEENKUlvE_clEvENKUlvE_clEvEUldE_EEvS4_RKT_EUlibE_EEviT1_.num_agpr, 0
	.set _ZN2at6native32elementwise_kernel_manual_unrollILi128ELi4EZNS0_15gpu_kernel_implIZZZNS0_19digamma_kernel_cudaERNS_18TensorIteratorBaseEENKUlvE_clEvENKUlvE_clEvEUldE_EEvS4_RKT_EUlibE_EEviT1_.numbered_sgpr, 30
	.set _ZN2at6native32elementwise_kernel_manual_unrollILi128ELi4EZNS0_15gpu_kernel_implIZZZNS0_19digamma_kernel_cudaERNS_18TensorIteratorBaseEENKUlvE_clEvENKUlvE_clEvEUldE_EEvS4_RKT_EUlibE_EEviT1_.num_named_barrier, 0
	.set _ZN2at6native32elementwise_kernel_manual_unrollILi128ELi4EZNS0_15gpu_kernel_implIZZZNS0_19digamma_kernel_cudaERNS_18TensorIteratorBaseEENKUlvE_clEvENKUlvE_clEvEUldE_EEvS4_RKT_EUlibE_EEviT1_.private_seg_size, 0
	.set _ZN2at6native32elementwise_kernel_manual_unrollILi128ELi4EZNS0_15gpu_kernel_implIZZZNS0_19digamma_kernel_cudaERNS_18TensorIteratorBaseEENKUlvE_clEvENKUlvE_clEvEUldE_EEvS4_RKT_EUlibE_EEviT1_.uses_vcc, 1
	.set _ZN2at6native32elementwise_kernel_manual_unrollILi128ELi4EZNS0_15gpu_kernel_implIZZZNS0_19digamma_kernel_cudaERNS_18TensorIteratorBaseEENKUlvE_clEvENKUlvE_clEvEUldE_EEvS4_RKT_EUlibE_EEviT1_.uses_flat_scratch, 0
	.set _ZN2at6native32elementwise_kernel_manual_unrollILi128ELi4EZNS0_15gpu_kernel_implIZZZNS0_19digamma_kernel_cudaERNS_18TensorIteratorBaseEENKUlvE_clEvENKUlvE_clEvEUldE_EEvS4_RKT_EUlibE_EEviT1_.has_dyn_sized_stack, 0
	.set _ZN2at6native32elementwise_kernel_manual_unrollILi128ELi4EZNS0_15gpu_kernel_implIZZZNS0_19digamma_kernel_cudaERNS_18TensorIteratorBaseEENKUlvE_clEvENKUlvE_clEvEUldE_EEvS4_RKT_EUlibE_EEviT1_.has_recursion, 0
	.set _ZN2at6native32elementwise_kernel_manual_unrollILi128ELi4EZNS0_15gpu_kernel_implIZZZNS0_19digamma_kernel_cudaERNS_18TensorIteratorBaseEENKUlvE_clEvENKUlvE_clEvEUldE_EEvS4_RKT_EUlibE_EEviT1_.has_indirect_call, 0
	.section	.AMDGPU.csdata,"",@progbits
; Kernel info:
; codeLenInByte = 59760
; TotalNumSgprs: 32
; NumVgprs: 42
; ScratchSize: 0
; MemoryBound: 1
; FloatMode: 240
; IeeeMode: 1
; LDSByteSize: 0 bytes/workgroup (compile time only)
; SGPRBlocks: 0
; VGPRBlocks: 5
; NumSGPRsForWavesPerEU: 32
; NumVGPRsForWavesPerEU: 42
; Occupancy: 16
; WaveLimiterHint : 0
; COMPUTE_PGM_RSRC2:SCRATCH_EN: 0
; COMPUTE_PGM_RSRC2:USER_SGPR: 6
; COMPUTE_PGM_RSRC2:TRAP_HANDLER: 0
; COMPUTE_PGM_RSRC2:TGID_X_EN: 1
; COMPUTE_PGM_RSRC2:TGID_Y_EN: 0
; COMPUTE_PGM_RSRC2:TGID_Z_EN: 0
; COMPUTE_PGM_RSRC2:TIDIG_COMP_CNT: 0
	.section	.text._ZN2at6native32elementwise_kernel_manual_unrollILi128ELi4EZNS0_15gpu_kernel_implIZZZNS0_19digamma_kernel_cudaERNS_18TensorIteratorBaseEENKUlvE_clEvENKUlvE_clEvEUldE_EEvS4_RKT_EUlibE0_EEviT1_,"axG",@progbits,_ZN2at6native32elementwise_kernel_manual_unrollILi128ELi4EZNS0_15gpu_kernel_implIZZZNS0_19digamma_kernel_cudaERNS_18TensorIteratorBaseEENKUlvE_clEvENKUlvE_clEvEUldE_EEvS4_RKT_EUlibE0_EEviT1_,comdat
	.globl	_ZN2at6native32elementwise_kernel_manual_unrollILi128ELi4EZNS0_15gpu_kernel_implIZZZNS0_19digamma_kernel_cudaERNS_18TensorIteratorBaseEENKUlvE_clEvENKUlvE_clEvEUldE_EEvS4_RKT_EUlibE0_EEviT1_ ; -- Begin function _ZN2at6native32elementwise_kernel_manual_unrollILi128ELi4EZNS0_15gpu_kernel_implIZZZNS0_19digamma_kernel_cudaERNS_18TensorIteratorBaseEENKUlvE_clEvENKUlvE_clEvEUldE_EEvS4_RKT_EUlibE0_EEviT1_
	.p2align	8
	.type	_ZN2at6native32elementwise_kernel_manual_unrollILi128ELi4EZNS0_15gpu_kernel_implIZZZNS0_19digamma_kernel_cudaERNS_18TensorIteratorBaseEENKUlvE_clEvENKUlvE_clEvEUldE_EEvS4_RKT_EUlibE0_EEviT1_,@function
_ZN2at6native32elementwise_kernel_manual_unrollILi128ELi4EZNS0_15gpu_kernel_implIZZZNS0_19digamma_kernel_cudaERNS_18TensorIteratorBaseEENKUlvE_clEvENKUlvE_clEvEUldE_EEvS4_RKT_EUlibE0_EEviT1_: ; @_ZN2at6native32elementwise_kernel_manual_unrollILi128ELi4EZNS0_15gpu_kernel_implIZZZNS0_19digamma_kernel_cudaERNS_18TensorIteratorBaseEENKUlvE_clEvENKUlvE_clEvEUldE_EEvS4_RKT_EUlibE0_EEviT1_
; %bb.0:
	s_clause 0x1
	s_load_dword s24, s[4:5], 0x8
	s_load_dword s33, s[4:5], 0x0
	v_lshl_or_b32 v11, s6, 9, v0
	s_add_u32 s2, s4, 8
	s_addc_u32 s3, s5, 0
	s_mov_b32 s1, -1
	s_mov_b32 s26, 0
	v_or_b32_e32 v5, 0x180, v11
	s_mov_b32 s12, 0
	s_mov_b32 s0, exec_lo
	s_waitcnt lgkmcnt(0)
	s_add_i32 s25, s24, -1
	s_cmp_gt_u32 s25, 1
	s_cselect_b32 s27, -1, 0
	v_cmpx_le_i32_e64 s33, v5
	s_xor_b32 s28, exec_lo, s0
	s_cbranch_execz .LBB9_1185
; %bb.1:
	v_mov_b32_e32 v0, 0
	s_clause 0x3
	s_load_dwordx4 s[16:19], s[2:3], 0x4
	s_load_dwordx2 s[6:7], s[2:3], 0x14
	s_load_dwordx4 s[12:15], s[2:3], 0xc4
	s_load_dwordx4 s[8:11], s[2:3], 0x148
	s_cmp_lg_u32 s24, 0
	s_mov_b32 s39, 0
	s_cselect_b32 s34, -1, 0
	global_load_ushort v0, v0, s[2:3] offset:345
	s_add_u32 s20, s2, 0xc4
	s_addc_u32 s21, s3, 0
	s_min_u32 s35, s25, 15
	s_cmp_gt_u32 s24, 1
	s_mov_b32 s37, 0
	s_cselect_b32 s31, -1, 0
	s_mov_b32 s36, 0
	s_mov_b32 s38, exec_lo
	s_waitcnt vmcnt(0)
	v_readfirstlane_b32 s29, v0
	s_and_b32 s0, 0xffff, s29
	s_lshr_b32 s30, s0, 8
	v_cmpx_gt_i32_e64 s33, v11
	s_cbranch_execz .LBB9_290
; %bb.2:
	s_andn2_b32 vcc_lo, exec_lo, s27
	s_cbranch_vccnz .LBB9_7
; %bb.3:
	s_andn2_b32 vcc_lo, exec_lo, s34
	s_cbranch_vccnz .LBB9_8
; %bb.4:
	s_add_i32 s37, s35, 1
	s_cmp_eq_u32 s25, 2
	s_cbranch_scc1 .LBB9_9
; %bb.5:
	v_mov_b32_e32 v0, 0
	v_mov_b32_e32 v2, 0
	;; [unrolled: 1-line block ×3, first 2 shown]
	s_and_b32 s36, s37, 28
	s_mov_b32 s40, 0
	s_mov_b64 s[0:1], s[2:3]
	s_mov_b64 s[22:23], s[20:21]
.LBB9_6:                                ; =>This Inner Loop Header: Depth=1
	s_clause 0x1
	s_load_dwordx8 s[44:51], s[0:1], 0x4
	s_load_dwordx4 s[60:63], s[0:1], 0x24
	s_load_dwordx8 s[52:59], s[22:23], 0x0
	s_add_u32 s0, s0, 48
	s_addc_u32 s1, s1, 0
	s_add_i32 s40, s40, 4
	s_add_u32 s22, s22, 32
	s_addc_u32 s23, s23, 0
	s_cmp_lg_u32 s36, s40
	s_waitcnt lgkmcnt(0)
	v_mul_hi_u32 v3, s45, v1
	v_add_nc_u32_e32 v3, v1, v3
	v_lshrrev_b32_e32 v3, s46, v3
	v_mul_hi_u32 v4, s48, v3
	v_mul_lo_u32 v6, v3, s44
	v_add_nc_u32_e32 v4, v3, v4
	v_sub_nc_u32_e32 v1, v1, v6
	v_lshrrev_b32_e32 v4, s49, v4
	v_mul_lo_u32 v6, v1, s52
	v_mul_lo_u32 v8, v1, s53
	v_mul_hi_u32 v5, s51, v4
	v_add_nc_u32_e32 v5, v4, v5
	v_lshrrev_b32_e32 v5, s60, v5
	v_mul_hi_u32 v7, s62, v5
	v_mul_lo_u32 v9, v5, s50
	v_add_nc_u32_e32 v1, v5, v7
	v_mul_lo_u32 v7, v4, s47
	v_sub_nc_u32_e32 v4, v4, v9
	v_lshrrev_b32_e32 v1, s63, v1
	v_mul_lo_u32 v9, v4, s56
	v_mul_lo_u32 v4, v4, s57
	v_sub_nc_u32_e32 v3, v3, v7
	v_mul_lo_u32 v10, v1, s61
	v_mul_lo_u32 v7, v3, s54
	;; [unrolled: 1-line block ×3, first 2 shown]
	v_sub_nc_u32_e32 v5, v5, v10
	v_add3_u32 v2, v6, v2, v7
	v_mul_lo_u32 v10, v5, s58
	v_mul_lo_u32 v5, v5, s59
	v_add3_u32 v0, v8, v0, v3
	v_add3_u32 v2, v9, v2, v10
	;; [unrolled: 1-line block ×3, first 2 shown]
	s_cbranch_scc1 .LBB9_6
	s_branch .LBB9_10
.LBB9_7:
                                        ; implicit-def: $vgpr2
                                        ; implicit-def: $vgpr0
	s_branch .LBB9_14
.LBB9_8:
	v_mov_b32_e32 v2, 0
	v_mov_b32_e32 v0, 0
	s_branch .LBB9_13
.LBB9_9:
	v_mov_b32_e32 v2, 0
	v_mov_b32_e32 v0, 0
	;; [unrolled: 1-line block ×3, first 2 shown]
.LBB9_10:
	s_and_b32 s37, s37, 3
	s_cmp_eq_u32 s37, 0
	s_cbranch_scc1 .LBB9_13
; %bb.11:
	s_lshl_b32 s0, s36, 3
	s_mul_i32 s22, s36, 12
	s_add_u32 s0, s2, s0
	s_addc_u32 s1, s3, 0
	s_add_u32 s0, s0, 0xc4
	s_addc_u32 s1, s1, 0
	;; [unrolled: 2-line block ×3, first 2 shown]
	.p2align	6
.LBB9_12:                               ; =>This Inner Loop Header: Depth=1
	s_clause 0x1
	s_load_dwordx2 s[40:41], s[22:23], 0x4
	s_load_dword s36, s[22:23], 0xc
	s_load_dwordx2 s[42:43], s[0:1], 0x0
	s_add_u32 s22, s22, 12
	s_addc_u32 s23, s23, 0
	s_add_u32 s0, s0, 8
	s_addc_u32 s1, s1, 0
	s_add_i32 s37, s37, -1
	s_cmp_lg_u32 s37, 0
	s_waitcnt lgkmcnt(0)
	v_mul_hi_u32 v3, s41, v1
	v_add_nc_u32_e32 v3, v1, v3
	v_lshrrev_b32_e32 v4, s36, v3
	v_mul_lo_u32 v3, v4, s40
	v_sub_nc_u32_e32 v1, v1, v3
	v_mad_u64_u32 v[2:3], null, v1, s42, v[2:3]
	v_mad_u64_u32 v[0:1], null, v1, s43, v[0:1]
	v_mov_b32_e32 v1, v4
	s_cbranch_scc1 .LBB9_12
.LBB9_13:
	s_cbranch_execnz .LBB9_16
.LBB9_14:
	s_waitcnt lgkmcnt(0)
	v_mul_hi_u32 v0, s17, v11
	s_andn2_b32 vcc_lo, exec_lo, s31
	v_add_nc_u32_e32 v0, v11, v0
	v_lshrrev_b32_e32 v1, s18, v0
	v_mul_lo_u32 v0, v1, s16
	v_sub_nc_u32_e32 v0, v11, v0
	v_mul_lo_u32 v2, v0, s12
	v_mul_lo_u32 v0, v0, s13
	s_cbranch_vccnz .LBB9_16
; %bb.15:
	v_mul_hi_u32 v3, s6, v1
	v_add_nc_u32_e32 v3, v1, v3
	v_lshrrev_b32_e32 v3, s7, v3
	v_mul_lo_u32 v3, v3, s19
	v_sub_nc_u32_e32 v1, v1, v3
	v_mad_u64_u32 v[2:3], null, v1, s14, v[2:3]
	v_mad_u64_u32 v[0:1], null, v1, s15, v[0:1]
.LBB9_16:
	s_waitcnt lgkmcnt(0)
	v_add_co_u32 v0, s0, s10, v0
	v_add_co_ci_u32_e64 v1, null, s11, 0, s0
	s_and_b32 s0, 0xffff, s30
	s_cmp_lt_i32 s0, 11
	s_cbranch_scc1 .LBB9_23
; %bb.17:
	s_cmp_gt_i32 s0, 25
	s_cbranch_scc0 .LBB9_56
; %bb.18:
	s_cmp_gt_i32 s0, 28
	s_cbranch_scc0 .LBB9_59
; %bb.19:
	s_cmp_gt_i32 s0, 43
	s_cbranch_scc0 .LBB9_61
; %bb.20:
	s_cmp_gt_i32 s0, 45
	s_cbranch_scc0 .LBB9_63
; %bb.21:
	s_cmp_eq_u32 s0, 46
	s_mov_b32 s23, 0
	s_cbranch_scc0 .LBB9_65
; %bb.22:
	global_load_dword v3, v[0:1], off
	s_mov_b32 s1, -1
	s_mov_b32 s22, 0
	s_waitcnt vmcnt(0)
	v_lshlrev_b32_e32 v3, 16, v3
	v_cvt_f64_f32_e32 v[3:4], v3
	s_branch .LBB9_67
.LBB9_23:
	s_mov_b32 s22, 0
	s_mov_b32 s1, 0
                                        ; implicit-def: $vgpr3_vgpr4
	s_cbranch_execnz .LBB9_240
.LBB9_24:
	s_andn2_b32 vcc_lo, exec_lo, s1
	s_cbranch_vccnz .LBB9_287
.LBB9_25:
                                        ; implicit-def: $vgpr0_vgpr1
	s_mov_b32 s0, exec_lo
	s_waitcnt vmcnt(0)
	v_cmpx_neq_f64_e32 0, v[3:4]
	s_xor_b32 s23, exec_lo, s0
	s_cbranch_execz .LBB9_47
; %bb.26:
	v_mov_b32_e32 v5, 0
	v_mov_b32_e32 v6, 0
	s_mov_b32 s1, -1
	s_mov_b32 s36, exec_lo
	v_cmpx_gt_f64_e32 0, v[3:4]
	s_cbranch_execz .LBB9_34
; %bb.27:
	v_trunc_f64_e32 v[0:1], v[3:4]
	v_mov_b32_e32 v5, 0
	v_mov_b32_e32 v6, 0
	s_mov_b32 s1, 0
	s_mov_b32 s37, exec_lo
	v_cmpx_neq_f64_e32 v[3:4], v[0:1]
	s_cbranch_execz .LBB9_33
; %bb.28:
	v_add_f64 v[0:1], v[3:4], -v[0:1]
	s_mov_b32 s1, 0xc00921fb
	s_mov_b32 s0, 0x54442d18
	v_cmp_neq_f64_e64 vcc_lo, 0x7ff00000, |v[3:4]|
	s_mov_b32 s40, exec_lo
                                        ; implicit-def: $vgpr9
                                        ; implicit-def: $vgpr5_vgpr6
                                        ; implicit-def: $vgpr7_vgpr8
	v_mul_f64 v[0:1], |v[0:1]|, s[0:1]
	v_cndmask_b32_e32 v1, 0x80000000, v1, vcc_lo
	v_cndmask_b32_e32 v0, 0, v0, vcc_lo
	v_cmpx_ngt_f64_e64 0x41d00000, |v[0:1]|
	s_xor_b32 s40, exec_lo, s40
	s_cbranch_execz .LBB9_30
; %bb.29:
	v_ldexp_f64 v[5:6], |v[0:1]|, 0xffffff80
	v_cmp_le_f64_e64 vcc_lo, 0x7b000000, |v[0:1]|
	v_trig_preop_f64 v[7:8], |v[0:1]|, 0
	v_and_b32_e32 v9, 0x7fffffff, v1
	v_trig_preop_f64 v[20:21], |v[0:1]|, 2
	v_mov_b32_e32 v28, 0
	s_mov_b32 s1, 0x3ff921fb
	s_mov_b32 s42, 0x33145c07
	;; [unrolled: 1-line block ×3, first 2 shown]
	v_cndmask_b32_e32 v6, v9, v6, vcc_lo
	v_cndmask_b32_e32 v5, v0, v5, vcc_lo
	v_trig_preop_f64 v[9:10], |v[0:1]|, 1
	v_mul_f64 v[12:13], v[7:8], v[5:6]
	v_mul_f64 v[26:27], v[20:21], v[5:6]
	v_mul_f64 v[14:15], v[9:10], v[5:6]
	v_fma_f64 v[7:8], v[7:8], v[5:6], -v[12:13]
	v_fma_f64 v[9:10], v[9:10], v[5:6], -v[14:15]
	;; [unrolled: 1-line block ×3, first 2 shown]
	v_add_f64 v[16:17], v[14:15], v[7:8]
	v_add_f64 v[18:19], v[16:17], -v[14:15]
	v_add_f64 v[24:25], v[12:13], v[16:17]
	v_add_f64 v[22:23], v[16:17], -v[18:19]
	v_add_f64 v[7:8], v[7:8], -v[18:19]
	v_ldexp_f64 v[18:19], v[24:25], -2
	v_add_f64 v[12:13], v[24:25], -v[12:13]
	v_add_f64 v[14:15], v[14:15], -v[22:23]
	v_add_f64 v[22:23], v[26:27], v[9:10]
	v_cmp_neq_f64_e64 vcc_lo, 0x7ff00000, |v[18:19]|
	v_add_f64 v[12:13], v[16:17], -v[12:13]
	v_add_f64 v[7:8], v[7:8], v[14:15]
	v_fract_f64_e32 v[14:15], v[18:19]
	v_add_f64 v[16:17], v[22:23], v[7:8]
	v_ldexp_f64 v[14:15], v[14:15], 2
	v_add_f64 v[18:19], v[12:13], v[16:17]
	v_cndmask_b32_e32 v15, 0, v15, vcc_lo
	v_cndmask_b32_e32 v14, 0, v14, vcc_lo
	v_add_f64 v[24:25], v[18:19], v[14:15]
	v_add_f64 v[12:13], v[18:19], -v[12:13]
	v_cmp_gt_f64_e32 vcc_lo, 0, v[24:25]
	v_add_f64 v[24:25], v[22:23], -v[26:27]
	v_cndmask_b32_e64 v29, 0, 0x40100000, vcc_lo
	v_add_f64 v[33:34], v[22:23], -v[24:25]
	v_add_f64 v[9:10], v[9:10], -v[24:25]
	v_add_f64 v[14:15], v[14:15], v[28:29]
	v_add_f64 v[29:30], v[16:17], -v[22:23]
	v_add_f64 v[24:25], v[26:27], -v[33:34]
	v_add_f64 v[31:32], v[18:19], v[14:15]
	;; [unrolled: 3-line block ×3, first 2 shown]
	v_cvt_i32_f64_e32 v31, v[31:32]
	v_add_f64 v[22:23], v[22:23], -v[35:36]
	v_cvt_f64_i32_e32 v[29:30], v31
	v_add_f64 v[7:8], v[7:8], v[22:23]
	v_add_f64 v[14:15], v[14:15], -v[29:30]
	v_add_f64 v[7:8], v[9:10], v[7:8]
	v_add_f64 v[9:10], v[16:17], -v[12:13]
	v_add_f64 v[20:21], v[18:19], v[14:15]
	v_add_f64 v[5:6], v[5:6], v[7:8]
	v_add_f64 v[7:8], v[20:21], -v[14:15]
	v_cmp_le_f64_e32 vcc_lo, 0.5, v[20:21]
	v_add_f64 v[5:6], v[9:10], v[5:6]
	v_add_f64 v[7:8], v[18:19], -v[7:8]
	v_cndmask_b32_e64 v29, 0, 0x3ff00000, vcc_lo
	v_add_co_ci_u32_e64 v9, null, 0, v31, vcc_lo
	v_add_f64 v[5:6], v[5:6], v[7:8]
	v_add_f64 v[7:8], v[20:21], -v[28:29]
	v_add_f64 v[12:13], v[7:8], v[5:6]
	v_mul_f64 v[14:15], v[12:13], s[0:1]
	v_add_f64 v[7:8], v[12:13], -v[7:8]
	v_fma_f64 v[16:17], v[12:13], s[0:1], -v[14:15]
	v_add_f64 v[5:6], v[5:6], -v[7:8]
	v_fma_f64 v[7:8], v[12:13], s[42:43], v[16:17]
	v_fma_f64 v[7:8], v[5:6], s[0:1], v[7:8]
	v_add_f64 v[5:6], v[14:15], v[7:8]
	v_add_f64 v[12:13], v[5:6], -v[14:15]
	v_add_f64 v[7:8], v[7:8], -v[12:13]
.LBB9_30:
	s_andn2_saveexec_b32 s0, s40
	s_cbranch_execz .LBB9_32
; %bb.31:
	s_mov_b32 s40, 0x6dc9c883
	s_mov_b32 s41, 0x3fe45f30
	;; [unrolled: 1-line block ×3, first 2 shown]
	v_mul_f64 v[5:6], |v[0:1]|, s[40:41]
	s_mov_b32 s40, 0x54442d18
	s_mov_b32 s41, 0xbff921fb
	;; [unrolled: 1-line block ×3, first 2 shown]
	v_rndne_f64_e32 v[9:10], v[5:6]
	v_fma_f64 v[5:6], v[9:10], s[40:41], |v[0:1]|
	v_mul_f64 v[7:8], v[9:10], s[42:43]
	s_mov_b32 s40, 0x252049c0
	s_mov_b32 s41, 0xb97b839a
	v_fma_f64 v[14:15], v[9:10], s[42:43], v[5:6]
	v_add_f64 v[12:13], v[5:6], v[7:8]
	s_mov_b32 s43, 0x3c91a626
	v_add_f64 v[5:6], v[5:6], -v[12:13]
	v_add_f64 v[12:13], v[12:13], -v[14:15]
	v_add_f64 v[5:6], v[5:6], v[7:8]
	v_fma_f64 v[7:8], v[9:10], s[42:43], v[7:8]
	v_add_f64 v[5:6], v[12:13], v[5:6]
	v_add_f64 v[5:6], v[5:6], -v[7:8]
	v_fma_f64 v[7:8], v[9:10], s[40:41], v[5:6]
	v_cvt_i32_f64_e32 v9, v[9:10]
	v_add_f64 v[5:6], v[14:15], v[7:8]
	v_add_f64 v[12:13], v[5:6], -v[14:15]
	v_add_f64 v[7:8], v[7:8], -v[12:13]
.LBB9_32:
	s_or_b32 exec_lo, exec_lo, s0
	v_mul_f64 v[12:13], v[5:6], v[5:6]
	v_add_f64 v[14:15], v[7:8], v[7:8]
	s_mov_b32 s40, 0xa9a29f71
	s_mov_b32 s42, 0xc751c08c
	;; [unrolled: 1-line block ×4, first 2 shown]
	v_cmp_class_f64_e64 s0, v[0:1], 0x1f8
	v_and_b32_e32 v9, 1, v9
	v_and_b32_e32 v1, 0x80000000, v1
	v_add_f64 v[3:4], -v[3:4], 1.0
	s_mov_b32 s1, exec_lo
	v_cmp_eq_u32_e32 vcc_lo, 0, v9
	v_fma_f64 v[16:17], v[5:6], v[5:6], -v[12:13]
	v_fma_f64 v[14:15], v[5:6], v[14:15], v[16:17]
	v_add_f64 v[12:13], v[12:13], v[14:15]
	v_fma_f64 v[14:15], v[12:13], s[42:43], s[40:41]
	s_mov_b32 s40, 0x90a8aae0
	s_mov_b32 s41, 0x3f17746f
	v_fma_f64 v[14:15], v[12:13], v[14:15], s[40:41]
	s_mov_b32 s40, 0xa6fbf144
	s_mov_b32 s41, 0xbefbb44d
	;; [unrolled: 3-line block ×13, first 2 shown]
	v_mul_f64 v[12:13], v[12:13], v[14:15]
	v_mul_f64 v[14:15], v[5:6], v[12:13]
	v_add_f64 v[16:17], v[5:6], v[14:15]
	v_fma_f64 v[12:13], v[5:6], v[12:13], -v[14:15]
	v_add_f64 v[5:6], v[16:17], -v[5:6]
	v_add_f64 v[7:8], v[7:8], v[12:13]
	v_add_f64 v[5:6], v[14:15], -v[5:6]
	v_add_f64 v[5:6], v[7:8], v[5:6]
	v_add_f64 v[7:8], v[16:17], v[5:6]
	v_rcp_f64_e32 v[12:13], v[7:8]
	v_fma_f64 v[14:15], -v[7:8], v[12:13], 1.0
	v_fma_f64 v[12:13], v[14:15], v[12:13], v[12:13]
	v_fma_f64 v[14:15], -v[7:8], v[12:13], 1.0
	v_fma_f64 v[12:13], v[14:15], v[12:13], v[12:13]
	v_add_f64 v[14:15], v[7:8], -v[16:17]
	v_mul_f64 v[16:17], v[7:8], v[12:13]
	v_add_f64 v[5:6], v[5:6], -v[14:15]
	v_fma_f64 v[14:15], v[12:13], v[7:8], -v[16:17]
	v_fma_f64 v[5:6], v[12:13], v[5:6], v[14:15]
	v_add_f64 v[14:15], v[16:17], v[5:6]
	v_add_f64 v[18:19], -v[14:15], 1.0
	v_add_f64 v[16:17], v[14:15], -v[16:17]
	v_add_f64 v[20:21], -v[18:19], 1.0
	v_add_f64 v[5:6], v[16:17], -v[5:6]
	v_add_f64 v[14:15], v[20:21], -v[14:15]
	v_add_f64 v[5:6], v[5:6], v[14:15]
	v_add_f64 v[5:6], v[18:19], v[5:6]
	v_mul_f64 v[5:6], v[12:13], v[5:6]
	v_add_f64 v[5:6], v[12:13], v[5:6]
	v_xor_b32_e32 v0, 0x80000000, v6
	v_cndmask_b32_e32 v5, v5, v7, vcc_lo
	v_cndmask_b32_e32 v0, v0, v8, vcc_lo
	v_xor_b32_e32 v1, v0, v1
	v_cndmask_b32_e64 v0, 0, v5, s0
	v_cndmask_b32_e64 v1, 0x7ff80000, v1, s0
	v_div_scale_f64 v[5:6], null, v[0:1], v[0:1], s[40:41]
	v_div_scale_f64 v[12:13], vcc_lo, s[40:41], v[0:1], s[40:41]
	v_rcp_f64_e32 v[7:8], v[5:6]
	v_fma_f64 v[9:10], -v[5:6], v[7:8], 1.0
	v_fma_f64 v[7:8], v[7:8], v[9:10], v[7:8]
	v_fma_f64 v[9:10], -v[5:6], v[7:8], 1.0
	v_fma_f64 v[7:8], v[7:8], v[9:10], v[7:8]
	v_mul_f64 v[9:10], v[12:13], v[7:8]
	v_fma_f64 v[5:6], -v[5:6], v[9:10], v[12:13]
	v_div_fmas_f64 v[5:6], v[5:6], v[7:8], v[9:10]
	v_div_fixup_f64 v[5:6], v[5:6], v[0:1], s[40:41]
.LBB9_33:
	s_or_b32 exec_lo, exec_lo, s37
	s_orn2_b32 s1, s1, exec_lo
.LBB9_34:
	s_or_b32 exec_lo, exec_lo, s36
	v_mov_b32_e32 v0, 0
	v_mov_b32_e32 v1, 0x7ff80000
	s_and_saveexec_b32 s0, s1
	s_cbranch_execz .LBB9_46
; %bb.35:
	s_mov_b32 s1, exec_lo
	v_cmpx_gt_f64_e32 0x40240000, v[3:4]
	s_cbranch_execz .LBB9_39
; %bb.36:
	s_mov_b32 s36, 0
	.p2align	6
.LBB9_37:                               ; =>This Inner Loop Header: Depth=1
	v_div_scale_f64 v[0:1], null, v[3:4], v[3:4], 1.0
	v_div_scale_f64 v[12:13], vcc_lo, 1.0, v[3:4], 1.0
	v_rcp_f64_e32 v[7:8], v[0:1]
	v_fma_f64 v[9:10], -v[0:1], v[7:8], 1.0
	v_fma_f64 v[7:8], v[7:8], v[9:10], v[7:8]
	v_fma_f64 v[9:10], -v[0:1], v[7:8], 1.0
	v_fma_f64 v[7:8], v[7:8], v[9:10], v[7:8]
	v_mul_f64 v[9:10], v[12:13], v[7:8]
	v_fma_f64 v[0:1], -v[0:1], v[9:10], v[12:13]
	v_div_fmas_f64 v[0:1], v[0:1], v[7:8], v[9:10]
	v_div_fixup_f64 v[0:1], v[0:1], v[3:4], 1.0
	v_add_f64 v[3:4], v[3:4], 1.0
	v_add_f64 v[5:6], v[5:6], -v[0:1]
	v_cmp_ngt_f64_e32 vcc_lo, 0x40240000, v[3:4]
	s_or_b32 s36, vcc_lo, s36
	s_andn2_b32 exec_lo, exec_lo, s36
	s_cbranch_execnz .LBB9_37
; %bb.38:
	s_or_b32 exec_lo, exec_lo, s36
.LBB9_39:
	s_or_b32 exec_lo, exec_lo, s1
	s_mov_b32 s1, exec_lo
                                        ; implicit-def: $vgpr0_vgpr1
	v_cmpx_neq_f64_e32 0x40240000, v[3:4]
	s_xor_b32 s1, exec_lo, s1
	s_cbranch_execz .LBB9_43
; %bb.40:
	s_mov_b32 s36, 0x85d8a000
	s_mov_b32 s37, 0x43763457
	v_mov_b32_e32 v0, 0
	v_cmp_gt_f64_e32 vcc_lo, s[36:37], v[3:4]
	v_mov_b32_e32 v1, 0
	s_and_saveexec_b32 s36, vcc_lo
	s_cbranch_execz .LBB9_42
; %bb.41:
	v_mul_f64 v[0:1], v[3:4], v[3:4]
	s_mov_b32 s40, 0x55555555
	s_mov_b32 s41, 0x3fb55555
	;; [unrolled: 1-line block ×6, first 2 shown]
	v_div_scale_f64 v[7:8], null, v[0:1], v[0:1], 1.0
	v_rcp_f64_e32 v[9:10], v[7:8]
	v_fma_f64 v[12:13], -v[7:8], v[9:10], 1.0
	v_fma_f64 v[9:10], v[9:10], v[12:13], v[9:10]
	v_fma_f64 v[12:13], -v[7:8], v[9:10], 1.0
	v_fma_f64 v[9:10], v[9:10], v[12:13], v[9:10]
	v_div_scale_f64 v[12:13], vcc_lo, 1.0, v[0:1], 1.0
	v_mul_f64 v[14:15], v[12:13], v[9:10]
	v_fma_f64 v[7:8], -v[7:8], v[14:15], v[12:13]
	v_div_fmas_f64 v[7:8], v[7:8], v[9:10], v[14:15]
	v_div_fixup_f64 v[0:1], v[7:8], v[0:1], 1.0
	v_fma_f64 v[7:8], v[0:1], 0, s[40:41]
	v_fma_f64 v[7:8], v[0:1], v[7:8], s[42:43]
	s_mov_b32 s42, 0xf07c1f08
	s_mov_b32 s43, 0x3f7f07c1
	v_fma_f64 v[7:8], v[0:1], v[7:8], s[42:43]
	s_mov_b32 s43, 0xbf711111
	s_mov_b32 s42, 0x11111111
	v_fma_f64 v[7:8], v[0:1], v[7:8], s[42:43]
	s_mov_b32 s43, 0xbf811111
	v_fma_f64 v[7:8], v[0:1], v[7:8], s[44:45]
	v_fma_f64 v[7:8], v[0:1], v[7:8], s[42:43]
	;; [unrolled: 1-line block ×3, first 2 shown]
	v_mul_f64 v[0:1], v[0:1], v[7:8]
.LBB9_42:
	s_or_b32 exec_lo, exec_lo, s36
	v_frexp_mant_f64_e32 v[7:8], v[3:4]
	s_mov_b32 s37, 0x3fe55555
	s_mov_b32 s36, 0x55555555
	;; [unrolled: 1-line block ×6, first 2 shown]
	v_div_scale_f64 v[24:25], null, v[3:4], v[3:4], -0.5
	v_cmp_gt_f64_e32 vcc_lo, s[36:37], v[7:8]
	s_mov_b32 s36, 0x55555780
	v_rcp_f64_e32 v[28:29], v[24:25]
	v_cndmask_b32_e64 v9, 0, 1, vcc_lo
	v_ldexp_f64 v[7:8], v[7:8], v9
	v_add_f64 v[9:10], v[7:8], 1.0
	v_add_f64 v[16:17], v[7:8], -1.0
	v_rcp_f64_e32 v[12:13], v[9:10]
	v_add_f64 v[18:19], v[9:10], -1.0
	v_add_f64 v[7:8], v[7:8], -v[18:19]
	v_fma_f64 v[14:15], -v[9:10], v[12:13], 1.0
	v_fma_f64 v[12:13], v[14:15], v[12:13], v[12:13]
	v_fma_f64 v[14:15], -v[9:10], v[12:13], 1.0
	v_fma_f64 v[12:13], v[14:15], v[12:13], v[12:13]
	v_mul_f64 v[14:15], v[16:17], v[12:13]
	v_mul_f64 v[20:21], v[9:10], v[14:15]
	v_fma_f64 v[9:10], v[14:15], v[9:10], -v[20:21]
	v_fma_f64 v[7:8], v[14:15], v[7:8], v[9:10]
	v_add_f64 v[9:10], v[20:21], v[7:8]
	v_add_f64 v[18:19], v[16:17], -v[9:10]
	v_add_f64 v[20:21], v[9:10], -v[20:21]
	;; [unrolled: 1-line block ×4, first 2 shown]
	v_frexp_exp_i32_f64_e32 v20, v[3:4]
	v_add_f64 v[9:10], v[16:17], -v[9:10]
	v_add_f64 v[7:8], v[7:8], v[9:10]
	v_add_f64 v[7:8], v[18:19], v[7:8]
	v_mul_f64 v[7:8], v[12:13], v[7:8]
	v_add_f64 v[9:10], v[14:15], v[7:8]
	v_mul_f64 v[12:13], v[9:10], v[9:10]
	v_fma_f64 v[16:17], v[12:13], s[42:43], s[40:41]
	s_mov_b32 s40, 0xd7f4df2e
	s_mov_b32 s41, 0x3fc7474d
	v_mul_f64 v[18:19], v[9:10], v[12:13]
	v_fma_f64 v[16:17], v[12:13], v[16:17], s[40:41]
	s_mov_b32 s40, 0x16291751
	s_mov_b32 s41, 0x3fcc71c0
	v_fma_f64 v[16:17], v[12:13], v[16:17], s[40:41]
	s_mov_b32 s40, 0x9b27acf1
	s_mov_b32 s41, 0x3fd24924
	;; [unrolled: 3-line block ×3, first 2 shown]
	v_fma_f64 v[16:17], v[12:13], v[16:17], s[40:41]
	v_fma_f64 v[12:13], v[12:13], v[16:17], s[36:37]
	v_ldexp_f64 v[16:17], v[9:10], 1
	v_add_f64 v[9:10], v[9:10], -v[14:15]
	s_mov_b32 s36, 0xfefa39ef
	s_mov_b32 s37, 0x3fe62e42
	v_mul_f64 v[12:13], v[18:19], v[12:13]
	v_subrev_co_ci_u32_e64 v18, null, 0, v20, vcc_lo
	v_add_f64 v[7:8], v[7:8], -v[9:10]
	v_cvt_f64_i32_e32 v[18:19], v18
	v_add_f64 v[14:15], v[16:17], v[12:13]
	v_ldexp_f64 v[7:8], v[7:8], 1
	v_mul_f64 v[20:21], v[18:19], s[36:37]
	v_add_f64 v[9:10], v[14:15], -v[16:17]
	v_fma_f64 v[16:17], v[18:19], s[36:37], -v[20:21]
	s_mov_b32 s36, 0x3b39803f
	s_mov_b32 s37, 0x3c7abc9e
	v_add_f64 v[9:10], v[12:13], -v[9:10]
	v_fma_f64 v[12:13], v[18:19], s[36:37], v[16:17]
	v_add_f64 v[7:8], v[7:8], v[9:10]
	v_add_f64 v[9:10], v[20:21], v[12:13]
	;; [unrolled: 1-line block ×3, first 2 shown]
	v_add_f64 v[20:21], v[9:10], -v[20:21]
	v_add_f64 v[18:19], v[9:10], v[16:17]
	v_add_f64 v[14:15], v[16:17], -v[14:15]
	v_add_f64 v[12:13], v[12:13], -v[20:21]
	;; [unrolled: 1-line block ×6, first 2 shown]
	v_fma_f64 v[16:17], -v[24:25], v[28:29], 1.0
	v_add_f64 v[20:21], v[12:13], v[7:8]
	v_add_f64 v[9:10], v[9:10], -v[26:27]
	v_add_f64 v[9:10], v[14:15], v[9:10]
	v_fma_f64 v[14:15], v[28:29], v[16:17], v[28:29]
	v_add_f64 v[16:17], v[20:21], -v[12:13]
	v_div_scale_f64 v[28:29], vcc_lo, -0.5, v[3:4], -0.5
	v_add_f64 v[9:10], v[20:21], v[9:10]
	v_fma_f64 v[22:23], -v[24:25], v[14:15], 1.0
	v_add_f64 v[20:21], v[20:21], -v[16:17]
	v_add_f64 v[7:8], v[7:8], -v[16:17]
	v_add_f64 v[26:27], v[18:19], v[9:10]
	v_fma_f64 v[14:15], v[14:15], v[22:23], v[14:15]
	v_add_f64 v[12:13], v[12:13], -v[20:21]
	v_add_f64 v[16:17], v[26:27], -v[18:19]
	v_mul_f64 v[18:19], v[28:29], v[14:15]
	v_add_f64 v[7:8], v[7:8], v[12:13]
	v_add_f64 v[9:10], v[9:10], -v[16:17]
	v_fma_f64 v[12:13], -v[24:25], v[18:19], v[28:29]
	v_add_f64 v[7:8], v[7:8], v[9:10]
	v_div_fmas_f64 v[9:10], v[12:13], v[14:15], v[18:19]
	v_cmp_class_f64_e64 vcc_lo, v[3:4], 0x204
	v_add_f64 v[7:8], v[26:27], v[7:8]
	v_div_fixup_f64 v[9:10], v[9:10], v[3:4], -0.5
	v_cndmask_b32_e32 v4, v8, v4, vcc_lo
	v_cndmask_b32_e32 v3, v7, v3, vcc_lo
	v_add_f64 v[3:4], v[3:4], v[9:10]
	v_add_f64 v[0:1], v[3:4], -v[0:1]
	v_add_f64 v[0:1], v[5:6], v[0:1]
                                        ; implicit-def: $vgpr5_vgpr6
.LBB9_43:
	s_andn2_saveexec_b32 s1, s1
; %bb.44:
	s_mov_b32 s36, 0xdc85cc95
	s_mov_b32 s37, 0x40020396
	v_add_f64 v[0:1], v[5:6], s[36:37]
; %bb.45:
	s_or_b32 exec_lo, exec_lo, s1
.LBB9_46:
	s_or_b32 exec_lo, exec_lo, s0
                                        ; implicit-def: $vgpr3_vgpr4
.LBB9_47:
	s_andn2_saveexec_b32 s0, s23
; %bb.48:
	v_xor_b32_e32 v0, 0x80000000, v4
	s_mov_b32 s1, 0x7ff00000
	v_bfi_b32 v1, 0x7fffffff, s1, v0
	v_mov_b32_e32 v0, 0
; %bb.49:
	s_or_b32 exec_lo, exec_lo, s0
	v_add_co_u32 v4, s0, s8, v2
	v_add_co_ci_u32_e64 v5, null, s9, 0, s0
	s_and_b32 s1, s29, 0xff
	s_cmp_lt_i32 s1, 11
	s_cbranch_scc1 .LBB9_57
; %bb.50:
	s_and_b32 s23, 0xffff, s1
	s_cmp_gt_i32 s23, 25
	s_cbranch_scc0 .LBB9_60
; %bb.51:
	s_cmp_gt_i32 s23, 28
	s_cbranch_scc0 .LBB9_62
; %bb.52:
	;; [unrolled: 3-line block ×4, first 2 shown]
	s_mov_b32 s37, 0
	s_mov_b32 s0, -1
	s_cmp_eq_u32 s23, 46
	s_mov_b32 s36, 0
	s_cbranch_scc0 .LBB9_71
; %bb.55:
	v_cvt_f32_f64_e32 v2, v[0:1]
	s_mov_b32 s36, -1
	s_mov_b32 s0, 0
	v_bfe_u32 v3, v2, 16, 1
	v_cmp_o_f32_e32 vcc_lo, v2, v2
	v_add3_u32 v2, v2, v3, 0x7fff
	v_mov_b32_e32 v3, 0x7fc0
	v_cndmask_b32_sdwa v2, v3, v2, vcc_lo dst_sel:DWORD dst_unused:UNUSED_PAD src0_sel:DWORD src1_sel:WORD_1
	global_store_dword v[4:5], v2, off
	s_branch .LBB9_71
.LBB9_56:
	s_mov_b32 s22, 0
	s_mov_b32 s1, 0
                                        ; implicit-def: $vgpr3_vgpr4
	s_cbranch_execnz .LBB9_207
	s_branch .LBB9_239
.LBB9_57:
	s_mov_b32 s0, 0
	s_mov_b32 s36, 0
	s_cbranch_execnz .LBB9_140
.LBB9_58:
	s_andn2_b32 vcc_lo, exec_lo, s36
	s_cbranch_vccz .LBB9_178
	s_branch .LBB9_288
.LBB9_59:
	s_mov_b32 s23, -1
	s_mov_b32 s22, 0
	s_mov_b32 s1, 0
                                        ; implicit-def: $vgpr3_vgpr4
	s_branch .LBB9_186
.LBB9_60:
	s_mov_b32 s37, -1
	s_mov_b32 s0, 0
	s_mov_b32 s36, 0
	s_branch .LBB9_98
.LBB9_61:
	s_mov_b32 s23, -1
	s_mov_b32 s22, 0
	s_mov_b32 s1, 0
                                        ; implicit-def: $vgpr3_vgpr4
	s_branch .LBB9_181
.LBB9_62:
	s_mov_b32 s37, -1
	s_mov_b32 s0, 0
	s_mov_b32 s36, 0
	s_branch .LBB9_81
.LBB9_63:
	s_mov_b32 s23, -1
	s_mov_b32 s22, 0
	s_branch .LBB9_66
.LBB9_64:
	s_mov_b32 s37, -1
	s_mov_b32 s0, 0
	s_mov_b32 s36, 0
	s_branch .LBB9_77
.LBB9_65:
	s_mov_b32 s22, -1
.LBB9_66:
	s_mov_b32 s1, 0
                                        ; implicit-def: $vgpr3_vgpr4
.LBB9_67:
	s_and_b32 vcc_lo, exec_lo, s23
	s_cbranch_vccz .LBB9_180
; %bb.68:
	s_cmp_eq_u32 s0, 44
	s_cbranch_scc0 .LBB9_179
; %bb.69:
	global_load_ubyte v5, v[0:1], off
	s_mov_b32 s22, 0
	s_mov_b32 s1, -1
	s_waitcnt vmcnt(0)
	v_lshlrev_b32_e32 v3, 23, v5
	v_cmp_ne_u32_e32 vcc_lo, 0xff, v5
	v_cvt_f64_f32_e32 v[3:4], v3
	v_cndmask_b32_e32 v3, 0x20000000, v3, vcc_lo
	v_cndmask_b32_e32 v4, 0x7ff80000, v4, vcc_lo
	v_cmp_ne_u32_e32 vcc_lo, 0, v5
	v_cndmask_b32_e32 v4, 0x38000000, v4, vcc_lo
	v_cndmask_b32_e32 v3, 0, v3, vcc_lo
	s_branch .LBB9_180
.LBB9_70:
	s_mov_b32 s37, -1
	s_mov_b32 s0, 0
	s_mov_b32 s36, 0
.LBB9_71:
	s_and_b32 vcc_lo, exec_lo, s37
	s_cbranch_vccz .LBB9_76
; %bb.72:
	s_cmp_eq_u32 s23, 44
	s_mov_b32 s0, -1
	s_cbranch_scc0 .LBB9_76
; %bb.73:
	v_cvt_f32_f64_e32 v2, v[0:1]
	v_mov_b32_e32 v3, 0xff
	s_mov_b32 s36, exec_lo
	v_bfe_u32 v6, v2, 23, 8
	v_cmpx_ne_u32_e32 0xff, v6
	s_cbranch_execz .LBB9_75
; %bb.74:
	v_and_b32_e32 v3, 0x400000, v2
	v_and_or_b32 v6, 0x3fffff, v2, v6
	v_lshrrev_b32_e32 v2, 23, v2
	v_cmp_ne_u32_e32 vcc_lo, 0, v3
	v_cmp_ne_u32_e64 s0, 0, v6
	s_and_b32 s0, vcc_lo, s0
	v_cndmask_b32_e64 v3, 0, 1, s0
	v_add_nc_u32_e32 v3, v2, v3
.LBB9_75:
	s_or_b32 exec_lo, exec_lo, s36
	s_mov_b32 s36, -1
	s_mov_b32 s0, 0
	global_store_byte v[4:5], v3, off
.LBB9_76:
	s_mov_b32 s37, 0
.LBB9_77:
	s_and_b32 vcc_lo, exec_lo, s37
	s_cbranch_vccz .LBB9_80
; %bb.78:
	s_cmp_eq_u32 s23, 29
	s_mov_b32 s0, -1
	s_cbranch_scc0 .LBB9_80
; %bb.79:
	v_trunc_f64_e32 v[2:3], v[0:1]
	s_mov_b32 s36, -1
	s_mov_b32 s0, 0
	s_mov_b32 s37, 0
	v_ldexp_f64 v[6:7], v[2:3], 0xffffffe0
	v_floor_f64_e32 v[6:7], v[6:7]
	v_fma_f64 v[2:3], 0xc1f00000, v[6:7], v[2:3]
	v_cvt_u32_f64_e32 v7, v[6:7]
	v_cvt_u32_f64_e32 v6, v[2:3]
	global_store_dwordx2 v[4:5], v[6:7], off
	s_branch .LBB9_81
.LBB9_80:
	s_mov_b32 s37, 0
.LBB9_81:
	s_and_b32 vcc_lo, exec_lo, s37
	s_cbranch_vccz .LBB9_97
; %bb.82:
	s_cmp_lt_i32 s23, 27
	s_mov_b32 s36, -1
	s_cbranch_scc1 .LBB9_88
; %bb.83:
	v_cvt_u32_f64_e32 v2, v[0:1]
	s_cmp_gt_i32 s23, 27
	s_cbranch_scc0 .LBB9_85
; %bb.84:
	s_mov_b32 s36, 0
	global_store_dword v[4:5], v2, off
.LBB9_85:
	s_andn2_b32 vcc_lo, exec_lo, s36
	s_cbranch_vccnz .LBB9_87
; %bb.86:
	global_store_short v[4:5], v2, off
.LBB9_87:
	s_mov_b32 s36, 0
.LBB9_88:
	s_andn2_b32 vcc_lo, exec_lo, s36
	s_cbranch_vccnz .LBB9_96
; %bb.89:
	v_cvt_f32_f64_e32 v2, v[0:1]
	v_mov_b32_e32 v6, 0x80
	s_mov_b32 s36, exec_lo
	v_and_b32_e32 v3, 0x7fffffff, v2
	v_cmpx_gt_u32_e32 0x43800000, v3
	s_cbranch_execz .LBB9_95
; %bb.90:
	v_cmp_lt_u32_e32 vcc_lo, 0x3bffffff, v3
	s_mov_b32 s37, 0
                                        ; implicit-def: $vgpr3
	s_and_saveexec_b32 s40, vcc_lo
	s_xor_b32 s40, exec_lo, s40
	s_cbranch_execz .LBB9_355
; %bb.91:
	v_bfe_u32 v3, v2, 20, 1
	s_mov_b32 s37, exec_lo
	v_add3_u32 v3, v2, v3, 0x487ffff
	v_lshrrev_b32_e32 v3, 20, v3
	s_andn2_saveexec_b32 s40, s40
	s_cbranch_execnz .LBB9_356
.LBB9_92:
	s_or_b32 exec_lo, exec_lo, s40
	v_mov_b32_e32 v6, 0
	s_and_saveexec_b32 s40, s37
.LBB9_93:
	v_lshrrev_b32_e32 v2, 24, v2
	v_and_or_b32 v6, 0x80, v2, v3
.LBB9_94:
	s_or_b32 exec_lo, exec_lo, s40
.LBB9_95:
	s_or_b32 exec_lo, exec_lo, s36
	global_store_byte v[4:5], v6, off
.LBB9_96:
	s_mov_b32 s36, -1
.LBB9_97:
	s_mov_b32 s37, 0
.LBB9_98:
	s_and_b32 vcc_lo, exec_lo, s37
	s_cbranch_vccz .LBB9_139
; %bb.99:
	s_cmp_gt_i32 s23, 22
	s_mov_b32 s37, -1
	s_cbranch_scc0 .LBB9_131
; %bb.100:
	s_cmp_lt_i32 s23, 24
	s_mov_b32 s36, -1
	s_cbranch_scc1 .LBB9_120
; %bb.101:
	s_cmp_gt_i32 s23, 24
	s_cbranch_scc0 .LBB9_109
; %bb.102:
	v_cvt_f32_f64_e32 v2, v[0:1]
	v_mov_b32_e32 v6, 0x80
	s_mov_b32 s36, exec_lo
	v_and_b32_e32 v3, 0x7fffffff, v2
	v_cmpx_gt_u32_e32 0x47800000, v3
	s_cbranch_execz .LBB9_108
; %bb.103:
	v_cmp_lt_u32_e32 vcc_lo, 0x37ffffff, v3
	s_mov_b32 s37, 0
                                        ; implicit-def: $vgpr3
	s_and_saveexec_b32 s40, vcc_lo
	s_xor_b32 s40, exec_lo, s40
	s_cbranch_execz .LBB9_359
; %bb.104:
	v_bfe_u32 v3, v2, 21, 1
	s_mov_b32 s37, exec_lo
	v_add3_u32 v3, v2, v3, 0x88fffff
	v_lshrrev_b32_e32 v3, 21, v3
	s_andn2_saveexec_b32 s40, s40
	s_cbranch_execnz .LBB9_360
.LBB9_105:
	s_or_b32 exec_lo, exec_lo, s40
	v_mov_b32_e32 v6, 0
	s_and_saveexec_b32 s40, s37
.LBB9_106:
	v_lshrrev_b32_e32 v2, 24, v2
	v_and_or_b32 v6, 0x80, v2, v3
.LBB9_107:
	s_or_b32 exec_lo, exec_lo, s40
.LBB9_108:
	s_or_b32 exec_lo, exec_lo, s36
	s_mov_b32 s36, 0
	global_store_byte v[4:5], v6, off
.LBB9_109:
	s_and_b32 vcc_lo, exec_lo, s36
	s_cbranch_vccz .LBB9_119
; %bb.110:
	v_cvt_f32_f64_e32 v2, v[0:1]
	s_mov_b32 s36, exec_lo
                                        ; implicit-def: $vgpr3
	v_and_b32_e32 v6, 0x7fffffff, v2
	v_cmpx_gt_u32_e32 0x43f00000, v6
	s_xor_b32 s36, exec_lo, s36
	s_cbranch_execz .LBB9_116
; %bb.111:
	s_mov_b32 s37, exec_lo
                                        ; implicit-def: $vgpr3
	v_cmpx_lt_u32_e32 0x3c7fffff, v6
	s_xor_b32 s37, exec_lo, s37
; %bb.112:
	v_bfe_u32 v3, v2, 20, 1
	v_add3_u32 v3, v2, v3, 0x407ffff
	v_and_b32_e32 v6, 0xff00000, v3
	v_lshrrev_b32_e32 v3, 20, v3
	v_cmp_ne_u32_e32 vcc_lo, 0x7f00000, v6
	v_cndmask_b32_e32 v3, 0x7e, v3, vcc_lo
; %bb.113:
	s_andn2_saveexec_b32 s37, s37
; %bb.114:
	v_add_f32_e64 v3, 0x46800000, |v2|
; %bb.115:
	s_or_b32 exec_lo, exec_lo, s37
                                        ; implicit-def: $vgpr6
.LBB9_116:
	s_andn2_saveexec_b32 s36, s36
; %bb.117:
	v_mov_b32_e32 v3, 0x7f
	v_cmp_lt_u32_e32 vcc_lo, 0x7f800000, v6
	v_cndmask_b32_e32 v3, 0x7e, v3, vcc_lo
; %bb.118:
	s_or_b32 exec_lo, exec_lo, s36
	v_lshrrev_b32_e32 v2, 24, v2
	v_and_or_b32 v2, 0x80, v2, v3
	global_store_byte v[4:5], v2, off
.LBB9_119:
	s_mov_b32 s36, 0
.LBB9_120:
	s_andn2_b32 vcc_lo, exec_lo, s36
	s_cbranch_vccnz .LBB9_130
; %bb.121:
	v_cvt_f32_f64_e32 v2, v[0:1]
	s_mov_b32 s36, exec_lo
                                        ; implicit-def: $vgpr3
	v_and_b32_e32 v6, 0x7fffffff, v2
	v_cmpx_gt_u32_e32 0x47800000, v6
	s_xor_b32 s36, exec_lo, s36
	s_cbranch_execz .LBB9_127
; %bb.122:
	s_mov_b32 s37, exec_lo
                                        ; implicit-def: $vgpr3
	v_cmpx_lt_u32_e32 0x387fffff, v6
	s_xor_b32 s37, exec_lo, s37
; %bb.123:
	v_bfe_u32 v3, v2, 21, 1
	v_add3_u32 v3, v2, v3, 0x80fffff
	v_lshrrev_b32_e32 v3, 21, v3
; %bb.124:
	s_andn2_saveexec_b32 s37, s37
; %bb.125:
	v_add_f32_e64 v3, 0x43000000, |v2|
; %bb.126:
	s_or_b32 exec_lo, exec_lo, s37
                                        ; implicit-def: $vgpr6
.LBB9_127:
	s_andn2_saveexec_b32 s36, s36
; %bb.128:
	v_mov_b32_e32 v3, 0x7f
	v_cmp_lt_u32_e32 vcc_lo, 0x7f800000, v6
	v_cndmask_b32_e32 v3, 0x7c, v3, vcc_lo
; %bb.129:
	s_or_b32 exec_lo, exec_lo, s36
	v_lshrrev_b32_e32 v2, 24, v2
	v_and_or_b32 v2, 0x80, v2, v3
	global_store_byte v[4:5], v2, off
.LBB9_130:
	s_mov_b32 s37, 0
	s_mov_b32 s36, -1
.LBB9_131:
	s_andn2_b32 vcc_lo, exec_lo, s37
	s_cbranch_vccnz .LBB9_139
; %bb.132:
	s_cmp_gt_i32 s23, 14
	s_mov_b32 s37, -1
	s_cbranch_scc0 .LBB9_136
; %bb.133:
	s_cmp_eq_u32 s23, 15
	s_mov_b32 s0, -1
	s_cbranch_scc0 .LBB9_135
; %bb.134:
	v_cvt_f32_f64_e32 v2, v[0:1]
	s_mov_b32 s36, -1
	s_mov_b32 s0, 0
	v_bfe_u32 v3, v2, 16, 1
	v_cmp_o_f32_e32 vcc_lo, v2, v2
	v_add3_u32 v2, v2, v3, 0x7fff
	v_mov_b32_e32 v3, 0x7fc0
	v_cndmask_b32_sdwa v2, v3, v2, vcc_lo dst_sel:DWORD dst_unused:UNUSED_PAD src0_sel:DWORD src1_sel:WORD_1
	global_store_short v[4:5], v2, off
.LBB9_135:
	s_mov_b32 s37, 0
.LBB9_136:
	s_and_b32 vcc_lo, exec_lo, s37
	s_cbranch_vccz .LBB9_139
; %bb.137:
	s_cmp_eq_u32 s23, 11
	s_mov_b32 s0, -1
	s_cbranch_scc0 .LBB9_139
; %bb.138:
	v_cmp_neq_f64_e32 vcc_lo, 0, v[0:1]
	s_mov_b32 s36, -1
	s_mov_b32 s0, 0
	v_cndmask_b32_e64 v2, 0, 1, vcc_lo
	global_store_byte v[4:5], v2, off
.LBB9_139:
	s_branch .LBB9_58
.LBB9_140:
	s_and_b32 s1, 0xffff, s1
	s_mov_b32 s23, -1
	s_cmp_lt_i32 s1, 5
	s_cbranch_scc1 .LBB9_161
; %bb.141:
	s_cmp_lt_i32 s1, 8
	s_cbranch_scc1 .LBB9_151
; %bb.142:
	;; [unrolled: 3-line block ×3, first 2 shown]
	s_cmp_gt_i32 s1, 9
	s_cbranch_scc0 .LBB9_145
; %bb.144:
	v_mov_b32_e32 v2, 0
	s_mov_b32 s23, 0
	v_mov_b32_e32 v3, v2
	global_store_dwordx4 v[4:5], v[0:3], off
.LBB9_145:
	s_andn2_b32 vcc_lo, exec_lo, s23
	s_cbranch_vccnz .LBB9_147
; %bb.146:
	v_cvt_f32_f64_e32 v2, v[0:1]
	v_mov_b32_e32 v3, 0
	global_store_dwordx2 v[4:5], v[2:3], off
.LBB9_147:
	s_mov_b32 s23, 0
.LBB9_148:
	s_andn2_b32 vcc_lo, exec_lo, s23
	s_cbranch_vccnz .LBB9_150
; %bb.149:
	v_and_or_b32 v2, 0x1ff, v1, v0
	v_lshrrev_b32_e32 v3, 8, v1
	v_bfe_u32 v6, v1, 20, 11
	v_cmp_ne_u32_e32 vcc_lo, 0, v2
	v_sub_nc_u32_e32 v7, 0x3f1, v6
	v_add_nc_u32_e32 v6, 0xfffffc10, v6
	v_cndmask_b32_e64 v2, 0, 1, vcc_lo
	v_and_or_b32 v2, 0xffe, v3, v2
	v_med3_i32 v3, v7, 0, 13
	v_or_b32_e32 v7, 0x1000, v2
	v_lshrrev_b32_e32 v8, v3, v7
	v_lshlrev_b32_e32 v3, v3, v8
	v_cmp_ne_u32_e32 vcc_lo, v3, v7
	v_lshl_or_b32 v7, v6, 12, v2
	v_cndmask_b32_e64 v3, 0, 1, vcc_lo
	v_cmp_gt_i32_e32 vcc_lo, 1, v6
	v_or_b32_e32 v3, v8, v3
	v_cndmask_b32_e32 v3, v7, v3, vcc_lo
	v_and_b32_e32 v7, 7, v3
	v_lshrrev_b32_e32 v3, 2, v3
	v_cmp_lt_i32_e32 vcc_lo, 5, v7
	v_cndmask_b32_e64 v8, 0, 1, vcc_lo
	v_cmp_eq_u32_e32 vcc_lo, 3, v7
	v_cndmask_b32_e64 v7, 0, 1, vcc_lo
	v_cmp_ne_u32_e32 vcc_lo, 0, v2
	v_or_b32_e32 v7, v7, v8
	v_mov_b32_e32 v8, 0x7e00
	v_add_nc_u32_e32 v3, v3, v7
	v_cndmask_b32_e32 v2, 0x7c00, v8, vcc_lo
	v_cmp_gt_i32_e32 vcc_lo, 31, v6
	v_cndmask_b32_e32 v3, 0x7c00, v3, vcc_lo
	v_cmp_eq_u32_e32 vcc_lo, 0x40f, v6
	v_cndmask_b32_e32 v2, v3, v2, vcc_lo
	v_lshrrev_b32_e32 v3, 16, v1
	v_and_or_b32 v2, 0x8000, v3, v2
	v_and_b32_e32 v2, 0xffff, v2
	global_store_dword v[4:5], v2, off
.LBB9_150:
	s_mov_b32 s23, 0
.LBB9_151:
	s_andn2_b32 vcc_lo, exec_lo, s23
	s_cbranch_vccnz .LBB9_160
; %bb.152:
	s_cmp_lt_i32 s1, 6
	s_mov_b32 s23, -1
	s_cbranch_scc1 .LBB9_158
; %bb.153:
	s_cmp_gt_i32 s1, 6
	s_cbranch_scc0 .LBB9_155
; %bb.154:
	s_mov_b32 s23, 0
	global_store_dwordx2 v[4:5], v[0:1], off
.LBB9_155:
	s_andn2_b32 vcc_lo, exec_lo, s23
	s_cbranch_vccnz .LBB9_157
; %bb.156:
	v_cvt_f32_f64_e32 v2, v[0:1]
	global_store_dword v[4:5], v2, off
.LBB9_157:
	s_mov_b32 s23, 0
.LBB9_158:
	s_andn2_b32 vcc_lo, exec_lo, s23
	s_cbranch_vccnz .LBB9_160
; %bb.159:
	v_and_or_b32 v2, 0x1ff, v1, v0
	v_lshrrev_b32_e32 v3, 8, v1
	v_bfe_u32 v6, v1, 20, 11
	v_cmp_ne_u32_e32 vcc_lo, 0, v2
	v_sub_nc_u32_e32 v7, 0x3f1, v6
	v_add_nc_u32_e32 v6, 0xfffffc10, v6
	v_cndmask_b32_e64 v2, 0, 1, vcc_lo
	v_and_or_b32 v2, 0xffe, v3, v2
	v_med3_i32 v3, v7, 0, 13
	v_or_b32_e32 v7, 0x1000, v2
	v_lshrrev_b32_e32 v8, v3, v7
	v_lshlrev_b32_e32 v3, v3, v8
	v_cmp_ne_u32_e32 vcc_lo, v3, v7
	v_lshl_or_b32 v7, v6, 12, v2
	v_cndmask_b32_e64 v3, 0, 1, vcc_lo
	v_cmp_gt_i32_e32 vcc_lo, 1, v6
	v_or_b32_e32 v3, v8, v3
	v_cndmask_b32_e32 v3, v7, v3, vcc_lo
	v_and_b32_e32 v7, 7, v3
	v_lshrrev_b32_e32 v3, 2, v3
	v_cmp_lt_i32_e32 vcc_lo, 5, v7
	v_cndmask_b32_e64 v8, 0, 1, vcc_lo
	v_cmp_eq_u32_e32 vcc_lo, 3, v7
	v_cndmask_b32_e64 v7, 0, 1, vcc_lo
	v_cmp_ne_u32_e32 vcc_lo, 0, v2
	v_or_b32_e32 v7, v7, v8
	v_mov_b32_e32 v8, 0x7e00
	v_add_nc_u32_e32 v3, v3, v7
	v_cndmask_b32_e32 v2, 0x7c00, v8, vcc_lo
	v_cmp_gt_i32_e32 vcc_lo, 31, v6
	v_cndmask_b32_e32 v3, 0x7c00, v3, vcc_lo
	v_cmp_eq_u32_e32 vcc_lo, 0x40f, v6
	v_cndmask_b32_e32 v2, v3, v2, vcc_lo
	v_lshrrev_b32_e32 v3, 16, v1
	v_and_or_b32 v2, 0x8000, v3, v2
	global_store_short v[4:5], v2, off
.LBB9_160:
	s_mov_b32 s23, 0
.LBB9_161:
	s_andn2_b32 vcc_lo, exec_lo, s23
	s_cbranch_vccnz .LBB9_177
; %bb.162:
	s_cmp_lt_i32 s1, 2
	s_mov_b32 s23, -1
	s_cbranch_scc1 .LBB9_172
; %bb.163:
	s_cmp_lt_i32 s1, 3
	s_cbranch_scc1 .LBB9_169
; %bb.164:
	s_cmp_gt_i32 s1, 3
	s_cbranch_scc0 .LBB9_166
; %bb.165:
	v_trunc_f64_e32 v[2:3], v[0:1]
	s_mov_b32 s23, 0
	v_ldexp_f64 v[6:7], v[2:3], 0xffffffe0
	v_floor_f64_e32 v[6:7], v[6:7]
	v_fma_f64 v[2:3], 0xc1f00000, v[6:7], v[2:3]
	v_cvt_i32_f64_e32 v7, v[6:7]
	v_cvt_u32_f64_e32 v6, v[2:3]
	global_store_dwordx2 v[4:5], v[6:7], off
.LBB9_166:
	s_andn2_b32 vcc_lo, exec_lo, s23
	s_cbranch_vccnz .LBB9_168
; %bb.167:
	v_cvt_i32_f64_e32 v2, v[0:1]
	global_store_dword v[4:5], v2, off
.LBB9_168:
	s_mov_b32 s23, 0
.LBB9_169:
	s_andn2_b32 vcc_lo, exec_lo, s23
	s_cbranch_vccnz .LBB9_171
; %bb.170:
	v_cvt_i32_f64_e32 v2, v[0:1]
	global_store_short v[4:5], v2, off
.LBB9_171:
	s_mov_b32 s23, 0
.LBB9_172:
	s_andn2_b32 vcc_lo, exec_lo, s23
	s_cbranch_vccnz .LBB9_177
; %bb.173:
	s_cmp_gt_i32 s1, 0
	s_mov_b32 s1, -1
	s_cbranch_scc0 .LBB9_175
; %bb.174:
	v_cvt_i32_f64_e32 v2, v[0:1]
	s_mov_b32 s1, 0
	global_store_byte v[4:5], v2, off
.LBB9_175:
	s_andn2_b32 vcc_lo, exec_lo, s1
	s_cbranch_vccnz .LBB9_177
; %bb.176:
	v_trunc_f64_e32 v[0:1], v[0:1]
	v_ldexp_f64 v[2:3], v[0:1], 0xffffffe0
	v_floor_f64_e32 v[2:3], v[2:3]
	v_fma_f64 v[0:1], 0xc1f00000, v[2:3], v[0:1]
	v_cvt_u32_f64_e32 v0, v[0:1]
	global_store_byte v[4:5], v0, off
.LBB9_177:
.LBB9_178:
	v_add_nc_u32_e32 v11, 0x80, v11
	s_mov_b32 s1, -1
	s_branch .LBB9_289
.LBB9_179:
	s_mov_b32 s22, -1
                                        ; implicit-def: $vgpr3_vgpr4
.LBB9_180:
	s_mov_b32 s23, 0
.LBB9_181:
	s_and_b32 vcc_lo, exec_lo, s23
	s_cbranch_vccz .LBB9_185
; %bb.182:
	s_cmp_eq_u32 s0, 29
	s_cbranch_scc0 .LBB9_184
; %bb.183:
	global_load_dwordx2 v[3:4], v[0:1], off
	s_mov_b32 s1, -1
	s_mov_b32 s22, 0
	s_mov_b32 s23, 0
	s_waitcnt vmcnt(0)
	v_cvt_f64_u32_e32 v[4:5], v4
	v_cvt_f64_u32_e32 v[6:7], v3
	v_ldexp_f64 v[4:5], v[4:5], 32
	v_add_f64 v[3:4], v[4:5], v[6:7]
	s_branch .LBB9_186
.LBB9_184:
	s_mov_b32 s22, -1
                                        ; implicit-def: $vgpr3_vgpr4
.LBB9_185:
	s_mov_b32 s23, 0
.LBB9_186:
	s_and_b32 vcc_lo, exec_lo, s23
	s_cbranch_vccz .LBB9_206
; %bb.187:
	s_cmp_lt_i32 s0, 27
	s_cbranch_scc1 .LBB9_190
; %bb.188:
	s_cmp_gt_i32 s0, 27
	s_cbranch_scc0 .LBB9_191
; %bb.189:
	global_load_dword v3, v[0:1], off
	s_mov_b32 s1, 0
	s_waitcnt vmcnt(0)
	v_cvt_f64_u32_e32 v[3:4], v3
	s_branch .LBB9_192
.LBB9_190:
	s_mov_b32 s1, -1
                                        ; implicit-def: $vgpr3_vgpr4
	s_branch .LBB9_195
.LBB9_191:
	s_mov_b32 s1, -1
                                        ; implicit-def: $vgpr3_vgpr4
.LBB9_192:
	s_andn2_b32 vcc_lo, exec_lo, s1
	s_cbranch_vccnz .LBB9_194
; %bb.193:
	global_load_ushort v3, v[0:1], off
	s_waitcnt vmcnt(0)
	v_cvt_f64_u32_e32 v[3:4], v3
.LBB9_194:
	s_mov_b32 s1, 0
.LBB9_195:
	s_andn2_b32 vcc_lo, exec_lo, s1
	s_cbranch_vccnz .LBB9_205
; %bb.196:
	global_load_ubyte v5, v[0:1], off
	s_mov_b32 s1, 0
	s_mov_b32 s23, exec_lo
	s_waitcnt vmcnt(0)
	v_cmpx_lt_i16_e32 0x7f, v5
	s_xor_b32 s23, exec_lo, s23
	s_cbranch_execz .LBB9_200
; %bb.197:
	s_mov_b32 s1, -1
	s_mov_b32 s36, exec_lo
	v_cmpx_eq_u16_e32 0x80, v5
; %bb.198:
	s_xor_b32 s1, exec_lo, -1
; %bb.199:
	s_or_b32 exec_lo, exec_lo, s36
	s_and_b32 s1, s1, exec_lo
.LBB9_200:
	s_or_saveexec_b32 s23, s23
	v_bfrev_b32_e32 v3, 4
	v_mov_b32_e32 v4, 0x7ff80000
	s_xor_b32 exec_lo, exec_lo, s23
; %bb.201:
	v_cmp_ne_u16_e32 vcc_lo, 0, v5
	v_mov_b32_e32 v3, 0
	v_mov_b32_e32 v4, 0
	s_andn2_b32 s1, s1, exec_lo
	s_and_b32 s36, vcc_lo, exec_lo
	s_or_b32 s1, s1, s36
; %bb.202:
	s_or_b32 exec_lo, exec_lo, s23
	s_and_saveexec_b32 s23, s1
	s_cbranch_execz .LBB9_204
; %bb.203:
	v_and_b32_e32 v3, 0xffff, v5
	v_lshlrev_b32_e32 v5, 24, v5
	v_and_b32_e32 v4, 7, v3
	v_bfe_u32 v8, v3, 3, 4
	v_ffbh_u32_e32 v6, v4
	v_cmp_eq_u32_e32 vcc_lo, 0, v8
	v_min_u32_e32 v6, 32, v6
	v_subrev_nc_u32_e32 v7, 28, v6
	v_sub_nc_u32_e32 v6, 29, v6
	v_lshlrev_b32_e32 v3, v7, v3
	v_cndmask_b32_e32 v6, v8, v6, vcc_lo
	v_and_b32_e32 v3, 7, v3
	v_cndmask_b32_e32 v3, v4, v3, vcc_lo
	v_and_b32_e32 v4, 0x80000000, v5
	v_lshl_add_u32 v5, v6, 23, 0x3b800000
	v_lshlrev_b32_e32 v3, 20, v3
	v_or3_b32 v3, v4, v5, v3
	v_cvt_f64_f32_e32 v[3:4], v3
.LBB9_204:
	s_or_b32 exec_lo, exec_lo, s23
.LBB9_205:
	s_mov_b32 s1, -1
.LBB9_206:
	s_branch .LBB9_239
.LBB9_207:
	s_cmp_gt_i32 s0, 22
	s_cbranch_scc0 .LBB9_219
; %bb.208:
	s_cmp_lt_i32 s0, 24
	s_cbranch_scc1 .LBB9_220
; %bb.209:
	s_cmp_gt_i32 s0, 24
	s_cbranch_scc0 .LBB9_221
; %bb.210:
	global_load_ubyte v5, v[0:1], off
	s_mov_b32 s1, 0
	s_mov_b32 s23, exec_lo
	s_waitcnt vmcnt(0)
	v_cmpx_lt_i16_e32 0x7f, v5
	s_xor_b32 s23, exec_lo, s23
	s_cbranch_execz .LBB9_214
; %bb.211:
	s_mov_b32 s1, -1
	s_mov_b32 s36, exec_lo
	v_cmpx_eq_u16_e32 0x80, v5
; %bb.212:
	s_xor_b32 s1, exec_lo, -1
; %bb.213:
	s_or_b32 exec_lo, exec_lo, s36
	s_and_b32 s1, s1, exec_lo
.LBB9_214:
	s_or_saveexec_b32 s23, s23
	v_bfrev_b32_e32 v3, 4
	v_mov_b32_e32 v4, 0x7ff80000
	s_xor_b32 exec_lo, exec_lo, s23
; %bb.215:
	v_cmp_ne_u16_e32 vcc_lo, 0, v5
	v_mov_b32_e32 v3, 0
	v_mov_b32_e32 v4, 0
	s_andn2_b32 s1, s1, exec_lo
	s_and_b32 s36, vcc_lo, exec_lo
	s_or_b32 s1, s1, s36
; %bb.216:
	s_or_b32 exec_lo, exec_lo, s23
	s_and_saveexec_b32 s23, s1
	s_cbranch_execz .LBB9_218
; %bb.217:
	v_and_b32_e32 v3, 0xffff, v5
	v_lshlrev_b32_e32 v5, 24, v5
	v_and_b32_e32 v4, 3, v3
	v_bfe_u32 v8, v3, 2, 5
	v_ffbh_u32_e32 v6, v4
	v_cmp_eq_u32_e32 vcc_lo, 0, v8
	v_min_u32_e32 v6, 32, v6
	v_subrev_nc_u32_e32 v7, 29, v6
	v_sub_nc_u32_e32 v6, 30, v6
	v_lshlrev_b32_e32 v3, v7, v3
	v_cndmask_b32_e32 v6, v8, v6, vcc_lo
	v_and_b32_e32 v3, 3, v3
	v_cndmask_b32_e32 v3, v4, v3, vcc_lo
	v_and_b32_e32 v4, 0x80000000, v5
	v_lshl_add_u32 v5, v6, 23, 0x37800000
	v_lshlrev_b32_e32 v3, 21, v3
	v_or3_b32 v3, v4, v5, v3
	v_cvt_f64_f32_e32 v[3:4], v3
.LBB9_218:
	s_or_b32 exec_lo, exec_lo, s23
	s_mov_b32 s1, 0
	s_branch .LBB9_222
.LBB9_219:
	s_mov_b32 s23, -1
                                        ; implicit-def: $vgpr3_vgpr4
	s_branch .LBB9_228
.LBB9_220:
	s_mov_b32 s1, -1
                                        ; implicit-def: $vgpr3_vgpr4
	s_branch .LBB9_225
.LBB9_221:
	s_mov_b32 s1, -1
                                        ; implicit-def: $vgpr3_vgpr4
.LBB9_222:
	s_and_b32 vcc_lo, exec_lo, s1
	s_cbranch_vccz .LBB9_224
; %bb.223:
	global_load_ubyte v3, v[0:1], off
	s_waitcnt vmcnt(0)
	v_lshlrev_b32_e32 v3, 24, v3
	v_and_b32_e32 v4, 0x7f000000, v3
	v_ffbh_u32_e32 v5, v4
	v_add_nc_u32_e32 v7, 0x1000000, v4
	v_cmp_ne_u32_e32 vcc_lo, 0, v4
	v_min_u32_e32 v5, 32, v5
	v_sub_nc_u32_e64 v5, v5, 4 clamp
	v_lshlrev_b32_e32 v6, v5, v4
	v_lshlrev_b32_e32 v5, 23, v5
	v_lshrrev_b32_e32 v6, 4, v6
	v_sub_nc_u32_e32 v5, v6, v5
	v_ashrrev_i32_e32 v6, 8, v7
	v_add_nc_u32_e32 v5, 0x3c000000, v5
	v_and_or_b32 v5, 0x7f800000, v6, v5
	v_cndmask_b32_e32 v4, 0, v5, vcc_lo
	v_and_or_b32 v3, 0x80000000, v3, v4
	v_cvt_f64_f32_e32 v[3:4], v3
.LBB9_224:
	s_mov_b32 s1, 0
.LBB9_225:
	s_andn2_b32 vcc_lo, exec_lo, s1
	s_cbranch_vccnz .LBB9_227
; %bb.226:
	global_load_ubyte v3, v[0:1], off
	s_waitcnt vmcnt(0)
	v_lshlrev_b32_e32 v4, 25, v3
	v_lshlrev_b16 v3, 8, v3
	v_lshrrev_b32_e32 v5, 4, v4
	v_and_or_b32 v6, 0x7f00, v3, 0.5
	v_cmp_gt_u32_e32 vcc_lo, 0x8000000, v4
	v_bfe_i32 v3, v3, 0, 16
	v_or_b32_e32 v5, 0x70000000, v5
	v_add_f32_e32 v6, -0.5, v6
	v_mul_f32_e32 v5, 0x7800000, v5
	v_cndmask_b32_e32 v4, v5, v6, vcc_lo
	v_and_or_b32 v3, 0x80000000, v3, v4
	v_cvt_f64_f32_e32 v[3:4], v3
.LBB9_227:
	s_mov_b32 s23, 0
	s_mov_b32 s1, -1
.LBB9_228:
	s_andn2_b32 vcc_lo, exec_lo, s23
	s_cbranch_vccnz .LBB9_239
; %bb.229:
	s_cmp_gt_i32 s0, 14
	s_cbranch_scc0 .LBB9_232
; %bb.230:
	s_cmp_eq_u32 s0, 15
	s_cbranch_scc0 .LBB9_233
; %bb.231:
	global_load_ushort v3, v[0:1], off
	s_mov_b32 s1, -1
	s_mov_b32 s22, 0
	s_waitcnt vmcnt(0)
	v_lshlrev_b32_e32 v3, 16, v3
	v_cvt_f64_f32_e32 v[3:4], v3
	s_branch .LBB9_234
.LBB9_232:
	s_mov_b32 s23, -1
                                        ; implicit-def: $vgpr3_vgpr4
	s_branch .LBB9_235
.LBB9_233:
	s_mov_b32 s22, -1
                                        ; implicit-def: $vgpr3_vgpr4
.LBB9_234:
	s_mov_b32 s23, 0
.LBB9_235:
	s_and_b32 vcc_lo, exec_lo, s23
	s_cbranch_vccz .LBB9_239
; %bb.236:
	s_cmp_eq_u32 s0, 11
	s_cbranch_scc0 .LBB9_238
; %bb.237:
	global_load_ubyte v3, v[0:1], off
	s_mov_b32 s22, 0
	s_mov_b32 s1, -1
	s_waitcnt vmcnt(0)
	v_cmp_ne_u16_e32 vcc_lo, 0, v3
	v_mov_b32_e32 v3, 0
	v_cndmask_b32_e64 v4, 0, 0x3ff00000, vcc_lo
	s_branch .LBB9_239
.LBB9_238:
	s_mov_b32 s22, -1
                                        ; implicit-def: $vgpr3_vgpr4
.LBB9_239:
	s_branch .LBB9_24
.LBB9_240:
	s_cmp_lt_i32 s0, 5
	s_cbranch_scc1 .LBB9_245
; %bb.241:
	s_cmp_lt_i32 s0, 8
	s_cbranch_scc1 .LBB9_246
; %bb.242:
	;; [unrolled: 3-line block ×3, first 2 shown]
	s_cmp_gt_i32 s0, 9
	s_cbranch_scc0 .LBB9_248
; %bb.244:
	global_load_dwordx2 v[3:4], v[0:1], off
	s_mov_b32 s1, 0
	s_branch .LBB9_249
.LBB9_245:
                                        ; implicit-def: $vgpr3_vgpr4
	s_branch .LBB9_267
.LBB9_246:
	s_mov_b32 s1, -1
                                        ; implicit-def: $vgpr3_vgpr4
	s_branch .LBB9_255
.LBB9_247:
	s_mov_b32 s1, -1
                                        ; implicit-def: $vgpr3_vgpr4
	s_branch .LBB9_252
.LBB9_248:
	s_mov_b32 s1, -1
                                        ; implicit-def: $vgpr3_vgpr4
.LBB9_249:
	s_andn2_b32 vcc_lo, exec_lo, s1
	s_cbranch_vccnz .LBB9_251
; %bb.250:
	global_load_dword v3, v[0:1], off
	s_waitcnt vmcnt(0)
	v_cvt_f64_f32_e32 v[3:4], v3
.LBB9_251:
	s_mov_b32 s1, 0
.LBB9_252:
	s_andn2_b32 vcc_lo, exec_lo, s1
	s_cbranch_vccnz .LBB9_254
; %bb.253:
	global_load_dword v3, v[0:1], off
	s_waitcnt vmcnt(0)
	v_cvt_f32_f16_e32 v3, v3
	v_cvt_f64_f32_e32 v[3:4], v3
.LBB9_254:
	s_mov_b32 s1, 0
.LBB9_255:
	s_andn2_b32 vcc_lo, exec_lo, s1
	s_cbranch_vccnz .LBB9_266
; %bb.256:
	s_cmp_lt_i32 s0, 6
	s_cbranch_scc1 .LBB9_259
; %bb.257:
	s_cmp_gt_i32 s0, 6
	s_cbranch_scc0 .LBB9_260
; %bb.258:
	global_load_dwordx2 v[3:4], v[0:1], off
	s_mov_b32 s1, 0
	s_branch .LBB9_261
.LBB9_259:
	s_mov_b32 s1, -1
                                        ; implicit-def: $vgpr3_vgpr4
	s_branch .LBB9_264
.LBB9_260:
	s_mov_b32 s1, -1
                                        ; implicit-def: $vgpr3_vgpr4
.LBB9_261:
	s_andn2_b32 vcc_lo, exec_lo, s1
	s_cbranch_vccnz .LBB9_263
; %bb.262:
	global_load_dword v3, v[0:1], off
	s_waitcnt vmcnt(0)
	v_cvt_f64_f32_e32 v[3:4], v3
.LBB9_263:
	s_mov_b32 s1, 0
.LBB9_264:
	s_andn2_b32 vcc_lo, exec_lo, s1
	s_cbranch_vccnz .LBB9_266
; %bb.265:
	global_load_ushort v3, v[0:1], off
	s_waitcnt vmcnt(0)
	v_cvt_f32_f16_e32 v3, v3
	v_cvt_f64_f32_e32 v[3:4], v3
.LBB9_266:
	s_cbranch_execnz .LBB9_286
.LBB9_267:
	s_cmp_lt_i32 s0, 2
	s_cbranch_scc1 .LBB9_271
; %bb.268:
	s_cmp_lt_i32 s0, 3
	s_cbranch_scc1 .LBB9_272
; %bb.269:
	s_cmp_gt_i32 s0, 3
	s_cbranch_scc0 .LBB9_273
; %bb.270:
	global_load_dwordx2 v[3:4], v[0:1], off
	s_mov_b32 s1, 0
	s_waitcnt vmcnt(0)
	v_cvt_f64_i32_e32 v[4:5], v4
	v_cvt_f64_u32_e32 v[6:7], v3
	v_ldexp_f64 v[4:5], v[4:5], 32
	v_add_f64 v[3:4], v[4:5], v[6:7]
	s_branch .LBB9_274
.LBB9_271:
	s_mov_b32 s1, -1
                                        ; implicit-def: $vgpr3_vgpr4
	s_branch .LBB9_280
.LBB9_272:
	s_mov_b32 s1, -1
                                        ; implicit-def: $vgpr3_vgpr4
	s_branch .LBB9_277
.LBB9_273:
	s_mov_b32 s1, -1
                                        ; implicit-def: $vgpr3_vgpr4
.LBB9_274:
	s_andn2_b32 vcc_lo, exec_lo, s1
	s_cbranch_vccnz .LBB9_276
; %bb.275:
	global_load_dword v3, v[0:1], off
	s_waitcnt vmcnt(0)
	v_cvt_f64_i32_e32 v[3:4], v3
.LBB9_276:
	s_mov_b32 s1, 0
.LBB9_277:
	s_andn2_b32 vcc_lo, exec_lo, s1
	s_cbranch_vccnz .LBB9_279
; %bb.278:
	global_load_sshort v3, v[0:1], off
	s_waitcnt vmcnt(0)
	v_cvt_f64_i32_e32 v[3:4], v3
.LBB9_279:
	s_mov_b32 s1, 0
.LBB9_280:
	s_andn2_b32 vcc_lo, exec_lo, s1
	s_cbranch_vccnz .LBB9_286
; %bb.281:
	s_cmp_gt_i32 s0, 0
	s_mov_b32 s0, 0
	s_cbranch_scc0 .LBB9_283
; %bb.282:
	global_load_sbyte v3, v[0:1], off
	s_waitcnt vmcnt(0)
	v_cvt_f64_i32_e32 v[3:4], v3
	s_branch .LBB9_284
.LBB9_283:
	s_mov_b32 s0, -1
                                        ; implicit-def: $vgpr3_vgpr4
.LBB9_284:
	s_andn2_b32 vcc_lo, exec_lo, s0
	s_cbranch_vccnz .LBB9_286
; %bb.285:
	global_load_ubyte v0, v[0:1], off
	s_waitcnt vmcnt(0)
	v_cvt_f64_u32_e32 v[3:4], v0
.LBB9_286:
	s_branch .LBB9_25
.LBB9_287:
	s_mov_b32 s0, 0
.LBB9_288:
	s_mov_b32 s1, 0
                                        ; implicit-def: $vgpr11
.LBB9_289:
	s_and_b32 s36, s0, exec_lo
	s_and_b32 s37, s22, exec_lo
	s_orn2_b32 s1, s1, exec_lo
.LBB9_290:
	s_or_b32 exec_lo, exec_lo, s38
	s_mov_b32 s22, 0
	s_mov_b32 s0, 0
                                        ; implicit-def: $vgpr0_vgpr1
                                        ; implicit-def: $vgpr2
                                        ; implicit-def: $vgpr3_vgpr4
	s_and_saveexec_b32 s38, s1
	s_cbranch_execz .LBB9_297
; %bb.291:
	s_mov_b32 s0, -1
	s_mov_b32 s39, s37
	s_mov_b32 s40, s36
	s_mov_b32 s41, exec_lo
	v_cmpx_gt_i32_e64 s33, v11
	s_cbranch_execz .LBB9_591
; %bb.292:
	s_andn2_b32 vcc_lo, exec_lo, s27
	s_cbranch_vccnz .LBB9_300
; %bb.293:
	s_andn2_b32 vcc_lo, exec_lo, s34
	s_cbranch_vccnz .LBB9_301
; %bb.294:
	s_add_i32 s40, s35, 1
	s_cmp_eq_u32 s25, 2
	s_cbranch_scc1 .LBB9_302
; %bb.295:
	v_mov_b32_e32 v0, 0
	v_mov_b32_e32 v2, 0
	;; [unrolled: 1-line block ×3, first 2 shown]
	s_and_b32 s39, s40, 28
	s_mov_b32 s42, 0
	s_mov_b64 s[0:1], s[2:3]
	s_mov_b64 s[22:23], s[20:21]
.LBB9_296:                              ; =>This Inner Loop Header: Depth=1
	s_clause 0x1
	s_load_dwordx8 s[44:51], s[0:1], 0x4
	s_load_dwordx4 s[60:63], s[0:1], 0x24
	s_load_dwordx8 s[52:59], s[22:23], 0x0
	s_add_u32 s0, s0, 48
	s_addc_u32 s1, s1, 0
	s_add_i32 s42, s42, 4
	s_add_u32 s22, s22, 32
	s_addc_u32 s23, s23, 0
	s_cmp_eq_u32 s39, s42
	s_waitcnt vmcnt(0) lgkmcnt(0)
	v_mul_hi_u32 v3, s45, v1
	v_add_nc_u32_e32 v3, v1, v3
	v_lshrrev_b32_e32 v3, s46, v3
	v_mul_hi_u32 v4, s48, v3
	v_mul_lo_u32 v6, v3, s44
	v_add_nc_u32_e32 v4, v3, v4
	v_sub_nc_u32_e32 v1, v1, v6
	v_lshrrev_b32_e32 v4, s49, v4
	v_mul_lo_u32 v6, v1, s52
	v_mul_lo_u32 v8, v1, s53
	v_mul_hi_u32 v5, s51, v4
	v_add_nc_u32_e32 v5, v4, v5
	v_lshrrev_b32_e32 v5, s60, v5
	v_mul_hi_u32 v7, s62, v5
	v_mul_lo_u32 v9, v5, s50
	v_add_nc_u32_e32 v1, v5, v7
	v_mul_lo_u32 v7, v4, s47
	v_sub_nc_u32_e32 v4, v4, v9
	v_lshrrev_b32_e32 v1, s63, v1
	v_mul_lo_u32 v9, v4, s56
	v_mul_lo_u32 v4, v4, s57
	v_sub_nc_u32_e32 v3, v3, v7
	v_mul_lo_u32 v10, v1, s61
	v_mul_lo_u32 v7, v3, s54
	;; [unrolled: 1-line block ×3, first 2 shown]
	v_sub_nc_u32_e32 v5, v5, v10
	v_add3_u32 v2, v6, v2, v7
	v_mul_lo_u32 v10, v5, s58
	v_mul_lo_u32 v5, v5, s59
	v_add3_u32 v0, v8, v0, v3
	v_add3_u32 v2, v9, v2, v10
	;; [unrolled: 1-line block ×3, first 2 shown]
	s_cbranch_scc0 .LBB9_296
	s_branch .LBB9_303
.LBB9_297:
	s_or_b32 exec_lo, exec_lo, s38
	s_waitcnt lgkmcnt(0)
	s_mov_b32 s6, 0
	s_and_saveexec_b32 s1, s37
	s_cbranch_execnz .LBB9_993
.LBB9_298:
	s_or_b32 exec_lo, exec_lo, s1
	s_and_saveexec_b32 s1, s39
	s_xor_b32 s1, exec_lo, s1
	s_cbranch_execz .LBB9_994
.LBB9_299:
	global_load_ubyte v3, v[0:1], off
	s_or_b32 s0, s0, exec_lo
	s_waitcnt vmcnt(0)
	v_cmp_ne_u16_e32 vcc_lo, 0, v3
	v_mov_b32_e32 v3, 0
	v_cndmask_b32_e64 v4, 0, 0x3ff00000, vcc_lo
	s_or_b32 exec_lo, exec_lo, s1
	s_and_saveexec_b32 s1, s22
	s_cbranch_execz .LBB9_1040
	s_branch .LBB9_995
.LBB9_300:
                                        ; implicit-def: $vgpr2
                                        ; implicit-def: $vgpr0
	s_andn2_b32 vcc_lo, exec_lo, s0
	s_cbranch_vccz .LBB9_307
	s_branch .LBB9_309
.LBB9_301:
	v_mov_b32_e32 v2, 0
	v_mov_b32_e32 v0, 0
	s_branch .LBB9_306
.LBB9_302:
	v_mov_b32_e32 v2, 0
	v_mov_b32_e32 v0, 0
	;; [unrolled: 1-line block ×3, first 2 shown]
	s_mov_b32 s39, 0
.LBB9_303:
	s_and_b32 s40, s40, 3
	s_cmp_eq_u32 s40, 0
	s_cbranch_scc1 .LBB9_306
; %bb.304:
	s_lshl_b32 s0, s39, 3
	s_mul_i32 s22, s39, 12
	s_add_u32 s0, s2, s0
	s_addc_u32 s1, s3, 0
	s_add_u32 s0, s0, 0xc4
	s_addc_u32 s1, s1, 0
	;; [unrolled: 2-line block ×3, first 2 shown]
	.p2align	6
.LBB9_305:                              ; =>This Inner Loop Header: Depth=1
	s_clause 0x1
	s_load_dwordx2 s[42:43], s[22:23], 0x4
	s_load_dword s39, s[22:23], 0xc
	s_load_dwordx2 s[44:45], s[0:1], 0x0
	s_add_u32 s22, s22, 12
	s_addc_u32 s23, s23, 0
	s_add_u32 s0, s0, 8
	s_addc_u32 s1, s1, 0
	s_add_i32 s40, s40, -1
	s_cmp_lg_u32 s40, 0
	s_waitcnt vmcnt(0) lgkmcnt(0)
	v_mul_hi_u32 v3, s43, v1
	v_add_nc_u32_e32 v3, v1, v3
	v_lshrrev_b32_e32 v4, s39, v3
	v_mul_lo_u32 v3, v4, s42
	v_sub_nc_u32_e32 v1, v1, v3
	v_mad_u64_u32 v[2:3], null, v1, s44, v[2:3]
	v_mad_u64_u32 v[0:1], null, v1, s45, v[0:1]
	v_mov_b32_e32 v1, v4
	s_cbranch_scc1 .LBB9_305
.LBB9_306:
	s_cbranch_execnz .LBB9_309
.LBB9_307:
	s_waitcnt lgkmcnt(0)
	v_mul_hi_u32 v0, s17, v11
	s_andn2_b32 vcc_lo, exec_lo, s31
	v_add_nc_u32_e32 v0, v11, v0
	v_lshrrev_b32_e32 v1, s18, v0
	v_mul_lo_u32 v0, v1, s16
	v_sub_nc_u32_e32 v0, v11, v0
	v_mul_lo_u32 v2, v0, s12
	v_mul_lo_u32 v0, v0, s13
	s_cbranch_vccnz .LBB9_309
; %bb.308:
	s_waitcnt vmcnt(0)
	v_mul_hi_u32 v3, s6, v1
	v_add_nc_u32_e32 v3, v1, v3
	v_lshrrev_b32_e32 v3, s7, v3
	v_mul_lo_u32 v3, v3, s19
	v_sub_nc_u32_e32 v1, v1, v3
	v_mad_u64_u32 v[2:3], null, v1, s14, v[2:3]
	v_mad_u64_u32 v[0:1], null, v1, s15, v[0:1]
.LBB9_309:
	s_waitcnt lgkmcnt(0)
	v_add_co_u32 v0, s0, s10, v0
	v_add_co_ci_u32_e64 v1, null, s11, 0, s0
	s_and_b32 s0, 0xffff, s30
	s_cmp_lt_i32 s0, 11
	s_cbranch_scc1 .LBB9_316
; %bb.310:
	s_cmp_gt_i32 s0, 25
	s_cbranch_scc0 .LBB9_349
; %bb.311:
	s_cmp_gt_i32 s0, 28
	s_cbranch_scc0 .LBB9_351
	;; [unrolled: 3-line block ×4, first 2 shown]
; %bb.314:
	s_cmp_eq_u32 s0, 46
	s_mov_b32 s23, 0
	s_cbranch_scc0 .LBB9_361
; %bb.315:
	global_load_dword v3, v[0:1], off
	s_mov_b32 s1, -1
	s_mov_b32 s22, 0
	s_waitcnt vmcnt(0)
	v_lshlrev_b32_e32 v3, 16, v3
	v_cvt_f64_f32_e32 v[3:4], v3
	s_branch .LBB9_363
.LBB9_316:
	s_mov_b32 s1, 0
	s_mov_b32 s22, s37
                                        ; implicit-def: $vgpr3_vgpr4
	s_cbranch_execnz .LBB9_540
.LBB9_317:
	s_andn2_b32 vcc_lo, exec_lo, s1
	s_cbranch_vccnz .LBB9_588
.LBB9_318:
                                        ; implicit-def: $vgpr0_vgpr1
	s_mov_b32 s0, exec_lo
	s_waitcnt vmcnt(0)
	v_cmpx_neq_f64_e32 0, v[3:4]
	s_xor_b32 s23, exec_lo, s0
	s_cbranch_execz .LBB9_340
; %bb.319:
	v_mov_b32_e32 v5, 0
	v_mov_b32_e32 v6, 0
	s_mov_b32 s1, -1
	s_mov_b32 s39, exec_lo
	v_cmpx_gt_f64_e32 0, v[3:4]
	s_cbranch_execz .LBB9_327
; %bb.320:
	v_trunc_f64_e32 v[0:1], v[3:4]
	v_mov_b32_e32 v5, 0
	v_mov_b32_e32 v6, 0
	s_mov_b32 s1, 0
	s_mov_b32 s40, exec_lo
	v_cmpx_neq_f64_e32 v[3:4], v[0:1]
	s_cbranch_execz .LBB9_326
; %bb.321:
	v_add_f64 v[0:1], v[3:4], -v[0:1]
	s_mov_b32 s1, 0xc00921fb
	s_mov_b32 s0, 0x54442d18
	v_cmp_neq_f64_e64 vcc_lo, 0x7ff00000, |v[3:4]|
	s_mov_b32 s42, exec_lo
                                        ; implicit-def: $vgpr9
                                        ; implicit-def: $vgpr5_vgpr6
                                        ; implicit-def: $vgpr7_vgpr8
	v_mul_f64 v[0:1], |v[0:1]|, s[0:1]
	v_cndmask_b32_e32 v1, 0x80000000, v1, vcc_lo
	v_cndmask_b32_e32 v0, 0, v0, vcc_lo
	v_cmpx_ngt_f64_e64 0x41d00000, |v[0:1]|
	s_xor_b32 s42, exec_lo, s42
	s_cbranch_execz .LBB9_323
; %bb.322:
	v_ldexp_f64 v[5:6], |v[0:1]|, 0xffffff80
	v_cmp_le_f64_e64 vcc_lo, 0x7b000000, |v[0:1]|
	v_trig_preop_f64 v[7:8], |v[0:1]|, 0
	v_and_b32_e32 v9, 0x7fffffff, v1
	v_trig_preop_f64 v[20:21], |v[0:1]|, 2
	v_mov_b32_e32 v28, 0
	s_mov_b32 s1, 0x3ff921fb
	s_mov_b32 s44, 0x33145c07
	;; [unrolled: 1-line block ×3, first 2 shown]
	v_cndmask_b32_e32 v6, v9, v6, vcc_lo
	v_cndmask_b32_e32 v5, v0, v5, vcc_lo
	v_trig_preop_f64 v[9:10], |v[0:1]|, 1
	v_mul_f64 v[12:13], v[7:8], v[5:6]
	v_mul_f64 v[26:27], v[20:21], v[5:6]
	v_mul_f64 v[14:15], v[9:10], v[5:6]
	v_fma_f64 v[7:8], v[7:8], v[5:6], -v[12:13]
	v_fma_f64 v[9:10], v[9:10], v[5:6], -v[14:15]
	;; [unrolled: 1-line block ×3, first 2 shown]
	v_add_f64 v[16:17], v[14:15], v[7:8]
	v_add_f64 v[18:19], v[16:17], -v[14:15]
	v_add_f64 v[24:25], v[12:13], v[16:17]
	v_add_f64 v[22:23], v[16:17], -v[18:19]
	v_add_f64 v[7:8], v[7:8], -v[18:19]
	v_ldexp_f64 v[18:19], v[24:25], -2
	v_add_f64 v[12:13], v[24:25], -v[12:13]
	v_add_f64 v[14:15], v[14:15], -v[22:23]
	v_add_f64 v[22:23], v[26:27], v[9:10]
	v_cmp_neq_f64_e64 vcc_lo, 0x7ff00000, |v[18:19]|
	v_add_f64 v[12:13], v[16:17], -v[12:13]
	v_add_f64 v[7:8], v[7:8], v[14:15]
	v_fract_f64_e32 v[14:15], v[18:19]
	v_add_f64 v[16:17], v[22:23], v[7:8]
	v_ldexp_f64 v[14:15], v[14:15], 2
	v_add_f64 v[18:19], v[12:13], v[16:17]
	v_cndmask_b32_e32 v15, 0, v15, vcc_lo
	v_cndmask_b32_e32 v14, 0, v14, vcc_lo
	v_add_f64 v[24:25], v[18:19], v[14:15]
	v_add_f64 v[12:13], v[18:19], -v[12:13]
	v_cmp_gt_f64_e32 vcc_lo, 0, v[24:25]
	v_add_f64 v[24:25], v[22:23], -v[26:27]
	v_cndmask_b32_e64 v29, 0, 0x40100000, vcc_lo
	v_add_f64 v[33:34], v[22:23], -v[24:25]
	v_add_f64 v[9:10], v[9:10], -v[24:25]
	v_add_f64 v[14:15], v[14:15], v[28:29]
	v_add_f64 v[29:30], v[16:17], -v[22:23]
	v_add_f64 v[24:25], v[26:27], -v[33:34]
	v_add_f64 v[31:32], v[18:19], v[14:15]
	;; [unrolled: 3-line block ×3, first 2 shown]
	v_cvt_i32_f64_e32 v31, v[31:32]
	v_add_f64 v[22:23], v[22:23], -v[35:36]
	v_cvt_f64_i32_e32 v[29:30], v31
	v_add_f64 v[7:8], v[7:8], v[22:23]
	v_add_f64 v[14:15], v[14:15], -v[29:30]
	v_add_f64 v[7:8], v[9:10], v[7:8]
	v_add_f64 v[9:10], v[16:17], -v[12:13]
	v_add_f64 v[20:21], v[18:19], v[14:15]
	v_add_f64 v[5:6], v[5:6], v[7:8]
	v_add_f64 v[7:8], v[20:21], -v[14:15]
	v_cmp_le_f64_e32 vcc_lo, 0.5, v[20:21]
	v_add_f64 v[5:6], v[9:10], v[5:6]
	v_add_f64 v[7:8], v[18:19], -v[7:8]
	v_cndmask_b32_e64 v29, 0, 0x3ff00000, vcc_lo
	v_add_co_ci_u32_e64 v9, null, 0, v31, vcc_lo
	v_add_f64 v[5:6], v[5:6], v[7:8]
	v_add_f64 v[7:8], v[20:21], -v[28:29]
	v_add_f64 v[12:13], v[7:8], v[5:6]
	v_mul_f64 v[14:15], v[12:13], s[0:1]
	v_add_f64 v[7:8], v[12:13], -v[7:8]
	v_fma_f64 v[16:17], v[12:13], s[0:1], -v[14:15]
	v_add_f64 v[5:6], v[5:6], -v[7:8]
	v_fma_f64 v[7:8], v[12:13], s[44:45], v[16:17]
	v_fma_f64 v[7:8], v[5:6], s[0:1], v[7:8]
	v_add_f64 v[5:6], v[14:15], v[7:8]
	v_add_f64 v[12:13], v[5:6], -v[14:15]
	v_add_f64 v[7:8], v[7:8], -v[12:13]
.LBB9_323:
	s_andn2_saveexec_b32 s0, s42
	s_cbranch_execz .LBB9_325
; %bb.324:
	s_mov_b32 s42, 0x6dc9c883
	s_mov_b32 s43, 0x3fe45f30
	;; [unrolled: 1-line block ×3, first 2 shown]
	v_mul_f64 v[5:6], |v[0:1]|, s[42:43]
	s_mov_b32 s42, 0x54442d18
	s_mov_b32 s43, 0xbff921fb
	;; [unrolled: 1-line block ×3, first 2 shown]
	v_rndne_f64_e32 v[9:10], v[5:6]
	v_fma_f64 v[5:6], v[9:10], s[42:43], |v[0:1]|
	v_mul_f64 v[7:8], v[9:10], s[44:45]
	s_mov_b32 s42, 0x252049c0
	s_mov_b32 s43, 0xb97b839a
	v_fma_f64 v[14:15], v[9:10], s[44:45], v[5:6]
	v_add_f64 v[12:13], v[5:6], v[7:8]
	s_mov_b32 s45, 0x3c91a626
	v_add_f64 v[5:6], v[5:6], -v[12:13]
	v_add_f64 v[12:13], v[12:13], -v[14:15]
	v_add_f64 v[5:6], v[5:6], v[7:8]
	v_fma_f64 v[7:8], v[9:10], s[44:45], v[7:8]
	v_add_f64 v[5:6], v[12:13], v[5:6]
	v_add_f64 v[5:6], v[5:6], -v[7:8]
	v_fma_f64 v[7:8], v[9:10], s[42:43], v[5:6]
	v_cvt_i32_f64_e32 v9, v[9:10]
	v_add_f64 v[5:6], v[14:15], v[7:8]
	v_add_f64 v[12:13], v[5:6], -v[14:15]
	v_add_f64 v[7:8], v[7:8], -v[12:13]
.LBB9_325:
	s_or_b32 exec_lo, exec_lo, s0
	v_mul_f64 v[12:13], v[5:6], v[5:6]
	v_add_f64 v[14:15], v[7:8], v[7:8]
	s_mov_b32 s42, 0xa9a29f71
	s_mov_b32 s44, 0xc751c08c
	;; [unrolled: 1-line block ×4, first 2 shown]
	v_cmp_class_f64_e64 s0, v[0:1], 0x1f8
	v_and_b32_e32 v9, 1, v9
	v_and_b32_e32 v1, 0x80000000, v1
	v_add_f64 v[3:4], -v[3:4], 1.0
	s_mov_b32 s1, exec_lo
	v_cmp_eq_u32_e32 vcc_lo, 0, v9
	v_fma_f64 v[16:17], v[5:6], v[5:6], -v[12:13]
	v_fma_f64 v[14:15], v[5:6], v[14:15], v[16:17]
	v_add_f64 v[12:13], v[12:13], v[14:15]
	v_fma_f64 v[14:15], v[12:13], s[44:45], s[42:43]
	s_mov_b32 s42, 0x90a8aae0
	s_mov_b32 s43, 0x3f17746f
	v_fma_f64 v[14:15], v[12:13], v[14:15], s[42:43]
	s_mov_b32 s42, 0xa6fbf144
	s_mov_b32 s43, 0xbefbb44d
	;; [unrolled: 3-line block ×13, first 2 shown]
	v_mul_f64 v[12:13], v[12:13], v[14:15]
	v_mul_f64 v[14:15], v[5:6], v[12:13]
	v_add_f64 v[16:17], v[5:6], v[14:15]
	v_fma_f64 v[12:13], v[5:6], v[12:13], -v[14:15]
	v_add_f64 v[5:6], v[16:17], -v[5:6]
	v_add_f64 v[7:8], v[7:8], v[12:13]
	v_add_f64 v[5:6], v[14:15], -v[5:6]
	v_add_f64 v[5:6], v[7:8], v[5:6]
	v_add_f64 v[7:8], v[16:17], v[5:6]
	v_rcp_f64_e32 v[12:13], v[7:8]
	v_fma_f64 v[14:15], -v[7:8], v[12:13], 1.0
	v_fma_f64 v[12:13], v[14:15], v[12:13], v[12:13]
	v_fma_f64 v[14:15], -v[7:8], v[12:13], 1.0
	v_fma_f64 v[12:13], v[14:15], v[12:13], v[12:13]
	v_add_f64 v[14:15], v[7:8], -v[16:17]
	v_mul_f64 v[16:17], v[7:8], v[12:13]
	v_add_f64 v[5:6], v[5:6], -v[14:15]
	v_fma_f64 v[14:15], v[12:13], v[7:8], -v[16:17]
	v_fma_f64 v[5:6], v[12:13], v[5:6], v[14:15]
	v_add_f64 v[14:15], v[16:17], v[5:6]
	v_add_f64 v[18:19], -v[14:15], 1.0
	v_add_f64 v[16:17], v[14:15], -v[16:17]
	v_add_f64 v[20:21], -v[18:19], 1.0
	v_add_f64 v[5:6], v[16:17], -v[5:6]
	v_add_f64 v[14:15], v[20:21], -v[14:15]
	v_add_f64 v[5:6], v[5:6], v[14:15]
	v_add_f64 v[5:6], v[18:19], v[5:6]
	v_mul_f64 v[5:6], v[12:13], v[5:6]
	v_add_f64 v[5:6], v[12:13], v[5:6]
	v_xor_b32_e32 v0, 0x80000000, v6
	v_cndmask_b32_e32 v5, v5, v7, vcc_lo
	v_cndmask_b32_e32 v0, v0, v8, vcc_lo
	v_xor_b32_e32 v1, v0, v1
	v_cndmask_b32_e64 v0, 0, v5, s0
	v_cndmask_b32_e64 v1, 0x7ff80000, v1, s0
	v_div_scale_f64 v[5:6], null, v[0:1], v[0:1], s[42:43]
	v_div_scale_f64 v[12:13], vcc_lo, s[42:43], v[0:1], s[42:43]
	v_rcp_f64_e32 v[7:8], v[5:6]
	v_fma_f64 v[9:10], -v[5:6], v[7:8], 1.0
	v_fma_f64 v[7:8], v[7:8], v[9:10], v[7:8]
	v_fma_f64 v[9:10], -v[5:6], v[7:8], 1.0
	v_fma_f64 v[7:8], v[7:8], v[9:10], v[7:8]
	v_mul_f64 v[9:10], v[12:13], v[7:8]
	v_fma_f64 v[5:6], -v[5:6], v[9:10], v[12:13]
	v_div_fmas_f64 v[5:6], v[5:6], v[7:8], v[9:10]
	v_div_fixup_f64 v[5:6], v[5:6], v[0:1], s[42:43]
.LBB9_326:
	s_or_b32 exec_lo, exec_lo, s40
	s_orn2_b32 s1, s1, exec_lo
.LBB9_327:
	s_or_b32 exec_lo, exec_lo, s39
	v_mov_b32_e32 v0, 0
	v_mov_b32_e32 v1, 0x7ff80000
	s_and_saveexec_b32 s0, s1
	s_cbranch_execz .LBB9_339
; %bb.328:
	s_mov_b32 s1, exec_lo
	v_cmpx_gt_f64_e32 0x40240000, v[3:4]
	s_cbranch_execz .LBB9_332
; %bb.329:
	s_mov_b32 s39, 0
	.p2align	6
.LBB9_330:                              ; =>This Inner Loop Header: Depth=1
	v_div_scale_f64 v[0:1], null, v[3:4], v[3:4], 1.0
	v_div_scale_f64 v[12:13], vcc_lo, 1.0, v[3:4], 1.0
	v_rcp_f64_e32 v[7:8], v[0:1]
	v_fma_f64 v[9:10], -v[0:1], v[7:8], 1.0
	v_fma_f64 v[7:8], v[7:8], v[9:10], v[7:8]
	v_fma_f64 v[9:10], -v[0:1], v[7:8], 1.0
	v_fma_f64 v[7:8], v[7:8], v[9:10], v[7:8]
	v_mul_f64 v[9:10], v[12:13], v[7:8]
	v_fma_f64 v[0:1], -v[0:1], v[9:10], v[12:13]
	v_div_fmas_f64 v[0:1], v[0:1], v[7:8], v[9:10]
	v_div_fixup_f64 v[0:1], v[0:1], v[3:4], 1.0
	v_add_f64 v[3:4], v[3:4], 1.0
	v_add_f64 v[5:6], v[5:6], -v[0:1]
	v_cmp_ngt_f64_e32 vcc_lo, 0x40240000, v[3:4]
	s_or_b32 s39, vcc_lo, s39
	s_andn2_b32 exec_lo, exec_lo, s39
	s_cbranch_execnz .LBB9_330
; %bb.331:
	s_or_b32 exec_lo, exec_lo, s39
.LBB9_332:
	s_or_b32 exec_lo, exec_lo, s1
	s_mov_b32 s1, exec_lo
                                        ; implicit-def: $vgpr0_vgpr1
	v_cmpx_neq_f64_e32 0x40240000, v[3:4]
	s_xor_b32 s1, exec_lo, s1
	s_cbranch_execz .LBB9_336
; %bb.333:
	v_mov_b32_e32 v0, 0
	v_mov_b32_e32 v1, 0
	s_mov_b32 s42, 0x85d8a000
	s_mov_b32 s43, 0x43763457
	s_mov_b32 s39, exec_lo
	v_cmpx_gt_f64_e32 s[42:43], v[3:4]
	s_cbranch_execz .LBB9_335
; %bb.334:
	v_mul_f64 v[0:1], v[3:4], v[3:4]
	s_mov_b32 s42, 0x55555555
	s_mov_b32 s43, 0x3fb55555
	;; [unrolled: 1-line block ×6, first 2 shown]
	v_div_scale_f64 v[7:8], null, v[0:1], v[0:1], 1.0
	v_rcp_f64_e32 v[9:10], v[7:8]
	v_fma_f64 v[12:13], -v[7:8], v[9:10], 1.0
	v_fma_f64 v[9:10], v[9:10], v[12:13], v[9:10]
	v_fma_f64 v[12:13], -v[7:8], v[9:10], 1.0
	v_fma_f64 v[9:10], v[9:10], v[12:13], v[9:10]
	v_div_scale_f64 v[12:13], vcc_lo, 1.0, v[0:1], 1.0
	v_mul_f64 v[14:15], v[12:13], v[9:10]
	v_fma_f64 v[7:8], -v[7:8], v[14:15], v[12:13]
	v_div_fmas_f64 v[7:8], v[7:8], v[9:10], v[14:15]
	v_div_fixup_f64 v[0:1], v[7:8], v[0:1], 1.0
	v_fma_f64 v[7:8], v[0:1], 0, s[42:43]
	v_fma_f64 v[7:8], v[0:1], v[7:8], s[44:45]
	s_mov_b32 s44, 0xf07c1f08
	s_mov_b32 s45, 0x3f7f07c1
	v_fma_f64 v[7:8], v[0:1], v[7:8], s[44:45]
	s_mov_b32 s45, 0xbf711111
	s_mov_b32 s44, 0x11111111
	v_fma_f64 v[7:8], v[0:1], v[7:8], s[44:45]
	s_mov_b32 s45, 0xbf811111
	v_fma_f64 v[7:8], v[0:1], v[7:8], s[46:47]
	v_fma_f64 v[7:8], v[0:1], v[7:8], s[44:45]
	;; [unrolled: 1-line block ×3, first 2 shown]
	v_mul_f64 v[0:1], v[0:1], v[7:8]
.LBB9_335:
	s_or_b32 exec_lo, exec_lo, s39
	v_frexp_mant_f64_e32 v[7:8], v[3:4]
	s_mov_b32 s43, 0x3fe55555
	s_mov_b32 s42, 0x55555555
	;; [unrolled: 1-line block ×6, first 2 shown]
	v_div_scale_f64 v[24:25], null, v[3:4], v[3:4], -0.5
	v_cmp_gt_f64_e32 vcc_lo, s[42:43], v[7:8]
	s_mov_b32 s42, 0x55555780
	v_rcp_f64_e32 v[28:29], v[24:25]
	v_cndmask_b32_e64 v9, 0, 1, vcc_lo
	v_ldexp_f64 v[7:8], v[7:8], v9
	v_add_f64 v[9:10], v[7:8], 1.0
	v_add_f64 v[16:17], v[7:8], -1.0
	v_rcp_f64_e32 v[12:13], v[9:10]
	v_add_f64 v[18:19], v[9:10], -1.0
	v_add_f64 v[7:8], v[7:8], -v[18:19]
	v_fma_f64 v[14:15], -v[9:10], v[12:13], 1.0
	v_fma_f64 v[12:13], v[14:15], v[12:13], v[12:13]
	v_fma_f64 v[14:15], -v[9:10], v[12:13], 1.0
	v_fma_f64 v[12:13], v[14:15], v[12:13], v[12:13]
	v_mul_f64 v[14:15], v[16:17], v[12:13]
	v_mul_f64 v[20:21], v[9:10], v[14:15]
	v_fma_f64 v[9:10], v[14:15], v[9:10], -v[20:21]
	v_fma_f64 v[7:8], v[14:15], v[7:8], v[9:10]
	v_add_f64 v[9:10], v[20:21], v[7:8]
	v_add_f64 v[18:19], v[16:17], -v[9:10]
	v_add_f64 v[20:21], v[9:10], -v[20:21]
	v_add_f64 v[16:17], v[16:17], -v[18:19]
	v_add_f64 v[7:8], v[20:21], -v[7:8]
	v_frexp_exp_i32_f64_e32 v20, v[3:4]
	v_add_f64 v[9:10], v[16:17], -v[9:10]
	v_add_f64 v[7:8], v[7:8], v[9:10]
	v_add_f64 v[7:8], v[18:19], v[7:8]
	v_mul_f64 v[7:8], v[12:13], v[7:8]
	v_add_f64 v[9:10], v[14:15], v[7:8]
	v_mul_f64 v[12:13], v[9:10], v[9:10]
	v_fma_f64 v[16:17], v[12:13], s[46:47], s[44:45]
	s_mov_b32 s44, 0xd7f4df2e
	s_mov_b32 s45, 0x3fc7474d
	v_mul_f64 v[18:19], v[9:10], v[12:13]
	v_fma_f64 v[16:17], v[12:13], v[16:17], s[44:45]
	s_mov_b32 s44, 0x16291751
	s_mov_b32 s45, 0x3fcc71c0
	v_fma_f64 v[16:17], v[12:13], v[16:17], s[44:45]
	s_mov_b32 s44, 0x9b27acf1
	s_mov_b32 s45, 0x3fd24924
	;; [unrolled: 3-line block ×3, first 2 shown]
	v_fma_f64 v[16:17], v[12:13], v[16:17], s[44:45]
	v_fma_f64 v[12:13], v[12:13], v[16:17], s[42:43]
	v_ldexp_f64 v[16:17], v[9:10], 1
	v_add_f64 v[9:10], v[9:10], -v[14:15]
	s_mov_b32 s42, 0xfefa39ef
	s_mov_b32 s43, 0x3fe62e42
	v_mul_f64 v[12:13], v[18:19], v[12:13]
	v_subrev_co_ci_u32_e64 v18, null, 0, v20, vcc_lo
	v_add_f64 v[7:8], v[7:8], -v[9:10]
	v_cvt_f64_i32_e32 v[18:19], v18
	v_add_f64 v[14:15], v[16:17], v[12:13]
	v_ldexp_f64 v[7:8], v[7:8], 1
	v_mul_f64 v[20:21], v[18:19], s[42:43]
	v_add_f64 v[9:10], v[14:15], -v[16:17]
	v_fma_f64 v[16:17], v[18:19], s[42:43], -v[20:21]
	s_mov_b32 s42, 0x3b39803f
	s_mov_b32 s43, 0x3c7abc9e
	v_add_f64 v[9:10], v[12:13], -v[9:10]
	v_fma_f64 v[12:13], v[18:19], s[42:43], v[16:17]
	v_add_f64 v[7:8], v[7:8], v[9:10]
	v_add_f64 v[9:10], v[20:21], v[12:13]
	;; [unrolled: 1-line block ×3, first 2 shown]
	v_add_f64 v[20:21], v[9:10], -v[20:21]
	v_add_f64 v[18:19], v[9:10], v[16:17]
	v_add_f64 v[14:15], v[16:17], -v[14:15]
	v_add_f64 v[12:13], v[12:13], -v[20:21]
	;; [unrolled: 1-line block ×6, first 2 shown]
	v_fma_f64 v[16:17], -v[24:25], v[28:29], 1.0
	v_add_f64 v[20:21], v[12:13], v[7:8]
	v_add_f64 v[9:10], v[9:10], -v[26:27]
	v_add_f64 v[9:10], v[14:15], v[9:10]
	v_fma_f64 v[14:15], v[28:29], v[16:17], v[28:29]
	v_add_f64 v[16:17], v[20:21], -v[12:13]
	v_div_scale_f64 v[28:29], vcc_lo, -0.5, v[3:4], -0.5
	v_add_f64 v[9:10], v[20:21], v[9:10]
	v_fma_f64 v[22:23], -v[24:25], v[14:15], 1.0
	v_add_f64 v[20:21], v[20:21], -v[16:17]
	v_add_f64 v[7:8], v[7:8], -v[16:17]
	v_add_f64 v[26:27], v[18:19], v[9:10]
	v_fma_f64 v[14:15], v[14:15], v[22:23], v[14:15]
	v_add_f64 v[12:13], v[12:13], -v[20:21]
	v_add_f64 v[16:17], v[26:27], -v[18:19]
	v_mul_f64 v[18:19], v[28:29], v[14:15]
	v_add_f64 v[7:8], v[7:8], v[12:13]
	v_add_f64 v[9:10], v[9:10], -v[16:17]
	v_fma_f64 v[12:13], -v[24:25], v[18:19], v[28:29]
	v_add_f64 v[7:8], v[7:8], v[9:10]
	v_div_fmas_f64 v[9:10], v[12:13], v[14:15], v[18:19]
	v_cmp_class_f64_e64 vcc_lo, v[3:4], 0x204
	v_add_f64 v[7:8], v[26:27], v[7:8]
	v_div_fixup_f64 v[9:10], v[9:10], v[3:4], -0.5
	v_cndmask_b32_e32 v4, v8, v4, vcc_lo
	v_cndmask_b32_e32 v3, v7, v3, vcc_lo
	v_add_f64 v[3:4], v[3:4], v[9:10]
	v_add_f64 v[0:1], v[3:4], -v[0:1]
	v_add_f64 v[0:1], v[5:6], v[0:1]
                                        ; implicit-def: $vgpr5_vgpr6
.LBB9_336:
	s_andn2_saveexec_b32 s1, s1
; %bb.337:
	s_mov_b32 s42, 0xdc85cc95
	s_mov_b32 s43, 0x40020396
	v_add_f64 v[0:1], v[5:6], s[42:43]
; %bb.338:
	s_or_b32 exec_lo, exec_lo, s1
.LBB9_339:
	s_or_b32 exec_lo, exec_lo, s0
                                        ; implicit-def: $vgpr3_vgpr4
.LBB9_340:
	s_andn2_saveexec_b32 s0, s23
; %bb.341:
	v_xor_b32_e32 v0, 0x80000000, v4
	s_mov_b32 s1, 0x7ff00000
	v_bfi_b32 v1, 0x7fffffff, s1, v0
	v_mov_b32_e32 v0, 0
; %bb.342:
	s_or_b32 exec_lo, exec_lo, s0
	v_add_co_u32 v4, s0, s8, v2
	v_add_co_ci_u32_e64 v5, null, s9, 0, s0
	s_and_b32 s1, s29, 0xff
	s_cmp_lt_i32 s1, 11
	s_cbranch_scc1 .LBB9_350
; %bb.343:
	s_and_b32 s23, 0xffff, s1
	s_cmp_gt_i32 s23, 25
	s_cbranch_scc0 .LBB9_352
; %bb.344:
	s_cmp_gt_i32 s23, 28
	s_cbranch_scc0 .LBB9_354
; %bb.345:
	;; [unrolled: 3-line block ×4, first 2 shown]
	s_mov_b32 s40, 0
	s_mov_b32 s0, -1
	s_cmp_eq_u32 s23, 46
	s_mov_b32 s39, 0
	s_cbranch_scc0 .LBB9_367
; %bb.348:
	v_cvt_f32_f64_e32 v2, v[0:1]
	s_mov_b32 s39, -1
	s_mov_b32 s0, 0
	v_bfe_u32 v3, v2, 16, 1
	v_cmp_o_f32_e32 vcc_lo, v2, v2
	v_add3_u32 v2, v2, v3, 0x7fff
	v_mov_b32_e32 v3, 0x7fc0
	v_cndmask_b32_sdwa v2, v3, v2, vcc_lo dst_sel:DWORD dst_unused:UNUSED_PAD src0_sel:DWORD src1_sel:WORD_1
	global_store_dword v[4:5], v2, off
	s_branch .LBB9_367
.LBB9_349:
	s_mov_b32 s23, -1
	s_mov_b32 s1, 0
	s_mov_b32 s22, s37
                                        ; implicit-def: $vgpr3_vgpr4
	s_branch .LBB9_506
.LBB9_350:
	s_mov_b32 s23, -1
	s_mov_b32 s39, 0
	s_mov_b32 s0, s36
	s_branch .LBB9_436
.LBB9_351:
	s_mov_b32 s23, -1
	s_mov_b32 s1, 0
	s_mov_b32 s22, s37
                                        ; implicit-def: $vgpr3_vgpr4
	s_branch .LBB9_485
.LBB9_352:
	s_mov_b32 s40, -1
	s_mov_b32 s39, 0
	s_mov_b32 s0, s36
	s_branch .LBB9_394
.LBB9_353:
	s_mov_b32 s23, -1
	s_mov_b32 s1, 0
	s_mov_b32 s22, s37
                                        ; implicit-def: $vgpr3_vgpr4
	s_branch .LBB9_480
.LBB9_354:
	s_mov_b32 s40, -1
	s_mov_b32 s39, 0
	s_mov_b32 s0, s36
	s_branch .LBB9_377
.LBB9_355:
	s_andn2_saveexec_b32 s40, s40
	s_cbranch_execz .LBB9_92
.LBB9_356:
	v_add_f32_e64 v3, 0x46000000, |v2|
	s_andn2_b32 s37, s37, exec_lo
	v_and_b32_e32 v3, 0xff, v3
	v_cmp_ne_u32_e32 vcc_lo, 0, v3
	s_and_b32 s41, vcc_lo, exec_lo
	s_or_b32 s37, s37, s41
	s_or_b32 exec_lo, exec_lo, s40
	v_mov_b32_e32 v6, 0
	s_and_saveexec_b32 s40, s37
	s_cbranch_execnz .LBB9_93
	s_branch .LBB9_94
.LBB9_357:
	s_mov_b32 s23, -1
	s_mov_b32 s1, 0
	s_mov_b32 s22, s37
	s_branch .LBB9_362
.LBB9_358:
	s_mov_b32 s40, -1
	s_mov_b32 s39, 0
	s_mov_b32 s0, s36
	s_branch .LBB9_373
.LBB9_359:
	s_andn2_saveexec_b32 s40, s40
	s_cbranch_execz .LBB9_105
.LBB9_360:
	v_add_f32_e64 v3, 0x42800000, |v2|
	s_andn2_b32 s37, s37, exec_lo
	v_and_b32_e32 v3, 0xff, v3
	v_cmp_ne_u32_e32 vcc_lo, 0, v3
	s_and_b32 s41, vcc_lo, exec_lo
	s_or_b32 s37, s37, s41
	s_or_b32 exec_lo, exec_lo, s40
	v_mov_b32_e32 v6, 0
	s_and_saveexec_b32 s40, s37
	s_cbranch_execnz .LBB9_106
	s_branch .LBB9_107
.LBB9_361:
	s_mov_b32 s22, -1
	s_mov_b32 s1, 0
.LBB9_362:
                                        ; implicit-def: $vgpr3_vgpr4
.LBB9_363:
	s_and_b32 vcc_lo, exec_lo, s23
	s_cbranch_vccz .LBB9_479
; %bb.364:
	s_cmp_eq_u32 s0, 44
	s_cbranch_scc0 .LBB9_478
; %bb.365:
	global_load_ubyte v5, v[0:1], off
	s_mov_b32 s22, 0
	s_mov_b32 s1, -1
	s_waitcnt vmcnt(0)
	v_lshlrev_b32_e32 v3, 23, v5
	v_cmp_ne_u32_e32 vcc_lo, 0xff, v5
	v_cvt_f64_f32_e32 v[3:4], v3
	v_cndmask_b32_e32 v3, 0x20000000, v3, vcc_lo
	v_cndmask_b32_e32 v4, 0x7ff80000, v4, vcc_lo
	v_cmp_ne_u32_e32 vcc_lo, 0, v5
	v_cndmask_b32_e32 v4, 0x38000000, v4, vcc_lo
	v_cndmask_b32_e32 v3, 0, v3, vcc_lo
	s_branch .LBB9_479
.LBB9_366:
	s_mov_b32 s40, -1
	s_mov_b32 s39, 0
	s_mov_b32 s0, s36
.LBB9_367:
	s_and_b32 vcc_lo, exec_lo, s40
	s_cbranch_vccz .LBB9_372
; %bb.368:
	s_cmp_eq_u32 s23, 44
	s_mov_b32 s0, -1
	s_cbranch_scc0 .LBB9_372
; %bb.369:
	v_cvt_f32_f64_e32 v2, v[0:1]
	v_mov_b32_e32 v3, 0xff
	s_mov_b32 s39, exec_lo
	v_bfe_u32 v6, v2, 23, 8
	v_cmpx_ne_u32_e32 0xff, v6
	s_cbranch_execz .LBB9_371
; %bb.370:
	v_and_b32_e32 v3, 0x400000, v2
	v_and_or_b32 v6, 0x3fffff, v2, v6
	v_lshrrev_b32_e32 v2, 23, v2
	v_cmp_ne_u32_e32 vcc_lo, 0, v3
	v_cmp_ne_u32_e64 s0, 0, v6
	s_and_b32 s0, vcc_lo, s0
	v_cndmask_b32_e64 v3, 0, 1, s0
	v_add_nc_u32_e32 v3, v2, v3
.LBB9_371:
	s_or_b32 exec_lo, exec_lo, s39
	s_mov_b32 s39, -1
	s_mov_b32 s0, 0
	global_store_byte v[4:5], v3, off
.LBB9_372:
	s_mov_b32 s40, 0
.LBB9_373:
	s_and_b32 vcc_lo, exec_lo, s40
	s_cbranch_vccz .LBB9_376
; %bb.374:
	s_cmp_eq_u32 s23, 29
	s_mov_b32 s0, -1
	s_cbranch_scc0 .LBB9_376
; %bb.375:
	v_trunc_f64_e32 v[2:3], v[0:1]
	s_mov_b32 s39, -1
	s_mov_b32 s0, 0
	s_mov_b32 s40, 0
	v_ldexp_f64 v[6:7], v[2:3], 0xffffffe0
	v_floor_f64_e32 v[6:7], v[6:7]
	v_fma_f64 v[2:3], 0xc1f00000, v[6:7], v[2:3]
	v_cvt_u32_f64_e32 v7, v[6:7]
	v_cvt_u32_f64_e32 v6, v[2:3]
	global_store_dwordx2 v[4:5], v[6:7], off
	s_branch .LBB9_377
.LBB9_376:
	s_mov_b32 s40, 0
.LBB9_377:
	s_and_b32 vcc_lo, exec_lo, s40
	s_cbranch_vccz .LBB9_393
; %bb.378:
	s_cmp_lt_i32 s23, 27
	s_mov_b32 s39, -1
	s_cbranch_scc1 .LBB9_384
; %bb.379:
	v_cvt_u32_f64_e32 v2, v[0:1]
	s_cmp_gt_i32 s23, 27
	s_cbranch_scc0 .LBB9_381
; %bb.380:
	s_mov_b32 s39, 0
	global_store_dword v[4:5], v2, off
.LBB9_381:
	s_andn2_b32 vcc_lo, exec_lo, s39
	s_cbranch_vccnz .LBB9_383
; %bb.382:
	global_store_short v[4:5], v2, off
.LBB9_383:
	s_mov_b32 s39, 0
.LBB9_384:
	s_andn2_b32 vcc_lo, exec_lo, s39
	s_cbranch_vccnz .LBB9_392
; %bb.385:
	v_cvt_f32_f64_e32 v2, v[0:1]
	v_mov_b32_e32 v6, 0x80
	s_mov_b32 s39, exec_lo
	v_and_b32_e32 v3, 0x7fffffff, v2
	v_cmpx_gt_u32_e32 0x43800000, v3
	s_cbranch_execz .LBB9_391
; %bb.386:
	v_cmp_lt_u32_e32 vcc_lo, 0x3bffffff, v3
	s_mov_b32 s40, 0
                                        ; implicit-def: $vgpr3
	s_and_saveexec_b32 s42, vcc_lo
	s_xor_b32 s42, exec_lo, s42
	s_cbranch_execz .LBB9_619
; %bb.387:
	v_bfe_u32 v3, v2, 20, 1
	s_mov_b32 s40, exec_lo
	v_add3_u32 v3, v2, v3, 0x487ffff
	v_lshrrev_b32_e32 v3, 20, v3
	s_andn2_saveexec_b32 s42, s42
	s_cbranch_execnz .LBB9_620
.LBB9_388:
	s_or_b32 exec_lo, exec_lo, s42
	v_mov_b32_e32 v6, 0
	s_and_saveexec_b32 s42, s40
.LBB9_389:
	v_lshrrev_b32_e32 v2, 24, v2
	v_and_or_b32 v6, 0x80, v2, v3
.LBB9_390:
	s_or_b32 exec_lo, exec_lo, s42
.LBB9_391:
	s_or_b32 exec_lo, exec_lo, s39
	global_store_byte v[4:5], v6, off
.LBB9_392:
	s_mov_b32 s39, -1
.LBB9_393:
	s_mov_b32 s40, 0
.LBB9_394:
	s_and_b32 vcc_lo, exec_lo, s40
	s_cbranch_vccz .LBB9_435
; %bb.395:
	s_cmp_gt_i32 s23, 22
	s_mov_b32 s40, -1
	s_cbranch_scc0 .LBB9_427
; %bb.396:
	s_cmp_lt_i32 s23, 24
	s_mov_b32 s39, -1
	s_cbranch_scc1 .LBB9_416
; %bb.397:
	s_cmp_gt_i32 s23, 24
	s_cbranch_scc0 .LBB9_405
; %bb.398:
	v_cvt_f32_f64_e32 v2, v[0:1]
	v_mov_b32_e32 v6, 0x80
	s_mov_b32 s39, exec_lo
	v_and_b32_e32 v3, 0x7fffffff, v2
	v_cmpx_gt_u32_e32 0x47800000, v3
	s_cbranch_execz .LBB9_404
; %bb.399:
	v_cmp_lt_u32_e32 vcc_lo, 0x37ffffff, v3
	s_mov_b32 s40, 0
                                        ; implicit-def: $vgpr3
	s_and_saveexec_b32 s42, vcc_lo
	s_xor_b32 s42, exec_lo, s42
	s_cbranch_execz .LBB9_622
; %bb.400:
	v_bfe_u32 v3, v2, 21, 1
	s_mov_b32 s40, exec_lo
	v_add3_u32 v3, v2, v3, 0x88fffff
	v_lshrrev_b32_e32 v3, 21, v3
	s_andn2_saveexec_b32 s42, s42
	s_cbranch_execnz .LBB9_623
.LBB9_401:
	s_or_b32 exec_lo, exec_lo, s42
	v_mov_b32_e32 v6, 0
	s_and_saveexec_b32 s42, s40
.LBB9_402:
	v_lshrrev_b32_e32 v2, 24, v2
	v_and_or_b32 v6, 0x80, v2, v3
.LBB9_403:
	s_or_b32 exec_lo, exec_lo, s42
.LBB9_404:
	s_or_b32 exec_lo, exec_lo, s39
	s_mov_b32 s39, 0
	global_store_byte v[4:5], v6, off
.LBB9_405:
	s_and_b32 vcc_lo, exec_lo, s39
	s_cbranch_vccz .LBB9_415
; %bb.406:
	v_cvt_f32_f64_e32 v2, v[0:1]
	s_mov_b32 s39, exec_lo
                                        ; implicit-def: $vgpr3
	v_and_b32_e32 v6, 0x7fffffff, v2
	v_cmpx_gt_u32_e32 0x43f00000, v6
	s_xor_b32 s39, exec_lo, s39
	s_cbranch_execz .LBB9_412
; %bb.407:
	s_mov_b32 s40, exec_lo
                                        ; implicit-def: $vgpr3
	v_cmpx_lt_u32_e32 0x3c7fffff, v6
	s_xor_b32 s40, exec_lo, s40
; %bb.408:
	v_bfe_u32 v3, v2, 20, 1
	v_add3_u32 v3, v2, v3, 0x407ffff
	v_and_b32_e32 v6, 0xff00000, v3
	v_lshrrev_b32_e32 v3, 20, v3
	v_cmp_ne_u32_e32 vcc_lo, 0x7f00000, v6
	v_cndmask_b32_e32 v3, 0x7e, v3, vcc_lo
; %bb.409:
	s_andn2_saveexec_b32 s40, s40
; %bb.410:
	v_add_f32_e64 v3, 0x46800000, |v2|
; %bb.411:
	s_or_b32 exec_lo, exec_lo, s40
                                        ; implicit-def: $vgpr6
.LBB9_412:
	s_andn2_saveexec_b32 s39, s39
; %bb.413:
	v_mov_b32_e32 v3, 0x7f
	v_cmp_lt_u32_e32 vcc_lo, 0x7f800000, v6
	v_cndmask_b32_e32 v3, 0x7e, v3, vcc_lo
; %bb.414:
	s_or_b32 exec_lo, exec_lo, s39
	v_lshrrev_b32_e32 v2, 24, v2
	v_and_or_b32 v2, 0x80, v2, v3
	global_store_byte v[4:5], v2, off
.LBB9_415:
	s_mov_b32 s39, 0
.LBB9_416:
	s_andn2_b32 vcc_lo, exec_lo, s39
	s_cbranch_vccnz .LBB9_426
; %bb.417:
	v_cvt_f32_f64_e32 v2, v[0:1]
	s_mov_b32 s39, exec_lo
                                        ; implicit-def: $vgpr3
	v_and_b32_e32 v6, 0x7fffffff, v2
	v_cmpx_gt_u32_e32 0x47800000, v6
	s_xor_b32 s39, exec_lo, s39
	s_cbranch_execz .LBB9_423
; %bb.418:
	s_mov_b32 s40, exec_lo
                                        ; implicit-def: $vgpr3
	v_cmpx_lt_u32_e32 0x387fffff, v6
	s_xor_b32 s40, exec_lo, s40
; %bb.419:
	v_bfe_u32 v3, v2, 21, 1
	v_add3_u32 v3, v2, v3, 0x80fffff
	v_lshrrev_b32_e32 v3, 21, v3
; %bb.420:
	s_andn2_saveexec_b32 s40, s40
; %bb.421:
	v_add_f32_e64 v3, 0x43000000, |v2|
; %bb.422:
	s_or_b32 exec_lo, exec_lo, s40
                                        ; implicit-def: $vgpr6
.LBB9_423:
	s_andn2_saveexec_b32 s39, s39
; %bb.424:
	v_mov_b32_e32 v3, 0x7f
	v_cmp_lt_u32_e32 vcc_lo, 0x7f800000, v6
	v_cndmask_b32_e32 v3, 0x7c, v3, vcc_lo
; %bb.425:
	s_or_b32 exec_lo, exec_lo, s39
	v_lshrrev_b32_e32 v2, 24, v2
	v_and_or_b32 v2, 0x80, v2, v3
	global_store_byte v[4:5], v2, off
.LBB9_426:
	s_mov_b32 s40, 0
	s_mov_b32 s39, -1
.LBB9_427:
	s_andn2_b32 vcc_lo, exec_lo, s40
	s_cbranch_vccnz .LBB9_435
; %bb.428:
	s_cmp_gt_i32 s23, 14
	s_mov_b32 s40, -1
	s_cbranch_scc0 .LBB9_432
; %bb.429:
	s_cmp_eq_u32 s23, 15
	s_mov_b32 s0, -1
	s_cbranch_scc0 .LBB9_431
; %bb.430:
	v_cvt_f32_f64_e32 v2, v[0:1]
	s_mov_b32 s39, -1
	s_mov_b32 s0, 0
	v_bfe_u32 v3, v2, 16, 1
	v_cmp_o_f32_e32 vcc_lo, v2, v2
	v_add3_u32 v2, v2, v3, 0x7fff
	v_mov_b32_e32 v3, 0x7fc0
	v_cndmask_b32_sdwa v2, v3, v2, vcc_lo dst_sel:DWORD dst_unused:UNUSED_PAD src0_sel:DWORD src1_sel:WORD_1
	global_store_short v[4:5], v2, off
.LBB9_431:
	s_mov_b32 s40, 0
.LBB9_432:
	s_and_b32 vcc_lo, exec_lo, s40
	s_cbranch_vccz .LBB9_435
; %bb.433:
	s_cmp_eq_u32 s23, 11
	s_mov_b32 s0, -1
	s_cbranch_scc0 .LBB9_435
; %bb.434:
	v_cmp_neq_f64_e32 vcc_lo, 0, v[0:1]
	s_mov_b32 s39, -1
	s_mov_b32 s0, 0
	v_cndmask_b32_e64 v2, 0, 1, vcc_lo
	global_store_byte v[4:5], v2, off
.LBB9_435:
	s_mov_b32 s23, 0
.LBB9_436:
	s_and_b32 vcc_lo, exec_lo, s23
	s_cbranch_vccz .LBB9_475
; %bb.437:
	s_and_b32 s1, 0xffff, s1
	s_mov_b32 s23, -1
	s_cmp_lt_i32 s1, 5
	s_cbranch_scc1 .LBB9_458
; %bb.438:
	s_cmp_lt_i32 s1, 8
	s_cbranch_scc1 .LBB9_448
; %bb.439:
	;; [unrolled: 3-line block ×3, first 2 shown]
	s_cmp_gt_i32 s1, 9
	s_cbranch_scc0 .LBB9_442
; %bb.441:
	v_mov_b32_e32 v2, 0
	s_mov_b32 s23, 0
	v_mov_b32_e32 v3, v2
	global_store_dwordx4 v[4:5], v[0:3], off
.LBB9_442:
	s_andn2_b32 vcc_lo, exec_lo, s23
	s_cbranch_vccnz .LBB9_444
; %bb.443:
	v_cvt_f32_f64_e32 v2, v[0:1]
	v_mov_b32_e32 v3, 0
	global_store_dwordx2 v[4:5], v[2:3], off
.LBB9_444:
	s_mov_b32 s23, 0
.LBB9_445:
	s_andn2_b32 vcc_lo, exec_lo, s23
	s_cbranch_vccnz .LBB9_447
; %bb.446:
	v_and_or_b32 v2, 0x1ff, v1, v0
	v_lshrrev_b32_e32 v3, 8, v1
	v_bfe_u32 v6, v1, 20, 11
	v_cmp_ne_u32_e32 vcc_lo, 0, v2
	v_sub_nc_u32_e32 v7, 0x3f1, v6
	v_add_nc_u32_e32 v6, 0xfffffc10, v6
	v_cndmask_b32_e64 v2, 0, 1, vcc_lo
	v_and_or_b32 v2, 0xffe, v3, v2
	v_med3_i32 v3, v7, 0, 13
	v_or_b32_e32 v7, 0x1000, v2
	v_lshrrev_b32_e32 v8, v3, v7
	v_lshlrev_b32_e32 v3, v3, v8
	v_cmp_ne_u32_e32 vcc_lo, v3, v7
	v_lshl_or_b32 v7, v6, 12, v2
	v_cndmask_b32_e64 v3, 0, 1, vcc_lo
	v_cmp_gt_i32_e32 vcc_lo, 1, v6
	v_or_b32_e32 v3, v8, v3
	v_cndmask_b32_e32 v3, v7, v3, vcc_lo
	v_and_b32_e32 v7, 7, v3
	v_lshrrev_b32_e32 v3, 2, v3
	v_cmp_lt_i32_e32 vcc_lo, 5, v7
	v_cndmask_b32_e64 v8, 0, 1, vcc_lo
	v_cmp_eq_u32_e32 vcc_lo, 3, v7
	v_cndmask_b32_e64 v7, 0, 1, vcc_lo
	v_cmp_ne_u32_e32 vcc_lo, 0, v2
	v_or_b32_e32 v7, v7, v8
	v_mov_b32_e32 v8, 0x7e00
	v_add_nc_u32_e32 v3, v3, v7
	v_cndmask_b32_e32 v2, 0x7c00, v8, vcc_lo
	v_cmp_gt_i32_e32 vcc_lo, 31, v6
	v_cndmask_b32_e32 v3, 0x7c00, v3, vcc_lo
	v_cmp_eq_u32_e32 vcc_lo, 0x40f, v6
	v_cndmask_b32_e32 v2, v3, v2, vcc_lo
	v_lshrrev_b32_e32 v3, 16, v1
	v_and_or_b32 v2, 0x8000, v3, v2
	v_and_b32_e32 v2, 0xffff, v2
	global_store_dword v[4:5], v2, off
.LBB9_447:
	s_mov_b32 s23, 0
.LBB9_448:
	s_andn2_b32 vcc_lo, exec_lo, s23
	s_cbranch_vccnz .LBB9_457
; %bb.449:
	s_cmp_lt_i32 s1, 6
	s_mov_b32 s23, -1
	s_cbranch_scc1 .LBB9_455
; %bb.450:
	s_cmp_gt_i32 s1, 6
	s_cbranch_scc0 .LBB9_452
; %bb.451:
	s_mov_b32 s23, 0
	global_store_dwordx2 v[4:5], v[0:1], off
.LBB9_452:
	s_andn2_b32 vcc_lo, exec_lo, s23
	s_cbranch_vccnz .LBB9_454
; %bb.453:
	v_cvt_f32_f64_e32 v2, v[0:1]
	global_store_dword v[4:5], v2, off
.LBB9_454:
	s_mov_b32 s23, 0
.LBB9_455:
	s_andn2_b32 vcc_lo, exec_lo, s23
	s_cbranch_vccnz .LBB9_457
; %bb.456:
	v_and_or_b32 v2, 0x1ff, v1, v0
	v_lshrrev_b32_e32 v3, 8, v1
	v_bfe_u32 v6, v1, 20, 11
	v_cmp_ne_u32_e32 vcc_lo, 0, v2
	v_sub_nc_u32_e32 v7, 0x3f1, v6
	v_add_nc_u32_e32 v6, 0xfffffc10, v6
	v_cndmask_b32_e64 v2, 0, 1, vcc_lo
	v_and_or_b32 v2, 0xffe, v3, v2
	v_med3_i32 v3, v7, 0, 13
	v_or_b32_e32 v7, 0x1000, v2
	v_lshrrev_b32_e32 v8, v3, v7
	v_lshlrev_b32_e32 v3, v3, v8
	v_cmp_ne_u32_e32 vcc_lo, v3, v7
	v_lshl_or_b32 v7, v6, 12, v2
	v_cndmask_b32_e64 v3, 0, 1, vcc_lo
	v_cmp_gt_i32_e32 vcc_lo, 1, v6
	v_or_b32_e32 v3, v8, v3
	v_cndmask_b32_e32 v3, v7, v3, vcc_lo
	v_and_b32_e32 v7, 7, v3
	v_lshrrev_b32_e32 v3, 2, v3
	v_cmp_lt_i32_e32 vcc_lo, 5, v7
	v_cndmask_b32_e64 v8, 0, 1, vcc_lo
	v_cmp_eq_u32_e32 vcc_lo, 3, v7
	v_cndmask_b32_e64 v7, 0, 1, vcc_lo
	v_cmp_ne_u32_e32 vcc_lo, 0, v2
	v_or_b32_e32 v7, v7, v8
	v_mov_b32_e32 v8, 0x7e00
	v_add_nc_u32_e32 v3, v3, v7
	v_cndmask_b32_e32 v2, 0x7c00, v8, vcc_lo
	v_cmp_gt_i32_e32 vcc_lo, 31, v6
	v_cndmask_b32_e32 v3, 0x7c00, v3, vcc_lo
	v_cmp_eq_u32_e32 vcc_lo, 0x40f, v6
	v_cndmask_b32_e32 v2, v3, v2, vcc_lo
	v_lshrrev_b32_e32 v3, 16, v1
	v_and_or_b32 v2, 0x8000, v3, v2
	global_store_short v[4:5], v2, off
.LBB9_457:
	s_mov_b32 s23, 0
.LBB9_458:
	s_andn2_b32 vcc_lo, exec_lo, s23
	s_cbranch_vccnz .LBB9_474
; %bb.459:
	s_cmp_lt_i32 s1, 2
	s_mov_b32 s23, -1
	s_cbranch_scc1 .LBB9_469
; %bb.460:
	s_cmp_lt_i32 s1, 3
	s_cbranch_scc1 .LBB9_466
; %bb.461:
	s_cmp_gt_i32 s1, 3
	s_cbranch_scc0 .LBB9_463
; %bb.462:
	v_trunc_f64_e32 v[2:3], v[0:1]
	s_mov_b32 s23, 0
	v_ldexp_f64 v[6:7], v[2:3], 0xffffffe0
	v_floor_f64_e32 v[6:7], v[6:7]
	v_fma_f64 v[2:3], 0xc1f00000, v[6:7], v[2:3]
	v_cvt_i32_f64_e32 v7, v[6:7]
	v_cvt_u32_f64_e32 v6, v[2:3]
	global_store_dwordx2 v[4:5], v[6:7], off
.LBB9_463:
	s_andn2_b32 vcc_lo, exec_lo, s23
	s_cbranch_vccnz .LBB9_465
; %bb.464:
	v_cvt_i32_f64_e32 v2, v[0:1]
	global_store_dword v[4:5], v2, off
.LBB9_465:
	s_mov_b32 s23, 0
.LBB9_466:
	s_andn2_b32 vcc_lo, exec_lo, s23
	s_cbranch_vccnz .LBB9_468
; %bb.467:
	v_cvt_i32_f64_e32 v2, v[0:1]
	global_store_short v[4:5], v2, off
.LBB9_468:
	s_mov_b32 s23, 0
.LBB9_469:
	s_andn2_b32 vcc_lo, exec_lo, s23
	s_cbranch_vccnz .LBB9_474
; %bb.470:
	s_cmp_gt_i32 s1, 0
	s_mov_b32 s1, -1
	s_cbranch_scc0 .LBB9_472
; %bb.471:
	v_cvt_i32_f64_e32 v2, v[0:1]
	s_mov_b32 s1, 0
	global_store_byte v[4:5], v2, off
.LBB9_472:
	s_andn2_b32 vcc_lo, exec_lo, s1
	s_cbranch_vccnz .LBB9_474
; %bb.473:
	v_trunc_f64_e32 v[0:1], v[0:1]
	v_ldexp_f64 v[2:3], v[0:1], 0xffffffe0
	v_floor_f64_e32 v[2:3], v[2:3]
	v_fma_f64 v[0:1], 0xc1f00000, v[2:3], v[0:1]
	v_cvt_u32_f64_e32 v0, v[0:1]
	global_store_byte v[4:5], v0, off
.LBB9_474:
	s_mov_b32 s39, -1
.LBB9_475:
	s_andn2_b32 vcc_lo, exec_lo, s39
	s_cbranch_vccnz .LBB9_477
; %bb.476:
	v_add_nc_u32_e32 v11, 0x80, v11
	s_mov_b32 s1, -1
	s_branch .LBB9_590
.LBB9_477:
	s_mov_b32 s1, 0
	s_branch .LBB9_589
.LBB9_478:
	s_mov_b32 s22, -1
                                        ; implicit-def: $vgpr3_vgpr4
.LBB9_479:
	s_mov_b32 s23, 0
.LBB9_480:
	s_and_b32 vcc_lo, exec_lo, s23
	s_cbranch_vccz .LBB9_484
; %bb.481:
	s_cmp_eq_u32 s0, 29
	s_cbranch_scc0 .LBB9_483
; %bb.482:
	global_load_dwordx2 v[3:4], v[0:1], off
	s_mov_b32 s1, -1
	s_mov_b32 s22, 0
	s_mov_b32 s23, 0
	s_waitcnt vmcnt(0)
	v_cvt_f64_u32_e32 v[4:5], v4
	v_cvt_f64_u32_e32 v[6:7], v3
	v_ldexp_f64 v[4:5], v[4:5], 32
	v_add_f64 v[3:4], v[4:5], v[6:7]
	s_branch .LBB9_485
.LBB9_483:
	s_mov_b32 s22, -1
                                        ; implicit-def: $vgpr3_vgpr4
.LBB9_484:
	s_mov_b32 s23, 0
.LBB9_485:
	s_and_b32 vcc_lo, exec_lo, s23
	s_cbranch_vccz .LBB9_505
; %bb.486:
	s_cmp_lt_i32 s0, 27
	s_cbranch_scc1 .LBB9_489
; %bb.487:
	s_cmp_gt_i32 s0, 27
	s_cbranch_scc0 .LBB9_490
; %bb.488:
	global_load_dword v3, v[0:1], off
	s_mov_b32 s1, 0
	s_waitcnt vmcnt(0)
	v_cvt_f64_u32_e32 v[3:4], v3
	s_branch .LBB9_491
.LBB9_489:
	s_mov_b32 s1, -1
                                        ; implicit-def: $vgpr3_vgpr4
	s_branch .LBB9_494
.LBB9_490:
	s_mov_b32 s1, -1
                                        ; implicit-def: $vgpr3_vgpr4
.LBB9_491:
	s_andn2_b32 vcc_lo, exec_lo, s1
	s_cbranch_vccnz .LBB9_493
; %bb.492:
	global_load_ushort v3, v[0:1], off
	s_waitcnt vmcnt(0)
	v_cvt_f64_u32_e32 v[3:4], v3
.LBB9_493:
	s_mov_b32 s1, 0
.LBB9_494:
	s_andn2_b32 vcc_lo, exec_lo, s1
	s_cbranch_vccnz .LBB9_504
; %bb.495:
	global_load_ubyte v5, v[0:1], off
	s_mov_b32 s1, 0
	s_mov_b32 s23, exec_lo
	s_waitcnt vmcnt(0)
	v_cmpx_lt_i16_e32 0x7f, v5
	s_xor_b32 s23, exec_lo, s23
	s_cbranch_execz .LBB9_499
; %bb.496:
	s_mov_b32 s1, -1
	s_mov_b32 s39, exec_lo
	v_cmpx_eq_u16_e32 0x80, v5
; %bb.497:
	s_xor_b32 s1, exec_lo, -1
; %bb.498:
	s_or_b32 exec_lo, exec_lo, s39
	s_and_b32 s1, s1, exec_lo
.LBB9_499:
	s_or_saveexec_b32 s23, s23
	v_bfrev_b32_e32 v3, 4
	v_mov_b32_e32 v4, 0x7ff80000
	s_xor_b32 exec_lo, exec_lo, s23
; %bb.500:
	v_cmp_ne_u16_e32 vcc_lo, 0, v5
	v_mov_b32_e32 v3, 0
	v_mov_b32_e32 v4, 0
	s_andn2_b32 s1, s1, exec_lo
	s_and_b32 s39, vcc_lo, exec_lo
	s_or_b32 s1, s1, s39
; %bb.501:
	s_or_b32 exec_lo, exec_lo, s23
	s_and_saveexec_b32 s23, s1
	s_cbranch_execz .LBB9_503
; %bb.502:
	v_and_b32_e32 v3, 0xffff, v5
	v_lshlrev_b32_e32 v5, 24, v5
	v_and_b32_e32 v4, 7, v3
	v_bfe_u32 v8, v3, 3, 4
	v_ffbh_u32_e32 v6, v4
	v_cmp_eq_u32_e32 vcc_lo, 0, v8
	v_min_u32_e32 v6, 32, v6
	v_subrev_nc_u32_e32 v7, 28, v6
	v_sub_nc_u32_e32 v6, 29, v6
	v_lshlrev_b32_e32 v3, v7, v3
	v_cndmask_b32_e32 v6, v8, v6, vcc_lo
	v_and_b32_e32 v3, 7, v3
	v_cndmask_b32_e32 v3, v4, v3, vcc_lo
	v_and_b32_e32 v4, 0x80000000, v5
	v_lshl_add_u32 v5, v6, 23, 0x3b800000
	v_lshlrev_b32_e32 v3, 20, v3
	v_or3_b32 v3, v4, v5, v3
	v_cvt_f64_f32_e32 v[3:4], v3
.LBB9_503:
	s_or_b32 exec_lo, exec_lo, s23
.LBB9_504:
	s_mov_b32 s1, -1
.LBB9_505:
	s_mov_b32 s23, 0
.LBB9_506:
	s_and_b32 vcc_lo, exec_lo, s23
	s_cbranch_vccz .LBB9_539
; %bb.507:
	s_cmp_gt_i32 s0, 22
	s_cbranch_scc0 .LBB9_519
; %bb.508:
	s_cmp_lt_i32 s0, 24
	s_cbranch_scc1 .LBB9_520
; %bb.509:
	s_cmp_gt_i32 s0, 24
	s_cbranch_scc0 .LBB9_521
; %bb.510:
	global_load_ubyte v5, v[0:1], off
	s_mov_b32 s1, 0
	s_mov_b32 s23, exec_lo
	s_waitcnt vmcnt(0)
	v_cmpx_lt_i16_e32 0x7f, v5
	s_xor_b32 s23, exec_lo, s23
	s_cbranch_execz .LBB9_514
; %bb.511:
	s_mov_b32 s1, -1
	s_mov_b32 s39, exec_lo
	v_cmpx_eq_u16_e32 0x80, v5
; %bb.512:
	s_xor_b32 s1, exec_lo, -1
; %bb.513:
	s_or_b32 exec_lo, exec_lo, s39
	s_and_b32 s1, s1, exec_lo
.LBB9_514:
	s_or_saveexec_b32 s23, s23
	v_bfrev_b32_e32 v3, 4
	v_mov_b32_e32 v4, 0x7ff80000
	s_xor_b32 exec_lo, exec_lo, s23
; %bb.515:
	v_cmp_ne_u16_e32 vcc_lo, 0, v5
	v_mov_b32_e32 v3, 0
	v_mov_b32_e32 v4, 0
	s_andn2_b32 s1, s1, exec_lo
	s_and_b32 s39, vcc_lo, exec_lo
	s_or_b32 s1, s1, s39
; %bb.516:
	s_or_b32 exec_lo, exec_lo, s23
	s_and_saveexec_b32 s23, s1
	s_cbranch_execz .LBB9_518
; %bb.517:
	v_and_b32_e32 v3, 0xffff, v5
	v_lshlrev_b32_e32 v5, 24, v5
	v_and_b32_e32 v4, 3, v3
	v_bfe_u32 v8, v3, 2, 5
	v_ffbh_u32_e32 v6, v4
	v_cmp_eq_u32_e32 vcc_lo, 0, v8
	v_min_u32_e32 v6, 32, v6
	v_subrev_nc_u32_e32 v7, 29, v6
	v_sub_nc_u32_e32 v6, 30, v6
	v_lshlrev_b32_e32 v3, v7, v3
	v_cndmask_b32_e32 v6, v8, v6, vcc_lo
	v_and_b32_e32 v3, 3, v3
	v_cndmask_b32_e32 v3, v4, v3, vcc_lo
	v_and_b32_e32 v4, 0x80000000, v5
	v_lshl_add_u32 v5, v6, 23, 0x37800000
	v_lshlrev_b32_e32 v3, 21, v3
	v_or3_b32 v3, v4, v5, v3
	v_cvt_f64_f32_e32 v[3:4], v3
.LBB9_518:
	s_or_b32 exec_lo, exec_lo, s23
	s_mov_b32 s1, 0
	s_branch .LBB9_522
.LBB9_519:
	s_mov_b32 s23, -1
                                        ; implicit-def: $vgpr3_vgpr4
	s_branch .LBB9_528
.LBB9_520:
	s_mov_b32 s1, -1
                                        ; implicit-def: $vgpr3_vgpr4
	s_branch .LBB9_525
.LBB9_521:
	s_mov_b32 s1, -1
                                        ; implicit-def: $vgpr3_vgpr4
.LBB9_522:
	s_and_b32 vcc_lo, exec_lo, s1
	s_cbranch_vccz .LBB9_524
; %bb.523:
	global_load_ubyte v3, v[0:1], off
	s_waitcnt vmcnt(0)
	v_lshlrev_b32_e32 v3, 24, v3
	v_and_b32_e32 v4, 0x7f000000, v3
	v_ffbh_u32_e32 v5, v4
	v_add_nc_u32_e32 v7, 0x1000000, v4
	v_cmp_ne_u32_e32 vcc_lo, 0, v4
	v_min_u32_e32 v5, 32, v5
	v_sub_nc_u32_e64 v5, v5, 4 clamp
	v_lshlrev_b32_e32 v6, v5, v4
	v_lshlrev_b32_e32 v5, 23, v5
	v_lshrrev_b32_e32 v6, 4, v6
	v_sub_nc_u32_e32 v5, v6, v5
	v_ashrrev_i32_e32 v6, 8, v7
	v_add_nc_u32_e32 v5, 0x3c000000, v5
	v_and_or_b32 v5, 0x7f800000, v6, v5
	v_cndmask_b32_e32 v4, 0, v5, vcc_lo
	v_and_or_b32 v3, 0x80000000, v3, v4
	v_cvt_f64_f32_e32 v[3:4], v3
.LBB9_524:
	s_mov_b32 s1, 0
.LBB9_525:
	s_andn2_b32 vcc_lo, exec_lo, s1
	s_cbranch_vccnz .LBB9_527
; %bb.526:
	global_load_ubyte v3, v[0:1], off
	s_waitcnt vmcnt(0)
	v_lshlrev_b32_e32 v4, 25, v3
	v_lshlrev_b16 v3, 8, v3
	v_lshrrev_b32_e32 v5, 4, v4
	v_and_or_b32 v6, 0x7f00, v3, 0.5
	v_cmp_gt_u32_e32 vcc_lo, 0x8000000, v4
	v_bfe_i32 v3, v3, 0, 16
	v_or_b32_e32 v5, 0x70000000, v5
	v_add_f32_e32 v6, -0.5, v6
	v_mul_f32_e32 v5, 0x7800000, v5
	v_cndmask_b32_e32 v4, v5, v6, vcc_lo
	v_and_or_b32 v3, 0x80000000, v3, v4
	v_cvt_f64_f32_e32 v[3:4], v3
.LBB9_527:
	s_mov_b32 s23, 0
	s_mov_b32 s1, -1
.LBB9_528:
	s_andn2_b32 vcc_lo, exec_lo, s23
	s_cbranch_vccnz .LBB9_539
; %bb.529:
	s_cmp_gt_i32 s0, 14
	s_cbranch_scc0 .LBB9_532
; %bb.530:
	s_cmp_eq_u32 s0, 15
	s_cbranch_scc0 .LBB9_533
; %bb.531:
	global_load_ushort v3, v[0:1], off
	s_mov_b32 s1, -1
	s_mov_b32 s22, 0
	s_waitcnt vmcnt(0)
	v_lshlrev_b32_e32 v3, 16, v3
	v_cvt_f64_f32_e32 v[3:4], v3
	s_branch .LBB9_534
.LBB9_532:
	s_mov_b32 s23, -1
                                        ; implicit-def: $vgpr3_vgpr4
	s_branch .LBB9_535
.LBB9_533:
	s_mov_b32 s22, -1
                                        ; implicit-def: $vgpr3_vgpr4
.LBB9_534:
	s_mov_b32 s23, 0
.LBB9_535:
	s_and_b32 vcc_lo, exec_lo, s23
	s_cbranch_vccz .LBB9_539
; %bb.536:
	s_cmp_eq_u32 s0, 11
	s_cbranch_scc0 .LBB9_538
; %bb.537:
	global_load_ubyte v3, v[0:1], off
	s_mov_b32 s22, 0
	s_mov_b32 s1, -1
	s_waitcnt vmcnt(0)
	v_cmp_ne_u16_e32 vcc_lo, 0, v3
	v_mov_b32_e32 v3, 0
	v_cndmask_b32_e64 v4, 0, 0x3ff00000, vcc_lo
	s_branch .LBB9_539
.LBB9_538:
	s_mov_b32 s22, -1
                                        ; implicit-def: $vgpr3_vgpr4
.LBB9_539:
	s_branch .LBB9_317
.LBB9_540:
	s_cmp_lt_i32 s0, 5
	s_cbranch_scc1 .LBB9_545
; %bb.541:
	s_cmp_lt_i32 s0, 8
	s_cbranch_scc1 .LBB9_546
; %bb.542:
	;; [unrolled: 3-line block ×3, first 2 shown]
	s_cmp_gt_i32 s0, 9
	s_cbranch_scc0 .LBB9_548
; %bb.544:
	global_load_dwordx2 v[3:4], v[0:1], off
	s_mov_b32 s1, 0
	s_branch .LBB9_549
.LBB9_545:
	s_mov_b32 s1, -1
                                        ; implicit-def: $vgpr3_vgpr4
	s_branch .LBB9_567
.LBB9_546:
	s_mov_b32 s1, -1
                                        ; implicit-def: $vgpr3_vgpr4
	s_branch .LBB9_555
.LBB9_547:
	s_mov_b32 s1, -1
                                        ; implicit-def: $vgpr3_vgpr4
	s_branch .LBB9_552
.LBB9_548:
	s_mov_b32 s1, -1
                                        ; implicit-def: $vgpr3_vgpr4
.LBB9_549:
	s_andn2_b32 vcc_lo, exec_lo, s1
	s_cbranch_vccnz .LBB9_551
; %bb.550:
	global_load_dword v3, v[0:1], off
	s_waitcnt vmcnt(0)
	v_cvt_f64_f32_e32 v[3:4], v3
.LBB9_551:
	s_mov_b32 s1, 0
.LBB9_552:
	s_andn2_b32 vcc_lo, exec_lo, s1
	s_cbranch_vccnz .LBB9_554
; %bb.553:
	global_load_dword v3, v[0:1], off
	s_waitcnt vmcnt(0)
	v_cvt_f32_f16_e32 v3, v3
	v_cvt_f64_f32_e32 v[3:4], v3
.LBB9_554:
	s_mov_b32 s1, 0
.LBB9_555:
	s_andn2_b32 vcc_lo, exec_lo, s1
	s_cbranch_vccnz .LBB9_566
; %bb.556:
	s_cmp_lt_i32 s0, 6
	s_cbranch_scc1 .LBB9_559
; %bb.557:
	s_cmp_gt_i32 s0, 6
	s_cbranch_scc0 .LBB9_560
; %bb.558:
	global_load_dwordx2 v[3:4], v[0:1], off
	s_mov_b32 s1, 0
	s_branch .LBB9_561
.LBB9_559:
	s_mov_b32 s1, -1
                                        ; implicit-def: $vgpr3_vgpr4
	s_branch .LBB9_564
.LBB9_560:
	s_mov_b32 s1, -1
                                        ; implicit-def: $vgpr3_vgpr4
.LBB9_561:
	s_andn2_b32 vcc_lo, exec_lo, s1
	s_cbranch_vccnz .LBB9_563
; %bb.562:
	global_load_dword v3, v[0:1], off
	s_waitcnt vmcnt(0)
	v_cvt_f64_f32_e32 v[3:4], v3
.LBB9_563:
	s_mov_b32 s1, 0
.LBB9_564:
	s_andn2_b32 vcc_lo, exec_lo, s1
	s_cbranch_vccnz .LBB9_566
; %bb.565:
	global_load_ushort v3, v[0:1], off
	s_waitcnt vmcnt(0)
	v_cvt_f32_f16_e32 v3, v3
	v_cvt_f64_f32_e32 v[3:4], v3
.LBB9_566:
	s_mov_b32 s1, 0
.LBB9_567:
	s_andn2_b32 vcc_lo, exec_lo, s1
	s_cbranch_vccnz .LBB9_587
; %bb.568:
	s_cmp_lt_i32 s0, 2
	s_cbranch_scc1 .LBB9_572
; %bb.569:
	s_cmp_lt_i32 s0, 3
	s_cbranch_scc1 .LBB9_573
; %bb.570:
	s_cmp_gt_i32 s0, 3
	s_cbranch_scc0 .LBB9_574
; %bb.571:
	global_load_dwordx2 v[3:4], v[0:1], off
	s_mov_b32 s1, 0
	s_waitcnt vmcnt(0)
	v_cvt_f64_i32_e32 v[4:5], v4
	v_cvt_f64_u32_e32 v[6:7], v3
	v_ldexp_f64 v[4:5], v[4:5], 32
	v_add_f64 v[3:4], v[4:5], v[6:7]
	s_branch .LBB9_575
.LBB9_572:
	s_mov_b32 s1, -1
                                        ; implicit-def: $vgpr3_vgpr4
	s_branch .LBB9_581
.LBB9_573:
	s_mov_b32 s1, -1
                                        ; implicit-def: $vgpr3_vgpr4
	s_branch .LBB9_578
.LBB9_574:
	s_mov_b32 s1, -1
                                        ; implicit-def: $vgpr3_vgpr4
.LBB9_575:
	s_andn2_b32 vcc_lo, exec_lo, s1
	s_cbranch_vccnz .LBB9_577
; %bb.576:
	global_load_dword v3, v[0:1], off
	s_waitcnt vmcnt(0)
	v_cvt_f64_i32_e32 v[3:4], v3
.LBB9_577:
	s_mov_b32 s1, 0
.LBB9_578:
	s_andn2_b32 vcc_lo, exec_lo, s1
	s_cbranch_vccnz .LBB9_580
; %bb.579:
	global_load_sshort v3, v[0:1], off
	s_waitcnt vmcnt(0)
	v_cvt_f64_i32_e32 v[3:4], v3
.LBB9_580:
	s_mov_b32 s1, 0
.LBB9_581:
	s_andn2_b32 vcc_lo, exec_lo, s1
	s_cbranch_vccnz .LBB9_587
; %bb.582:
	s_cmp_gt_i32 s0, 0
	s_mov_b32 s0, 0
	s_cbranch_scc0 .LBB9_584
; %bb.583:
	global_load_sbyte v3, v[0:1], off
	s_waitcnt vmcnt(0)
	v_cvt_f64_i32_e32 v[3:4], v3
	s_branch .LBB9_585
.LBB9_584:
	s_mov_b32 s0, -1
                                        ; implicit-def: $vgpr3_vgpr4
.LBB9_585:
	s_andn2_b32 vcc_lo, exec_lo, s0
	s_cbranch_vccnz .LBB9_587
; %bb.586:
	global_load_ubyte v0, v[0:1], off
	s_waitcnt vmcnt(0)
	v_cvt_f64_u32_e32 v[3:4], v0
.LBB9_587:
	s_branch .LBB9_318
.LBB9_588:
	s_mov_b32 s1, 0
	s_mov_b32 s0, s36
.LBB9_589:
                                        ; implicit-def: $vgpr11
.LBB9_590:
	s_andn2_b32 s23, s36, exec_lo
	s_and_b32 s0, s0, exec_lo
	s_andn2_b32 s39, s37, exec_lo
	s_and_b32 s22, s22, exec_lo
	s_or_b32 s40, s23, s0
	s_or_b32 s39, s39, s22
	s_orn2_b32 s0, s1, exec_lo
.LBB9_591:
	s_or_b32 exec_lo, exec_lo, s41
	s_mov_b32 s1, 0
	s_mov_b32 s23, 0
	;; [unrolled: 1-line block ×3, first 2 shown]
                                        ; implicit-def: $vgpr0_vgpr1
                                        ; implicit-def: $vgpr2
                                        ; implicit-def: $vgpr3_vgpr4
	s_and_saveexec_b32 s41, s0
	s_cbranch_execz .LBB9_992
; %bb.592:
	s_mov_b32 s44, -1
	s_mov_b32 s22, s39
	s_mov_b32 s23, s40
	s_mov_b32 s42, exec_lo
	v_cmpx_gt_i32_e64 s33, v11
	s_cbranch_execz .LBB9_891
; %bb.593:
	s_andn2_b32 vcc_lo, exec_lo, s27
	s_cbranch_vccnz .LBB9_598
; %bb.594:
	s_andn2_b32 vcc_lo, exec_lo, s34
	s_cbranch_vccnz .LBB9_599
; %bb.595:
	s_add_i32 s44, s35, 1
	s_cmp_eq_u32 s25, 2
	s_cbranch_scc1 .LBB9_600
; %bb.596:
	v_mov_b32_e32 v0, 0
	v_mov_b32_e32 v2, 0
	;; [unrolled: 1-line block ×3, first 2 shown]
	s_and_b32 s43, s44, 28
	s_mov_b32 s45, 0
	s_mov_b64 s[0:1], s[2:3]
	s_mov_b64 s[22:23], s[20:21]
.LBB9_597:                              ; =>This Inner Loop Header: Depth=1
	s_clause 0x1
	s_load_dwordx8 s[48:55], s[0:1], 0x4
	s_load_dwordx4 s[64:67], s[0:1], 0x24
	s_load_dwordx8 s[56:63], s[22:23], 0x0
	s_add_u32 s0, s0, 48
	s_addc_u32 s1, s1, 0
	s_add_i32 s45, s45, 4
	s_add_u32 s22, s22, 32
	s_addc_u32 s23, s23, 0
	s_cmp_eq_u32 s43, s45
	s_waitcnt vmcnt(0) lgkmcnt(0)
	v_mul_hi_u32 v3, s49, v1
	v_add_nc_u32_e32 v3, v1, v3
	v_lshrrev_b32_e32 v3, s50, v3
	v_mul_hi_u32 v4, s52, v3
	v_mul_lo_u32 v6, v3, s48
	v_add_nc_u32_e32 v4, v3, v4
	v_sub_nc_u32_e32 v1, v1, v6
	v_lshrrev_b32_e32 v4, s53, v4
	v_mul_lo_u32 v6, v1, s56
	v_mul_lo_u32 v8, v1, s57
	v_mul_hi_u32 v5, s55, v4
	v_add_nc_u32_e32 v5, v4, v5
	v_lshrrev_b32_e32 v5, s64, v5
	v_mul_hi_u32 v7, s66, v5
	v_mul_lo_u32 v9, v5, s54
	v_add_nc_u32_e32 v1, v5, v7
	v_mul_lo_u32 v7, v4, s51
	v_sub_nc_u32_e32 v4, v4, v9
	v_lshrrev_b32_e32 v1, s67, v1
	v_mul_lo_u32 v9, v4, s60
	v_mul_lo_u32 v4, v4, s61
	v_sub_nc_u32_e32 v3, v3, v7
	v_mul_lo_u32 v10, v1, s65
	v_mul_lo_u32 v7, v3, s58
	;; [unrolled: 1-line block ×3, first 2 shown]
	v_sub_nc_u32_e32 v5, v5, v10
	v_add3_u32 v2, v6, v2, v7
	v_mul_lo_u32 v10, v5, s62
	v_mul_lo_u32 v5, v5, s63
	v_add3_u32 v0, v8, v0, v3
	v_add3_u32 v2, v9, v2, v10
	;; [unrolled: 1-line block ×3, first 2 shown]
	s_cbranch_scc0 .LBB9_597
	s_branch .LBB9_601
.LBB9_598:
	s_mov_b32 s0, -1
                                        ; implicit-def: $vgpr2
                                        ; implicit-def: $vgpr0
	s_branch .LBB9_605
.LBB9_599:
	v_mov_b32_e32 v2, 0
	v_mov_b32_e32 v0, 0
	s_branch .LBB9_604
.LBB9_600:
	v_mov_b32_e32 v2, 0
	v_mov_b32_e32 v0, 0
	;; [unrolled: 1-line block ×3, first 2 shown]
	s_mov_b32 s43, 0
.LBB9_601:
	s_and_b32 s44, s44, 3
	s_cmp_eq_u32 s44, 0
	s_cbranch_scc1 .LBB9_604
; %bb.602:
	s_lshl_b32 s0, s43, 3
	s_mul_i32 s22, s43, 12
	s_add_u32 s0, s2, s0
	s_addc_u32 s1, s3, 0
	s_add_u32 s0, s0, 0xc4
	s_addc_u32 s1, s1, 0
	;; [unrolled: 2-line block ×3, first 2 shown]
	.p2align	6
.LBB9_603:                              ; =>This Inner Loop Header: Depth=1
	s_clause 0x1
	s_load_dwordx2 s[46:47], s[22:23], 0x4
	s_load_dword s43, s[22:23], 0xc
	s_load_dwordx2 s[48:49], s[0:1], 0x0
	s_add_u32 s22, s22, 12
	s_addc_u32 s23, s23, 0
	s_add_u32 s0, s0, 8
	s_addc_u32 s1, s1, 0
	s_add_i32 s44, s44, -1
	s_cmp_lg_u32 s44, 0
	s_waitcnt vmcnt(0) lgkmcnt(0)
	v_mul_hi_u32 v3, s47, v1
	v_add_nc_u32_e32 v3, v1, v3
	v_lshrrev_b32_e32 v4, s43, v3
	v_mul_lo_u32 v3, v4, s46
	v_sub_nc_u32_e32 v1, v1, v3
	v_mad_u64_u32 v[2:3], null, v1, s48, v[2:3]
	v_mad_u64_u32 v[0:1], null, v1, s49, v[0:1]
	v_mov_b32_e32 v1, v4
	s_cbranch_scc1 .LBB9_603
.LBB9_604:
	s_mov_b32 s0, 0
.LBB9_605:
	s_andn2_b32 vcc_lo, exec_lo, s0
	s_cbranch_vccnz .LBB9_608
; %bb.606:
	s_waitcnt lgkmcnt(0)
	v_mul_hi_u32 v0, s17, v11
	s_andn2_b32 vcc_lo, exec_lo, s31
	v_add_nc_u32_e32 v0, v11, v0
	v_lshrrev_b32_e32 v1, s18, v0
	v_mul_lo_u32 v0, v1, s16
	v_sub_nc_u32_e32 v0, v11, v0
	v_mul_lo_u32 v2, v0, s12
	v_mul_lo_u32 v0, v0, s13
	s_cbranch_vccnz .LBB9_608
; %bb.607:
	s_waitcnt vmcnt(0)
	v_mul_hi_u32 v3, s6, v1
	v_add_nc_u32_e32 v3, v1, v3
	v_lshrrev_b32_e32 v3, s7, v3
	v_mul_lo_u32 v3, v3, s19
	v_sub_nc_u32_e32 v1, v1, v3
	v_mad_u64_u32 v[2:3], null, v1, s14, v[2:3]
	v_mad_u64_u32 v[0:1], null, v1, s15, v[0:1]
.LBB9_608:
	s_waitcnt lgkmcnt(0)
	v_add_co_u32 v0, s0, s10, v0
	v_add_co_ci_u32_e64 v1, null, s11, 0, s0
	s_and_b32 s0, 0xffff, s30
	s_cmp_lt_i32 s0, 11
	s_cbranch_scc1 .LBB9_615
; %bb.609:
	s_cmp_gt_i32 s0, 25
	s_cbranch_scc0 .LBB9_616
; %bb.610:
	s_cmp_gt_i32 s0, 28
	s_cbranch_scc0 .LBB9_617
	;; [unrolled: 3-line block ×4, first 2 shown]
; %bb.613:
	s_cmp_eq_u32 s0, 46
	s_mov_b32 s23, 0
	s_cbranch_scc0 .LBB9_624
; %bb.614:
	global_load_dword v3, v[0:1], off
	s_mov_b32 s1, -1
	s_mov_b32 s22, 0
	s_waitcnt vmcnt(0)
	v_lshlrev_b32_e32 v3, 16, v3
	v_cvt_f64_f32_e32 v[3:4], v3
	s_branch .LBB9_626
.LBB9_615:
	s_mov_b32 s23, -1
	s_mov_b32 s1, 0
	s_mov_b32 s22, s39
                                        ; implicit-def: $vgpr3_vgpr4
	s_branch .LBB9_691
.LBB9_616:
	s_mov_b32 s23, -1
	s_mov_b32 s1, 0
	s_mov_b32 s22, s39
                                        ; implicit-def: $vgpr3_vgpr4
	s_branch .LBB9_657
.LBB9_617:
	s_mov_b32 s23, -1
	s_mov_b32 s1, 0
	s_mov_b32 s22, s39
                                        ; implicit-def: $vgpr3_vgpr4
	s_branch .LBB9_636
.LBB9_618:
	s_mov_b32 s23, -1
	s_mov_b32 s1, 0
	s_mov_b32 s22, s39
                                        ; implicit-def: $vgpr3_vgpr4
	s_branch .LBB9_631
.LBB9_619:
	s_andn2_saveexec_b32 s42, s42
	s_cbranch_execz .LBB9_388
.LBB9_620:
	v_add_f32_e64 v3, 0x46000000, |v2|
	s_andn2_b32 s40, s40, exec_lo
	v_and_b32_e32 v3, 0xff, v3
	v_cmp_ne_u32_e32 vcc_lo, 0, v3
	s_and_b32 s43, vcc_lo, exec_lo
	s_or_b32 s40, s40, s43
	s_or_b32 exec_lo, exec_lo, s42
	v_mov_b32_e32 v6, 0
	s_and_saveexec_b32 s42, s40
	s_cbranch_execnz .LBB9_389
	s_branch .LBB9_390
.LBB9_621:
	s_mov_b32 s23, -1
	s_mov_b32 s1, 0
	s_mov_b32 s22, s39
	s_branch .LBB9_625
.LBB9_622:
	s_andn2_saveexec_b32 s42, s42
	s_cbranch_execz .LBB9_401
.LBB9_623:
	v_add_f32_e64 v3, 0x42800000, |v2|
	s_andn2_b32 s40, s40, exec_lo
	v_and_b32_e32 v3, 0xff, v3
	v_cmp_ne_u32_e32 vcc_lo, 0, v3
	s_and_b32 s43, vcc_lo, exec_lo
	s_or_b32 s40, s40, s43
	s_or_b32 exec_lo, exec_lo, s42
	v_mov_b32_e32 v6, 0
	s_and_saveexec_b32 s42, s40
	s_cbranch_execnz .LBB9_402
	s_branch .LBB9_403
.LBB9_624:
	s_mov_b32 s22, -1
	s_mov_b32 s1, 0
.LBB9_625:
                                        ; implicit-def: $vgpr3_vgpr4
.LBB9_626:
	s_and_b32 vcc_lo, exec_lo, s23
	s_cbranch_vccz .LBB9_630
; %bb.627:
	s_cmp_eq_u32 s0, 44
	s_cbranch_scc0 .LBB9_629
; %bb.628:
	global_load_ubyte v5, v[0:1], off
	s_mov_b32 s22, 0
	s_mov_b32 s1, -1
	s_waitcnt vmcnt(0)
	v_lshlrev_b32_e32 v3, 23, v5
	v_cmp_ne_u32_e32 vcc_lo, 0xff, v5
	v_cvt_f64_f32_e32 v[3:4], v3
	v_cndmask_b32_e32 v3, 0x20000000, v3, vcc_lo
	v_cndmask_b32_e32 v4, 0x7ff80000, v4, vcc_lo
	v_cmp_ne_u32_e32 vcc_lo, 0, v5
	v_cndmask_b32_e32 v4, 0x38000000, v4, vcc_lo
	v_cndmask_b32_e32 v3, 0, v3, vcc_lo
	s_branch .LBB9_630
.LBB9_629:
	s_mov_b32 s22, -1
                                        ; implicit-def: $vgpr3_vgpr4
.LBB9_630:
	s_mov_b32 s23, 0
.LBB9_631:
	s_and_b32 vcc_lo, exec_lo, s23
	s_cbranch_vccz .LBB9_635
; %bb.632:
	s_cmp_eq_u32 s0, 29
	s_cbranch_scc0 .LBB9_634
; %bb.633:
	global_load_dwordx2 v[3:4], v[0:1], off
	s_mov_b32 s1, -1
	s_mov_b32 s22, 0
	s_mov_b32 s23, 0
	s_waitcnt vmcnt(0)
	v_cvt_f64_u32_e32 v[4:5], v4
	v_cvt_f64_u32_e32 v[6:7], v3
	v_ldexp_f64 v[4:5], v[4:5], 32
	v_add_f64 v[3:4], v[4:5], v[6:7]
	s_branch .LBB9_636
.LBB9_634:
	s_mov_b32 s22, -1
                                        ; implicit-def: $vgpr3_vgpr4
.LBB9_635:
	s_mov_b32 s23, 0
.LBB9_636:
	s_and_b32 vcc_lo, exec_lo, s23
	s_cbranch_vccz .LBB9_656
; %bb.637:
	s_cmp_lt_i32 s0, 27
	s_cbranch_scc1 .LBB9_640
; %bb.638:
	s_cmp_gt_i32 s0, 27
	s_cbranch_scc0 .LBB9_641
; %bb.639:
	global_load_dword v3, v[0:1], off
	s_mov_b32 s1, 0
	s_waitcnt vmcnt(0)
	v_cvt_f64_u32_e32 v[3:4], v3
	s_branch .LBB9_642
.LBB9_640:
	s_mov_b32 s1, -1
                                        ; implicit-def: $vgpr3_vgpr4
	s_branch .LBB9_645
.LBB9_641:
	s_mov_b32 s1, -1
                                        ; implicit-def: $vgpr3_vgpr4
.LBB9_642:
	s_andn2_b32 vcc_lo, exec_lo, s1
	s_cbranch_vccnz .LBB9_644
; %bb.643:
	global_load_ushort v3, v[0:1], off
	s_waitcnt vmcnt(0)
	v_cvt_f64_u32_e32 v[3:4], v3
.LBB9_644:
	s_mov_b32 s1, 0
.LBB9_645:
	s_andn2_b32 vcc_lo, exec_lo, s1
	s_cbranch_vccnz .LBB9_655
; %bb.646:
	global_load_ubyte v5, v[0:1], off
	s_mov_b32 s1, 0
	s_mov_b32 s23, exec_lo
	s_waitcnt vmcnt(0)
	v_cmpx_lt_i16_e32 0x7f, v5
	s_xor_b32 s23, exec_lo, s23
	s_cbranch_execz .LBB9_650
; %bb.647:
	s_mov_b32 s1, -1
	s_mov_b32 s43, exec_lo
	v_cmpx_eq_u16_e32 0x80, v5
; %bb.648:
	s_xor_b32 s1, exec_lo, -1
; %bb.649:
	s_or_b32 exec_lo, exec_lo, s43
	s_and_b32 s1, s1, exec_lo
.LBB9_650:
	s_or_saveexec_b32 s23, s23
	v_bfrev_b32_e32 v3, 4
	v_mov_b32_e32 v4, 0x7ff80000
	s_xor_b32 exec_lo, exec_lo, s23
; %bb.651:
	v_cmp_ne_u16_e32 vcc_lo, 0, v5
	v_mov_b32_e32 v3, 0
	v_mov_b32_e32 v4, 0
	s_andn2_b32 s1, s1, exec_lo
	s_and_b32 s43, vcc_lo, exec_lo
	s_or_b32 s1, s1, s43
; %bb.652:
	s_or_b32 exec_lo, exec_lo, s23
	s_and_saveexec_b32 s23, s1
	s_cbranch_execz .LBB9_654
; %bb.653:
	v_and_b32_e32 v3, 0xffff, v5
	v_lshlrev_b32_e32 v5, 24, v5
	v_and_b32_e32 v4, 7, v3
	v_bfe_u32 v8, v3, 3, 4
	v_ffbh_u32_e32 v6, v4
	v_cmp_eq_u32_e32 vcc_lo, 0, v8
	v_min_u32_e32 v6, 32, v6
	v_subrev_nc_u32_e32 v7, 28, v6
	v_sub_nc_u32_e32 v6, 29, v6
	v_lshlrev_b32_e32 v3, v7, v3
	v_cndmask_b32_e32 v6, v8, v6, vcc_lo
	v_and_b32_e32 v3, 7, v3
	v_cndmask_b32_e32 v3, v4, v3, vcc_lo
	v_and_b32_e32 v4, 0x80000000, v5
	v_lshl_add_u32 v5, v6, 23, 0x3b800000
	v_lshlrev_b32_e32 v3, 20, v3
	v_or3_b32 v3, v4, v5, v3
	v_cvt_f64_f32_e32 v[3:4], v3
.LBB9_654:
	s_or_b32 exec_lo, exec_lo, s23
.LBB9_655:
	s_mov_b32 s1, -1
.LBB9_656:
	s_mov_b32 s23, 0
.LBB9_657:
	s_and_b32 vcc_lo, exec_lo, s23
	s_cbranch_vccz .LBB9_690
; %bb.658:
	s_cmp_gt_i32 s0, 22
	s_cbranch_scc0 .LBB9_670
; %bb.659:
	s_cmp_lt_i32 s0, 24
	s_cbranch_scc1 .LBB9_671
; %bb.660:
	s_cmp_gt_i32 s0, 24
	s_cbranch_scc0 .LBB9_672
; %bb.661:
	global_load_ubyte v5, v[0:1], off
	s_mov_b32 s1, 0
	s_mov_b32 s23, exec_lo
	s_waitcnt vmcnt(0)
	v_cmpx_lt_i16_e32 0x7f, v5
	s_xor_b32 s23, exec_lo, s23
	s_cbranch_execz .LBB9_665
; %bb.662:
	s_mov_b32 s1, -1
	s_mov_b32 s43, exec_lo
	v_cmpx_eq_u16_e32 0x80, v5
; %bb.663:
	s_xor_b32 s1, exec_lo, -1
; %bb.664:
	s_or_b32 exec_lo, exec_lo, s43
	s_and_b32 s1, s1, exec_lo
.LBB9_665:
	s_or_saveexec_b32 s23, s23
	v_bfrev_b32_e32 v3, 4
	v_mov_b32_e32 v4, 0x7ff80000
	s_xor_b32 exec_lo, exec_lo, s23
; %bb.666:
	v_cmp_ne_u16_e32 vcc_lo, 0, v5
	v_mov_b32_e32 v3, 0
	v_mov_b32_e32 v4, 0
	s_andn2_b32 s1, s1, exec_lo
	s_and_b32 s43, vcc_lo, exec_lo
	s_or_b32 s1, s1, s43
; %bb.667:
	s_or_b32 exec_lo, exec_lo, s23
	s_and_saveexec_b32 s23, s1
	s_cbranch_execz .LBB9_669
; %bb.668:
	v_and_b32_e32 v3, 0xffff, v5
	v_lshlrev_b32_e32 v5, 24, v5
	v_and_b32_e32 v4, 3, v3
	v_bfe_u32 v8, v3, 2, 5
	v_ffbh_u32_e32 v6, v4
	v_cmp_eq_u32_e32 vcc_lo, 0, v8
	v_min_u32_e32 v6, 32, v6
	v_subrev_nc_u32_e32 v7, 29, v6
	v_sub_nc_u32_e32 v6, 30, v6
	v_lshlrev_b32_e32 v3, v7, v3
	v_cndmask_b32_e32 v6, v8, v6, vcc_lo
	v_and_b32_e32 v3, 3, v3
	v_cndmask_b32_e32 v3, v4, v3, vcc_lo
	v_and_b32_e32 v4, 0x80000000, v5
	v_lshl_add_u32 v5, v6, 23, 0x37800000
	v_lshlrev_b32_e32 v3, 21, v3
	v_or3_b32 v3, v4, v5, v3
	v_cvt_f64_f32_e32 v[3:4], v3
.LBB9_669:
	s_or_b32 exec_lo, exec_lo, s23
	s_mov_b32 s1, 0
	s_branch .LBB9_673
.LBB9_670:
	s_mov_b32 s23, -1
                                        ; implicit-def: $vgpr3_vgpr4
	s_branch .LBB9_679
.LBB9_671:
	s_mov_b32 s1, -1
                                        ; implicit-def: $vgpr3_vgpr4
	s_branch .LBB9_676
.LBB9_672:
	s_mov_b32 s1, -1
                                        ; implicit-def: $vgpr3_vgpr4
.LBB9_673:
	s_and_b32 vcc_lo, exec_lo, s1
	s_cbranch_vccz .LBB9_675
; %bb.674:
	global_load_ubyte v3, v[0:1], off
	s_waitcnt vmcnt(0)
	v_lshlrev_b32_e32 v3, 24, v3
	v_and_b32_e32 v4, 0x7f000000, v3
	v_ffbh_u32_e32 v5, v4
	v_add_nc_u32_e32 v7, 0x1000000, v4
	v_cmp_ne_u32_e32 vcc_lo, 0, v4
	v_min_u32_e32 v5, 32, v5
	v_sub_nc_u32_e64 v5, v5, 4 clamp
	v_lshlrev_b32_e32 v6, v5, v4
	v_lshlrev_b32_e32 v5, 23, v5
	v_lshrrev_b32_e32 v6, 4, v6
	v_sub_nc_u32_e32 v5, v6, v5
	v_ashrrev_i32_e32 v6, 8, v7
	v_add_nc_u32_e32 v5, 0x3c000000, v5
	v_and_or_b32 v5, 0x7f800000, v6, v5
	v_cndmask_b32_e32 v4, 0, v5, vcc_lo
	v_and_or_b32 v3, 0x80000000, v3, v4
	v_cvt_f64_f32_e32 v[3:4], v3
.LBB9_675:
	s_mov_b32 s1, 0
.LBB9_676:
	s_andn2_b32 vcc_lo, exec_lo, s1
	s_cbranch_vccnz .LBB9_678
; %bb.677:
	global_load_ubyte v3, v[0:1], off
	s_waitcnt vmcnt(0)
	v_lshlrev_b32_e32 v4, 25, v3
	v_lshlrev_b16 v3, 8, v3
	v_lshrrev_b32_e32 v5, 4, v4
	v_and_or_b32 v6, 0x7f00, v3, 0.5
	v_cmp_gt_u32_e32 vcc_lo, 0x8000000, v4
	v_bfe_i32 v3, v3, 0, 16
	v_or_b32_e32 v5, 0x70000000, v5
	v_add_f32_e32 v6, -0.5, v6
	v_mul_f32_e32 v5, 0x7800000, v5
	v_cndmask_b32_e32 v4, v5, v6, vcc_lo
	v_and_or_b32 v3, 0x80000000, v3, v4
	v_cvt_f64_f32_e32 v[3:4], v3
.LBB9_678:
	s_mov_b32 s23, 0
	s_mov_b32 s1, -1
.LBB9_679:
	s_andn2_b32 vcc_lo, exec_lo, s23
	s_cbranch_vccnz .LBB9_690
; %bb.680:
	s_cmp_gt_i32 s0, 14
	s_cbranch_scc0 .LBB9_683
; %bb.681:
	s_cmp_eq_u32 s0, 15
	s_cbranch_scc0 .LBB9_684
; %bb.682:
	global_load_ushort v3, v[0:1], off
	s_mov_b32 s1, -1
	s_mov_b32 s22, 0
	s_waitcnt vmcnt(0)
	v_lshlrev_b32_e32 v3, 16, v3
	v_cvt_f64_f32_e32 v[3:4], v3
	s_branch .LBB9_685
.LBB9_683:
	s_mov_b32 s23, -1
                                        ; implicit-def: $vgpr3_vgpr4
	s_branch .LBB9_686
.LBB9_684:
	s_mov_b32 s22, -1
                                        ; implicit-def: $vgpr3_vgpr4
.LBB9_685:
	s_mov_b32 s23, 0
.LBB9_686:
	s_and_b32 vcc_lo, exec_lo, s23
	s_cbranch_vccz .LBB9_690
; %bb.687:
	s_cmp_eq_u32 s0, 11
	s_cbranch_scc0 .LBB9_689
; %bb.688:
	global_load_ubyte v3, v[0:1], off
	s_mov_b32 s22, 0
	s_mov_b32 s1, -1
	s_waitcnt vmcnt(0)
	v_cmp_ne_u16_e32 vcc_lo, 0, v3
	v_mov_b32_e32 v3, 0
	v_cndmask_b32_e64 v4, 0, 0x3ff00000, vcc_lo
	s_branch .LBB9_690
.LBB9_689:
	s_mov_b32 s22, -1
                                        ; implicit-def: $vgpr3_vgpr4
.LBB9_690:
	s_mov_b32 s23, 0
.LBB9_691:
	s_and_b32 vcc_lo, exec_lo, s23
	s_cbranch_vccz .LBB9_740
; %bb.692:
	s_cmp_lt_i32 s0, 5
	s_cbranch_scc1 .LBB9_697
; %bb.693:
	s_cmp_lt_i32 s0, 8
	s_cbranch_scc1 .LBB9_698
; %bb.694:
	s_cmp_lt_i32 s0, 9
	s_cbranch_scc1 .LBB9_699
; %bb.695:
	s_cmp_gt_i32 s0, 9
	s_cbranch_scc0 .LBB9_700
; %bb.696:
	global_load_dwordx2 v[3:4], v[0:1], off
	s_mov_b32 s1, 0
	s_branch .LBB9_701
.LBB9_697:
	s_mov_b32 s1, -1
                                        ; implicit-def: $vgpr3_vgpr4
	s_branch .LBB9_719
.LBB9_698:
	s_mov_b32 s1, -1
                                        ; implicit-def: $vgpr3_vgpr4
	s_branch .LBB9_707
.LBB9_699:
	s_mov_b32 s1, -1
                                        ; implicit-def: $vgpr3_vgpr4
	s_branch .LBB9_704
.LBB9_700:
	s_mov_b32 s1, -1
                                        ; implicit-def: $vgpr3_vgpr4
.LBB9_701:
	s_andn2_b32 vcc_lo, exec_lo, s1
	s_cbranch_vccnz .LBB9_703
; %bb.702:
	global_load_dword v3, v[0:1], off
	s_waitcnt vmcnt(0)
	v_cvt_f64_f32_e32 v[3:4], v3
.LBB9_703:
	s_mov_b32 s1, 0
.LBB9_704:
	s_andn2_b32 vcc_lo, exec_lo, s1
	s_cbranch_vccnz .LBB9_706
; %bb.705:
	global_load_dword v3, v[0:1], off
	s_waitcnt vmcnt(0)
	v_cvt_f32_f16_e32 v3, v3
	v_cvt_f64_f32_e32 v[3:4], v3
.LBB9_706:
	s_mov_b32 s1, 0
.LBB9_707:
	s_andn2_b32 vcc_lo, exec_lo, s1
	s_cbranch_vccnz .LBB9_718
; %bb.708:
	s_cmp_lt_i32 s0, 6
	s_cbranch_scc1 .LBB9_711
; %bb.709:
	s_cmp_gt_i32 s0, 6
	s_cbranch_scc0 .LBB9_712
; %bb.710:
	global_load_dwordx2 v[3:4], v[0:1], off
	s_mov_b32 s1, 0
	s_branch .LBB9_713
.LBB9_711:
	s_mov_b32 s1, -1
                                        ; implicit-def: $vgpr3_vgpr4
	s_branch .LBB9_716
.LBB9_712:
	s_mov_b32 s1, -1
                                        ; implicit-def: $vgpr3_vgpr4
.LBB9_713:
	s_andn2_b32 vcc_lo, exec_lo, s1
	s_cbranch_vccnz .LBB9_715
; %bb.714:
	global_load_dword v3, v[0:1], off
	s_waitcnt vmcnt(0)
	v_cvt_f64_f32_e32 v[3:4], v3
.LBB9_715:
	s_mov_b32 s1, 0
.LBB9_716:
	s_andn2_b32 vcc_lo, exec_lo, s1
	s_cbranch_vccnz .LBB9_718
; %bb.717:
	global_load_ushort v3, v[0:1], off
	s_waitcnt vmcnt(0)
	v_cvt_f32_f16_e32 v3, v3
	v_cvt_f64_f32_e32 v[3:4], v3
.LBB9_718:
	s_mov_b32 s1, 0
.LBB9_719:
	s_andn2_b32 vcc_lo, exec_lo, s1
	s_cbranch_vccnz .LBB9_739
; %bb.720:
	s_cmp_lt_i32 s0, 2
	s_cbranch_scc1 .LBB9_724
; %bb.721:
	s_cmp_lt_i32 s0, 3
	s_cbranch_scc1 .LBB9_725
; %bb.722:
	s_cmp_gt_i32 s0, 3
	s_cbranch_scc0 .LBB9_726
; %bb.723:
	global_load_dwordx2 v[3:4], v[0:1], off
	s_mov_b32 s1, 0
	s_waitcnt vmcnt(0)
	v_cvt_f64_i32_e32 v[4:5], v4
	v_cvt_f64_u32_e32 v[6:7], v3
	v_ldexp_f64 v[4:5], v[4:5], 32
	v_add_f64 v[3:4], v[4:5], v[6:7]
	s_branch .LBB9_727
.LBB9_724:
	s_mov_b32 s1, -1
                                        ; implicit-def: $vgpr3_vgpr4
	s_branch .LBB9_733
.LBB9_725:
	s_mov_b32 s1, -1
                                        ; implicit-def: $vgpr3_vgpr4
	s_branch .LBB9_730
.LBB9_726:
	s_mov_b32 s1, -1
                                        ; implicit-def: $vgpr3_vgpr4
.LBB9_727:
	s_andn2_b32 vcc_lo, exec_lo, s1
	s_cbranch_vccnz .LBB9_729
; %bb.728:
	global_load_dword v3, v[0:1], off
	s_waitcnt vmcnt(0)
	v_cvt_f64_i32_e32 v[3:4], v3
.LBB9_729:
	s_mov_b32 s1, 0
.LBB9_730:
	s_andn2_b32 vcc_lo, exec_lo, s1
	s_cbranch_vccnz .LBB9_732
; %bb.731:
	global_load_sshort v3, v[0:1], off
	s_waitcnt vmcnt(0)
	v_cvt_f64_i32_e32 v[3:4], v3
.LBB9_732:
	s_mov_b32 s1, 0
.LBB9_733:
	s_andn2_b32 vcc_lo, exec_lo, s1
	s_cbranch_vccnz .LBB9_739
; %bb.734:
	s_cmp_gt_i32 s0, 0
	s_mov_b32 s0, 0
	s_cbranch_scc0 .LBB9_736
; %bb.735:
	global_load_sbyte v3, v[0:1], off
	s_waitcnt vmcnt(0)
	v_cvt_f64_i32_e32 v[3:4], v3
	s_branch .LBB9_737
.LBB9_736:
	s_mov_b32 s0, -1
                                        ; implicit-def: $vgpr3_vgpr4
.LBB9_737:
	s_andn2_b32 vcc_lo, exec_lo, s0
	s_cbranch_vccnz .LBB9_739
; %bb.738:
	global_load_ubyte v0, v[0:1], off
	s_waitcnt vmcnt(0)
	v_cvt_f64_u32_e32 v[3:4], v0
.LBB9_739:
	s_mov_b32 s1, -1
.LBB9_740:
	s_andn2_b32 vcc_lo, exec_lo, s1
	s_cbranch_vccnz .LBB9_772
; %bb.741:
                                        ; implicit-def: $vgpr0_vgpr1
	s_mov_b32 s0, exec_lo
	s_waitcnt vmcnt(0)
	v_cmpx_neq_f64_e32 0, v[3:4]
	s_xor_b32 s23, exec_lo, s0
	s_cbranch_execz .LBB9_763
; %bb.742:
	v_mov_b32_e32 v5, 0
	v_mov_b32_e32 v6, 0
	s_mov_b32 s1, -1
	s_mov_b32 s43, exec_lo
	v_cmpx_gt_f64_e32 0, v[3:4]
	s_cbranch_execz .LBB9_750
; %bb.743:
	v_trunc_f64_e32 v[0:1], v[3:4]
	v_mov_b32_e32 v5, 0
	v_mov_b32_e32 v6, 0
	s_mov_b32 s1, 0
	s_mov_b32 s44, exec_lo
	v_cmpx_neq_f64_e32 v[3:4], v[0:1]
	s_cbranch_execz .LBB9_749
; %bb.744:
	v_add_f64 v[0:1], v[3:4], -v[0:1]
	s_mov_b32 s1, 0xc00921fb
	s_mov_b32 s0, 0x54442d18
	v_cmp_neq_f64_e64 vcc_lo, 0x7ff00000, |v[3:4]|
	s_mov_b32 s45, exec_lo
                                        ; implicit-def: $vgpr9
                                        ; implicit-def: $vgpr5_vgpr6
                                        ; implicit-def: $vgpr7_vgpr8
	v_mul_f64 v[0:1], |v[0:1]|, s[0:1]
	v_cndmask_b32_e32 v1, 0x80000000, v1, vcc_lo
	v_cndmask_b32_e32 v0, 0, v0, vcc_lo
	v_cmpx_ngt_f64_e64 0x41d00000, |v[0:1]|
	s_xor_b32 s45, exec_lo, s45
	s_cbranch_execz .LBB9_746
; %bb.745:
	v_ldexp_f64 v[5:6], |v[0:1]|, 0xffffff80
	v_cmp_le_f64_e64 vcc_lo, 0x7b000000, |v[0:1]|
	v_trig_preop_f64 v[7:8], |v[0:1]|, 0
	v_and_b32_e32 v9, 0x7fffffff, v1
	v_trig_preop_f64 v[20:21], |v[0:1]|, 2
	v_mov_b32_e32 v28, 0
	s_mov_b32 s1, 0x3ff921fb
	s_mov_b32 s46, 0x33145c07
	;; [unrolled: 1-line block ×3, first 2 shown]
	v_cndmask_b32_e32 v6, v9, v6, vcc_lo
	v_cndmask_b32_e32 v5, v0, v5, vcc_lo
	v_trig_preop_f64 v[9:10], |v[0:1]|, 1
	v_mul_f64 v[12:13], v[7:8], v[5:6]
	v_mul_f64 v[26:27], v[20:21], v[5:6]
	;; [unrolled: 1-line block ×3, first 2 shown]
	v_fma_f64 v[7:8], v[7:8], v[5:6], -v[12:13]
	v_fma_f64 v[9:10], v[9:10], v[5:6], -v[14:15]
	;; [unrolled: 1-line block ×3, first 2 shown]
	v_add_f64 v[16:17], v[14:15], v[7:8]
	v_add_f64 v[18:19], v[16:17], -v[14:15]
	v_add_f64 v[24:25], v[12:13], v[16:17]
	v_add_f64 v[22:23], v[16:17], -v[18:19]
	v_add_f64 v[7:8], v[7:8], -v[18:19]
	v_ldexp_f64 v[18:19], v[24:25], -2
	v_add_f64 v[12:13], v[24:25], -v[12:13]
	v_add_f64 v[14:15], v[14:15], -v[22:23]
	v_add_f64 v[22:23], v[26:27], v[9:10]
	v_cmp_neq_f64_e64 vcc_lo, 0x7ff00000, |v[18:19]|
	v_add_f64 v[12:13], v[16:17], -v[12:13]
	v_add_f64 v[7:8], v[7:8], v[14:15]
	v_fract_f64_e32 v[14:15], v[18:19]
	v_add_f64 v[16:17], v[22:23], v[7:8]
	v_ldexp_f64 v[14:15], v[14:15], 2
	v_add_f64 v[18:19], v[12:13], v[16:17]
	v_cndmask_b32_e32 v15, 0, v15, vcc_lo
	v_cndmask_b32_e32 v14, 0, v14, vcc_lo
	v_add_f64 v[24:25], v[18:19], v[14:15]
	v_add_f64 v[12:13], v[18:19], -v[12:13]
	v_cmp_gt_f64_e32 vcc_lo, 0, v[24:25]
	v_add_f64 v[24:25], v[22:23], -v[26:27]
	v_cndmask_b32_e64 v29, 0, 0x40100000, vcc_lo
	v_add_f64 v[33:34], v[22:23], -v[24:25]
	v_add_f64 v[9:10], v[9:10], -v[24:25]
	v_add_f64 v[14:15], v[14:15], v[28:29]
	v_add_f64 v[29:30], v[16:17], -v[22:23]
	v_add_f64 v[24:25], v[26:27], -v[33:34]
	v_add_f64 v[31:32], v[18:19], v[14:15]
	v_add_f64 v[35:36], v[16:17], -v[29:30]
	v_add_f64 v[7:8], v[7:8], -v[29:30]
	v_add_f64 v[9:10], v[9:10], v[24:25]
	v_cvt_i32_f64_e32 v31, v[31:32]
	v_add_f64 v[22:23], v[22:23], -v[35:36]
	v_cvt_f64_i32_e32 v[29:30], v31
	v_add_f64 v[7:8], v[7:8], v[22:23]
	v_add_f64 v[14:15], v[14:15], -v[29:30]
	v_add_f64 v[7:8], v[9:10], v[7:8]
	v_add_f64 v[9:10], v[16:17], -v[12:13]
	v_add_f64 v[20:21], v[18:19], v[14:15]
	v_add_f64 v[5:6], v[5:6], v[7:8]
	v_add_f64 v[7:8], v[20:21], -v[14:15]
	v_cmp_le_f64_e32 vcc_lo, 0.5, v[20:21]
	v_add_f64 v[5:6], v[9:10], v[5:6]
	v_add_f64 v[7:8], v[18:19], -v[7:8]
	v_cndmask_b32_e64 v29, 0, 0x3ff00000, vcc_lo
	v_add_co_ci_u32_e64 v9, null, 0, v31, vcc_lo
	v_add_f64 v[5:6], v[5:6], v[7:8]
	v_add_f64 v[7:8], v[20:21], -v[28:29]
	v_add_f64 v[12:13], v[7:8], v[5:6]
	v_mul_f64 v[14:15], v[12:13], s[0:1]
	v_add_f64 v[7:8], v[12:13], -v[7:8]
	v_fma_f64 v[16:17], v[12:13], s[0:1], -v[14:15]
	v_add_f64 v[5:6], v[5:6], -v[7:8]
	v_fma_f64 v[7:8], v[12:13], s[46:47], v[16:17]
	v_fma_f64 v[7:8], v[5:6], s[0:1], v[7:8]
	v_add_f64 v[5:6], v[14:15], v[7:8]
	v_add_f64 v[12:13], v[5:6], -v[14:15]
	v_add_f64 v[7:8], v[7:8], -v[12:13]
.LBB9_746:
	s_andn2_saveexec_b32 s0, s45
	s_cbranch_execz .LBB9_748
; %bb.747:
	s_mov_b32 s46, 0x6dc9c883
	s_mov_b32 s47, 0x3fe45f30
	;; [unrolled: 1-line block ×3, first 2 shown]
	v_mul_f64 v[5:6], |v[0:1]|, s[46:47]
	s_mov_b32 s46, 0x54442d18
	s_mov_b32 s47, 0xbff921fb
	;; [unrolled: 1-line block ×3, first 2 shown]
	v_rndne_f64_e32 v[9:10], v[5:6]
	v_fma_f64 v[5:6], v[9:10], s[46:47], |v[0:1]|
	v_mul_f64 v[7:8], v[9:10], s[48:49]
	s_mov_b32 s46, 0x252049c0
	s_mov_b32 s47, 0xb97b839a
	v_fma_f64 v[14:15], v[9:10], s[48:49], v[5:6]
	v_add_f64 v[12:13], v[5:6], v[7:8]
	s_mov_b32 s49, 0x3c91a626
	v_add_f64 v[5:6], v[5:6], -v[12:13]
	v_add_f64 v[12:13], v[12:13], -v[14:15]
	v_add_f64 v[5:6], v[5:6], v[7:8]
	v_fma_f64 v[7:8], v[9:10], s[48:49], v[7:8]
	v_add_f64 v[5:6], v[12:13], v[5:6]
	v_add_f64 v[5:6], v[5:6], -v[7:8]
	v_fma_f64 v[7:8], v[9:10], s[46:47], v[5:6]
	v_cvt_i32_f64_e32 v9, v[9:10]
	v_add_f64 v[5:6], v[14:15], v[7:8]
	v_add_f64 v[12:13], v[5:6], -v[14:15]
	v_add_f64 v[7:8], v[7:8], -v[12:13]
.LBB9_748:
	s_or_b32 exec_lo, exec_lo, s0
	v_mul_f64 v[12:13], v[5:6], v[5:6]
	v_add_f64 v[14:15], v[7:8], v[7:8]
	s_mov_b32 s46, 0xa9a29f71
	s_mov_b32 s48, 0xc751c08c
	;; [unrolled: 1-line block ×4, first 2 shown]
	v_cmp_class_f64_e64 s0, v[0:1], 0x1f8
	v_and_b32_e32 v9, 1, v9
	v_and_b32_e32 v1, 0x80000000, v1
	v_add_f64 v[3:4], -v[3:4], 1.0
	s_mov_b32 s1, exec_lo
	v_cmp_eq_u32_e32 vcc_lo, 0, v9
	v_fma_f64 v[16:17], v[5:6], v[5:6], -v[12:13]
	v_fma_f64 v[14:15], v[5:6], v[14:15], v[16:17]
	v_add_f64 v[12:13], v[12:13], v[14:15]
	v_fma_f64 v[14:15], v[12:13], s[48:49], s[46:47]
	s_mov_b32 s46, 0x90a8aae0
	s_mov_b32 s47, 0x3f17746f
	v_fma_f64 v[14:15], v[12:13], v[14:15], s[46:47]
	s_mov_b32 s46, 0xa6fbf144
	s_mov_b32 s47, 0xbefbb44d
	;; [unrolled: 3-line block ×13, first 2 shown]
	v_mul_f64 v[12:13], v[12:13], v[14:15]
	v_mul_f64 v[14:15], v[5:6], v[12:13]
	v_add_f64 v[16:17], v[5:6], v[14:15]
	v_fma_f64 v[12:13], v[5:6], v[12:13], -v[14:15]
	v_add_f64 v[5:6], v[16:17], -v[5:6]
	v_add_f64 v[7:8], v[7:8], v[12:13]
	v_add_f64 v[5:6], v[14:15], -v[5:6]
	v_add_f64 v[5:6], v[7:8], v[5:6]
	v_add_f64 v[7:8], v[16:17], v[5:6]
	v_rcp_f64_e32 v[12:13], v[7:8]
	v_fma_f64 v[14:15], -v[7:8], v[12:13], 1.0
	v_fma_f64 v[12:13], v[14:15], v[12:13], v[12:13]
	v_fma_f64 v[14:15], -v[7:8], v[12:13], 1.0
	v_fma_f64 v[12:13], v[14:15], v[12:13], v[12:13]
	v_add_f64 v[14:15], v[7:8], -v[16:17]
	v_mul_f64 v[16:17], v[7:8], v[12:13]
	v_add_f64 v[5:6], v[5:6], -v[14:15]
	v_fma_f64 v[14:15], v[12:13], v[7:8], -v[16:17]
	v_fma_f64 v[5:6], v[12:13], v[5:6], v[14:15]
	v_add_f64 v[14:15], v[16:17], v[5:6]
	v_add_f64 v[18:19], -v[14:15], 1.0
	v_add_f64 v[16:17], v[14:15], -v[16:17]
	v_add_f64 v[20:21], -v[18:19], 1.0
	v_add_f64 v[5:6], v[16:17], -v[5:6]
	v_add_f64 v[14:15], v[20:21], -v[14:15]
	v_add_f64 v[5:6], v[5:6], v[14:15]
	v_add_f64 v[5:6], v[18:19], v[5:6]
	v_mul_f64 v[5:6], v[12:13], v[5:6]
	v_add_f64 v[5:6], v[12:13], v[5:6]
	v_xor_b32_e32 v0, 0x80000000, v6
	v_cndmask_b32_e32 v5, v5, v7, vcc_lo
	v_cndmask_b32_e32 v0, v0, v8, vcc_lo
	v_xor_b32_e32 v1, v0, v1
	v_cndmask_b32_e64 v0, 0, v5, s0
	v_cndmask_b32_e64 v1, 0x7ff80000, v1, s0
	v_div_scale_f64 v[5:6], null, v[0:1], v[0:1], s[46:47]
	v_div_scale_f64 v[12:13], vcc_lo, s[46:47], v[0:1], s[46:47]
	v_rcp_f64_e32 v[7:8], v[5:6]
	v_fma_f64 v[9:10], -v[5:6], v[7:8], 1.0
	v_fma_f64 v[7:8], v[7:8], v[9:10], v[7:8]
	v_fma_f64 v[9:10], -v[5:6], v[7:8], 1.0
	v_fma_f64 v[7:8], v[7:8], v[9:10], v[7:8]
	v_mul_f64 v[9:10], v[12:13], v[7:8]
	v_fma_f64 v[5:6], -v[5:6], v[9:10], v[12:13]
	v_div_fmas_f64 v[5:6], v[5:6], v[7:8], v[9:10]
	v_div_fixup_f64 v[5:6], v[5:6], v[0:1], s[46:47]
.LBB9_749:
	s_or_b32 exec_lo, exec_lo, s44
	s_orn2_b32 s1, s1, exec_lo
.LBB9_750:
	s_or_b32 exec_lo, exec_lo, s43
	v_mov_b32_e32 v0, 0
	v_mov_b32_e32 v1, 0x7ff80000
	s_and_saveexec_b32 s0, s1
	s_cbranch_execz .LBB9_762
; %bb.751:
	s_mov_b32 s1, exec_lo
	v_cmpx_gt_f64_e32 0x40240000, v[3:4]
	s_cbranch_execz .LBB9_755
; %bb.752:
	s_mov_b32 s43, 0
.LBB9_753:                              ; =>This Inner Loop Header: Depth=1
	v_div_scale_f64 v[0:1], null, v[3:4], v[3:4], 1.0
	v_div_scale_f64 v[12:13], vcc_lo, 1.0, v[3:4], 1.0
	v_rcp_f64_e32 v[7:8], v[0:1]
	v_fma_f64 v[9:10], -v[0:1], v[7:8], 1.0
	v_fma_f64 v[7:8], v[7:8], v[9:10], v[7:8]
	v_fma_f64 v[9:10], -v[0:1], v[7:8], 1.0
	v_fma_f64 v[7:8], v[7:8], v[9:10], v[7:8]
	v_mul_f64 v[9:10], v[12:13], v[7:8]
	v_fma_f64 v[0:1], -v[0:1], v[9:10], v[12:13]
	v_div_fmas_f64 v[0:1], v[0:1], v[7:8], v[9:10]
	v_div_fixup_f64 v[0:1], v[0:1], v[3:4], 1.0
	v_add_f64 v[3:4], v[3:4], 1.0
	v_add_f64 v[5:6], v[5:6], -v[0:1]
	v_cmp_ngt_f64_e32 vcc_lo, 0x40240000, v[3:4]
	s_or_b32 s43, vcc_lo, s43
	s_andn2_b32 exec_lo, exec_lo, s43
	s_cbranch_execnz .LBB9_753
; %bb.754:
	s_or_b32 exec_lo, exec_lo, s43
.LBB9_755:
	s_or_b32 exec_lo, exec_lo, s1
	s_mov_b32 s1, exec_lo
                                        ; implicit-def: $vgpr0_vgpr1
	v_cmpx_neq_f64_e32 0x40240000, v[3:4]
	s_xor_b32 s1, exec_lo, s1
	s_cbranch_execz .LBB9_759
; %bb.756:
	v_mov_b32_e32 v0, 0
	v_mov_b32_e32 v1, 0
	s_mov_b32 s44, 0x85d8a000
	s_mov_b32 s45, 0x43763457
	s_mov_b32 s43, exec_lo
	v_cmpx_gt_f64_e32 s[44:45], v[3:4]
	s_cbranch_execz .LBB9_758
; %bb.757:
	v_mul_f64 v[0:1], v[3:4], v[3:4]
	s_mov_b32 s44, 0x55555555
	s_mov_b32 s45, 0x3fb55555
	;; [unrolled: 1-line block ×6, first 2 shown]
	v_div_scale_f64 v[7:8], null, v[0:1], v[0:1], 1.0
	v_rcp_f64_e32 v[9:10], v[7:8]
	v_fma_f64 v[12:13], -v[7:8], v[9:10], 1.0
	v_fma_f64 v[9:10], v[9:10], v[12:13], v[9:10]
	v_fma_f64 v[12:13], -v[7:8], v[9:10], 1.0
	v_fma_f64 v[9:10], v[9:10], v[12:13], v[9:10]
	v_div_scale_f64 v[12:13], vcc_lo, 1.0, v[0:1], 1.0
	v_mul_f64 v[14:15], v[12:13], v[9:10]
	v_fma_f64 v[7:8], -v[7:8], v[14:15], v[12:13]
	v_div_fmas_f64 v[7:8], v[7:8], v[9:10], v[14:15]
	v_div_fixup_f64 v[0:1], v[7:8], v[0:1], 1.0
	v_fma_f64 v[7:8], v[0:1], 0, s[44:45]
	v_fma_f64 v[7:8], v[0:1], v[7:8], s[46:47]
	s_mov_b32 s46, 0xf07c1f08
	s_mov_b32 s47, 0x3f7f07c1
	v_fma_f64 v[7:8], v[0:1], v[7:8], s[46:47]
	s_mov_b32 s47, 0xbf711111
	s_mov_b32 s46, 0x11111111
	v_fma_f64 v[7:8], v[0:1], v[7:8], s[46:47]
	s_mov_b32 s47, 0xbf811111
	v_fma_f64 v[7:8], v[0:1], v[7:8], s[48:49]
	v_fma_f64 v[7:8], v[0:1], v[7:8], s[46:47]
	;; [unrolled: 1-line block ×3, first 2 shown]
	v_mul_f64 v[0:1], v[0:1], v[7:8]
.LBB9_758:
	s_or_b32 exec_lo, exec_lo, s43
	v_frexp_mant_f64_e32 v[7:8], v[3:4]
	s_mov_b32 s45, 0x3fe55555
	s_mov_b32 s44, 0x55555555
	;; [unrolled: 1-line block ×6, first 2 shown]
	v_div_scale_f64 v[24:25], null, v[3:4], v[3:4], -0.5
	v_cmp_gt_f64_e32 vcc_lo, s[44:45], v[7:8]
	s_mov_b32 s44, 0x55555780
	v_rcp_f64_e32 v[28:29], v[24:25]
	v_cndmask_b32_e64 v9, 0, 1, vcc_lo
	v_ldexp_f64 v[7:8], v[7:8], v9
	v_add_f64 v[9:10], v[7:8], 1.0
	v_add_f64 v[16:17], v[7:8], -1.0
	v_rcp_f64_e32 v[12:13], v[9:10]
	v_add_f64 v[18:19], v[9:10], -1.0
	v_add_f64 v[7:8], v[7:8], -v[18:19]
	v_fma_f64 v[14:15], -v[9:10], v[12:13], 1.0
	v_fma_f64 v[12:13], v[14:15], v[12:13], v[12:13]
	v_fma_f64 v[14:15], -v[9:10], v[12:13], 1.0
	v_fma_f64 v[12:13], v[14:15], v[12:13], v[12:13]
	v_mul_f64 v[14:15], v[16:17], v[12:13]
	v_mul_f64 v[20:21], v[9:10], v[14:15]
	v_fma_f64 v[9:10], v[14:15], v[9:10], -v[20:21]
	v_fma_f64 v[7:8], v[14:15], v[7:8], v[9:10]
	v_add_f64 v[9:10], v[20:21], v[7:8]
	v_add_f64 v[18:19], v[16:17], -v[9:10]
	v_add_f64 v[20:21], v[9:10], -v[20:21]
	;; [unrolled: 1-line block ×4, first 2 shown]
	v_frexp_exp_i32_f64_e32 v20, v[3:4]
	v_add_f64 v[9:10], v[16:17], -v[9:10]
	v_add_f64 v[7:8], v[7:8], v[9:10]
	v_add_f64 v[7:8], v[18:19], v[7:8]
	v_mul_f64 v[7:8], v[12:13], v[7:8]
	v_add_f64 v[9:10], v[14:15], v[7:8]
	v_mul_f64 v[12:13], v[9:10], v[9:10]
	v_fma_f64 v[16:17], v[12:13], s[48:49], s[46:47]
	s_mov_b32 s46, 0xd7f4df2e
	s_mov_b32 s47, 0x3fc7474d
	v_mul_f64 v[18:19], v[9:10], v[12:13]
	v_fma_f64 v[16:17], v[12:13], v[16:17], s[46:47]
	s_mov_b32 s46, 0x16291751
	s_mov_b32 s47, 0x3fcc71c0
	v_fma_f64 v[16:17], v[12:13], v[16:17], s[46:47]
	s_mov_b32 s46, 0x9b27acf1
	s_mov_b32 s47, 0x3fd24924
	;; [unrolled: 3-line block ×3, first 2 shown]
	v_fma_f64 v[16:17], v[12:13], v[16:17], s[46:47]
	v_fma_f64 v[12:13], v[12:13], v[16:17], s[44:45]
	v_ldexp_f64 v[16:17], v[9:10], 1
	v_add_f64 v[9:10], v[9:10], -v[14:15]
	s_mov_b32 s44, 0xfefa39ef
	s_mov_b32 s45, 0x3fe62e42
	v_mul_f64 v[12:13], v[18:19], v[12:13]
	v_subrev_co_ci_u32_e64 v18, null, 0, v20, vcc_lo
	v_add_f64 v[7:8], v[7:8], -v[9:10]
	v_cvt_f64_i32_e32 v[18:19], v18
	v_add_f64 v[14:15], v[16:17], v[12:13]
	v_ldexp_f64 v[7:8], v[7:8], 1
	v_mul_f64 v[20:21], v[18:19], s[44:45]
	v_add_f64 v[9:10], v[14:15], -v[16:17]
	v_fma_f64 v[16:17], v[18:19], s[44:45], -v[20:21]
	s_mov_b32 s44, 0x3b39803f
	s_mov_b32 s45, 0x3c7abc9e
	v_add_f64 v[9:10], v[12:13], -v[9:10]
	v_fma_f64 v[12:13], v[18:19], s[44:45], v[16:17]
	v_add_f64 v[7:8], v[7:8], v[9:10]
	v_add_f64 v[9:10], v[20:21], v[12:13]
	;; [unrolled: 1-line block ×3, first 2 shown]
	v_add_f64 v[20:21], v[9:10], -v[20:21]
	v_add_f64 v[18:19], v[9:10], v[16:17]
	v_add_f64 v[14:15], v[16:17], -v[14:15]
	v_add_f64 v[12:13], v[12:13], -v[20:21]
	;; [unrolled: 1-line block ×6, first 2 shown]
	v_fma_f64 v[16:17], -v[24:25], v[28:29], 1.0
	v_add_f64 v[20:21], v[12:13], v[7:8]
	v_add_f64 v[9:10], v[9:10], -v[26:27]
	v_add_f64 v[9:10], v[14:15], v[9:10]
	v_fma_f64 v[14:15], v[28:29], v[16:17], v[28:29]
	v_add_f64 v[16:17], v[20:21], -v[12:13]
	v_div_scale_f64 v[28:29], vcc_lo, -0.5, v[3:4], -0.5
	v_add_f64 v[9:10], v[20:21], v[9:10]
	v_fma_f64 v[22:23], -v[24:25], v[14:15], 1.0
	v_add_f64 v[20:21], v[20:21], -v[16:17]
	v_add_f64 v[7:8], v[7:8], -v[16:17]
	v_add_f64 v[26:27], v[18:19], v[9:10]
	v_fma_f64 v[14:15], v[14:15], v[22:23], v[14:15]
	v_add_f64 v[12:13], v[12:13], -v[20:21]
	v_add_f64 v[16:17], v[26:27], -v[18:19]
	v_mul_f64 v[18:19], v[28:29], v[14:15]
	v_add_f64 v[7:8], v[7:8], v[12:13]
	v_add_f64 v[9:10], v[9:10], -v[16:17]
	v_fma_f64 v[12:13], -v[24:25], v[18:19], v[28:29]
	v_add_f64 v[7:8], v[7:8], v[9:10]
	v_div_fmas_f64 v[9:10], v[12:13], v[14:15], v[18:19]
	v_cmp_class_f64_e64 vcc_lo, v[3:4], 0x204
	v_add_f64 v[7:8], v[26:27], v[7:8]
	v_div_fixup_f64 v[9:10], v[9:10], v[3:4], -0.5
	v_cndmask_b32_e32 v4, v8, v4, vcc_lo
	v_cndmask_b32_e32 v3, v7, v3, vcc_lo
	v_add_f64 v[3:4], v[3:4], v[9:10]
	v_add_f64 v[0:1], v[3:4], -v[0:1]
	v_add_f64 v[0:1], v[5:6], v[0:1]
                                        ; implicit-def: $vgpr5_vgpr6
.LBB9_759:
	s_andn2_saveexec_b32 s1, s1
; %bb.760:
	s_mov_b32 s44, 0xdc85cc95
	s_mov_b32 s45, 0x40020396
	v_add_f64 v[0:1], v[5:6], s[44:45]
; %bb.761:
	s_or_b32 exec_lo, exec_lo, s1
.LBB9_762:
	s_or_b32 exec_lo, exec_lo, s0
                                        ; implicit-def: $vgpr3_vgpr4
.LBB9_763:
	s_andn2_saveexec_b32 s0, s23
; %bb.764:
	v_xor_b32_e32 v0, 0x80000000, v4
	s_mov_b32 s1, 0x7ff00000
	v_bfi_b32 v1, 0x7fffffff, s1, v0
	v_mov_b32_e32 v0, 0
; %bb.765:
	s_or_b32 exec_lo, exec_lo, s0
	v_add_co_u32 v4, s0, s8, v2
	v_add_co_ci_u32_e64 v5, null, s9, 0, s0
	s_and_b32 s1, s29, 0xff
	s_cmp_lt_i32 s1, 11
	s_cbranch_scc1 .LBB9_773
; %bb.766:
	s_and_b32 s23, 0xffff, s1
	s_cmp_gt_i32 s23, 25
	s_cbranch_scc0 .LBB9_774
; %bb.767:
	s_cmp_gt_i32 s23, 28
	s_cbranch_scc0 .LBB9_775
; %bb.768:
	;; [unrolled: 3-line block ×4, first 2 shown]
	s_mov_b32 s44, 0
	s_mov_b32 s0, -1
	s_cmp_eq_u32 s23, 46
	s_mov_b32 s43, 0
	s_cbranch_scc0 .LBB9_778
; %bb.771:
	v_cvt_f32_f64_e32 v2, v[0:1]
	s_mov_b32 s43, -1
	s_mov_b32 s0, 0
	v_bfe_u32 v3, v2, 16, 1
	v_cmp_o_f32_e32 vcc_lo, v2, v2
	v_add3_u32 v2, v2, v3, 0x7fff
	v_mov_b32_e32 v3, 0x7fc0
	v_cndmask_b32_sdwa v2, v3, v2, vcc_lo dst_sel:DWORD dst_unused:UNUSED_PAD src0_sel:DWORD src1_sel:WORD_1
	global_store_dword v[4:5], v2, off
	s_branch .LBB9_778
.LBB9_772:
	s_mov_b32 s1, 0
	s_mov_b32 s0, s40
	s_branch .LBB9_889
.LBB9_773:
	s_mov_b32 s23, -1
	s_mov_b32 s43, 0
	s_mov_b32 s0, s40
	s_branch .LBB9_847
.LBB9_774:
	s_mov_b32 s44, -1
	s_mov_b32 s43, 0
	s_mov_b32 s0, s40
	s_branch .LBB9_805
.LBB9_775:
	s_mov_b32 s44, -1
	s_mov_b32 s43, 0
	s_mov_b32 s0, s40
	s_branch .LBB9_788
.LBB9_776:
	s_mov_b32 s44, -1
	s_mov_b32 s43, 0
	s_mov_b32 s0, s40
	s_branch .LBB9_784
.LBB9_777:
	s_mov_b32 s44, -1
	s_mov_b32 s43, 0
	s_mov_b32 s0, s40
.LBB9_778:
	s_and_b32 vcc_lo, exec_lo, s44
	s_cbranch_vccz .LBB9_783
; %bb.779:
	s_cmp_eq_u32 s23, 44
	s_mov_b32 s0, -1
	s_cbranch_scc0 .LBB9_783
; %bb.780:
	v_cvt_f32_f64_e32 v2, v[0:1]
	v_mov_b32_e32 v3, 0xff
	s_mov_b32 s43, exec_lo
	v_bfe_u32 v6, v2, 23, 8
	v_cmpx_ne_u32_e32 0xff, v6
	s_cbranch_execz .LBB9_782
; %bb.781:
	v_and_b32_e32 v3, 0x400000, v2
	v_and_or_b32 v6, 0x3fffff, v2, v6
	v_lshrrev_b32_e32 v2, 23, v2
	v_cmp_ne_u32_e32 vcc_lo, 0, v3
	v_cmp_ne_u32_e64 s0, 0, v6
	s_and_b32 s0, vcc_lo, s0
	v_cndmask_b32_e64 v3, 0, 1, s0
	v_add_nc_u32_e32 v3, v2, v3
.LBB9_782:
	s_or_b32 exec_lo, exec_lo, s43
	s_mov_b32 s43, -1
	s_mov_b32 s0, 0
	global_store_byte v[4:5], v3, off
.LBB9_783:
	s_mov_b32 s44, 0
.LBB9_784:
	s_and_b32 vcc_lo, exec_lo, s44
	s_cbranch_vccz .LBB9_787
; %bb.785:
	s_cmp_eq_u32 s23, 29
	s_mov_b32 s0, -1
	s_cbranch_scc0 .LBB9_787
; %bb.786:
	v_trunc_f64_e32 v[2:3], v[0:1]
	s_mov_b32 s43, -1
	s_mov_b32 s0, 0
	s_mov_b32 s44, 0
	v_ldexp_f64 v[6:7], v[2:3], 0xffffffe0
	v_floor_f64_e32 v[6:7], v[6:7]
	v_fma_f64 v[2:3], 0xc1f00000, v[6:7], v[2:3]
	v_cvt_u32_f64_e32 v7, v[6:7]
	v_cvt_u32_f64_e32 v6, v[2:3]
	global_store_dwordx2 v[4:5], v[6:7], off
	s_branch .LBB9_788
.LBB9_787:
	s_mov_b32 s44, 0
.LBB9_788:
	s_and_b32 vcc_lo, exec_lo, s44
	s_cbranch_vccz .LBB9_804
; %bb.789:
	s_cmp_lt_i32 s23, 27
	s_mov_b32 s43, -1
	s_cbranch_scc1 .LBB9_795
; %bb.790:
	v_cvt_u32_f64_e32 v2, v[0:1]
	s_cmp_gt_i32 s23, 27
	s_cbranch_scc0 .LBB9_792
; %bb.791:
	s_mov_b32 s43, 0
	global_store_dword v[4:5], v2, off
.LBB9_792:
	s_andn2_b32 vcc_lo, exec_lo, s43
	s_cbranch_vccnz .LBB9_794
; %bb.793:
	global_store_short v[4:5], v2, off
.LBB9_794:
	s_mov_b32 s43, 0
.LBB9_795:
	s_andn2_b32 vcc_lo, exec_lo, s43
	s_cbranch_vccnz .LBB9_803
; %bb.796:
	v_cvt_f32_f64_e32 v2, v[0:1]
	v_mov_b32_e32 v6, 0x80
	s_mov_b32 s43, exec_lo
	v_and_b32_e32 v3, 0x7fffffff, v2
	v_cmpx_gt_u32_e32 0x43800000, v3
	s_cbranch_execz .LBB9_802
; %bb.797:
	v_cmp_lt_u32_e32 vcc_lo, 0x3bffffff, v3
	s_mov_b32 s44, 0
                                        ; implicit-def: $vgpr3
	s_and_saveexec_b32 s45, vcc_lo
	s_xor_b32 s45, exec_lo, s45
	s_cbranch_execz .LBB9_919
; %bb.798:
	v_bfe_u32 v3, v2, 20, 1
	s_mov_b32 s44, exec_lo
	v_add3_u32 v3, v2, v3, 0x487ffff
	v_lshrrev_b32_e32 v3, 20, v3
	s_andn2_saveexec_b32 s45, s45
	s_cbranch_execnz .LBB9_920
.LBB9_799:
	s_or_b32 exec_lo, exec_lo, s45
	v_mov_b32_e32 v6, 0
	s_and_saveexec_b32 s45, s44
.LBB9_800:
	v_lshrrev_b32_e32 v2, 24, v2
	v_and_or_b32 v6, 0x80, v2, v3
.LBB9_801:
	s_or_b32 exec_lo, exec_lo, s45
.LBB9_802:
	s_or_b32 exec_lo, exec_lo, s43
	global_store_byte v[4:5], v6, off
.LBB9_803:
	s_mov_b32 s43, -1
.LBB9_804:
	s_mov_b32 s44, 0
.LBB9_805:
	s_and_b32 vcc_lo, exec_lo, s44
	s_cbranch_vccz .LBB9_846
; %bb.806:
	s_cmp_gt_i32 s23, 22
	s_mov_b32 s44, -1
	s_cbranch_scc0 .LBB9_838
; %bb.807:
	s_cmp_lt_i32 s23, 24
	s_mov_b32 s43, -1
	s_cbranch_scc1 .LBB9_827
; %bb.808:
	s_cmp_gt_i32 s23, 24
	s_cbranch_scc0 .LBB9_816
; %bb.809:
	v_cvt_f32_f64_e32 v2, v[0:1]
	v_mov_b32_e32 v6, 0x80
	s_mov_b32 s43, exec_lo
	v_and_b32_e32 v3, 0x7fffffff, v2
	v_cmpx_gt_u32_e32 0x47800000, v3
	s_cbranch_execz .LBB9_815
; %bb.810:
	v_cmp_lt_u32_e32 vcc_lo, 0x37ffffff, v3
	s_mov_b32 s44, 0
                                        ; implicit-def: $vgpr3
	s_and_saveexec_b32 s45, vcc_lo
	s_xor_b32 s45, exec_lo, s45
	s_cbranch_execz .LBB9_922
; %bb.811:
	v_bfe_u32 v3, v2, 21, 1
	s_mov_b32 s44, exec_lo
	v_add3_u32 v3, v2, v3, 0x88fffff
	v_lshrrev_b32_e32 v3, 21, v3
	s_andn2_saveexec_b32 s45, s45
	s_cbranch_execnz .LBB9_923
.LBB9_812:
	s_or_b32 exec_lo, exec_lo, s45
	v_mov_b32_e32 v6, 0
	s_and_saveexec_b32 s45, s44
.LBB9_813:
	v_lshrrev_b32_e32 v2, 24, v2
	v_and_or_b32 v6, 0x80, v2, v3
.LBB9_814:
	s_or_b32 exec_lo, exec_lo, s45
.LBB9_815:
	s_or_b32 exec_lo, exec_lo, s43
	s_mov_b32 s43, 0
	global_store_byte v[4:5], v6, off
.LBB9_816:
	s_and_b32 vcc_lo, exec_lo, s43
	s_cbranch_vccz .LBB9_826
; %bb.817:
	v_cvt_f32_f64_e32 v2, v[0:1]
	s_mov_b32 s43, exec_lo
                                        ; implicit-def: $vgpr3
	v_and_b32_e32 v6, 0x7fffffff, v2
	v_cmpx_gt_u32_e32 0x43f00000, v6
	s_xor_b32 s43, exec_lo, s43
	s_cbranch_execz .LBB9_823
; %bb.818:
	s_mov_b32 s44, exec_lo
                                        ; implicit-def: $vgpr3
	v_cmpx_lt_u32_e32 0x3c7fffff, v6
	s_xor_b32 s44, exec_lo, s44
; %bb.819:
	v_bfe_u32 v3, v2, 20, 1
	v_add3_u32 v3, v2, v3, 0x407ffff
	v_and_b32_e32 v6, 0xff00000, v3
	v_lshrrev_b32_e32 v3, 20, v3
	v_cmp_ne_u32_e32 vcc_lo, 0x7f00000, v6
	v_cndmask_b32_e32 v3, 0x7e, v3, vcc_lo
; %bb.820:
	s_andn2_saveexec_b32 s44, s44
; %bb.821:
	v_add_f32_e64 v3, 0x46800000, |v2|
; %bb.822:
	s_or_b32 exec_lo, exec_lo, s44
                                        ; implicit-def: $vgpr6
.LBB9_823:
	s_andn2_saveexec_b32 s43, s43
; %bb.824:
	v_mov_b32_e32 v3, 0x7f
	v_cmp_lt_u32_e32 vcc_lo, 0x7f800000, v6
	v_cndmask_b32_e32 v3, 0x7e, v3, vcc_lo
; %bb.825:
	s_or_b32 exec_lo, exec_lo, s43
	v_lshrrev_b32_e32 v2, 24, v2
	v_and_or_b32 v2, 0x80, v2, v3
	global_store_byte v[4:5], v2, off
.LBB9_826:
	s_mov_b32 s43, 0
.LBB9_827:
	s_andn2_b32 vcc_lo, exec_lo, s43
	s_cbranch_vccnz .LBB9_837
; %bb.828:
	v_cvt_f32_f64_e32 v2, v[0:1]
	s_mov_b32 s43, exec_lo
                                        ; implicit-def: $vgpr3
	v_and_b32_e32 v6, 0x7fffffff, v2
	v_cmpx_gt_u32_e32 0x47800000, v6
	s_xor_b32 s43, exec_lo, s43
	s_cbranch_execz .LBB9_834
; %bb.829:
	s_mov_b32 s44, exec_lo
                                        ; implicit-def: $vgpr3
	v_cmpx_lt_u32_e32 0x387fffff, v6
	s_xor_b32 s44, exec_lo, s44
; %bb.830:
	v_bfe_u32 v3, v2, 21, 1
	v_add3_u32 v3, v2, v3, 0x80fffff
	v_lshrrev_b32_e32 v3, 21, v3
; %bb.831:
	s_andn2_saveexec_b32 s44, s44
; %bb.832:
	v_add_f32_e64 v3, 0x43000000, |v2|
; %bb.833:
	s_or_b32 exec_lo, exec_lo, s44
                                        ; implicit-def: $vgpr6
.LBB9_834:
	s_andn2_saveexec_b32 s43, s43
; %bb.835:
	v_mov_b32_e32 v3, 0x7f
	v_cmp_lt_u32_e32 vcc_lo, 0x7f800000, v6
	v_cndmask_b32_e32 v3, 0x7c, v3, vcc_lo
; %bb.836:
	s_or_b32 exec_lo, exec_lo, s43
	v_lshrrev_b32_e32 v2, 24, v2
	v_and_or_b32 v2, 0x80, v2, v3
	global_store_byte v[4:5], v2, off
.LBB9_837:
	s_mov_b32 s44, 0
	s_mov_b32 s43, -1
.LBB9_838:
	s_andn2_b32 vcc_lo, exec_lo, s44
	s_cbranch_vccnz .LBB9_846
; %bb.839:
	s_cmp_gt_i32 s23, 14
	s_mov_b32 s44, -1
	s_cbranch_scc0 .LBB9_843
; %bb.840:
	s_cmp_eq_u32 s23, 15
	s_mov_b32 s0, -1
	s_cbranch_scc0 .LBB9_842
; %bb.841:
	v_cvt_f32_f64_e32 v2, v[0:1]
	s_mov_b32 s43, -1
	s_mov_b32 s0, 0
	v_bfe_u32 v3, v2, 16, 1
	v_cmp_o_f32_e32 vcc_lo, v2, v2
	v_add3_u32 v2, v2, v3, 0x7fff
	v_mov_b32_e32 v3, 0x7fc0
	v_cndmask_b32_sdwa v2, v3, v2, vcc_lo dst_sel:DWORD dst_unused:UNUSED_PAD src0_sel:DWORD src1_sel:WORD_1
	global_store_short v[4:5], v2, off
.LBB9_842:
	s_mov_b32 s44, 0
.LBB9_843:
	s_and_b32 vcc_lo, exec_lo, s44
	s_cbranch_vccz .LBB9_846
; %bb.844:
	s_cmp_eq_u32 s23, 11
	s_mov_b32 s0, -1
	s_cbranch_scc0 .LBB9_846
; %bb.845:
	v_cmp_neq_f64_e32 vcc_lo, 0, v[0:1]
	s_mov_b32 s43, -1
	s_mov_b32 s0, 0
	v_cndmask_b32_e64 v2, 0, 1, vcc_lo
	global_store_byte v[4:5], v2, off
.LBB9_846:
	s_mov_b32 s23, 0
.LBB9_847:
	s_and_b32 vcc_lo, exec_lo, s23
	s_cbranch_vccz .LBB9_886
; %bb.848:
	s_and_b32 s1, 0xffff, s1
	s_mov_b32 s23, -1
	s_cmp_lt_i32 s1, 5
	s_cbranch_scc1 .LBB9_869
; %bb.849:
	s_cmp_lt_i32 s1, 8
	s_cbranch_scc1 .LBB9_859
; %bb.850:
	;; [unrolled: 3-line block ×3, first 2 shown]
	s_cmp_gt_i32 s1, 9
	s_cbranch_scc0 .LBB9_853
; %bb.852:
	v_mov_b32_e32 v2, 0
	s_mov_b32 s23, 0
	v_mov_b32_e32 v3, v2
	global_store_dwordx4 v[4:5], v[0:3], off
.LBB9_853:
	s_andn2_b32 vcc_lo, exec_lo, s23
	s_cbranch_vccnz .LBB9_855
; %bb.854:
	v_cvt_f32_f64_e32 v2, v[0:1]
	v_mov_b32_e32 v3, 0
	global_store_dwordx2 v[4:5], v[2:3], off
.LBB9_855:
	s_mov_b32 s23, 0
.LBB9_856:
	s_andn2_b32 vcc_lo, exec_lo, s23
	s_cbranch_vccnz .LBB9_858
; %bb.857:
	v_and_or_b32 v2, 0x1ff, v1, v0
	v_lshrrev_b32_e32 v3, 8, v1
	v_bfe_u32 v6, v1, 20, 11
	v_cmp_ne_u32_e32 vcc_lo, 0, v2
	v_sub_nc_u32_e32 v7, 0x3f1, v6
	v_add_nc_u32_e32 v6, 0xfffffc10, v6
	v_cndmask_b32_e64 v2, 0, 1, vcc_lo
	v_and_or_b32 v2, 0xffe, v3, v2
	v_med3_i32 v3, v7, 0, 13
	v_or_b32_e32 v7, 0x1000, v2
	v_lshrrev_b32_e32 v8, v3, v7
	v_lshlrev_b32_e32 v3, v3, v8
	v_cmp_ne_u32_e32 vcc_lo, v3, v7
	v_lshl_or_b32 v7, v6, 12, v2
	v_cndmask_b32_e64 v3, 0, 1, vcc_lo
	v_cmp_gt_i32_e32 vcc_lo, 1, v6
	v_or_b32_e32 v3, v8, v3
	v_cndmask_b32_e32 v3, v7, v3, vcc_lo
	v_and_b32_e32 v7, 7, v3
	v_lshrrev_b32_e32 v3, 2, v3
	v_cmp_lt_i32_e32 vcc_lo, 5, v7
	v_cndmask_b32_e64 v8, 0, 1, vcc_lo
	v_cmp_eq_u32_e32 vcc_lo, 3, v7
	v_cndmask_b32_e64 v7, 0, 1, vcc_lo
	v_cmp_ne_u32_e32 vcc_lo, 0, v2
	v_or_b32_e32 v7, v7, v8
	v_mov_b32_e32 v8, 0x7e00
	v_add_nc_u32_e32 v3, v3, v7
	v_cndmask_b32_e32 v2, 0x7c00, v8, vcc_lo
	v_cmp_gt_i32_e32 vcc_lo, 31, v6
	v_cndmask_b32_e32 v3, 0x7c00, v3, vcc_lo
	v_cmp_eq_u32_e32 vcc_lo, 0x40f, v6
	v_cndmask_b32_e32 v2, v3, v2, vcc_lo
	v_lshrrev_b32_e32 v3, 16, v1
	v_and_or_b32 v2, 0x8000, v3, v2
	v_and_b32_e32 v2, 0xffff, v2
	global_store_dword v[4:5], v2, off
.LBB9_858:
	s_mov_b32 s23, 0
.LBB9_859:
	s_andn2_b32 vcc_lo, exec_lo, s23
	s_cbranch_vccnz .LBB9_868
; %bb.860:
	s_cmp_lt_i32 s1, 6
	s_mov_b32 s23, -1
	s_cbranch_scc1 .LBB9_866
; %bb.861:
	s_cmp_gt_i32 s1, 6
	s_cbranch_scc0 .LBB9_863
; %bb.862:
	s_mov_b32 s23, 0
	global_store_dwordx2 v[4:5], v[0:1], off
.LBB9_863:
	s_andn2_b32 vcc_lo, exec_lo, s23
	s_cbranch_vccnz .LBB9_865
; %bb.864:
	v_cvt_f32_f64_e32 v2, v[0:1]
	global_store_dword v[4:5], v2, off
.LBB9_865:
	s_mov_b32 s23, 0
.LBB9_866:
	s_andn2_b32 vcc_lo, exec_lo, s23
	s_cbranch_vccnz .LBB9_868
; %bb.867:
	v_and_or_b32 v2, 0x1ff, v1, v0
	v_lshrrev_b32_e32 v3, 8, v1
	v_bfe_u32 v6, v1, 20, 11
	v_cmp_ne_u32_e32 vcc_lo, 0, v2
	v_sub_nc_u32_e32 v7, 0x3f1, v6
	v_add_nc_u32_e32 v6, 0xfffffc10, v6
	v_cndmask_b32_e64 v2, 0, 1, vcc_lo
	v_and_or_b32 v2, 0xffe, v3, v2
	v_med3_i32 v3, v7, 0, 13
	v_or_b32_e32 v7, 0x1000, v2
	v_lshrrev_b32_e32 v8, v3, v7
	v_lshlrev_b32_e32 v3, v3, v8
	v_cmp_ne_u32_e32 vcc_lo, v3, v7
	v_lshl_or_b32 v7, v6, 12, v2
	v_cndmask_b32_e64 v3, 0, 1, vcc_lo
	v_cmp_gt_i32_e32 vcc_lo, 1, v6
	v_or_b32_e32 v3, v8, v3
	v_cndmask_b32_e32 v3, v7, v3, vcc_lo
	v_and_b32_e32 v7, 7, v3
	v_lshrrev_b32_e32 v3, 2, v3
	v_cmp_lt_i32_e32 vcc_lo, 5, v7
	v_cndmask_b32_e64 v8, 0, 1, vcc_lo
	v_cmp_eq_u32_e32 vcc_lo, 3, v7
	v_cndmask_b32_e64 v7, 0, 1, vcc_lo
	v_cmp_ne_u32_e32 vcc_lo, 0, v2
	v_or_b32_e32 v7, v7, v8
	v_mov_b32_e32 v8, 0x7e00
	v_add_nc_u32_e32 v3, v3, v7
	v_cndmask_b32_e32 v2, 0x7c00, v8, vcc_lo
	v_cmp_gt_i32_e32 vcc_lo, 31, v6
	v_cndmask_b32_e32 v3, 0x7c00, v3, vcc_lo
	v_cmp_eq_u32_e32 vcc_lo, 0x40f, v6
	v_cndmask_b32_e32 v2, v3, v2, vcc_lo
	v_lshrrev_b32_e32 v3, 16, v1
	v_and_or_b32 v2, 0x8000, v3, v2
	global_store_short v[4:5], v2, off
.LBB9_868:
	s_mov_b32 s23, 0
.LBB9_869:
	s_andn2_b32 vcc_lo, exec_lo, s23
	s_cbranch_vccnz .LBB9_885
; %bb.870:
	s_cmp_lt_i32 s1, 2
	s_mov_b32 s23, -1
	s_cbranch_scc1 .LBB9_880
; %bb.871:
	s_cmp_lt_i32 s1, 3
	s_cbranch_scc1 .LBB9_877
; %bb.872:
	s_cmp_gt_i32 s1, 3
	s_cbranch_scc0 .LBB9_874
; %bb.873:
	v_trunc_f64_e32 v[2:3], v[0:1]
	s_mov_b32 s23, 0
	v_ldexp_f64 v[6:7], v[2:3], 0xffffffe0
	v_floor_f64_e32 v[6:7], v[6:7]
	v_fma_f64 v[2:3], 0xc1f00000, v[6:7], v[2:3]
	v_cvt_i32_f64_e32 v7, v[6:7]
	v_cvt_u32_f64_e32 v6, v[2:3]
	global_store_dwordx2 v[4:5], v[6:7], off
.LBB9_874:
	s_andn2_b32 vcc_lo, exec_lo, s23
	s_cbranch_vccnz .LBB9_876
; %bb.875:
	v_cvt_i32_f64_e32 v2, v[0:1]
	global_store_dword v[4:5], v2, off
.LBB9_876:
	s_mov_b32 s23, 0
.LBB9_877:
	s_andn2_b32 vcc_lo, exec_lo, s23
	s_cbranch_vccnz .LBB9_879
; %bb.878:
	v_cvt_i32_f64_e32 v2, v[0:1]
	global_store_short v[4:5], v2, off
.LBB9_879:
	s_mov_b32 s23, 0
.LBB9_880:
	s_andn2_b32 vcc_lo, exec_lo, s23
	s_cbranch_vccnz .LBB9_885
; %bb.881:
	s_cmp_gt_i32 s1, 0
	s_mov_b32 s1, -1
	s_cbranch_scc0 .LBB9_883
; %bb.882:
	v_cvt_i32_f64_e32 v2, v[0:1]
	s_mov_b32 s1, 0
	global_store_byte v[4:5], v2, off
.LBB9_883:
	s_andn2_b32 vcc_lo, exec_lo, s1
	s_cbranch_vccnz .LBB9_885
; %bb.884:
	v_trunc_f64_e32 v[0:1], v[0:1]
	v_ldexp_f64 v[2:3], v[0:1], 0xffffffe0
	v_floor_f64_e32 v[2:3], v[2:3]
	v_fma_f64 v[0:1], 0xc1f00000, v[2:3], v[0:1]
	v_cvt_u32_f64_e32 v0, v[0:1]
	global_store_byte v[4:5], v0, off
.LBB9_885:
	s_mov_b32 s43, -1
.LBB9_886:
	s_andn2_b32 vcc_lo, exec_lo, s43
	s_cbranch_vccnz .LBB9_888
; %bb.887:
	v_add_nc_u32_e32 v11, 0x80, v11
	s_mov_b32 s1, -1
	s_branch .LBB9_890
.LBB9_888:
	s_mov_b32 s1, 0
.LBB9_889:
                                        ; implicit-def: $vgpr11
.LBB9_890:
	s_andn2_b32 s23, s40, exec_lo
	s_and_b32 s0, s0, exec_lo
	s_andn2_b32 s43, s39, exec_lo
	s_and_b32 s22, s22, exec_lo
	s_or_b32 s23, s23, s0
	s_or_b32 s22, s43, s22
	s_orn2_b32 s44, s1, exec_lo
.LBB9_891:
	s_or_b32 exec_lo, exec_lo, s42
	s_mov_b32 s0, 0
	s_mov_b32 s1, 0
	;; [unrolled: 1-line block ×3, first 2 shown]
                                        ; implicit-def: $vgpr0_vgpr1
                                        ; implicit-def: $vgpr2
                                        ; implicit-def: $vgpr3_vgpr4
	s_and_saveexec_b32 s42, s44
	s_cbranch_execz .LBB9_991
; %bb.892:
	v_cmp_gt_i32_e32 vcc_lo, s33, v11
	s_mov_b32 s45, s22
	s_mov_b32 s44, 0
                                        ; implicit-def: $vgpr0_vgpr1
                                        ; implicit-def: $vgpr2
                                        ; implicit-def: $vgpr3_vgpr4
	s_and_saveexec_b32 s33, vcc_lo
	s_cbranch_execz .LBB9_990
; %bb.893:
	s_andn2_b32 vcc_lo, exec_lo, s27
	s_cbranch_vccnz .LBB9_898
; %bb.894:
	s_andn2_b32 vcc_lo, exec_lo, s34
	s_cbranch_vccnz .LBB9_899
; %bb.895:
	s_add_i32 s35, s35, 1
	s_cmp_eq_u32 s25, 2
	s_cbranch_scc1 .LBB9_900
; %bb.896:
	v_mov_b32_e32 v0, 0
	v_mov_b32_e32 v2, 0
	;; [unrolled: 1-line block ×3, first 2 shown]
	s_and_b32 s34, s35, 28
	s_mov_b64 s[0:1], s[2:3]
.LBB9_897:                              ; =>This Inner Loop Header: Depth=1
	s_clause 0x1
	s_load_dwordx8 s[44:51], s[0:1], 0x4
	s_load_dwordx4 s[60:63], s[0:1], 0x24
	s_load_dwordx8 s[52:59], s[20:21], 0x0
	s_add_u32 s0, s0, 48
	s_addc_u32 s1, s1, 0
	s_add_i32 s43, s43, 4
	s_add_u32 s20, s20, 32
	s_addc_u32 s21, s21, 0
	s_cmp_eq_u32 s34, s43
	s_waitcnt vmcnt(0) lgkmcnt(0)
	v_mul_hi_u32 v3, s45, v1
	v_add_nc_u32_e32 v3, v1, v3
	v_lshrrev_b32_e32 v3, s46, v3
	v_mul_hi_u32 v4, s48, v3
	v_mul_lo_u32 v6, v3, s44
	v_add_nc_u32_e32 v4, v3, v4
	v_sub_nc_u32_e32 v1, v1, v6
	v_lshrrev_b32_e32 v4, s49, v4
	v_mul_lo_u32 v6, v1, s52
	v_mul_lo_u32 v8, v1, s53
	v_mul_hi_u32 v5, s51, v4
	v_add_nc_u32_e32 v5, v4, v5
	v_lshrrev_b32_e32 v5, s60, v5
	v_mul_hi_u32 v7, s62, v5
	v_mul_lo_u32 v9, v5, s50
	v_add_nc_u32_e32 v1, v5, v7
	v_mul_lo_u32 v7, v4, s47
	v_sub_nc_u32_e32 v4, v4, v9
	v_lshrrev_b32_e32 v1, s63, v1
	v_mul_lo_u32 v9, v4, s56
	v_mul_lo_u32 v4, v4, s57
	v_sub_nc_u32_e32 v3, v3, v7
	v_mul_lo_u32 v10, v1, s61
	v_mul_lo_u32 v7, v3, s54
	;; [unrolled: 1-line block ×3, first 2 shown]
	v_sub_nc_u32_e32 v5, v5, v10
	v_add3_u32 v2, v6, v2, v7
	v_mul_lo_u32 v10, v5, s58
	v_mul_lo_u32 v5, v5, s59
	v_add3_u32 v0, v8, v0, v3
	v_add3_u32 v2, v9, v2, v10
	;; [unrolled: 1-line block ×3, first 2 shown]
	s_cbranch_scc0 .LBB9_897
	s_branch .LBB9_901
.LBB9_898:
	s_mov_b32 s0, -1
                                        ; implicit-def: $vgpr2
                                        ; implicit-def: $vgpr0
	s_branch .LBB9_905
.LBB9_899:
	v_mov_b32_e32 v2, 0
	v_mov_b32_e32 v0, 0
	s_branch .LBB9_904
.LBB9_900:
	v_mov_b32_e32 v2, 0
	v_mov_b32_e32 v0, 0
	;; [unrolled: 1-line block ×3, first 2 shown]
	s_mov_b32 s34, 0
.LBB9_901:
	s_and_b32 s35, s35, 3
	s_cmp_eq_u32 s35, 0
	s_cbranch_scc1 .LBB9_904
; %bb.902:
	s_lshl_b32 s0, s34, 3
	s_mul_i32 s20, s34, 12
	s_add_u32 s0, s2, s0
	s_addc_u32 s1, s3, 0
	s_add_u32 s0, s0, 0xc4
	s_addc_u32 s1, s1, 0
	;; [unrolled: 2-line block ×3, first 2 shown]
.LBB9_903:                              ; =>This Inner Loop Header: Depth=1
	s_clause 0x1
	s_load_dwordx2 s[44:45], s[20:21], 0x4
	s_load_dword s34, s[20:21], 0xc
	s_load_dwordx2 s[46:47], s[0:1], 0x0
	s_add_u32 s20, s20, 12
	s_addc_u32 s21, s21, 0
	s_add_u32 s0, s0, 8
	s_addc_u32 s1, s1, 0
	s_add_i32 s35, s35, -1
	s_cmp_lg_u32 s35, 0
	s_waitcnt vmcnt(0) lgkmcnt(0)
	v_mul_hi_u32 v3, s45, v1
	v_add_nc_u32_e32 v3, v1, v3
	v_lshrrev_b32_e32 v4, s34, v3
	v_mul_lo_u32 v3, v4, s44
	v_sub_nc_u32_e32 v1, v1, v3
	v_mad_u64_u32 v[2:3], null, v1, s46, v[2:3]
	v_mad_u64_u32 v[0:1], null, v1, s47, v[0:1]
	v_mov_b32_e32 v1, v4
	s_cbranch_scc1 .LBB9_903
.LBB9_904:
	s_mov_b32 s0, 0
.LBB9_905:
	s_andn2_b32 vcc_lo, exec_lo, s0
	s_cbranch_vccnz .LBB9_908
; %bb.906:
	s_waitcnt lgkmcnt(0)
	v_mul_hi_u32 v0, s17, v11
	s_andn2_b32 vcc_lo, exec_lo, s31
	v_add_nc_u32_e32 v0, v11, v0
	v_lshrrev_b32_e32 v1, s18, v0
	v_mul_lo_u32 v0, v1, s16
	v_sub_nc_u32_e32 v0, v11, v0
	v_mul_lo_u32 v2, v0, s12
	v_mul_lo_u32 v0, v0, s13
	s_cbranch_vccnz .LBB9_908
; %bb.907:
	s_waitcnt vmcnt(0)
	v_mul_hi_u32 v3, s6, v1
	v_add_nc_u32_e32 v3, v1, v3
	v_lshrrev_b32_e32 v3, s7, v3
	v_mul_lo_u32 v3, v3, s19
	v_sub_nc_u32_e32 v1, v1, v3
	v_mad_u64_u32 v[2:3], null, v1, s14, v[2:3]
	v_mad_u64_u32 v[0:1], null, v1, s15, v[0:1]
.LBB9_908:
	s_waitcnt lgkmcnt(0)
	v_add_co_u32 v0, s0, s10, v0
	v_add_co_ci_u32_e64 v1, null, s11, 0, s0
	s_and_b32 s0, 0xffff, s30
	s_cmp_lt_i32 s0, 11
	s_cbranch_scc1 .LBB9_915
; %bb.909:
	s_cmp_gt_i32 s0, 25
	s_mov_b32 s6, 0
	s_cbranch_scc0 .LBB9_916
; %bb.910:
	s_cmp_gt_i32 s0, 28
	s_cbranch_scc0 .LBB9_917
; %bb.911:
	s_cmp_gt_i32 s0, 43
	;; [unrolled: 3-line block ×3, first 2 shown]
	s_cbranch_scc0 .LBB9_921
; %bb.913:
	s_cmp_eq_u32 s0, 46
	s_mov_b32 s10, 0
	s_cbranch_scc0 .LBB9_924
; %bb.914:
	global_load_dword v3, v[0:1], off
	s_mov_b32 s1, 0
	s_mov_b32 s7, -1
	s_waitcnt vmcnt(0)
	v_lshlrev_b32_e32 v3, 16, v3
	v_cvt_f64_f32_e32 v[3:4], v3
	s_branch .LBB9_926
.LBB9_915:
	s_mov_b32 s0, -1
	s_mov_b32 s7, 0
	s_mov_b32 s6, 0
	;; [unrolled: 1-line block ×3, first 2 shown]
                                        ; implicit-def: $vgpr3_vgpr4
	s_branch .LBB9_989
.LBB9_916:
	s_mov_b32 s10, -1
	s_mov_b32 s7, 0
	s_mov_b32 s1, s22
                                        ; implicit-def: $vgpr3_vgpr4
	s_branch .LBB9_957
.LBB9_917:
	s_mov_b32 s10, -1
	s_mov_b32 s7, 0
	s_mov_b32 s1, s22
                                        ; implicit-def: $vgpr3_vgpr4
	s_branch .LBB9_936
.LBB9_918:
	s_mov_b32 s10, -1
	s_mov_b32 s7, 0
	s_mov_b32 s1, s22
                                        ; implicit-def: $vgpr3_vgpr4
	s_branch .LBB9_931
.LBB9_919:
	s_andn2_saveexec_b32 s45, s45
	s_cbranch_execz .LBB9_799
.LBB9_920:
	v_add_f32_e64 v3, 0x46000000, |v2|
	s_andn2_b32 s44, s44, exec_lo
	v_and_b32_e32 v3, 0xff, v3
	v_cmp_ne_u32_e32 vcc_lo, 0, v3
	s_and_b32 s46, vcc_lo, exec_lo
	s_or_b32 s44, s44, s46
	s_or_b32 exec_lo, exec_lo, s45
	v_mov_b32_e32 v6, 0
	s_and_saveexec_b32 s45, s44
	s_cbranch_execnz .LBB9_800
	s_branch .LBB9_801
.LBB9_921:
	s_mov_b32 s10, -1
	s_mov_b32 s7, 0
	s_mov_b32 s1, s22
	s_branch .LBB9_925
.LBB9_922:
	s_andn2_saveexec_b32 s45, s45
	s_cbranch_execz .LBB9_812
.LBB9_923:
	v_add_f32_e64 v3, 0x42800000, |v2|
	s_andn2_b32 s44, s44, exec_lo
	v_and_b32_e32 v3, 0xff, v3
	v_cmp_ne_u32_e32 vcc_lo, 0, v3
	s_and_b32 s46, vcc_lo, exec_lo
	s_or_b32 s44, s44, s46
	s_or_b32 exec_lo, exec_lo, s45
	v_mov_b32_e32 v6, 0
	s_and_saveexec_b32 s45, s44
	s_cbranch_execnz .LBB9_813
	s_branch .LBB9_814
.LBB9_924:
	s_mov_b32 s1, -1
	s_mov_b32 s7, 0
.LBB9_925:
                                        ; implicit-def: $vgpr3_vgpr4
.LBB9_926:
	s_and_b32 vcc_lo, exec_lo, s10
	s_cbranch_vccz .LBB9_930
; %bb.927:
	s_cmp_eq_u32 s0, 44
	s_cbranch_scc0 .LBB9_929
; %bb.928:
	global_load_ubyte v5, v[0:1], off
	s_mov_b32 s1, 0
	s_mov_b32 s7, -1
	s_waitcnt vmcnt(0)
	v_lshlrev_b32_e32 v3, 23, v5
	v_cmp_ne_u32_e32 vcc_lo, 0xff, v5
	v_cvt_f64_f32_e32 v[3:4], v3
	v_cndmask_b32_e32 v3, 0x20000000, v3, vcc_lo
	v_cndmask_b32_e32 v4, 0x7ff80000, v4, vcc_lo
	v_cmp_ne_u32_e32 vcc_lo, 0, v5
	v_cndmask_b32_e32 v4, 0x38000000, v4, vcc_lo
	v_cndmask_b32_e32 v3, 0, v3, vcc_lo
	s_branch .LBB9_930
.LBB9_929:
	s_mov_b32 s1, -1
                                        ; implicit-def: $vgpr3_vgpr4
.LBB9_930:
	s_mov_b32 s10, 0
.LBB9_931:
	s_and_b32 vcc_lo, exec_lo, s10
	s_cbranch_vccz .LBB9_935
; %bb.932:
	s_cmp_eq_u32 s0, 29
	s_cbranch_scc0 .LBB9_934
; %bb.933:
	global_load_dwordx2 v[3:4], v[0:1], off
	s_mov_b32 s1, 0
	s_mov_b32 s7, -1
	s_mov_b32 s10, 0
	s_waitcnt vmcnt(0)
	v_cvt_f64_u32_e32 v[4:5], v4
	v_cvt_f64_u32_e32 v[6:7], v3
	v_ldexp_f64 v[4:5], v[4:5], 32
	v_add_f64 v[3:4], v[4:5], v[6:7]
	s_branch .LBB9_936
.LBB9_934:
	s_mov_b32 s1, -1
                                        ; implicit-def: $vgpr3_vgpr4
.LBB9_935:
	s_mov_b32 s10, 0
.LBB9_936:
	s_and_b32 vcc_lo, exec_lo, s10
	s_cbranch_vccz .LBB9_956
; %bb.937:
	s_cmp_lt_i32 s0, 27
	s_cbranch_scc1 .LBB9_940
; %bb.938:
	s_cmp_gt_i32 s0, 27
	s_cbranch_scc0 .LBB9_941
; %bb.939:
	global_load_dword v3, v[0:1], off
	s_mov_b32 s7, 0
	s_waitcnt vmcnt(0)
	v_cvt_f64_u32_e32 v[3:4], v3
	s_branch .LBB9_942
.LBB9_940:
	s_mov_b32 s7, -1
                                        ; implicit-def: $vgpr3_vgpr4
	s_branch .LBB9_945
.LBB9_941:
	s_mov_b32 s7, -1
                                        ; implicit-def: $vgpr3_vgpr4
.LBB9_942:
	s_andn2_b32 vcc_lo, exec_lo, s7
	s_cbranch_vccnz .LBB9_944
; %bb.943:
	global_load_ushort v3, v[0:1], off
	s_waitcnt vmcnt(0)
	v_cvt_f64_u32_e32 v[3:4], v3
.LBB9_944:
	s_mov_b32 s7, 0
.LBB9_945:
	s_andn2_b32 vcc_lo, exec_lo, s7
	s_cbranch_vccnz .LBB9_955
; %bb.946:
	global_load_ubyte v5, v[0:1], off
	s_mov_b32 s7, 0
	s_mov_b32 s10, exec_lo
	s_waitcnt vmcnt(0)
	v_cmpx_lt_i16_e32 0x7f, v5
	s_xor_b32 s10, exec_lo, s10
	s_cbranch_execz .LBB9_950
; %bb.947:
	s_mov_b32 s7, -1
	s_mov_b32 s11, exec_lo
	v_cmpx_eq_u16_e32 0x80, v5
; %bb.948:
	s_xor_b32 s7, exec_lo, -1
; %bb.949:
	s_or_b32 exec_lo, exec_lo, s11
	s_and_b32 s7, s7, exec_lo
.LBB9_950:
	s_or_saveexec_b32 s10, s10
	v_bfrev_b32_e32 v3, 4
	v_mov_b32_e32 v4, 0x7ff80000
	s_xor_b32 exec_lo, exec_lo, s10
; %bb.951:
	v_cmp_ne_u16_e32 vcc_lo, 0, v5
	v_mov_b32_e32 v3, 0
	v_mov_b32_e32 v4, 0
	s_andn2_b32 s7, s7, exec_lo
	s_and_b32 s11, vcc_lo, exec_lo
	s_or_b32 s7, s7, s11
; %bb.952:
	s_or_b32 exec_lo, exec_lo, s10
	s_and_saveexec_b32 s10, s7
	s_cbranch_execz .LBB9_954
; %bb.953:
	v_and_b32_e32 v3, 0xffff, v5
	v_lshlrev_b32_e32 v5, 24, v5
	v_and_b32_e32 v4, 7, v3
	v_bfe_u32 v8, v3, 3, 4
	v_ffbh_u32_e32 v6, v4
	v_cmp_eq_u32_e32 vcc_lo, 0, v8
	v_min_u32_e32 v6, 32, v6
	v_subrev_nc_u32_e32 v7, 28, v6
	v_sub_nc_u32_e32 v6, 29, v6
	v_lshlrev_b32_e32 v3, v7, v3
	v_cndmask_b32_e32 v6, v8, v6, vcc_lo
	v_and_b32_e32 v3, 7, v3
	v_cndmask_b32_e32 v3, v4, v3, vcc_lo
	v_and_b32_e32 v4, 0x80000000, v5
	v_lshl_add_u32 v5, v6, 23, 0x3b800000
	v_lshlrev_b32_e32 v3, 20, v3
	v_or3_b32 v3, v4, v5, v3
	v_cvt_f64_f32_e32 v[3:4], v3
.LBB9_954:
	s_or_b32 exec_lo, exec_lo, s10
.LBB9_955:
	s_mov_b32 s7, -1
.LBB9_956:
	s_mov_b32 s10, 0
.LBB9_957:
	s_and_b32 vcc_lo, exec_lo, s10
	s_cbranch_vccz .LBB9_988
; %bb.958:
	s_cmp_gt_i32 s0, 22
	s_cbranch_scc0 .LBB9_970
; %bb.959:
	s_cmp_lt_i32 s0, 24
	s_cbranch_scc1 .LBB9_971
; %bb.960:
	s_cmp_gt_i32 s0, 24
	s_cbranch_scc0 .LBB9_972
; %bb.961:
	global_load_ubyte v5, v[0:1], off
	s_mov_b32 s7, exec_lo
	s_waitcnt vmcnt(0)
	v_cmpx_lt_i16_e32 0x7f, v5
	s_xor_b32 s7, exec_lo, s7
	s_cbranch_execz .LBB9_965
; %bb.962:
	s_mov_b32 s6, -1
	s_mov_b32 s10, exec_lo
	v_cmpx_eq_u16_e32 0x80, v5
; %bb.963:
	s_xor_b32 s6, exec_lo, -1
; %bb.964:
	s_or_b32 exec_lo, exec_lo, s10
	s_and_b32 s6, s6, exec_lo
.LBB9_965:
	s_or_saveexec_b32 s7, s7
	v_bfrev_b32_e32 v3, 4
	v_mov_b32_e32 v4, 0x7ff80000
	s_xor_b32 exec_lo, exec_lo, s7
; %bb.966:
	v_cmp_ne_u16_e32 vcc_lo, 0, v5
	v_mov_b32_e32 v3, 0
	v_mov_b32_e32 v4, 0
	s_andn2_b32 s6, s6, exec_lo
	s_and_b32 s10, vcc_lo, exec_lo
	s_or_b32 s6, s6, s10
; %bb.967:
	s_or_b32 exec_lo, exec_lo, s7
	s_and_saveexec_b32 s7, s6
	s_cbranch_execz .LBB9_969
; %bb.968:
	v_and_b32_e32 v3, 0xffff, v5
	v_lshlrev_b32_e32 v5, 24, v5
	v_and_b32_e32 v4, 3, v3
	v_bfe_u32 v8, v3, 2, 5
	v_ffbh_u32_e32 v6, v4
	v_cmp_eq_u32_e32 vcc_lo, 0, v8
	v_min_u32_e32 v6, 32, v6
	v_subrev_nc_u32_e32 v7, 29, v6
	v_sub_nc_u32_e32 v6, 30, v6
	v_lshlrev_b32_e32 v3, v7, v3
	v_cndmask_b32_e32 v6, v8, v6, vcc_lo
	v_and_b32_e32 v3, 3, v3
	v_cndmask_b32_e32 v3, v4, v3, vcc_lo
	v_and_b32_e32 v4, 0x80000000, v5
	v_lshl_add_u32 v5, v6, 23, 0x37800000
	v_lshlrev_b32_e32 v3, 21, v3
	v_or3_b32 v3, v4, v5, v3
	v_cvt_f64_f32_e32 v[3:4], v3
.LBB9_969:
	s_or_b32 exec_lo, exec_lo, s7
	s_mov_b32 s6, 0
	s_branch .LBB9_973
.LBB9_970:
	s_mov_b32 s6, -1
                                        ; implicit-def: $vgpr3_vgpr4
	s_branch .LBB9_979
.LBB9_971:
	s_mov_b32 s6, -1
                                        ; implicit-def: $vgpr3_vgpr4
	s_branch .LBB9_976
.LBB9_972:
	s_mov_b32 s6, -1
                                        ; implicit-def: $vgpr3_vgpr4
.LBB9_973:
	s_and_b32 vcc_lo, exec_lo, s6
	s_cbranch_vccz .LBB9_975
; %bb.974:
	global_load_ubyte v3, v[0:1], off
	s_waitcnt vmcnt(0)
	v_lshlrev_b32_e32 v3, 24, v3
	v_and_b32_e32 v4, 0x7f000000, v3
	v_ffbh_u32_e32 v5, v4
	v_add_nc_u32_e32 v7, 0x1000000, v4
	v_cmp_ne_u32_e32 vcc_lo, 0, v4
	v_min_u32_e32 v5, 32, v5
	v_sub_nc_u32_e64 v5, v5, 4 clamp
	v_lshlrev_b32_e32 v6, v5, v4
	v_lshlrev_b32_e32 v5, 23, v5
	v_lshrrev_b32_e32 v6, 4, v6
	v_sub_nc_u32_e32 v5, v6, v5
	v_ashrrev_i32_e32 v6, 8, v7
	v_add_nc_u32_e32 v5, 0x3c000000, v5
	v_and_or_b32 v5, 0x7f800000, v6, v5
	v_cndmask_b32_e32 v4, 0, v5, vcc_lo
	v_and_or_b32 v3, 0x80000000, v3, v4
	v_cvt_f64_f32_e32 v[3:4], v3
.LBB9_975:
	s_mov_b32 s6, 0
.LBB9_976:
	s_andn2_b32 vcc_lo, exec_lo, s6
	s_cbranch_vccnz .LBB9_978
; %bb.977:
	global_load_ubyte v3, v[0:1], off
	s_waitcnt vmcnt(0)
	v_lshlrev_b32_e32 v4, 25, v3
	v_lshlrev_b16 v3, 8, v3
	v_lshrrev_b32_e32 v5, 4, v4
	v_and_or_b32 v6, 0x7f00, v3, 0.5
	v_cmp_gt_u32_e32 vcc_lo, 0x8000000, v4
	v_bfe_i32 v3, v3, 0, 16
	v_or_b32_e32 v5, 0x70000000, v5
	v_add_f32_e32 v6, -0.5, v6
	v_mul_f32_e32 v5, 0x7800000, v5
	v_cndmask_b32_e32 v4, v5, v6, vcc_lo
	v_and_or_b32 v3, 0x80000000, v3, v4
	v_cvt_f64_f32_e32 v[3:4], v3
.LBB9_978:
	s_mov_b32 s6, 0
	s_mov_b32 s7, -1
.LBB9_979:
	s_andn2_b32 vcc_lo, exec_lo, s6
	s_mov_b32 s6, 0
	s_cbranch_vccnz .LBB9_988
; %bb.980:
	s_cmp_gt_i32 s0, 14
	s_cbranch_scc0 .LBB9_983
; %bb.981:
	s_cmp_eq_u32 s0, 15
	s_cbranch_scc0 .LBB9_984
; %bb.982:
	global_load_ushort v3, v[0:1], off
	s_mov_b32 s1, 0
	s_mov_b32 s7, -1
	s_waitcnt vmcnt(0)
	v_lshlrev_b32_e32 v3, 16, v3
	v_cvt_f64_f32_e32 v[3:4], v3
	s_branch .LBB9_986
.LBB9_983:
	s_mov_b32 s6, -1
	s_branch .LBB9_985
.LBB9_984:
	s_mov_b32 s1, -1
.LBB9_985:
                                        ; implicit-def: $vgpr3_vgpr4
.LBB9_986:
	s_and_b32 vcc_lo, exec_lo, s6
	s_mov_b32 s6, 0
	s_cbranch_vccz .LBB9_988
; %bb.987:
	s_cmp_lg_u32 s0, 11
	s_mov_b32 s6, -1
	s_cselect_b32 s0, -1, 0
	s_andn2_b32 s1, s1, exec_lo
	s_and_b32 s0, s0, exec_lo
	s_or_b32 s1, s1, s0
.LBB9_988:
	s_mov_b32 s0, 0
.LBB9_989:
	s_and_b32 s43, s7, exec_lo
	s_andn2_b32 s7, s22, exec_lo
	s_and_b32 s1, s1, exec_lo
	s_and_b32 s44, s0, exec_lo
	;; [unrolled: 1-line block ×3, first 2 shown]
	s_or_b32 s45, s7, s1
.LBB9_990:
	s_or_b32 exec_lo, exec_lo, s33
	s_waitcnt lgkmcnt(0)
	s_andn2_b32 s6, s22, exec_lo
	s_and_b32 s7, s45, exec_lo
	s_and_b32 s43, s43, exec_lo
	s_and_b32 s1, s44, exec_lo
	s_and_b32 s0, s0, exec_lo
	s_or_b32 s22, s6, s7
.LBB9_991:
	s_or_b32 exec_lo, exec_lo, s42
	s_waitcnt lgkmcnt(0)
	s_andn2_b32 s6, s40, exec_lo
	s_and_b32 s7, s23, exec_lo
	s_and_b32 s42, s43, exec_lo
	s_or_b32 s40, s6, s7
	s_andn2_b32 s6, s39, exec_lo
	s_and_b32 s7, s22, exec_lo
	s_and_b32 s23, s1, exec_lo
	;; [unrolled: 1-line block ×3, first 2 shown]
	s_or_b32 s39, s6, s7
.LBB9_992:
	s_or_b32 exec_lo, exec_lo, s41
	s_andn2_b32 s0, s36, exec_lo
	s_waitcnt lgkmcnt(0)
	s_and_b32 s6, s40, exec_lo
	s_and_b32 s7, s39, exec_lo
	s_or_b32 s36, s0, s6
	s_andn2_b32 s6, s37, exec_lo
	s_and_b32 s0, s42, exec_lo
	s_and_b32 s22, s23, exec_lo
	;; [unrolled: 1-line block ×3, first 2 shown]
	s_or_b32 s37, s6, s7
	s_or_b32 exec_lo, exec_lo, s38
	s_mov_b32 s6, 0
	s_and_saveexec_b32 s1, s37
	s_cbranch_execz .LBB9_298
.LBB9_993:
	s_mov_b32 s6, exec_lo
	s_andn2_b32 s39, s39, exec_lo
	s_trap 2
	s_or_b32 exec_lo, exec_lo, s1
	s_and_saveexec_b32 s1, s39
	s_xor_b32 s1, exec_lo, s1
	s_cbranch_execnz .LBB9_299
.LBB9_994:
	s_or_b32 exec_lo, exec_lo, s1
	s_and_saveexec_b32 s1, s22
	s_cbranch_execz .LBB9_1040
.LBB9_995:
	s_sext_i32_i16 s7, s30
	s_cmp_lt_i32 s7, 5
	s_cbranch_scc1 .LBB9_1000
; %bb.996:
	s_cmp_lt_i32 s7, 8
	s_cbranch_scc1 .LBB9_1001
; %bb.997:
	;; [unrolled: 3-line block ×3, first 2 shown]
	s_cmp_gt_i32 s7, 9
	s_cbranch_scc0 .LBB9_1003
; %bb.999:
	global_load_dwordx2 v[3:4], v[0:1], off
	s_mov_b32 s7, 0
	s_branch .LBB9_1004
.LBB9_1000:
                                        ; implicit-def: $vgpr3_vgpr4
	s_branch .LBB9_1021
.LBB9_1001:
                                        ; implicit-def: $vgpr3_vgpr4
	s_branch .LBB9_1010
.LBB9_1002:
	s_mov_b32 s7, -1
                                        ; implicit-def: $vgpr3_vgpr4
	s_branch .LBB9_1007
.LBB9_1003:
	s_mov_b32 s7, -1
                                        ; implicit-def: $vgpr3_vgpr4
.LBB9_1004:
	s_andn2_b32 vcc_lo, exec_lo, s7
	s_cbranch_vccnz .LBB9_1006
; %bb.1005:
	global_load_dword v3, v[0:1], off
	s_waitcnt vmcnt(0)
	v_cvt_f64_f32_e32 v[3:4], v3
.LBB9_1006:
	s_mov_b32 s7, 0
.LBB9_1007:
	s_andn2_b32 vcc_lo, exec_lo, s7
	s_cbranch_vccnz .LBB9_1009
; %bb.1008:
	global_load_dword v3, v[0:1], off
	s_waitcnt vmcnt(0)
	v_cvt_f32_f16_e32 v3, v3
	v_cvt_f64_f32_e32 v[3:4], v3
.LBB9_1009:
	s_cbranch_execnz .LBB9_1020
.LBB9_1010:
	s_sext_i32_i16 s7, s30
	s_cmp_lt_i32 s7, 6
	s_cbranch_scc1 .LBB9_1013
; %bb.1011:
	s_cmp_gt_i32 s7, 6
	s_cbranch_scc0 .LBB9_1014
; %bb.1012:
	global_load_dwordx2 v[3:4], v[0:1], off
	s_mov_b32 s7, 0
	s_branch .LBB9_1015
.LBB9_1013:
	s_mov_b32 s7, -1
                                        ; implicit-def: $vgpr3_vgpr4
	s_branch .LBB9_1018
.LBB9_1014:
	s_mov_b32 s7, -1
                                        ; implicit-def: $vgpr3_vgpr4
.LBB9_1015:
	s_andn2_b32 vcc_lo, exec_lo, s7
	s_cbranch_vccnz .LBB9_1017
; %bb.1016:
	global_load_dword v3, v[0:1], off
	s_waitcnt vmcnt(0)
	v_cvt_f64_f32_e32 v[3:4], v3
.LBB9_1017:
	s_mov_b32 s7, 0
.LBB9_1018:
	s_andn2_b32 vcc_lo, exec_lo, s7
	s_cbranch_vccnz .LBB9_1020
; %bb.1019:
	global_load_ushort v3, v[0:1], off
	s_waitcnt vmcnt(0)
	v_cvt_f32_f16_e32 v3, v3
	v_cvt_f64_f32_e32 v[3:4], v3
.LBB9_1020:
	s_cbranch_execnz .LBB9_1039
.LBB9_1021:
	s_sext_i32_i16 s7, s30
	s_cmp_lt_i32 s7, 2
	s_cbranch_scc1 .LBB9_1025
; %bb.1022:
	s_cmp_lt_i32 s7, 3
	s_cbranch_scc1 .LBB9_1026
; %bb.1023:
	s_cmp_gt_i32 s7, 3
	s_cbranch_scc0 .LBB9_1027
; %bb.1024:
	global_load_dwordx2 v[3:4], v[0:1], off
	s_mov_b32 s7, 0
	s_waitcnt vmcnt(0)
	v_cvt_f64_i32_e32 v[4:5], v4
	v_cvt_f64_u32_e32 v[6:7], v3
	v_ldexp_f64 v[4:5], v[4:5], 32
	v_add_f64 v[3:4], v[4:5], v[6:7]
	s_branch .LBB9_1028
.LBB9_1025:
                                        ; implicit-def: $vgpr3_vgpr4
	s_branch .LBB9_1034
.LBB9_1026:
	s_mov_b32 s7, -1
                                        ; implicit-def: $vgpr3_vgpr4
	s_branch .LBB9_1031
.LBB9_1027:
	s_mov_b32 s7, -1
                                        ; implicit-def: $vgpr3_vgpr4
.LBB9_1028:
	s_andn2_b32 vcc_lo, exec_lo, s7
	s_cbranch_vccnz .LBB9_1030
; %bb.1029:
	global_load_dword v3, v[0:1], off
	s_waitcnt vmcnt(0)
	v_cvt_f64_i32_e32 v[3:4], v3
.LBB9_1030:
	s_mov_b32 s7, 0
.LBB9_1031:
	s_andn2_b32 vcc_lo, exec_lo, s7
	s_cbranch_vccnz .LBB9_1033
; %bb.1032:
	global_load_sshort v3, v[0:1], off
	s_waitcnt vmcnt(0)
	v_cvt_f64_i32_e32 v[3:4], v3
.LBB9_1033:
	s_cbranch_execnz .LBB9_1039
.LBB9_1034:
	s_sext_i32_i16 s7, s30
	s_cmp_gt_i32 s7, 0
	s_mov_b32 s7, 0
	s_cbranch_scc0 .LBB9_1036
; %bb.1035:
	global_load_sbyte v3, v[0:1], off
	s_waitcnt vmcnt(0)
	v_cvt_f64_i32_e32 v[3:4], v3
	s_branch .LBB9_1037
.LBB9_1036:
	s_mov_b32 s7, -1
                                        ; implicit-def: $vgpr3_vgpr4
.LBB9_1037:
	s_andn2_b32 vcc_lo, exec_lo, s7
	s_cbranch_vccnz .LBB9_1039
; %bb.1038:
	global_load_ubyte v0, v[0:1], off
	s_waitcnt vmcnt(0)
	v_cvt_f64_u32_e32 v[3:4], v0
.LBB9_1039:
	s_or_b32 s0, s0, exec_lo
.LBB9_1040:
	s_or_b32 exec_lo, exec_lo, s1
	s_mov_b32 s11, 0
	s_mov_b32 s10, 0
                                        ; implicit-def: $sgpr1
                                        ; implicit-def: $vgpr5_vgpr6
                                        ; implicit-def: $vgpr0_vgpr1
	s_and_saveexec_b32 s7, s0
	s_cbranch_execz .LBB9_1072
; %bb.1041:
                                        ; implicit-def: $vgpr0_vgpr1
	s_mov_b32 s0, exec_lo
	s_waitcnt vmcnt(0)
	v_cmpx_neq_f64_e32 0, v[3:4]
	s_xor_b32 s10, exec_lo, s0
	s_cbranch_execz .LBB9_1063
; %bb.1042:
	v_mov_b32_e32 v5, 0
	v_mov_b32_e32 v6, 0
	s_mov_b32 s1, -1
	s_mov_b32 s11, exec_lo
	v_cmpx_gt_f64_e32 0, v[3:4]
	s_cbranch_execz .LBB9_1050
; %bb.1043:
	v_trunc_f64_e32 v[0:1], v[3:4]
	v_mov_b32_e32 v5, 0
	v_mov_b32_e32 v6, 0
	s_mov_b32 s1, 0
	s_mov_b32 s12, exec_lo
	v_cmpx_neq_f64_e32 v[3:4], v[0:1]
	s_cbranch_execz .LBB9_1049
; %bb.1044:
	v_add_f64 v[0:1], v[3:4], -v[0:1]
	s_mov_b32 s1, 0xc00921fb
	s_mov_b32 s0, 0x54442d18
	v_cmp_neq_f64_e64 vcc_lo, 0x7ff00000, |v[3:4]|
	s_mov_b32 s13, exec_lo
                                        ; implicit-def: $vgpr9
                                        ; implicit-def: $vgpr5_vgpr6
                                        ; implicit-def: $vgpr7_vgpr8
	v_mul_f64 v[0:1], |v[0:1]|, s[0:1]
	v_cndmask_b32_e32 v1, 0x80000000, v1, vcc_lo
	v_cndmask_b32_e32 v0, 0, v0, vcc_lo
	v_cmpx_ngt_f64_e64 0x41d00000, |v[0:1]|
	s_xor_b32 s13, exec_lo, s13
	s_cbranch_execz .LBB9_1046
; %bb.1045:
	v_ldexp_f64 v[5:6], |v[0:1]|, 0xffffff80
	v_cmp_le_f64_e64 vcc_lo, 0x7b000000, |v[0:1]|
	v_trig_preop_f64 v[7:8], |v[0:1]|, 0
	v_and_b32_e32 v9, 0x7fffffff, v1
	v_trig_preop_f64 v[19:20], |v[0:1]|, 2
	v_mov_b32_e32 v27, 0
	s_mov_b32 s1, 0x3ff921fb
	s_mov_b32 s14, 0x33145c07
	;; [unrolled: 1-line block ×3, first 2 shown]
	v_cndmask_b32_e32 v6, v9, v6, vcc_lo
	v_cndmask_b32_e32 v5, v0, v5, vcc_lo
	v_trig_preop_f64 v[9:10], |v[0:1]|, 1
	v_mul_f64 v[11:12], v[7:8], v[5:6]
	v_mul_f64 v[25:26], v[19:20], v[5:6]
	;; [unrolled: 1-line block ×3, first 2 shown]
	v_fma_f64 v[7:8], v[7:8], v[5:6], -v[11:12]
	v_fma_f64 v[9:10], v[9:10], v[5:6], -v[13:14]
	;; [unrolled: 1-line block ×3, first 2 shown]
	v_add_f64 v[15:16], v[13:14], v[7:8]
	v_add_f64 v[17:18], v[15:16], -v[13:14]
	v_add_f64 v[23:24], v[11:12], v[15:16]
	v_add_f64 v[21:22], v[15:16], -v[17:18]
	v_add_f64 v[7:8], v[7:8], -v[17:18]
	v_ldexp_f64 v[17:18], v[23:24], -2
	v_add_f64 v[11:12], v[23:24], -v[11:12]
	v_add_f64 v[13:14], v[13:14], -v[21:22]
	v_add_f64 v[21:22], v[25:26], v[9:10]
	v_cmp_neq_f64_e64 vcc_lo, 0x7ff00000, |v[17:18]|
	v_add_f64 v[11:12], v[15:16], -v[11:12]
	v_add_f64 v[7:8], v[7:8], v[13:14]
	v_fract_f64_e32 v[13:14], v[17:18]
	v_add_f64 v[15:16], v[21:22], v[7:8]
	v_ldexp_f64 v[13:14], v[13:14], 2
	v_add_f64 v[17:18], v[11:12], v[15:16]
	v_cndmask_b32_e32 v14, 0, v14, vcc_lo
	v_cndmask_b32_e32 v13, 0, v13, vcc_lo
	v_add_f64 v[23:24], v[17:18], v[13:14]
	v_add_f64 v[11:12], v[17:18], -v[11:12]
	v_cmp_gt_f64_e32 vcc_lo, 0, v[23:24]
	v_add_f64 v[23:24], v[21:22], -v[25:26]
	v_cndmask_b32_e64 v28, 0, 0x40100000, vcc_lo
	v_add_f64 v[32:33], v[21:22], -v[23:24]
	v_add_f64 v[9:10], v[9:10], -v[23:24]
	v_add_f64 v[13:14], v[13:14], v[27:28]
	v_add_f64 v[28:29], v[15:16], -v[21:22]
	v_add_f64 v[23:24], v[25:26], -v[32:33]
	v_add_f64 v[30:31], v[17:18], v[13:14]
	;; [unrolled: 3-line block ×3, first 2 shown]
	v_cvt_i32_f64_e32 v30, v[30:31]
	v_add_f64 v[21:22], v[21:22], -v[34:35]
	v_cvt_f64_i32_e32 v[28:29], v30
	v_add_f64 v[7:8], v[7:8], v[21:22]
	v_add_f64 v[13:14], v[13:14], -v[28:29]
	v_add_f64 v[7:8], v[9:10], v[7:8]
	v_add_f64 v[9:10], v[15:16], -v[11:12]
	v_add_f64 v[19:20], v[17:18], v[13:14]
	v_add_f64 v[5:6], v[5:6], v[7:8]
	v_add_f64 v[7:8], v[19:20], -v[13:14]
	v_cmp_le_f64_e32 vcc_lo, 0.5, v[19:20]
	v_add_f64 v[5:6], v[9:10], v[5:6]
	v_add_f64 v[7:8], v[17:18], -v[7:8]
	v_cndmask_b32_e64 v28, 0, 0x3ff00000, vcc_lo
	v_add_co_ci_u32_e64 v9, null, 0, v30, vcc_lo
	v_add_f64 v[5:6], v[5:6], v[7:8]
	v_add_f64 v[7:8], v[19:20], -v[27:28]
	v_add_f64 v[10:11], v[7:8], v[5:6]
	v_mul_f64 v[12:13], v[10:11], s[0:1]
	v_add_f64 v[7:8], v[10:11], -v[7:8]
	v_fma_f64 v[14:15], v[10:11], s[0:1], -v[12:13]
	v_add_f64 v[5:6], v[5:6], -v[7:8]
	v_fma_f64 v[7:8], v[10:11], s[14:15], v[14:15]
	v_fma_f64 v[7:8], v[5:6], s[0:1], v[7:8]
	v_add_f64 v[5:6], v[12:13], v[7:8]
	v_add_f64 v[10:11], v[5:6], -v[12:13]
	v_add_f64 v[7:8], v[7:8], -v[10:11]
.LBB9_1046:
	s_andn2_saveexec_b32 s0, s13
	s_cbranch_execz .LBB9_1048
; %bb.1047:
	s_mov_b32 s14, 0x6dc9c883
	s_mov_b32 s15, 0x3fe45f30
	;; [unrolled: 1-line block ×3, first 2 shown]
	v_mul_f64 v[5:6], |v[0:1]|, s[14:15]
	s_mov_b32 s14, 0x54442d18
	s_mov_b32 s15, 0xbff921fb
	;; [unrolled: 1-line block ×3, first 2 shown]
	v_rndne_f64_e32 v[9:10], v[5:6]
	v_fma_f64 v[5:6], v[9:10], s[14:15], |v[0:1]|
	v_mul_f64 v[7:8], v[9:10], s[16:17]
	s_mov_b32 s14, 0x252049c0
	s_mov_b32 s15, 0xb97b839a
	v_fma_f64 v[13:14], v[9:10], s[16:17], v[5:6]
	v_add_f64 v[11:12], v[5:6], v[7:8]
	s_mov_b32 s17, 0x3c91a626
	v_add_f64 v[5:6], v[5:6], -v[11:12]
	v_add_f64 v[11:12], v[11:12], -v[13:14]
	v_add_f64 v[5:6], v[5:6], v[7:8]
	v_fma_f64 v[7:8], v[9:10], s[16:17], v[7:8]
	v_add_f64 v[5:6], v[11:12], v[5:6]
	v_add_f64 v[5:6], v[5:6], -v[7:8]
	v_fma_f64 v[7:8], v[9:10], s[14:15], v[5:6]
	v_cvt_i32_f64_e32 v9, v[9:10]
	v_add_f64 v[5:6], v[13:14], v[7:8]
	v_add_f64 v[11:12], v[5:6], -v[13:14]
	v_add_f64 v[7:8], v[7:8], -v[11:12]
.LBB9_1048:
	s_or_b32 exec_lo, exec_lo, s0
	v_mul_f64 v[10:11], v[5:6], v[5:6]
	v_add_f64 v[12:13], v[7:8], v[7:8]
	s_mov_b32 s14, 0xa9a29f71
	s_mov_b32 s16, 0xc751c08c
	;; [unrolled: 1-line block ×4, first 2 shown]
	v_cmp_class_f64_e64 s0, v[0:1], 0x1f8
	v_and_b32_e32 v9, 1, v9
	v_and_b32_e32 v1, 0x80000000, v1
	v_add_f64 v[3:4], -v[3:4], 1.0
	s_mov_b32 s1, exec_lo
	v_cmp_eq_u32_e32 vcc_lo, 0, v9
	v_fma_f64 v[14:15], v[5:6], v[5:6], -v[10:11]
	v_fma_f64 v[12:13], v[5:6], v[12:13], v[14:15]
	v_add_f64 v[10:11], v[10:11], v[12:13]
	v_fma_f64 v[12:13], v[10:11], s[16:17], s[14:15]
	s_mov_b32 s14, 0x90a8aae0
	s_mov_b32 s15, 0x3f17746f
	v_fma_f64 v[12:13], v[10:11], v[12:13], s[14:15]
	s_mov_b32 s14, 0xa6fbf144
	s_mov_b32 s15, 0xbefbb44d
	;; [unrolled: 3-line block ×13, first 2 shown]
	v_mul_f64 v[10:11], v[10:11], v[12:13]
	v_mul_f64 v[12:13], v[5:6], v[10:11]
	v_add_f64 v[14:15], v[5:6], v[12:13]
	v_fma_f64 v[10:11], v[5:6], v[10:11], -v[12:13]
	v_add_f64 v[5:6], v[14:15], -v[5:6]
	v_add_f64 v[7:8], v[7:8], v[10:11]
	v_add_f64 v[5:6], v[12:13], -v[5:6]
	v_add_f64 v[5:6], v[7:8], v[5:6]
	v_add_f64 v[7:8], v[14:15], v[5:6]
	v_rcp_f64_e32 v[10:11], v[7:8]
	v_fma_f64 v[12:13], -v[7:8], v[10:11], 1.0
	v_fma_f64 v[10:11], v[12:13], v[10:11], v[10:11]
	v_fma_f64 v[12:13], -v[7:8], v[10:11], 1.0
	v_fma_f64 v[10:11], v[12:13], v[10:11], v[10:11]
	v_add_f64 v[12:13], v[7:8], -v[14:15]
	v_mul_f64 v[14:15], v[7:8], v[10:11]
	v_add_f64 v[5:6], v[5:6], -v[12:13]
	v_fma_f64 v[12:13], v[10:11], v[7:8], -v[14:15]
	v_fma_f64 v[5:6], v[10:11], v[5:6], v[12:13]
	v_add_f64 v[12:13], v[14:15], v[5:6]
	v_add_f64 v[16:17], -v[12:13], 1.0
	v_add_f64 v[14:15], v[12:13], -v[14:15]
	v_add_f64 v[18:19], -v[16:17], 1.0
	v_add_f64 v[5:6], v[14:15], -v[5:6]
	v_add_f64 v[12:13], v[18:19], -v[12:13]
	v_add_f64 v[5:6], v[5:6], v[12:13]
	v_add_f64 v[5:6], v[16:17], v[5:6]
	v_mul_f64 v[5:6], v[10:11], v[5:6]
	v_add_f64 v[5:6], v[10:11], v[5:6]
	v_xor_b32_e32 v0, 0x80000000, v6
	v_cndmask_b32_e32 v5, v5, v7, vcc_lo
	v_cndmask_b32_e32 v0, v0, v8, vcc_lo
	v_xor_b32_e32 v1, v0, v1
	v_cndmask_b32_e64 v0, 0, v5, s0
	v_cndmask_b32_e64 v1, 0x7ff80000, v1, s0
	v_div_scale_f64 v[5:6], null, v[0:1], v[0:1], s[14:15]
	v_div_scale_f64 v[11:12], vcc_lo, s[14:15], v[0:1], s[14:15]
	v_rcp_f64_e32 v[7:8], v[5:6]
	v_fma_f64 v[9:10], -v[5:6], v[7:8], 1.0
	v_fma_f64 v[7:8], v[7:8], v[9:10], v[7:8]
	v_fma_f64 v[9:10], -v[5:6], v[7:8], 1.0
	v_fma_f64 v[7:8], v[7:8], v[9:10], v[7:8]
	v_mul_f64 v[9:10], v[11:12], v[7:8]
	v_fma_f64 v[5:6], -v[5:6], v[9:10], v[11:12]
	v_div_fmas_f64 v[5:6], v[5:6], v[7:8], v[9:10]
	v_div_fixup_f64 v[5:6], v[5:6], v[0:1], s[14:15]
.LBB9_1049:
	s_or_b32 exec_lo, exec_lo, s12
	s_orn2_b32 s1, s1, exec_lo
.LBB9_1050:
	s_or_b32 exec_lo, exec_lo, s11
	v_mov_b32_e32 v0, 0
	v_mov_b32_e32 v1, 0x7ff80000
	s_and_saveexec_b32 s0, s1
	s_cbranch_execz .LBB9_1062
; %bb.1051:
	s_mov_b32 s1, exec_lo
	v_cmpx_gt_f64_e32 0x40240000, v[3:4]
	s_cbranch_execz .LBB9_1055
; %bb.1052:
	s_mov_b32 s11, 0
	.p2align	6
.LBB9_1053:                             ; =>This Inner Loop Header: Depth=1
	v_div_scale_f64 v[0:1], null, v[3:4], v[3:4], 1.0
	v_div_scale_f64 v[11:12], vcc_lo, 1.0, v[3:4], 1.0
	v_rcp_f64_e32 v[7:8], v[0:1]
	v_fma_f64 v[9:10], -v[0:1], v[7:8], 1.0
	v_fma_f64 v[7:8], v[7:8], v[9:10], v[7:8]
	v_fma_f64 v[9:10], -v[0:1], v[7:8], 1.0
	v_fma_f64 v[7:8], v[7:8], v[9:10], v[7:8]
	v_mul_f64 v[9:10], v[11:12], v[7:8]
	v_fma_f64 v[0:1], -v[0:1], v[9:10], v[11:12]
	v_div_fmas_f64 v[0:1], v[0:1], v[7:8], v[9:10]
	v_div_fixup_f64 v[0:1], v[0:1], v[3:4], 1.0
	v_add_f64 v[3:4], v[3:4], 1.0
	v_add_f64 v[5:6], v[5:6], -v[0:1]
	v_cmp_ngt_f64_e32 vcc_lo, 0x40240000, v[3:4]
	s_or_b32 s11, vcc_lo, s11
	s_andn2_b32 exec_lo, exec_lo, s11
	s_cbranch_execnz .LBB9_1053
; %bb.1054:
	s_or_b32 exec_lo, exec_lo, s11
.LBB9_1055:
	s_or_b32 exec_lo, exec_lo, s1
	s_mov_b32 s1, exec_lo
                                        ; implicit-def: $vgpr0_vgpr1
	v_cmpx_neq_f64_e32 0x40240000, v[3:4]
	s_xor_b32 s1, exec_lo, s1
	s_cbranch_execz .LBB9_1059
; %bb.1056:
	v_mov_b32_e32 v0, 0
	v_mov_b32_e32 v1, 0
	s_mov_b32 s12, 0x85d8a000
	s_mov_b32 s13, 0x43763457
	s_mov_b32 s11, exec_lo
	v_cmpx_gt_f64_e32 s[12:13], v[3:4]
	s_cbranch_execz .LBB9_1058
; %bb.1057:
	v_mul_f64 v[0:1], v[3:4], v[3:4]
	s_mov_b32 s12, 0x55555555
	s_mov_b32 s13, 0x3fb55555
	;; [unrolled: 1-line block ×6, first 2 shown]
	v_div_scale_f64 v[7:8], null, v[0:1], v[0:1], 1.0
	v_rcp_f64_e32 v[9:10], v[7:8]
	v_fma_f64 v[11:12], -v[7:8], v[9:10], 1.0
	v_fma_f64 v[9:10], v[9:10], v[11:12], v[9:10]
	v_fma_f64 v[11:12], -v[7:8], v[9:10], 1.0
	v_fma_f64 v[9:10], v[9:10], v[11:12], v[9:10]
	v_div_scale_f64 v[11:12], vcc_lo, 1.0, v[0:1], 1.0
	v_mul_f64 v[13:14], v[11:12], v[9:10]
	v_fma_f64 v[7:8], -v[7:8], v[13:14], v[11:12]
	v_div_fmas_f64 v[7:8], v[7:8], v[9:10], v[13:14]
	v_div_fixup_f64 v[0:1], v[7:8], v[0:1], 1.0
	v_fma_f64 v[7:8], v[0:1], 0, s[12:13]
	v_fma_f64 v[7:8], v[0:1], v[7:8], s[14:15]
	s_mov_b32 s14, 0xf07c1f08
	s_mov_b32 s15, 0x3f7f07c1
	v_fma_f64 v[7:8], v[0:1], v[7:8], s[14:15]
	s_mov_b32 s15, 0xbf711111
	s_mov_b32 s14, 0x11111111
	v_fma_f64 v[7:8], v[0:1], v[7:8], s[14:15]
	s_mov_b32 s15, 0xbf811111
	v_fma_f64 v[7:8], v[0:1], v[7:8], s[16:17]
	v_fma_f64 v[7:8], v[0:1], v[7:8], s[14:15]
	;; [unrolled: 1-line block ×3, first 2 shown]
	v_mul_f64 v[0:1], v[0:1], v[7:8]
.LBB9_1058:
	s_or_b32 exec_lo, exec_lo, s11
	v_frexp_mant_f64_e32 v[7:8], v[3:4]
	s_mov_b32 s13, 0x3fe55555
	s_mov_b32 s12, 0x55555555
	s_mov_b32 s14, 0x6b47b09a
	s_mov_b32 s16, 0xbf559e2b
	s_mov_b32 s15, 0x3fc38538
	s_mov_b32 s17, 0x3fc3ab76
	v_div_scale_f64 v[23:24], null, v[3:4], v[3:4], -0.5
	v_cmp_gt_f64_e32 vcc_lo, s[12:13], v[7:8]
	s_mov_b32 s12, 0x55555780
	v_rcp_f64_e32 v[27:28], v[23:24]
	v_cndmask_b32_e64 v9, 0, 1, vcc_lo
	v_ldexp_f64 v[7:8], v[7:8], v9
	v_add_f64 v[9:10], v[7:8], 1.0
	v_add_f64 v[15:16], v[7:8], -1.0
	v_rcp_f64_e32 v[11:12], v[9:10]
	v_add_f64 v[17:18], v[9:10], -1.0
	v_add_f64 v[7:8], v[7:8], -v[17:18]
	v_fma_f64 v[13:14], -v[9:10], v[11:12], 1.0
	v_fma_f64 v[11:12], v[13:14], v[11:12], v[11:12]
	v_fma_f64 v[13:14], -v[9:10], v[11:12], 1.0
	v_fma_f64 v[11:12], v[13:14], v[11:12], v[11:12]
	v_mul_f64 v[13:14], v[15:16], v[11:12]
	v_mul_f64 v[19:20], v[9:10], v[13:14]
	v_fma_f64 v[9:10], v[13:14], v[9:10], -v[19:20]
	v_fma_f64 v[7:8], v[13:14], v[7:8], v[9:10]
	v_add_f64 v[9:10], v[19:20], v[7:8]
	v_add_f64 v[17:18], v[15:16], -v[9:10]
	v_add_f64 v[19:20], v[9:10], -v[19:20]
	;; [unrolled: 1-line block ×4, first 2 shown]
	v_frexp_exp_i32_f64_e32 v19, v[3:4]
	v_add_f64 v[9:10], v[15:16], -v[9:10]
	v_add_f64 v[7:8], v[7:8], v[9:10]
	v_add_f64 v[7:8], v[17:18], v[7:8]
	v_mul_f64 v[7:8], v[11:12], v[7:8]
	v_add_f64 v[9:10], v[13:14], v[7:8]
	v_mul_f64 v[11:12], v[9:10], v[9:10]
	v_fma_f64 v[15:16], v[11:12], s[16:17], s[14:15]
	s_mov_b32 s14, 0xd7f4df2e
	s_mov_b32 s15, 0x3fc7474d
	v_mul_f64 v[17:18], v[9:10], v[11:12]
	v_fma_f64 v[15:16], v[11:12], v[15:16], s[14:15]
	s_mov_b32 s14, 0x16291751
	s_mov_b32 s15, 0x3fcc71c0
	v_fma_f64 v[15:16], v[11:12], v[15:16], s[14:15]
	s_mov_b32 s14, 0x9b27acf1
	s_mov_b32 s15, 0x3fd24924
	;; [unrolled: 3-line block ×3, first 2 shown]
	v_fma_f64 v[15:16], v[11:12], v[15:16], s[14:15]
	v_fma_f64 v[11:12], v[11:12], v[15:16], s[12:13]
	v_ldexp_f64 v[15:16], v[9:10], 1
	v_add_f64 v[9:10], v[9:10], -v[13:14]
	s_mov_b32 s12, 0xfefa39ef
	s_mov_b32 s13, 0x3fe62e42
	v_mul_f64 v[11:12], v[17:18], v[11:12]
	v_subrev_co_ci_u32_e64 v17, null, 0, v19, vcc_lo
	v_add_f64 v[7:8], v[7:8], -v[9:10]
	v_cvt_f64_i32_e32 v[17:18], v17
	v_add_f64 v[13:14], v[15:16], v[11:12]
	v_ldexp_f64 v[7:8], v[7:8], 1
	v_mul_f64 v[19:20], v[17:18], s[12:13]
	v_add_f64 v[9:10], v[13:14], -v[15:16]
	v_fma_f64 v[15:16], v[17:18], s[12:13], -v[19:20]
	s_mov_b32 s12, 0x3b39803f
	s_mov_b32 s13, 0x3c7abc9e
	v_add_f64 v[9:10], v[11:12], -v[9:10]
	v_fma_f64 v[11:12], v[17:18], s[12:13], v[15:16]
	v_add_f64 v[7:8], v[7:8], v[9:10]
	v_add_f64 v[9:10], v[19:20], v[11:12]
	;; [unrolled: 1-line block ×3, first 2 shown]
	v_add_f64 v[19:20], v[9:10], -v[19:20]
	v_add_f64 v[17:18], v[9:10], v[15:16]
	v_add_f64 v[13:14], v[15:16], -v[13:14]
	v_add_f64 v[11:12], v[11:12], -v[19:20]
	;; [unrolled: 1-line block ×6, first 2 shown]
	v_fma_f64 v[15:16], -v[23:24], v[27:28], 1.0
	v_add_f64 v[19:20], v[11:12], v[7:8]
	v_add_f64 v[9:10], v[9:10], -v[25:26]
	v_add_f64 v[9:10], v[13:14], v[9:10]
	v_fma_f64 v[13:14], v[27:28], v[15:16], v[27:28]
	v_add_f64 v[15:16], v[19:20], -v[11:12]
	v_div_scale_f64 v[27:28], vcc_lo, -0.5, v[3:4], -0.5
	v_add_f64 v[9:10], v[19:20], v[9:10]
	v_fma_f64 v[21:22], -v[23:24], v[13:14], 1.0
	v_add_f64 v[19:20], v[19:20], -v[15:16]
	v_add_f64 v[7:8], v[7:8], -v[15:16]
	v_add_f64 v[25:26], v[17:18], v[9:10]
	v_fma_f64 v[13:14], v[13:14], v[21:22], v[13:14]
	v_add_f64 v[11:12], v[11:12], -v[19:20]
	v_add_f64 v[15:16], v[25:26], -v[17:18]
	v_mul_f64 v[17:18], v[27:28], v[13:14]
	v_add_f64 v[7:8], v[7:8], v[11:12]
	v_add_f64 v[9:10], v[9:10], -v[15:16]
	v_fma_f64 v[11:12], -v[23:24], v[17:18], v[27:28]
	v_add_f64 v[7:8], v[7:8], v[9:10]
	v_div_fmas_f64 v[9:10], v[11:12], v[13:14], v[17:18]
	v_cmp_class_f64_e64 vcc_lo, v[3:4], 0x204
	v_add_f64 v[7:8], v[25:26], v[7:8]
	v_div_fixup_f64 v[9:10], v[9:10], v[3:4], -0.5
	v_cndmask_b32_e32 v4, v8, v4, vcc_lo
	v_cndmask_b32_e32 v3, v7, v3, vcc_lo
	v_add_f64 v[3:4], v[3:4], v[9:10]
	v_add_f64 v[0:1], v[3:4], -v[0:1]
	v_add_f64 v[0:1], v[5:6], v[0:1]
                                        ; implicit-def: $vgpr5_vgpr6
.LBB9_1059:
	s_andn2_saveexec_b32 s1, s1
; %bb.1060:
	s_mov_b32 s12, 0xdc85cc95
	s_mov_b32 s13, 0x40020396
	v_add_f64 v[0:1], v[5:6], s[12:13]
; %bb.1061:
	s_or_b32 exec_lo, exec_lo, s1
.LBB9_1062:
	s_or_b32 exec_lo, exec_lo, s0
                                        ; implicit-def: $vgpr3_vgpr4
.LBB9_1063:
	s_andn2_saveexec_b32 s0, s10
; %bb.1064:
	v_xor_b32_e32 v0, 0x80000000, v4
	s_mov_b32 s1, 0x7ff00000
	v_bfi_b32 v1, 0x7fffffff, s1, v0
	v_mov_b32_e32 v0, 0
; %bb.1065:
	s_or_b32 exec_lo, exec_lo, s0
	v_add_co_u32 v5, s0, s8, v2
	v_add_co_ci_u32_e64 v6, null, s9, 0, s0
	s_and_b32 s1, s29, 0xff
	s_cmp_lt_i32 s1, 11
	s_cbranch_scc1 .LBB9_1075
; %bb.1066:
	s_and_b32 s8, 0xffff, s1
	s_mov_b32 s9, -1
	s_cmp_gt_i32 s8, 25
	s_mov_b32 s0, s36
	s_cbranch_scc0 .LBB9_1103
; %bb.1067:
	s_cmp_gt_i32 s8, 28
	s_mov_b32 s0, s36
	s_cbranch_scc0 .LBB9_1087
; %bb.1068:
	;; [unrolled: 4-line block ×4, first 2 shown]
	s_cmp_eq_u32 s8, 46
	s_mov_b32 s0, -1
	s_cbranch_scc0 .LBB9_1076
; %bb.1071:
	v_cvt_f32_f64_e32 v2, v[0:1]
	s_mov_b32 s0, 0
	s_mov_b32 s9, 0
	v_bfe_u32 v3, v2, 16, 1
	v_cmp_o_f32_e32 vcc_lo, v2, v2
	v_add3_u32 v2, v2, v3, 0x7fff
	v_mov_b32_e32 v3, 0x7fc0
	v_cndmask_b32_sdwa v2, v3, v2, vcc_lo dst_sel:DWORD dst_unused:UNUSED_PAD src0_sel:DWORD src1_sel:WORD_1
	global_store_dword v[5:6], v2, off
	s_branch .LBB9_1077
.LBB9_1072:
	s_or_b32 exec_lo, exec_lo, s7
	s_and_saveexec_b32 s0, s36
	s_cbranch_execnz .LBB9_1145
.LBB9_1073:
	s_or_b32 exec_lo, exec_lo, s0
	s_and_saveexec_b32 s0, s11
	s_xor_b32 s0, exec_lo, s0
	s_cbranch_execz .LBB9_1146
.LBB9_1074:
	v_cmp_neq_f64_e32 vcc_lo, 0, v[0:1]
	v_cndmask_b32_e64 v2, 0, 1, vcc_lo
	global_store_byte v[5:6], v2, off
	s_or_b32 exec_lo, exec_lo, s0
	s_and_saveexec_b32 s0, s10
	s_xor_b32 s0, exec_lo, s0
	s_cbranch_execz .LBB9_1184
	s_branch .LBB9_1147
.LBB9_1075:
	s_mov_b32 s11, 0
	s_mov_b32 s9, -1
	s_mov_b32 s0, s36
	s_branch .LBB9_1144
.LBB9_1076:
	s_mov_b32 s9, 0
.LBB9_1077:
	s_and_b32 vcc_lo, exec_lo, s9
	s_cbranch_vccz .LBB9_1082
; %bb.1078:
	s_cmp_eq_u32 s8, 44
	s_mov_b32 s0, -1
	s_cbranch_scc0 .LBB9_1082
; %bb.1079:
	v_cvt_f32_f64_e32 v2, v[0:1]
	v_mov_b32_e32 v3, 0xff
	s_mov_b32 s9, exec_lo
	v_bfe_u32 v4, v2, 23, 8
	v_cmpx_ne_u32_e32 0xff, v4
	s_cbranch_execz .LBB9_1081
; %bb.1080:
	v_and_b32_e32 v3, 0x400000, v2
	v_and_or_b32 v4, 0x3fffff, v2, v4
	v_lshrrev_b32_e32 v2, 23, v2
	v_cmp_ne_u32_e32 vcc_lo, 0, v3
	v_cmp_ne_u32_e64 s0, 0, v4
	s_and_b32 s0, vcc_lo, s0
	v_cndmask_b32_e64 v3, 0, 1, s0
	v_add_nc_u32_e32 v3, v2, v3
.LBB9_1081:
	s_or_b32 exec_lo, exec_lo, s9
	s_mov_b32 s0, 0
	global_store_byte v[5:6], v3, off
.LBB9_1082:
	s_mov_b32 s9, 0
.LBB9_1083:
	s_and_b32 vcc_lo, exec_lo, s9
	s_cbranch_vccz .LBB9_1086
; %bb.1084:
	s_cmp_eq_u32 s8, 29
	s_mov_b32 s0, -1
	s_cbranch_scc0 .LBB9_1086
; %bb.1085:
	v_trunc_f64_e32 v[2:3], v[0:1]
	s_mov_b32 s0, 0
	s_mov_b32 s9, 0
	v_ldexp_f64 v[7:8], v[2:3], 0xffffffe0
	v_floor_f64_e32 v[7:8], v[7:8]
	v_fma_f64 v[2:3], 0xc1f00000, v[7:8], v[2:3]
	v_cvt_u32_f64_e32 v4, v[7:8]
	v_cvt_u32_f64_e32 v3, v[2:3]
	global_store_dwordx2 v[5:6], v[3:4], off
	s_branch .LBB9_1087
.LBB9_1086:
	s_mov_b32 s9, 0
.LBB9_1087:
	s_and_b32 vcc_lo, exec_lo, s9
	s_cbranch_vccz .LBB9_1102
; %bb.1088:
	s_cmp_lt_i32 s8, 27
	s_mov_b32 s9, -1
	s_cbranch_scc1 .LBB9_1094
; %bb.1089:
	s_cmp_gt_i32 s8, 27
	s_cbranch_scc0 .LBB9_1091
; %bb.1090:
	v_cvt_u32_f64_e32 v2, v[0:1]
	s_mov_b32 s9, 0
	global_store_dword v[5:6], v2, off
.LBB9_1091:
	s_andn2_b32 vcc_lo, exec_lo, s9
	s_cbranch_vccnz .LBB9_1093
; %bb.1092:
	v_cvt_u32_f64_e32 v2, v[0:1]
	global_store_short v[5:6], v2, off
.LBB9_1093:
	s_mov_b32 s9, 0
.LBB9_1094:
	s_andn2_b32 vcc_lo, exec_lo, s9
	s_cbranch_vccnz .LBB9_1102
; %bb.1095:
	v_cvt_f32_f64_e32 v2, v[0:1]
	v_mov_b32_e32 v4, 0x80
	s_mov_b32 s9, exec_lo
	v_and_b32_e32 v3, 0x7fffffff, v2
	v_cmpx_gt_u32_e32 0x43800000, v3
	s_cbranch_execz .LBB9_1101
; %bb.1096:
	v_cmp_lt_u32_e32 vcc_lo, 0x3bffffff, v3
	s_mov_b32 s10, 0
                                        ; implicit-def: $vgpr3
	s_and_saveexec_b32 s11, vcc_lo
	s_xor_b32 s11, exec_lo, s11
	s_cbranch_execz .LBB9_1255
; %bb.1097:
	v_bfe_u32 v3, v2, 20, 1
	s_mov_b32 s10, exec_lo
	v_add3_u32 v3, v2, v3, 0x487ffff
	v_lshrrev_b32_e32 v3, 20, v3
	s_andn2_saveexec_b32 s11, s11
	s_cbranch_execnz .LBB9_1256
.LBB9_1098:
	s_or_b32 exec_lo, exec_lo, s11
	v_mov_b32_e32 v4, 0
	s_and_saveexec_b32 s11, s10
.LBB9_1099:
	v_lshrrev_b32_e32 v2, 24, v2
	v_and_or_b32 v4, 0x80, v2, v3
.LBB9_1100:
	s_or_b32 exec_lo, exec_lo, s11
.LBB9_1101:
	s_or_b32 exec_lo, exec_lo, s9
	global_store_byte v[5:6], v4, off
.LBB9_1102:
	s_mov_b32 s9, 0
.LBB9_1103:
	s_and_b32 vcc_lo, exec_lo, s9
	s_mov_b32 s9, 0
	s_cbranch_vccz .LBB9_1143
; %bb.1104:
	s_cmp_gt_i32 s8, 22
	s_mov_b32 s10, -1
	s_cbranch_scc0 .LBB9_1136
; %bb.1105:
	s_cmp_lt_i32 s8, 24
	s_cbranch_scc1 .LBB9_1125
; %bb.1106:
	s_cmp_gt_i32 s8, 24
	s_cbranch_scc0 .LBB9_1114
; %bb.1107:
	v_cvt_f32_f64_e32 v2, v[0:1]
	v_mov_b32_e32 v4, 0x80
	s_mov_b32 s10, exec_lo
	v_and_b32_e32 v3, 0x7fffffff, v2
	v_cmpx_gt_u32_e32 0x47800000, v3
	s_cbranch_execz .LBB9_1113
; %bb.1108:
	v_cmp_lt_u32_e32 vcc_lo, 0x37ffffff, v3
	s_mov_b32 s11, 0
                                        ; implicit-def: $vgpr3
	s_and_saveexec_b32 s12, vcc_lo
	s_xor_b32 s12, exec_lo, s12
	s_cbranch_execz .LBB9_1405
; %bb.1109:
	v_bfe_u32 v3, v2, 21, 1
	s_mov_b32 s11, exec_lo
	v_add3_u32 v3, v2, v3, 0x88fffff
	v_lshrrev_b32_e32 v3, 21, v3
	s_andn2_saveexec_b32 s12, s12
	s_cbranch_execnz .LBB9_1406
.LBB9_1110:
	s_or_b32 exec_lo, exec_lo, s12
	v_mov_b32_e32 v4, 0
	s_and_saveexec_b32 s12, s11
.LBB9_1111:
	v_lshrrev_b32_e32 v2, 24, v2
	v_and_or_b32 v4, 0x80, v2, v3
.LBB9_1112:
	s_or_b32 exec_lo, exec_lo, s12
.LBB9_1113:
	s_or_b32 exec_lo, exec_lo, s10
	s_mov_b32 s10, 0
	global_store_byte v[5:6], v4, off
.LBB9_1114:
	s_and_b32 vcc_lo, exec_lo, s10
	s_cbranch_vccz .LBB9_1124
; %bb.1115:
	v_cvt_f32_f64_e32 v2, v[0:1]
	s_mov_b32 s10, exec_lo
                                        ; implicit-def: $vgpr3
	v_and_b32_e32 v4, 0x7fffffff, v2
	v_cmpx_gt_u32_e32 0x43f00000, v4
	s_xor_b32 s10, exec_lo, s10
	s_cbranch_execz .LBB9_1121
; %bb.1116:
	s_mov_b32 s11, exec_lo
                                        ; implicit-def: $vgpr3
	v_cmpx_lt_u32_e32 0x3c7fffff, v4
	s_xor_b32 s11, exec_lo, s11
; %bb.1117:
	v_bfe_u32 v3, v2, 20, 1
	v_add3_u32 v3, v2, v3, 0x407ffff
	v_and_b32_e32 v4, 0xff00000, v3
	v_lshrrev_b32_e32 v3, 20, v3
	v_cmp_ne_u32_e32 vcc_lo, 0x7f00000, v4
	v_cndmask_b32_e32 v3, 0x7e, v3, vcc_lo
; %bb.1118:
	s_andn2_saveexec_b32 s11, s11
; %bb.1119:
	v_add_f32_e64 v3, 0x46800000, |v2|
; %bb.1120:
	s_or_b32 exec_lo, exec_lo, s11
                                        ; implicit-def: $vgpr4
.LBB9_1121:
	s_andn2_saveexec_b32 s10, s10
; %bb.1122:
	v_mov_b32_e32 v3, 0x7f
	v_cmp_lt_u32_e32 vcc_lo, 0x7f800000, v4
	v_cndmask_b32_e32 v3, 0x7e, v3, vcc_lo
; %bb.1123:
	s_or_b32 exec_lo, exec_lo, s10
	v_lshrrev_b32_e32 v2, 24, v2
	v_and_or_b32 v2, 0x80, v2, v3
	global_store_byte v[5:6], v2, off
.LBB9_1124:
	s_mov_b32 s10, 0
.LBB9_1125:
	s_andn2_b32 vcc_lo, exec_lo, s10
	s_cbranch_vccnz .LBB9_1135
; %bb.1126:
	v_cvt_f32_f64_e32 v2, v[0:1]
	s_mov_b32 s10, exec_lo
                                        ; implicit-def: $vgpr3
	v_and_b32_e32 v4, 0x7fffffff, v2
	v_cmpx_gt_u32_e32 0x47800000, v4
	s_xor_b32 s10, exec_lo, s10
	s_cbranch_execz .LBB9_1132
; %bb.1127:
	s_mov_b32 s11, exec_lo
                                        ; implicit-def: $vgpr3
	v_cmpx_lt_u32_e32 0x387fffff, v4
	s_xor_b32 s11, exec_lo, s11
; %bb.1128:
	v_bfe_u32 v3, v2, 21, 1
	v_add3_u32 v3, v2, v3, 0x80fffff
	v_lshrrev_b32_e32 v3, 21, v3
; %bb.1129:
	s_andn2_saveexec_b32 s11, s11
; %bb.1130:
	v_add_f32_e64 v3, 0x43000000, |v2|
; %bb.1131:
	s_or_b32 exec_lo, exec_lo, s11
                                        ; implicit-def: $vgpr4
.LBB9_1132:
	s_andn2_saveexec_b32 s10, s10
; %bb.1133:
	v_mov_b32_e32 v3, 0x7f
	v_cmp_lt_u32_e32 vcc_lo, 0x7f800000, v4
	v_cndmask_b32_e32 v3, 0x7c, v3, vcc_lo
; %bb.1134:
	s_or_b32 exec_lo, exec_lo, s10
	v_lshrrev_b32_e32 v2, 24, v2
	v_and_or_b32 v2, 0x80, v2, v3
	global_store_byte v[5:6], v2, off
.LBB9_1135:
	s_mov_b32 s10, 0
.LBB9_1136:
	s_andn2_b32 vcc_lo, exec_lo, s10
	s_mov_b32 s11, 0
	s_cbranch_vccnz .LBB9_1144
; %bb.1137:
	s_cmp_gt_i32 s8, 14
	s_mov_b32 s10, -1
	s_cbranch_scc0 .LBB9_1141
; %bb.1138:
	s_cmp_eq_u32 s8, 15
	s_mov_b32 s0, -1
	s_cbranch_scc0 .LBB9_1140
; %bb.1139:
	v_cvt_f32_f64_e32 v2, v[0:1]
	s_mov_b32 s0, 0
	v_bfe_u32 v3, v2, 16, 1
	v_cmp_o_f32_e32 vcc_lo, v2, v2
	v_add3_u32 v2, v2, v3, 0x7fff
	v_mov_b32_e32 v3, 0x7fc0
	v_cndmask_b32_sdwa v2, v3, v2, vcc_lo dst_sel:DWORD dst_unused:UNUSED_PAD src0_sel:DWORD src1_sel:WORD_1
	global_store_short v[5:6], v2, off
.LBB9_1140:
	s_mov_b32 s10, 0
.LBB9_1141:
	s_and_b32 vcc_lo, exec_lo, s10
	s_cbranch_vccz .LBB9_1144
; %bb.1142:
	s_cmp_lg_u32 s8, 11
	s_mov_b32 s11, -1
	s_cselect_b32 s8, -1, 0
	s_andn2_b32 s0, s0, exec_lo
	s_and_b32 s8, s8, exec_lo
	s_or_b32 s0, s0, s8
	s_branch .LBB9_1144
.LBB9_1143:
	s_mov_b32 s11, 0
.LBB9_1144:
	s_andn2_b32 s8, s36, exec_lo
	s_and_b32 s0, s0, exec_lo
	s_and_b32 s10, s9, exec_lo
	s_and_b32 s11, s11, exec_lo
	s_or_b32 s36, s8, s0
	s_or_b32 exec_lo, exec_lo, s7
	s_and_saveexec_b32 s0, s36
	s_cbranch_execz .LBB9_1073
.LBB9_1145:
	s_or_b32 s6, s6, exec_lo
	s_andn2_b32 s11, s11, exec_lo
	s_trap 2
	s_or_b32 exec_lo, exec_lo, s0
	s_and_saveexec_b32 s0, s11
	s_xor_b32 s0, exec_lo, s0
	s_cbranch_execnz .LBB9_1074
.LBB9_1146:
	s_or_b32 exec_lo, exec_lo, s0
	s_and_saveexec_b32 s0, s10
	s_xor_b32 s0, exec_lo, s0
	s_cbranch_execz .LBB9_1184
.LBB9_1147:
	s_sext_i32_i16 s8, s1
	s_mov_b32 s7, -1
	s_cmp_lt_i32 s8, 5
	s_cbranch_scc1 .LBB9_1168
; %bb.1148:
	s_cmp_lt_i32 s8, 8
	s_cbranch_scc1 .LBB9_1158
; %bb.1149:
	;; [unrolled: 3-line block ×3, first 2 shown]
	s_cmp_gt_i32 s8, 9
	s_cbranch_scc0 .LBB9_1152
; %bb.1151:
	v_mov_b32_e32 v2, 0
	s_mov_b32 s7, 0
	s_waitcnt vmcnt(0)
	v_mov_b32_e32 v3, v2
	global_store_dwordx4 v[5:6], v[0:3], off
.LBB9_1152:
	s_andn2_b32 vcc_lo, exec_lo, s7
	s_cbranch_vccnz .LBB9_1154
; %bb.1153:
	v_cvt_f32_f64_e32 v2, v[0:1]
	s_waitcnt vmcnt(0)
	v_mov_b32_e32 v3, 0
	global_store_dwordx2 v[5:6], v[2:3], off
.LBB9_1154:
	s_mov_b32 s7, 0
.LBB9_1155:
	s_andn2_b32 vcc_lo, exec_lo, s7
	s_cbranch_vccnz .LBB9_1157
; %bb.1156:
	v_and_or_b32 v2, 0x1ff, v1, v0
	s_waitcnt vmcnt(0)
	v_lshrrev_b32_e32 v3, 8, v1
	v_bfe_u32 v4, v1, 20, 11
	v_cmp_ne_u32_e32 vcc_lo, 0, v2
	v_sub_nc_u32_e32 v7, 0x3f1, v4
	v_add_nc_u32_e32 v4, 0xfffffc10, v4
	v_cndmask_b32_e64 v2, 0, 1, vcc_lo
	v_and_or_b32 v2, 0xffe, v3, v2
	v_med3_i32 v3, v7, 0, 13
	v_or_b32_e32 v7, 0x1000, v2
	v_lshrrev_b32_e32 v8, v3, v7
	v_lshlrev_b32_e32 v3, v3, v8
	v_cmp_ne_u32_e32 vcc_lo, v3, v7
	v_lshl_or_b32 v7, v4, 12, v2
	v_cndmask_b32_e64 v3, 0, 1, vcc_lo
	v_cmp_gt_i32_e32 vcc_lo, 1, v4
	v_or_b32_e32 v3, v8, v3
	v_cndmask_b32_e32 v3, v7, v3, vcc_lo
	v_and_b32_e32 v7, 7, v3
	v_lshrrev_b32_e32 v3, 2, v3
	v_cmp_lt_i32_e32 vcc_lo, 5, v7
	v_cndmask_b32_e64 v8, 0, 1, vcc_lo
	v_cmp_eq_u32_e32 vcc_lo, 3, v7
	v_cndmask_b32_e64 v7, 0, 1, vcc_lo
	v_cmp_ne_u32_e32 vcc_lo, 0, v2
	v_or_b32_e32 v7, v7, v8
	v_mov_b32_e32 v8, 0x7e00
	v_add_nc_u32_e32 v3, v3, v7
	v_cndmask_b32_e32 v2, 0x7c00, v8, vcc_lo
	v_cmp_gt_i32_e32 vcc_lo, 31, v4
	v_cndmask_b32_e32 v3, 0x7c00, v3, vcc_lo
	v_cmp_eq_u32_e32 vcc_lo, 0x40f, v4
	v_cndmask_b32_e32 v2, v3, v2, vcc_lo
	v_lshrrev_b32_e32 v3, 16, v1
	v_and_or_b32 v2, 0x8000, v3, v2
	v_and_b32_e32 v2, 0xffff, v2
	global_store_dword v[5:6], v2, off
.LBB9_1157:
	s_mov_b32 s7, 0
.LBB9_1158:
	s_andn2_b32 vcc_lo, exec_lo, s7
	s_cbranch_vccnz .LBB9_1167
; %bb.1159:
	s_sext_i32_i16 s8, s1
	s_mov_b32 s7, -1
	s_cmp_lt_i32 s8, 6
	s_cbranch_scc1 .LBB9_1165
; %bb.1160:
	s_cmp_gt_i32 s8, 6
	s_cbranch_scc0 .LBB9_1162
; %bb.1161:
	s_mov_b32 s7, 0
	global_store_dwordx2 v[5:6], v[0:1], off
.LBB9_1162:
	s_andn2_b32 vcc_lo, exec_lo, s7
	s_cbranch_vccnz .LBB9_1164
; %bb.1163:
	v_cvt_f32_f64_e32 v2, v[0:1]
	global_store_dword v[5:6], v2, off
.LBB9_1164:
	s_mov_b32 s7, 0
.LBB9_1165:
	s_andn2_b32 vcc_lo, exec_lo, s7
	s_cbranch_vccnz .LBB9_1167
; %bb.1166:
	v_and_or_b32 v2, 0x1ff, v1, v0
	s_waitcnt vmcnt(0)
	v_lshrrev_b32_e32 v3, 8, v1
	v_bfe_u32 v4, v1, 20, 11
	v_cmp_ne_u32_e32 vcc_lo, 0, v2
	v_sub_nc_u32_e32 v7, 0x3f1, v4
	v_add_nc_u32_e32 v4, 0xfffffc10, v4
	v_cndmask_b32_e64 v2, 0, 1, vcc_lo
	v_and_or_b32 v2, 0xffe, v3, v2
	v_med3_i32 v3, v7, 0, 13
	v_or_b32_e32 v7, 0x1000, v2
	v_lshrrev_b32_e32 v8, v3, v7
	v_lshlrev_b32_e32 v3, v3, v8
	v_cmp_ne_u32_e32 vcc_lo, v3, v7
	v_lshl_or_b32 v7, v4, 12, v2
	v_cndmask_b32_e64 v3, 0, 1, vcc_lo
	v_cmp_gt_i32_e32 vcc_lo, 1, v4
	v_or_b32_e32 v3, v8, v3
	v_cndmask_b32_e32 v3, v7, v3, vcc_lo
	v_and_b32_e32 v7, 7, v3
	v_lshrrev_b32_e32 v3, 2, v3
	v_cmp_lt_i32_e32 vcc_lo, 5, v7
	v_cndmask_b32_e64 v8, 0, 1, vcc_lo
	v_cmp_eq_u32_e32 vcc_lo, 3, v7
	v_cndmask_b32_e64 v7, 0, 1, vcc_lo
	v_cmp_ne_u32_e32 vcc_lo, 0, v2
	v_or_b32_e32 v7, v7, v8
	v_mov_b32_e32 v8, 0x7e00
	v_add_nc_u32_e32 v3, v3, v7
	v_cndmask_b32_e32 v2, 0x7c00, v8, vcc_lo
	v_cmp_gt_i32_e32 vcc_lo, 31, v4
	v_cndmask_b32_e32 v3, 0x7c00, v3, vcc_lo
	v_cmp_eq_u32_e32 vcc_lo, 0x40f, v4
	v_cndmask_b32_e32 v2, v3, v2, vcc_lo
	v_lshrrev_b32_e32 v3, 16, v1
	v_and_or_b32 v2, 0x8000, v3, v2
	global_store_short v[5:6], v2, off
.LBB9_1167:
	s_mov_b32 s7, 0
.LBB9_1168:
	s_andn2_b32 vcc_lo, exec_lo, s7
	s_cbranch_vccnz .LBB9_1184
; %bb.1169:
	s_sext_i32_i16 s8, s1
	s_mov_b32 s7, -1
	s_cmp_lt_i32 s8, 2
	s_cbranch_scc1 .LBB9_1179
; %bb.1170:
	s_cmp_lt_i32 s8, 3
	s_cbranch_scc1 .LBB9_1176
; %bb.1171:
	s_cmp_gt_i32 s8, 3
	s_cbranch_scc0 .LBB9_1173
; %bb.1172:
	s_waitcnt vmcnt(0)
	v_trunc_f64_e32 v[2:3], v[0:1]
	s_mov_b32 s7, 0
	v_ldexp_f64 v[7:8], v[2:3], 0xffffffe0
	v_floor_f64_e32 v[7:8], v[7:8]
	v_fma_f64 v[2:3], 0xc1f00000, v[7:8], v[2:3]
	v_cvt_i32_f64_e32 v4, v[7:8]
	v_cvt_u32_f64_e32 v3, v[2:3]
	global_store_dwordx2 v[5:6], v[3:4], off
.LBB9_1173:
	s_andn2_b32 vcc_lo, exec_lo, s7
	s_cbranch_vccnz .LBB9_1175
; %bb.1174:
	v_cvt_i32_f64_e32 v2, v[0:1]
	global_store_dword v[5:6], v2, off
.LBB9_1175:
	s_mov_b32 s7, 0
.LBB9_1176:
	s_andn2_b32 vcc_lo, exec_lo, s7
	s_cbranch_vccnz .LBB9_1178
; %bb.1177:
	v_cvt_i32_f64_e32 v2, v[0:1]
	global_store_short v[5:6], v2, off
.LBB9_1178:
	s_mov_b32 s7, 0
.LBB9_1179:
	s_andn2_b32 vcc_lo, exec_lo, s7
	s_cbranch_vccnz .LBB9_1184
; %bb.1180:
	s_sext_i32_i16 s1, s1
	s_cmp_gt_i32 s1, 0
	s_mov_b32 s1, -1
	s_cbranch_scc0 .LBB9_1182
; %bb.1181:
	v_cvt_i32_f64_e32 v2, v[0:1]
	s_mov_b32 s1, 0
	global_store_byte v[5:6], v2, off
.LBB9_1182:
	s_andn2_b32 vcc_lo, exec_lo, s1
	s_cbranch_vccnz .LBB9_1184
; %bb.1183:
	v_trunc_f64_e32 v[0:1], v[0:1]
	s_waitcnt vmcnt(0)
	v_ldexp_f64 v[2:3], v[0:1], 0xffffffe0
	v_floor_f64_e32 v[2:3], v[2:3]
	v_fma_f64 v[0:1], 0xc1f00000, v[2:3], v[0:1]
	v_cvt_u32_f64_e32 v0, v[0:1]
	global_store_byte v[5:6], v0, off
.LBB9_1184:
	s_or_b32 exec_lo, exec_lo, s0
	s_and_b32 s12, s6, exec_lo
                                        ; implicit-def: $vgpr5
                                        ; implicit-def: $vgpr11
.LBB9_1185:
	s_or_saveexec_b32 s13, s28
	s_mov_b32 s0, 0
                                        ; implicit-def: $vgpr0_vgpr1
                                        ; implicit-def: $sgpr1
                                        ; implicit-def: $vgpr12_vgpr13
	s_xor_b32 exec_lo, exec_lo, s13
	s_cbranch_execz .LBB9_1934
; %bb.1186:
	s_waitcnt vmcnt(0)
	v_cndmask_b32_e64 v4, 0, 1, s27
	s_andn2_b32 vcc_lo, exec_lo, s27
	s_cbranch_vccnz .LBB9_1192
; %bb.1187:
	s_cmp_lg_u32 s24, 0
	s_mov_b32 s8, 0
	s_cbranch_scc0 .LBB9_1193
; %bb.1188:
	s_min_u32 s10, s25, 15
	s_add_i32 s10, s10, 1
	s_cmp_eq_u32 s25, 2
	s_cbranch_scc1 .LBB9_1194
; %bb.1189:
	v_mov_b32_e32 v0, 0
	v_mov_b32_e32 v2, 0
	;; [unrolled: 1-line block ×3, first 2 shown]
	s_and_b32 s9, s10, 28
	s_add_u32 s0, s2, 0xc4
	s_addc_u32 s1, s3, 0
	s_mov_b32 s11, 0
	s_mov_b64 s[6:7], s[2:3]
.LBB9_1190:                             ; =>This Inner Loop Header: Depth=1
	s_clause 0x1
	s_load_dwordx8 s[16:23], s[6:7], 0x4
	s_load_dwordx4 s[28:31], s[6:7], 0x24
	s_load_dwordx8 s[36:43], s[0:1], 0x0
	s_add_u32 s6, s6, 48
	s_addc_u32 s7, s7, 0
	s_add_i32 s11, s11, 4
	s_add_u32 s0, s0, 32
	s_addc_u32 s1, s1, 0
	s_cmp_lg_u32 s9, s11
	s_waitcnt lgkmcnt(0)
	v_mul_hi_u32 v3, s17, v1
	v_add_nc_u32_e32 v3, v1, v3
	v_lshrrev_b32_e32 v3, s18, v3
	v_mul_hi_u32 v6, s20, v3
	v_mul_lo_u32 v8, v3, s16
	v_add_nc_u32_e32 v6, v3, v6
	v_sub_nc_u32_e32 v1, v1, v8
	v_lshrrev_b32_e32 v6, s21, v6
	v_mul_lo_u32 v8, v1, s36
	v_mul_lo_u32 v10, v1, s37
	v_mul_hi_u32 v7, s23, v6
	v_add_nc_u32_e32 v7, v6, v7
	v_lshrrev_b32_e32 v7, s28, v7
	v_mul_hi_u32 v9, s30, v7
	v_mul_lo_u32 v12, v7, s22
	v_add_nc_u32_e32 v1, v7, v9
	v_mul_lo_u32 v9, v6, s19
	v_sub_nc_u32_e32 v6, v6, v12
	v_lshrrev_b32_e32 v1, s31, v1
	v_mul_lo_u32 v12, v6, s40
	v_mul_lo_u32 v6, v6, s41
	v_sub_nc_u32_e32 v3, v3, v9
	v_mul_lo_u32 v13, v1, s29
	v_mul_lo_u32 v9, v3, s38
	;; [unrolled: 1-line block ×3, first 2 shown]
	v_sub_nc_u32_e32 v7, v7, v13
	v_add3_u32 v2, v8, v2, v9
	v_mul_lo_u32 v13, v7, s42
	v_mul_lo_u32 v7, v7, s43
	v_add3_u32 v0, v10, v0, v3
	v_add3_u32 v2, v12, v2, v13
	;; [unrolled: 1-line block ×3, first 2 shown]
	s_cbranch_scc1 .LBB9_1190
; %bb.1191:
	s_and_b32 s10, s10, 3
	s_cmp_eq_u32 s10, 0
	s_cbranch_scc0 .LBB9_1195
	s_branch .LBB9_1197
.LBB9_1192:
	s_mov_b32 s8, -1
                                        ; implicit-def: $vgpr2
                                        ; implicit-def: $vgpr0
	s_branch .LBB9_1197
.LBB9_1193:
	v_mov_b32_e32 v2, 0
	v_mov_b32_e32 v0, 0
	s_branch .LBB9_1197
.LBB9_1194:
	v_mov_b32_e32 v2, 0
	v_mov_b32_e32 v0, 0
	;; [unrolled: 1-line block ×3, first 2 shown]
	s_mov_b32 s9, 0
	s_and_b32 s10, s10, 3
	s_cmp_eq_u32 s10, 0
	s_cbranch_scc1 .LBB9_1197
.LBB9_1195:
	s_lshl_b32 s0, s9, 3
	s_mul_i32 s6, s9, 12
	s_add_u32 s0, s2, s0
	s_addc_u32 s1, s3, 0
	s_add_u32 s0, s0, 0xc4
	s_addc_u32 s1, s1, 0
	;; [unrolled: 2-line block ×3, first 2 shown]
	.p2align	6
.LBB9_1196:                             ; =>This Inner Loop Header: Depth=1
	s_clause 0x1
	s_load_dwordx2 s[14:15], s[6:7], 0x4
	s_load_dword s9, s[6:7], 0xc
	s_load_dwordx2 s[16:17], s[0:1], 0x0
	s_add_u32 s6, s6, 12
	s_addc_u32 s7, s7, 0
	s_add_u32 s0, s0, 8
	s_addc_u32 s1, s1, 0
	s_add_i32 s10, s10, -1
	s_cmp_lg_u32 s10, 0
	s_waitcnt lgkmcnt(0)
	v_mul_hi_u32 v3, s15, v1
	v_add_nc_u32_e32 v3, v1, v3
	v_lshrrev_b32_e32 v6, s9, v3
	v_mul_lo_u32 v3, v6, s14
	v_sub_nc_u32_e32 v1, v1, v3
	v_mad_u64_u32 v[2:3], null, v1, s16, v[2:3]
	v_mad_u64_u32 v[0:1], null, v1, s17, v[0:1]
	v_mov_b32_e32 v1, v6
	s_cbranch_scc1 .LBB9_1196
.LBB9_1197:
	s_andn2_b32 vcc_lo, exec_lo, s8
	s_cbranch_vccnz .LBB9_1200
; %bb.1198:
	s_clause 0x1
	s_load_dwordx4 s[8:11], s[2:3], 0x4
	s_load_dwordx2 s[0:1], s[2:3], 0xc4
	s_cmp_lt_u32 s24, 2
	s_waitcnt lgkmcnt(0)
	v_mul_hi_u32 v0, s9, v11
	v_add_nc_u32_e32 v0, v11, v0
	v_lshrrev_b32_e32 v1, s10, v0
	v_mul_lo_u32 v0, v1, s8
	v_sub_nc_u32_e32 v0, v11, v0
	v_mul_lo_u32 v2, v0, s0
	v_mul_lo_u32 v0, v0, s1
	s_cbranch_scc1 .LBB9_1200
; %bb.1199:
	s_clause 0x1
	s_load_dwordx4 s[8:11], s[2:3], 0x10
	s_load_dwordx2 s[0:1], s[2:3], 0xcc
	s_waitcnt lgkmcnt(0)
	v_mul_hi_u32 v3, s9, v1
	v_add_nc_u32_e32 v3, v1, v3
	v_lshrrev_b32_e32 v3, s10, v3
	v_mul_lo_u32 v3, v3, s8
	v_sub_nc_u32_e32 v1, v1, v3
	v_mad_u64_u32 v[2:3], null, v1, s0, v[2:3]
	v_mad_u64_u32 v[0:1], null, v1, s1, v[0:1]
.LBB9_1200:
	v_cmp_ne_u32_e32 vcc_lo, 1, v4
	v_add_nc_u32_e32 v1, 0x80, v11
	s_cbranch_vccnz .LBB9_1206
; %bb.1201:
	s_cmp_lg_u32 s24, 0
	s_mov_b32 s8, 0
	s_cbranch_scc0 .LBB9_1207
; %bb.1202:
	s_min_u32 s10, s25, 15
	s_add_i32 s10, s10, 1
	s_cmp_eq_u32 s25, 2
	s_cbranch_scc1 .LBB9_1208
; %bb.1203:
	v_mov_b32_e32 v9, 0
	v_mov_b32_e32 v6, 0
	;; [unrolled: 1-line block ×3, first 2 shown]
	s_and_b32 s9, s10, 28
	s_add_u32 s0, s2, 0xc4
	s_addc_u32 s1, s3, 0
	s_mov_b32 s11, 0
	s_mov_b64 s[6:7], s[2:3]
.LBB9_1204:                             ; =>This Inner Loop Header: Depth=1
	s_clause 0x1
	s_load_dwordx8 s[16:23], s[6:7], 0x4
	s_load_dwordx4 s[28:31], s[6:7], 0x24
	s_load_dwordx8 s[36:43], s[0:1], 0x0
	s_add_u32 s6, s6, 48
	s_addc_u32 s7, s7, 0
	s_add_i32 s11, s11, 4
	s_add_u32 s0, s0, 32
	s_addc_u32 s1, s1, 0
	s_cmp_lg_u32 s9, s11
	s_waitcnt lgkmcnt(0)
	v_mul_hi_u32 v7, s17, v3
	v_add_nc_u32_e32 v7, v3, v7
	v_lshrrev_b32_e32 v7, s18, v7
	v_mul_hi_u32 v8, s20, v7
	v_mul_lo_u32 v12, v7, s16
	v_add_nc_u32_e32 v8, v7, v8
	v_sub_nc_u32_e32 v3, v3, v12
	v_lshrrev_b32_e32 v8, s21, v8
	v_mul_lo_u32 v12, v3, s36
	v_mul_lo_u32 v14, v3, s37
	v_mul_hi_u32 v10, s23, v8
	v_add_nc_u32_e32 v10, v8, v10
	v_lshrrev_b32_e32 v10, s28, v10
	v_mul_hi_u32 v13, s30, v10
	v_mul_lo_u32 v15, v10, s22
	v_add_nc_u32_e32 v3, v10, v13
	v_mul_lo_u32 v13, v8, s19
	v_sub_nc_u32_e32 v8, v8, v15
	v_lshrrev_b32_e32 v3, s31, v3
	v_mul_lo_u32 v15, v8, s40
	v_mul_lo_u32 v8, v8, s41
	v_sub_nc_u32_e32 v7, v7, v13
	v_mul_lo_u32 v16, v3, s29
	v_mul_lo_u32 v13, v7, s38
	;; [unrolled: 1-line block ×3, first 2 shown]
	v_sub_nc_u32_e32 v10, v10, v16
	v_add3_u32 v6, v12, v6, v13
	v_mul_lo_u32 v16, v10, s42
	v_mul_lo_u32 v10, v10, s43
	v_add3_u32 v7, v14, v9, v7
	v_add3_u32 v6, v15, v6, v16
	;; [unrolled: 1-line block ×3, first 2 shown]
	s_cbranch_scc1 .LBB9_1204
; %bb.1205:
	s_and_b32 s10, s10, 3
	s_cmp_eq_u32 s10, 0
	s_cbranch_scc0 .LBB9_1209
	s_branch .LBB9_1211
.LBB9_1206:
	s_mov_b32 s8, -1
                                        ; implicit-def: $vgpr6
                                        ; implicit-def: $vgpr9
	s_branch .LBB9_1211
.LBB9_1207:
	v_mov_b32_e32 v6, 0
	v_mov_b32_e32 v9, 0
	s_branch .LBB9_1211
.LBB9_1208:
	v_mov_b32_e32 v6, 0
	v_mov_b32_e32 v9, 0
	;; [unrolled: 1-line block ×3, first 2 shown]
	s_mov_b32 s9, 0
	s_and_b32 s10, s10, 3
	s_cmp_eq_u32 s10, 0
	s_cbranch_scc1 .LBB9_1211
.LBB9_1209:
	s_lshl_b32 s0, s9, 3
	s_mul_i32 s6, s9, 12
	s_add_u32 s0, s2, s0
	s_addc_u32 s1, s3, 0
	s_add_u32 s0, s0, 0xc4
	s_addc_u32 s1, s1, 0
	;; [unrolled: 2-line block ×3, first 2 shown]
	.p2align	6
.LBB9_1210:                             ; =>This Inner Loop Header: Depth=1
	s_clause 0x1
	s_load_dwordx2 s[14:15], s[6:7], 0x4
	s_load_dword s9, s[6:7], 0xc
	s_load_dwordx2 s[16:17], s[0:1], 0x0
	s_add_u32 s6, s6, 12
	s_addc_u32 s7, s7, 0
	s_add_u32 s0, s0, 8
	s_addc_u32 s1, s1, 0
	s_add_i32 s10, s10, -1
	s_cmp_lg_u32 s10, 0
	s_waitcnt lgkmcnt(0)
	v_mul_hi_u32 v7, s15, v3
	v_add_nc_u32_e32 v7, v3, v7
	v_lshrrev_b32_e32 v8, s9, v7
	v_mul_lo_u32 v7, v8, s14
	v_sub_nc_u32_e32 v3, v3, v7
	v_mad_u64_u32 v[6:7], null, v3, s16, v[6:7]
	v_mad_u64_u32 v[9:10], null, v3, s17, v[9:10]
	v_mov_b32_e32 v3, v8
	s_cbranch_scc1 .LBB9_1210
.LBB9_1211:
	s_andn2_b32 vcc_lo, exec_lo, s8
	s_cbranch_vccnz .LBB9_1214
; %bb.1212:
	s_clause 0x1
	s_load_dwordx4 s[8:11], s[2:3], 0x4
	s_load_dwordx2 s[0:1], s[2:3], 0xc4
	s_cmp_lt_u32 s24, 2
	s_waitcnt lgkmcnt(0)
	v_mul_hi_u32 v3, s9, v1
	v_add_nc_u32_e32 v3, v1, v3
	v_lshrrev_b32_e32 v3, s10, v3
	v_mul_lo_u32 v6, v3, s8
	v_sub_nc_u32_e32 v1, v1, v6
	v_mul_lo_u32 v6, v1, s0
	v_mul_lo_u32 v9, v1, s1
	s_cbranch_scc1 .LBB9_1214
; %bb.1213:
	s_clause 0x1
	s_load_dwordx4 s[8:11], s[2:3], 0x10
	s_load_dwordx2 s[0:1], s[2:3], 0xcc
	s_waitcnt lgkmcnt(0)
	v_mul_hi_u32 v1, s9, v3
	v_add_nc_u32_e32 v1, v3, v1
	v_lshrrev_b32_e32 v1, s10, v1
	v_mul_lo_u32 v1, v1, s8
	v_sub_nc_u32_e32 v1, v3, v1
	v_mad_u64_u32 v[6:7], null, v1, s0, v[6:7]
	v_mad_u64_u32 v[9:10], null, v1, s1, v[9:10]
.LBB9_1214:
	v_cmp_ne_u32_e32 vcc_lo, 1, v4
	v_add_nc_u32_e32 v1, 0x100, v11
	s_cbranch_vccnz .LBB9_1220
; %bb.1215:
	s_cmp_lg_u32 s24, 0
	s_mov_b32 s8, 0
	s_cbranch_scc0 .LBB9_1221
; %bb.1216:
	s_min_u32 s10, s25, 15
	s_add_i32 s10, s10, 1
	s_cmp_eq_u32 s25, 2
	s_cbranch_scc1 .LBB9_1222
; %bb.1217:
	v_mov_b32_e32 v7, 0
	v_mov_b32_e32 v10, 0
	;; [unrolled: 1-line block ×3, first 2 shown]
	s_and_b32 s9, s10, 28
	s_add_u32 s0, s2, 0xc4
	s_addc_u32 s1, s3, 0
	s_mov_b32 s11, 0
	s_mov_b64 s[6:7], s[2:3]
.LBB9_1218:                             ; =>This Inner Loop Header: Depth=1
	s_clause 0x1
	s_load_dwordx8 s[16:23], s[6:7], 0x4
	s_load_dwordx4 s[28:31], s[6:7], 0x24
	s_load_dwordx8 s[36:43], s[0:1], 0x0
	s_add_u32 s6, s6, 48
	s_addc_u32 s7, s7, 0
	s_add_i32 s11, s11, 4
	s_add_u32 s0, s0, 32
	s_addc_u32 s1, s1, 0
	s_cmp_lg_u32 s9, s11
	s_waitcnt lgkmcnt(0)
	v_mul_hi_u32 v8, s17, v3
	v_add_nc_u32_e32 v8, v3, v8
	v_lshrrev_b32_e32 v8, s18, v8
	v_mul_hi_u32 v11, s20, v8
	v_mul_lo_u32 v13, v8, s16
	v_add_nc_u32_e32 v11, v8, v11
	v_sub_nc_u32_e32 v3, v3, v13
	v_lshrrev_b32_e32 v11, s21, v11
	v_mul_lo_u32 v13, v3, s36
	v_mul_lo_u32 v15, v3, s37
	v_mul_hi_u32 v12, s23, v11
	v_add_nc_u32_e32 v12, v11, v12
	v_lshrrev_b32_e32 v12, s28, v12
	v_mul_hi_u32 v14, s30, v12
	v_mul_lo_u32 v16, v12, s22
	v_add_nc_u32_e32 v3, v12, v14
	v_mul_lo_u32 v14, v11, s19
	v_sub_nc_u32_e32 v11, v11, v16
	v_lshrrev_b32_e32 v3, s31, v3
	v_mul_lo_u32 v16, v11, s40
	v_mul_lo_u32 v11, v11, s41
	v_sub_nc_u32_e32 v8, v8, v14
	v_mul_lo_u32 v17, v3, s29
	v_mul_lo_u32 v14, v8, s38
	;; [unrolled: 1-line block ×3, first 2 shown]
	v_sub_nc_u32_e32 v12, v12, v17
	v_add3_u32 v10, v13, v10, v14
	v_mul_lo_u32 v17, v12, s42
	v_mul_lo_u32 v12, v12, s43
	v_add3_u32 v7, v15, v7, v8
	v_add3_u32 v10, v16, v10, v17
	;; [unrolled: 1-line block ×3, first 2 shown]
	s_cbranch_scc1 .LBB9_1218
; %bb.1219:
	s_and_b32 s10, s10, 3
	s_cmp_eq_u32 s10, 0
	s_cbranch_scc0 .LBB9_1223
	s_branch .LBB9_1225
.LBB9_1220:
	s_mov_b32 s8, -1
                                        ; implicit-def: $vgpr10
                                        ; implicit-def: $vgpr7
	s_branch .LBB9_1225
.LBB9_1221:
	v_mov_b32_e32 v10, 0
	v_mov_b32_e32 v7, 0
	s_branch .LBB9_1225
.LBB9_1222:
	v_mov_b32_e32 v10, 0
	v_mov_b32_e32 v7, 0
	;; [unrolled: 1-line block ×3, first 2 shown]
	s_mov_b32 s9, 0
	s_and_b32 s10, s10, 3
	s_cmp_eq_u32 s10, 0
	s_cbranch_scc1 .LBB9_1225
.LBB9_1223:
	s_lshl_b32 s0, s9, 3
	s_mul_i32 s6, s9, 12
	s_add_u32 s0, s2, s0
	s_addc_u32 s1, s3, 0
	s_add_u32 s0, s0, 0xc4
	s_addc_u32 s1, s1, 0
	;; [unrolled: 2-line block ×3, first 2 shown]
	.p2align	6
.LBB9_1224:                             ; =>This Inner Loop Header: Depth=1
	s_clause 0x1
	s_load_dwordx2 s[14:15], s[6:7], 0x4
	s_load_dword s9, s[6:7], 0xc
	s_load_dwordx2 s[16:17], s[0:1], 0x0
	s_add_u32 s6, s6, 12
	s_addc_u32 s7, s7, 0
	s_add_u32 s0, s0, 8
	s_addc_u32 s1, s1, 0
	s_add_i32 s10, s10, -1
	s_cmp_lg_u32 s10, 0
	s_waitcnt lgkmcnt(0)
	v_mul_hi_u32 v8, s15, v3
	v_add_nc_u32_e32 v8, v3, v8
	v_lshrrev_b32_e32 v12, s9, v8
	v_mul_lo_u32 v8, v12, s14
	v_sub_nc_u32_e32 v3, v3, v8
	v_mad_u64_u32 v[10:11], null, v3, s16, v[10:11]
	v_mad_u64_u32 v[7:8], null, v3, s17, v[7:8]
	v_mov_b32_e32 v3, v12
	s_cbranch_scc1 .LBB9_1224
.LBB9_1225:
	s_andn2_b32 vcc_lo, exec_lo, s8
	s_cbranch_vccnz .LBB9_1228
; %bb.1226:
	s_clause 0x1
	s_load_dwordx4 s[8:11], s[2:3], 0x4
	s_load_dwordx2 s[0:1], s[2:3], 0xc4
	s_cmp_lt_u32 s24, 2
	s_waitcnt lgkmcnt(0)
	v_mul_hi_u32 v3, s9, v1
	v_add_nc_u32_e32 v3, v1, v3
	v_lshrrev_b32_e32 v3, s10, v3
	v_mul_lo_u32 v7, v3, s8
	v_sub_nc_u32_e32 v1, v1, v7
	v_mul_lo_u32 v10, v1, s0
	v_mul_lo_u32 v7, v1, s1
	s_cbranch_scc1 .LBB9_1228
; %bb.1227:
	s_clause 0x1
	s_load_dwordx4 s[8:11], s[2:3], 0x10
	s_load_dwordx2 s[0:1], s[2:3], 0xcc
	s_waitcnt lgkmcnt(0)
	v_mul_hi_u32 v1, s9, v3
	v_add_nc_u32_e32 v1, v3, v1
	v_lshrrev_b32_e32 v1, s10, v1
	v_mul_lo_u32 v1, v1, s8
	v_sub_nc_u32_e32 v1, v3, v1
	v_mad_u64_u32 v[10:11], null, v1, s0, v[10:11]
	v_mad_u64_u32 v[7:8], null, v1, s1, v[7:8]
.LBB9_1228:
	v_cmp_ne_u32_e32 vcc_lo, 1, v4
	s_cbranch_vccnz .LBB9_1234
; %bb.1229:
	s_cmp_lg_u32 s24, 0
	s_mov_b32 s8, 0
	s_cbranch_scc0 .LBB9_1235
; %bb.1230:
	s_min_u32 s10, s25, 15
	s_add_i32 s10, s10, 1
	s_cmp_eq_u32 s25, 2
	s_cbranch_scc1 .LBB9_1236
; %bb.1231:
	v_mov_b32_e32 v3, 0
	v_mov_b32_e32 v14, 0
	v_mov_b32_e32 v1, v5
	s_and_b32 s9, s10, 28
	s_add_u32 s0, s2, 0xc4
	s_addc_u32 s1, s3, 0
	s_mov_b32 s11, 0
	s_mov_b64 s[6:7], s[2:3]
.LBB9_1232:                             ; =>This Inner Loop Header: Depth=1
	s_clause 0x1
	s_load_dwordx8 s[16:23], s[6:7], 0x4
	s_load_dwordx4 s[28:31], s[6:7], 0x24
	s_load_dwordx8 s[36:43], s[0:1], 0x0
	s_add_u32 s6, s6, 48
	s_addc_u32 s7, s7, 0
	s_add_i32 s11, s11, 4
	s_add_u32 s0, s0, 32
	s_addc_u32 s1, s1, 0
	s_cmp_lg_u32 s9, s11
	s_waitcnt lgkmcnt(0)
	v_mul_hi_u32 v4, s17, v1
	v_add_nc_u32_e32 v4, v1, v4
	v_lshrrev_b32_e32 v4, s18, v4
	v_mul_hi_u32 v8, s20, v4
	v_mul_lo_u32 v12, v4, s16
	v_add_nc_u32_e32 v8, v4, v8
	v_sub_nc_u32_e32 v1, v1, v12
	v_lshrrev_b32_e32 v8, s21, v8
	v_mul_lo_u32 v12, v1, s36
	v_mul_lo_u32 v15, v1, s37
	v_mul_hi_u32 v11, s23, v8
	v_add_nc_u32_e32 v11, v8, v11
	v_lshrrev_b32_e32 v11, s28, v11
	v_mul_hi_u32 v13, s30, v11
	v_mul_lo_u32 v16, v11, s22
	v_add_nc_u32_e32 v1, v11, v13
	v_mul_lo_u32 v13, v8, s19
	v_sub_nc_u32_e32 v8, v8, v16
	v_lshrrev_b32_e32 v1, s31, v1
	v_mul_lo_u32 v16, v8, s40
	v_mul_lo_u32 v8, v8, s41
	v_sub_nc_u32_e32 v4, v4, v13
	v_mul_lo_u32 v17, v1, s29
	v_mul_lo_u32 v13, v4, s38
	;; [unrolled: 1-line block ×3, first 2 shown]
	v_sub_nc_u32_e32 v11, v11, v17
	v_add3_u32 v12, v12, v14, v13
	v_mul_lo_u32 v17, v11, s42
	v_mul_lo_u32 v11, v11, s43
	v_add3_u32 v3, v15, v3, v4
	v_add3_u32 v14, v16, v12, v17
	;; [unrolled: 1-line block ×3, first 2 shown]
	s_cbranch_scc1 .LBB9_1232
; %bb.1233:
	s_and_b32 s10, s10, 3
	s_cmp_eq_u32 s10, 0
	s_cbranch_scc0 .LBB9_1237
	s_branch .LBB9_1239
.LBB9_1234:
	s_mov_b32 s8, -1
                                        ; implicit-def: $vgpr14
                                        ; implicit-def: $vgpr3
	s_branch .LBB9_1239
.LBB9_1235:
	v_mov_b32_e32 v14, 0
	v_mov_b32_e32 v3, 0
	s_branch .LBB9_1239
.LBB9_1236:
	v_mov_b32_e32 v14, 0
	v_mov_b32_e32 v3, 0
	;; [unrolled: 1-line block ×3, first 2 shown]
	s_mov_b32 s9, 0
	s_and_b32 s10, s10, 3
	s_cmp_eq_u32 s10, 0
	s_cbranch_scc1 .LBB9_1239
.LBB9_1237:
	s_lshl_b32 s0, s9, 3
	s_mul_i32 s6, s9, 12
	s_add_u32 s0, s2, s0
	s_addc_u32 s1, s3, 0
	s_add_u32 s0, s0, 0xc4
	s_addc_u32 s1, s1, 0
	;; [unrolled: 2-line block ×3, first 2 shown]
	.p2align	6
.LBB9_1238:                             ; =>This Inner Loop Header: Depth=1
	s_clause 0x1
	s_load_dwordx2 s[14:15], s[6:7], 0x4
	s_load_dword s9, s[6:7], 0xc
	s_load_dwordx2 s[16:17], s[0:1], 0x0
	s_add_u32 s6, s6, 12
	s_addc_u32 s7, s7, 0
	s_add_u32 s0, s0, 8
	s_addc_u32 s1, s1, 0
	s_add_i32 s10, s10, -1
	s_cmp_lg_u32 s10, 0
	s_waitcnt lgkmcnt(0)
	v_mul_hi_u32 v4, s15, v1
	v_add_nc_u32_e32 v4, v1, v4
	v_lshrrev_b32_e32 v8, s9, v4
	v_mul_lo_u32 v4, v8, s14
	v_sub_nc_u32_e32 v1, v1, v4
	v_mad_u64_u32 v[14:15], null, v1, s16, v[14:15]
	v_mad_u64_u32 v[3:4], null, v1, s17, v[3:4]
	v_mov_b32_e32 v1, v8
	s_cbranch_scc1 .LBB9_1238
.LBB9_1239:
	s_andn2_b32 vcc_lo, exec_lo, s8
	s_cbranch_vccnz .LBB9_1242
; %bb.1240:
	s_clause 0x1
	s_load_dwordx4 s[8:11], s[2:3], 0x4
	s_load_dwordx2 s[0:1], s[2:3], 0xc4
	s_cmp_lt_u32 s24, 2
	s_waitcnt lgkmcnt(0)
	v_mul_hi_u32 v1, s9, v5
	v_add_nc_u32_e32 v1, v5, v1
	v_lshrrev_b32_e32 v1, s10, v1
	v_mul_lo_u32 v3, v1, s8
	v_sub_nc_u32_e32 v3, v5, v3
	v_mul_lo_u32 v14, v3, s0
	v_mul_lo_u32 v3, v3, s1
	s_cbranch_scc1 .LBB9_1242
; %bb.1241:
	s_clause 0x1
	s_load_dwordx4 s[8:11], s[2:3], 0x10
	s_load_dwordx2 s[0:1], s[2:3], 0xcc
	s_waitcnt lgkmcnt(0)
	v_mul_hi_u32 v4, s9, v1
	v_add_nc_u32_e32 v4, v1, v4
	v_lshrrev_b32_e32 v4, s10, v4
	v_mul_lo_u32 v4, v4, s8
	v_sub_nc_u32_e32 v1, v1, v4
	v_mad_u64_u32 v[14:15], null, v1, s0, v[14:15]
	v_mad_u64_u32 v[3:4], null, v1, s1, v[3:4]
.LBB9_1242:
	s_clause 0x1
	s_load_dwordx4 s[8:11], s[2:3], 0x148
	s_load_dword s3, s[4:5], 0x160
	s_waitcnt lgkmcnt(0)
	v_add_co_u32 v0, s0, s10, v0
	v_add_co_ci_u32_e64 v1, null, s11, 0, s0
	s_bfe_u32 s0, s3, 0x80010
	s_cmp_lt_i32 s0, 11
	s_cbranch_scc1 .LBB9_1249
; %bb.1243:
	s_and_b32 s1, 0xffff, s0
	s_mov_b32 s4, 0
	s_cmp_gt_i32 s1, 25
	s_cbranch_scc0 .LBB9_1251
; %bb.1244:
	s_cmp_gt_i32 s1, 28
	s_cbranch_scc0 .LBB9_1252
; %bb.1245:
	s_cmp_gt_i32 s1, 43
	s_cbranch_scc0 .LBB9_1253
; %bb.1246:
	s_cmp_gt_i32 s1, 45
	s_cbranch_scc0 .LBB9_1254
; %bb.1247:
	s_cmp_eq_u32 s1, 46
	s_mov_b32 s6, 0
	s_cbranch_scc0 .LBB9_1257
; %bb.1248:
	global_load_dword v4, v[0:1], off
	s_mov_b32 s2, 0
	s_mov_b32 s5, -1
	s_waitcnt vmcnt(0)
	v_lshlrev_b32_e32 v4, 16, v4
	v_cvt_f64_f32_e32 v[4:5], v4
	s_branch .LBB9_1259
.LBB9_1249:
	s_mov_b32 s5, 0
	s_mov_b32 s2, s12
                                        ; implicit-def: $vgpr4_vgpr5
	s_cbranch_execnz .LBB9_1322
.LBB9_1250:
	s_andn2_b32 vcc_lo, exec_lo, s5
	s_cbranch_vccz .LBB9_1367
	s_branch .LBB9_1932
.LBB9_1251:
	s_mov_b32 s5, 0
	s_mov_b32 s2, 0
                                        ; implicit-def: $vgpr4_vgpr5
	s_cbranch_execnz .LBB9_1289
	s_branch .LBB9_1318
.LBB9_1252:
	s_mov_b32 s6, -1
	s_mov_b32 s5, 0
	s_mov_b32 s2, 0
                                        ; implicit-def: $vgpr4_vgpr5
	s_branch .LBB9_1268
.LBB9_1253:
	s_mov_b32 s5, 0
	s_mov_b32 s2, 0
                                        ; implicit-def: $vgpr4_vgpr5
	s_cbranch_execnz .LBB9_1264
	s_branch .LBB9_1267
.LBB9_1254:
	s_mov_b32 s6, -1
	s_mov_b32 s5, 0
	s_mov_b32 s2, 0
	s_branch .LBB9_1258
.LBB9_1255:
	s_andn2_saveexec_b32 s11, s11
	s_cbranch_execz .LBB9_1098
.LBB9_1256:
	v_add_f32_e64 v3, 0x46000000, |v2|
	s_andn2_b32 s10, s10, exec_lo
	v_and_b32_e32 v3, 0xff, v3
	v_cmp_ne_u32_e32 vcc_lo, 0, v3
	s_and_b32 s12, vcc_lo, exec_lo
	s_or_b32 s10, s10, s12
	s_or_b32 exec_lo, exec_lo, s11
	v_mov_b32_e32 v4, 0
	s_and_saveexec_b32 s11, s10
	s_cbranch_execnz .LBB9_1099
	s_branch .LBB9_1100
.LBB9_1257:
	s_mov_b32 s2, -1
	s_mov_b32 s5, 0
.LBB9_1258:
                                        ; implicit-def: $vgpr4_vgpr5
.LBB9_1259:
	s_and_b32 vcc_lo, exec_lo, s6
	s_cbranch_vccz .LBB9_1262
; %bb.1260:
	s_cmp_eq_u32 s1, 44
	s_cbranch_scc0 .LBB9_1263
; %bb.1261:
	global_load_ubyte v8, v[0:1], off
	s_mov_b32 s2, 0
	s_mov_b32 s5, -1
	s_waitcnt vmcnt(0)
	v_lshlrev_b32_e32 v4, 23, v8
	v_cmp_ne_u32_e32 vcc_lo, 0xff, v8
	v_cvt_f64_f32_e32 v[4:5], v4
	v_cndmask_b32_e32 v4, 0x20000000, v4, vcc_lo
	v_cndmask_b32_e32 v5, 0x7ff80000, v5, vcc_lo
	v_cmp_ne_u32_e32 vcc_lo, 0, v8
	v_cndmask_b32_e32 v5, 0x38000000, v5, vcc_lo
	v_cndmask_b32_e32 v4, 0, v4, vcc_lo
.LBB9_1262:
	s_branch .LBB9_1267
.LBB9_1263:
	s_mov_b32 s2, -1
                                        ; implicit-def: $vgpr4_vgpr5
	s_branch .LBB9_1267
.LBB9_1264:
	s_cmp_eq_u32 s1, 29
	s_cbranch_scc0 .LBB9_1266
; %bb.1265:
	global_load_dwordx2 v[4:5], v[0:1], off
	s_mov_b32 s2, 0
	s_mov_b32 s5, -1
	s_mov_b32 s6, 0
	s_waitcnt vmcnt(0)
	v_cvt_f64_u32_e32 v[11:12], v5
	v_cvt_f64_u32_e32 v[4:5], v4
	v_ldexp_f64 v[11:12], v[11:12], 32
	v_add_f64 v[4:5], v[11:12], v[4:5]
	s_branch .LBB9_1268
.LBB9_1266:
	s_mov_b32 s2, -1
                                        ; implicit-def: $vgpr4_vgpr5
.LBB9_1267:
	s_mov_b32 s6, 0
.LBB9_1268:
	s_and_b32 vcc_lo, exec_lo, s6
	s_cbranch_vccz .LBB9_1288
; %bb.1269:
	s_cmp_lt_i32 s1, 27
	s_cbranch_scc1 .LBB9_1272
; %bb.1270:
	s_cmp_gt_i32 s1, 27
	s_cbranch_scc0 .LBB9_1273
; %bb.1271:
	global_load_dword v4, v[0:1], off
	s_mov_b32 s5, 0
	s_waitcnt vmcnt(0)
	v_cvt_f64_u32_e32 v[4:5], v4
	s_branch .LBB9_1274
.LBB9_1272:
	s_mov_b32 s5, -1
                                        ; implicit-def: $vgpr4_vgpr5
	s_branch .LBB9_1277
.LBB9_1273:
	s_mov_b32 s5, -1
                                        ; implicit-def: $vgpr4_vgpr5
.LBB9_1274:
	s_andn2_b32 vcc_lo, exec_lo, s5
	s_cbranch_vccnz .LBB9_1276
; %bb.1275:
	global_load_ushort v4, v[0:1], off
	s_waitcnt vmcnt(0)
	v_cvt_f64_u32_e32 v[4:5], v4
.LBB9_1276:
	s_mov_b32 s5, 0
.LBB9_1277:
	s_andn2_b32 vcc_lo, exec_lo, s5
	s_cbranch_vccnz .LBB9_1287
; %bb.1278:
	global_load_ubyte v8, v[0:1], off
	s_mov_b32 s5, 0
	s_mov_b32 s6, exec_lo
	s_waitcnt vmcnt(0)
	v_cmpx_lt_i16_e32 0x7f, v8
	s_xor_b32 s6, exec_lo, s6
	s_cbranch_execz .LBB9_1282
; %bb.1279:
	s_mov_b32 s5, -1
	s_mov_b32 s7, exec_lo
	v_cmpx_eq_u16_e32 0x80, v8
; %bb.1280:
	s_xor_b32 s5, exec_lo, -1
; %bb.1281:
	s_or_b32 exec_lo, exec_lo, s7
	s_and_b32 s5, s5, exec_lo
.LBB9_1282:
	s_or_saveexec_b32 s6, s6
	v_bfrev_b32_e32 v4, 4
	v_mov_b32_e32 v5, 0x7ff80000
	s_xor_b32 exec_lo, exec_lo, s6
; %bb.1283:
	v_cmp_ne_u16_e32 vcc_lo, 0, v8
	v_mov_b32_e32 v4, 0
	v_mov_b32_e32 v5, 0
	s_andn2_b32 s5, s5, exec_lo
	s_and_b32 s7, vcc_lo, exec_lo
	s_or_b32 s5, s5, s7
; %bb.1284:
	s_or_b32 exec_lo, exec_lo, s6
	s_and_saveexec_b32 s6, s5
	s_cbranch_execz .LBB9_1286
; %bb.1285:
	v_and_b32_e32 v4, 0xffff, v8
	v_lshlrev_b32_e32 v8, 24, v8
	v_and_b32_e32 v5, 7, v4
	v_bfe_u32 v13, v4, 3, 4
	v_ffbh_u32_e32 v11, v5
	v_cmp_eq_u32_e32 vcc_lo, 0, v13
	v_min_u32_e32 v11, 32, v11
	v_subrev_nc_u32_e32 v12, 28, v11
	v_sub_nc_u32_e32 v11, 29, v11
	v_lshlrev_b32_e32 v4, v12, v4
	v_cndmask_b32_e32 v11, v13, v11, vcc_lo
	v_and_b32_e32 v4, 7, v4
	v_cndmask_b32_e32 v4, v5, v4, vcc_lo
	v_and_b32_e32 v5, 0x80000000, v8
	v_lshl_add_u32 v8, v11, 23, 0x3b800000
	v_lshlrev_b32_e32 v4, 20, v4
	v_or3_b32 v4, v5, v8, v4
	v_cvt_f64_f32_e32 v[4:5], v4
.LBB9_1286:
	s_or_b32 exec_lo, exec_lo, s6
.LBB9_1287:
	s_mov_b32 s5, -1
.LBB9_1288:
	s_branch .LBB9_1318
.LBB9_1289:
	s_cmp_gt_i32 s1, 22
	s_cbranch_scc0 .LBB9_1301
; %bb.1290:
	s_cmp_lt_i32 s1, 24
	s_cbranch_scc1 .LBB9_1302
; %bb.1291:
	s_cmp_gt_i32 s1, 24
	s_cbranch_scc0 .LBB9_1303
; %bb.1292:
	global_load_ubyte v8, v[0:1], off
	s_mov_b32 s5, exec_lo
	s_waitcnt vmcnt(0)
	v_cmpx_lt_i16_e32 0x7f, v8
	s_xor_b32 s5, exec_lo, s5
	s_cbranch_execz .LBB9_1296
; %bb.1293:
	s_mov_b32 s4, -1
	s_mov_b32 s6, exec_lo
	v_cmpx_eq_u16_e32 0x80, v8
; %bb.1294:
	s_xor_b32 s4, exec_lo, -1
; %bb.1295:
	s_or_b32 exec_lo, exec_lo, s6
	s_and_b32 s4, s4, exec_lo
.LBB9_1296:
	s_or_saveexec_b32 s5, s5
	v_bfrev_b32_e32 v4, 4
	v_mov_b32_e32 v5, 0x7ff80000
	s_xor_b32 exec_lo, exec_lo, s5
; %bb.1297:
	v_cmp_ne_u16_e32 vcc_lo, 0, v8
	v_mov_b32_e32 v4, 0
	v_mov_b32_e32 v5, 0
	s_andn2_b32 s4, s4, exec_lo
	s_and_b32 s6, vcc_lo, exec_lo
	s_or_b32 s4, s4, s6
; %bb.1298:
	s_or_b32 exec_lo, exec_lo, s5
	s_and_saveexec_b32 s5, s4
	s_cbranch_execz .LBB9_1300
; %bb.1299:
	v_and_b32_e32 v4, 0xffff, v8
	v_lshlrev_b32_e32 v8, 24, v8
	v_and_b32_e32 v5, 3, v4
	v_bfe_u32 v13, v4, 2, 5
	v_ffbh_u32_e32 v11, v5
	v_cmp_eq_u32_e32 vcc_lo, 0, v13
	v_min_u32_e32 v11, 32, v11
	v_subrev_nc_u32_e32 v12, 29, v11
	v_sub_nc_u32_e32 v11, 30, v11
	v_lshlrev_b32_e32 v4, v12, v4
	v_cndmask_b32_e32 v11, v13, v11, vcc_lo
	v_and_b32_e32 v4, 3, v4
	v_cndmask_b32_e32 v4, v5, v4, vcc_lo
	v_and_b32_e32 v5, 0x80000000, v8
	v_lshl_add_u32 v8, v11, 23, 0x37800000
	v_lshlrev_b32_e32 v4, 21, v4
	v_or3_b32 v4, v5, v8, v4
	v_cvt_f64_f32_e32 v[4:5], v4
.LBB9_1300:
	s_or_b32 exec_lo, exec_lo, s5
	s_mov_b32 s4, 0
	s_branch .LBB9_1304
.LBB9_1301:
                                        ; implicit-def: $vgpr4_vgpr5
	s_mov_b32 s4, 0
	s_branch .LBB9_1310
.LBB9_1302:
	s_mov_b32 s4, -1
                                        ; implicit-def: $vgpr4_vgpr5
	s_branch .LBB9_1307
.LBB9_1303:
	s_mov_b32 s4, -1
                                        ; implicit-def: $vgpr4_vgpr5
.LBB9_1304:
	s_and_b32 vcc_lo, exec_lo, s4
	s_cbranch_vccz .LBB9_1306
; %bb.1305:
	global_load_ubyte v4, v[0:1], off
	s_waitcnt vmcnt(0)
	v_lshlrev_b32_e32 v4, 24, v4
	v_and_b32_e32 v5, 0x7f000000, v4
	v_ffbh_u32_e32 v8, v5
	v_add_nc_u32_e32 v12, 0x1000000, v5
	v_cmp_ne_u32_e32 vcc_lo, 0, v5
	v_min_u32_e32 v8, 32, v8
	v_sub_nc_u32_e64 v8, v8, 4 clamp
	v_lshlrev_b32_e32 v11, v8, v5
	v_lshlrev_b32_e32 v8, 23, v8
	v_lshrrev_b32_e32 v11, 4, v11
	v_sub_nc_u32_e32 v8, v11, v8
	v_ashrrev_i32_e32 v11, 8, v12
	v_add_nc_u32_e32 v8, 0x3c000000, v8
	v_and_or_b32 v8, 0x7f800000, v11, v8
	v_cndmask_b32_e32 v5, 0, v8, vcc_lo
	v_and_or_b32 v4, 0x80000000, v4, v5
	v_cvt_f64_f32_e32 v[4:5], v4
.LBB9_1306:
	s_mov_b32 s4, 0
.LBB9_1307:
	s_andn2_b32 vcc_lo, exec_lo, s4
	s_cbranch_vccnz .LBB9_1309
; %bb.1308:
	global_load_ubyte v4, v[0:1], off
	s_waitcnt vmcnt(0)
	v_lshlrev_b32_e32 v5, 25, v4
	v_lshlrev_b16 v4, 8, v4
	v_lshrrev_b32_e32 v8, 4, v5
	v_and_or_b32 v11, 0x7f00, v4, 0.5
	v_cmp_gt_u32_e32 vcc_lo, 0x8000000, v5
	v_bfe_i32 v4, v4, 0, 16
	v_or_b32_e32 v8, 0x70000000, v8
	v_add_f32_e32 v11, -0.5, v11
	v_mul_f32_e32 v8, 0x7800000, v8
	v_cndmask_b32_e32 v5, v8, v11, vcc_lo
	v_and_or_b32 v4, 0x80000000, v4, v5
	v_cvt_f64_f32_e32 v[4:5], v4
.LBB9_1309:
	s_mov_b32 s5, -1
	s_mov_b32 s4, 0
	s_cbranch_execnz .LBB9_1318
.LBB9_1310:
	s_cmp_gt_i32 s1, 14
	s_cbranch_scc0 .LBB9_1313
; %bb.1311:
	s_cmp_eq_u32 s1, 15
	s_cbranch_scc0 .LBB9_1314
; %bb.1312:
	global_load_ushort v4, v[0:1], off
	s_mov_b32 s2, 0
	s_mov_b32 s5, -1
	s_waitcnt vmcnt(0)
	v_lshlrev_b32_e32 v4, 16, v4
	v_cvt_f64_f32_e32 v[4:5], v4
	s_branch .LBB9_1316
.LBB9_1313:
	s_mov_b32 s4, -1
	s_branch .LBB9_1315
.LBB9_1314:
	s_mov_b32 s2, -1
.LBB9_1315:
                                        ; implicit-def: $vgpr4_vgpr5
.LBB9_1316:
	s_and_b32 vcc_lo, exec_lo, s4
	s_mov_b32 s4, 0
	s_cbranch_vccz .LBB9_1318
; %bb.1317:
	s_cmp_lg_u32 s1, 11
	s_mov_b32 s4, -1
	s_cselect_b32 s2, -1, 0
.LBB9_1318:
	s_and_b32 vcc_lo, exec_lo, s2
	s_mov_b32 s2, s12
	s_cbranch_vccnz .LBB9_1403
; %bb.1319:
	s_andn2_b32 vcc_lo, exec_lo, s4
	s_cbranch_vccnz .LBB9_1321
.LBB9_1320:
	global_load_ubyte v4, v[0:1], off
	s_mov_b32 s5, -1
	s_waitcnt vmcnt(0)
	v_cmp_ne_u16_e32 vcc_lo, 0, v4
	v_mov_b32_e32 v4, 0
	v_cndmask_b32_e64 v5, 0, 0x3ff00000, vcc_lo
.LBB9_1321:
	s_branch .LBB9_1250
.LBB9_1322:
	s_and_b32 s0, 0xffff, s0
	s_cmp_lt_i32 s0, 5
	s_cbranch_scc1 .LBB9_1327
; %bb.1323:
	s_cmp_lt_i32 s0, 8
	s_cbranch_scc1 .LBB9_1328
; %bb.1324:
	;; [unrolled: 3-line block ×3, first 2 shown]
	s_cmp_gt_i32 s0, 9
	s_cbranch_scc0 .LBB9_1330
; %bb.1326:
	global_load_dwordx2 v[4:5], v[0:1], off
	s_mov_b32 s1, 0
	s_branch .LBB9_1331
.LBB9_1327:
                                        ; implicit-def: $vgpr4_vgpr5
	s_branch .LBB9_1348
.LBB9_1328:
                                        ; implicit-def: $vgpr4_vgpr5
	s_branch .LBB9_1337
.LBB9_1329:
	s_mov_b32 s1, -1
                                        ; implicit-def: $vgpr4_vgpr5
	s_branch .LBB9_1334
.LBB9_1330:
	s_mov_b32 s1, -1
                                        ; implicit-def: $vgpr4_vgpr5
.LBB9_1331:
	s_andn2_b32 vcc_lo, exec_lo, s1
	s_cbranch_vccnz .LBB9_1333
; %bb.1332:
	global_load_dword v4, v[0:1], off
	s_waitcnt vmcnt(0)
	v_cvt_f64_f32_e32 v[4:5], v4
.LBB9_1333:
	s_mov_b32 s1, 0
.LBB9_1334:
	s_andn2_b32 vcc_lo, exec_lo, s1
	s_cbranch_vccnz .LBB9_1336
; %bb.1335:
	global_load_dword v4, v[0:1], off
	s_waitcnt vmcnt(0)
	v_cvt_f32_f16_e32 v4, v4
	v_cvt_f64_f32_e32 v[4:5], v4
.LBB9_1336:
	s_cbranch_execnz .LBB9_1347
.LBB9_1337:
	s_cmp_lt_i32 s0, 6
	s_cbranch_scc1 .LBB9_1340
; %bb.1338:
	s_cmp_gt_i32 s0, 6
	s_cbranch_scc0 .LBB9_1341
; %bb.1339:
	global_load_dwordx2 v[4:5], v[0:1], off
	s_mov_b32 s1, 0
	s_branch .LBB9_1342
.LBB9_1340:
	s_mov_b32 s1, -1
                                        ; implicit-def: $vgpr4_vgpr5
	s_branch .LBB9_1345
.LBB9_1341:
	s_mov_b32 s1, -1
                                        ; implicit-def: $vgpr4_vgpr5
.LBB9_1342:
	s_andn2_b32 vcc_lo, exec_lo, s1
	s_cbranch_vccnz .LBB9_1344
; %bb.1343:
	global_load_dword v4, v[0:1], off
	s_waitcnt vmcnt(0)
	v_cvt_f64_f32_e32 v[4:5], v4
.LBB9_1344:
	s_mov_b32 s1, 0
.LBB9_1345:
	s_andn2_b32 vcc_lo, exec_lo, s1
	s_cbranch_vccnz .LBB9_1347
; %bb.1346:
	global_load_ushort v4, v[0:1], off
	s_waitcnt vmcnt(0)
	v_cvt_f32_f16_e32 v4, v4
	v_cvt_f64_f32_e32 v[4:5], v4
.LBB9_1347:
	s_cbranch_execnz .LBB9_1366
.LBB9_1348:
	s_cmp_lt_i32 s0, 2
	s_cbranch_scc1 .LBB9_1352
; %bb.1349:
	s_cmp_lt_i32 s0, 3
	s_cbranch_scc1 .LBB9_1353
; %bb.1350:
	s_cmp_gt_i32 s0, 3
	s_cbranch_scc0 .LBB9_1354
; %bb.1351:
	global_load_dwordx2 v[4:5], v[0:1], off
	s_mov_b32 s1, 0
	s_waitcnt vmcnt(0)
	v_cvt_f64_i32_e32 v[11:12], v5
	v_cvt_f64_u32_e32 v[4:5], v4
	v_ldexp_f64 v[11:12], v[11:12], 32
	v_add_f64 v[4:5], v[11:12], v[4:5]
	s_branch .LBB9_1355
.LBB9_1352:
                                        ; implicit-def: $vgpr4_vgpr5
	s_branch .LBB9_1361
.LBB9_1353:
	s_mov_b32 s1, -1
                                        ; implicit-def: $vgpr4_vgpr5
	s_branch .LBB9_1358
.LBB9_1354:
	s_mov_b32 s1, -1
                                        ; implicit-def: $vgpr4_vgpr5
.LBB9_1355:
	s_andn2_b32 vcc_lo, exec_lo, s1
	s_cbranch_vccnz .LBB9_1357
; %bb.1356:
	global_load_dword v4, v[0:1], off
	s_waitcnt vmcnt(0)
	v_cvt_f64_i32_e32 v[4:5], v4
.LBB9_1357:
	s_mov_b32 s1, 0
.LBB9_1358:
	s_andn2_b32 vcc_lo, exec_lo, s1
	s_cbranch_vccnz .LBB9_1360
; %bb.1359:
	global_load_sshort v4, v[0:1], off
	s_waitcnt vmcnt(0)
	v_cvt_f64_i32_e32 v[4:5], v4
.LBB9_1360:
	s_cbranch_execnz .LBB9_1366
.LBB9_1361:
	s_cmp_gt_i32 s0, 0
	s_mov_b32 s0, 0
	s_cbranch_scc0 .LBB9_1363
; %bb.1362:
	global_load_sbyte v4, v[0:1], off
	s_waitcnt vmcnt(0)
	v_cvt_f64_i32_e32 v[4:5], v4
	s_branch .LBB9_1364
.LBB9_1363:
	s_mov_b32 s0, -1
                                        ; implicit-def: $vgpr4_vgpr5
.LBB9_1364:
	s_andn2_b32 vcc_lo, exec_lo, s0
	s_cbranch_vccnz .LBB9_1366
; %bb.1365:
	global_load_ubyte v0, v[0:1], off
	s_waitcnt vmcnt(0)
	v_cvt_f64_u32_e32 v[4:5], v0
.LBB9_1366:
.LBB9_1367:
                                        ; implicit-def: $vgpr0_vgpr1
	s_mov_b32 s0, exec_lo
	s_waitcnt vmcnt(0)
	v_cmpx_neq_f64_e32 0, v[4:5]
	s_xor_b32 s4, exec_lo, s0
	s_cbranch_execz .LBB9_1389
; %bb.1368:
	v_mov_b32_e32 v11, 0
	v_mov_b32_e32 v12, 0
	s_mov_b32 s1, -1
	s_mov_b32 s5, exec_lo
	v_cmpx_gt_f64_e32 0, v[4:5]
	s_cbranch_execz .LBB9_1376
; %bb.1369:
	v_trunc_f64_e32 v[0:1], v[4:5]
	v_mov_b32_e32 v11, 0
	v_mov_b32_e32 v12, 0
	s_mov_b32 s1, 0
	s_mov_b32 s6, exec_lo
	v_cmpx_neq_f64_e32 v[4:5], v[0:1]
	s_cbranch_execz .LBB9_1375
; %bb.1370:
	v_add_f64 v[0:1], v[4:5], -v[0:1]
	s_mov_b32 s1, 0xc00921fb
	s_mov_b32 s0, 0x54442d18
	v_cmp_neq_f64_e64 vcc_lo, 0x7ff00000, |v[4:5]|
	s_mov_b32 s7, exec_lo
                                        ; implicit-def: $vgpr8
                                        ; implicit-def: $vgpr11_vgpr12
                                        ; implicit-def: $vgpr15_vgpr16
	v_mul_f64 v[0:1], |v[0:1]|, s[0:1]
	v_cndmask_b32_e32 v1, 0x80000000, v1, vcc_lo
	v_cndmask_b32_e32 v0, 0, v0, vcc_lo
	v_cmpx_ngt_f64_e64 0x41d00000, |v[0:1]|
	s_xor_b32 s7, exec_lo, s7
	s_cbranch_execz .LBB9_1372
; %bb.1371:
	v_ldexp_f64 v[11:12], |v[0:1]|, 0xffffff80
	v_cmp_le_f64_e64 vcc_lo, 0x7b000000, |v[0:1]|
	v_trig_preop_f64 v[15:16], |v[0:1]|, 0
	v_and_b32_e32 v8, 0x7fffffff, v1
	v_trig_preop_f64 v[17:18], |v[0:1]|, 1
	v_trig_preop_f64 v[27:28], |v[0:1]|, 2
	v_mov_b32_e32 v35, 0
	s_mov_b32 s1, 0x3ff921fb
	s_mov_b32 s14, 0x33145c07
	;; [unrolled: 1-line block ×3, first 2 shown]
	v_cndmask_b32_e32 v12, v8, v12, vcc_lo
	v_cndmask_b32_e32 v11, v0, v11, vcc_lo
	v_mul_f64 v[19:20], v[15:16], v[11:12]
	v_mul_f64 v[21:22], v[17:18], v[11:12]
	;; [unrolled: 1-line block ×3, first 2 shown]
	v_fma_f64 v[15:16], v[15:16], v[11:12], -v[19:20]
	v_fma_f64 v[17:18], v[17:18], v[11:12], -v[21:22]
	;; [unrolled: 1-line block ×3, first 2 shown]
	v_add_f64 v[23:24], v[21:22], v[15:16]
	v_add_f64 v[25:26], v[23:24], -v[21:22]
	v_add_f64 v[31:32], v[19:20], v[23:24]
	v_add_f64 v[29:30], v[23:24], -v[25:26]
	v_add_f64 v[15:16], v[15:16], -v[25:26]
	v_ldexp_f64 v[25:26], v[31:32], -2
	v_add_f64 v[19:20], v[31:32], -v[19:20]
	v_add_f64 v[21:22], v[21:22], -v[29:30]
	v_add_f64 v[29:30], v[33:34], v[17:18]
	v_cmp_neq_f64_e64 vcc_lo, 0x7ff00000, |v[25:26]|
	v_add_f64 v[19:20], v[23:24], -v[19:20]
	v_add_f64 v[15:16], v[15:16], v[21:22]
	v_fract_f64_e32 v[21:22], v[25:26]
	v_add_f64 v[23:24], v[29:30], v[15:16]
	v_ldexp_f64 v[21:22], v[21:22], 2
	v_add_f64 v[25:26], v[19:20], v[23:24]
	v_cndmask_b32_e32 v22, 0, v22, vcc_lo
	v_cndmask_b32_e32 v21, 0, v21, vcc_lo
	v_add_f64 v[31:32], v[25:26], v[21:22]
	v_add_f64 v[19:20], v[25:26], -v[19:20]
	v_cmp_gt_f64_e32 vcc_lo, 0, v[31:32]
	v_add_f64 v[31:32], v[29:30], -v[33:34]
	v_add_f64 v[19:20], v[23:24], -v[19:20]
	v_cndmask_b32_e64 v36, 0, 0x40100000, vcc_lo
	v_add_f64 v[40:41], v[29:30], -v[31:32]
	v_add_f64 v[17:18], v[17:18], -v[31:32]
	v_add_f64 v[21:22], v[21:22], v[35:36]
	v_add_f64 v[36:37], v[23:24], -v[29:30]
	v_add_f64 v[31:32], v[33:34], -v[40:41]
	v_add_f64 v[38:39], v[25:26], v[21:22]
	;; [unrolled: 3-line block ×3, first 2 shown]
	v_cvt_i32_f64_e32 v8, v[38:39]
	v_add_f64 v[29:30], v[29:30], -v[42:43]
	v_cvt_f64_i32_e32 v[36:37], v8
	v_add_f64 v[15:16], v[15:16], v[29:30]
	v_add_f64 v[21:22], v[21:22], -v[36:37]
	v_add_f64 v[15:16], v[17:18], v[15:16]
	v_add_f64 v[17:18], v[25:26], v[21:22]
	;; [unrolled: 1-line block ×3, first 2 shown]
	v_add_f64 v[15:16], v[17:18], -v[21:22]
	v_cmp_le_f64_e32 vcc_lo, 0.5, v[17:18]
	v_add_f64 v[11:12], v[19:20], v[11:12]
	v_add_f64 v[15:16], v[25:26], -v[15:16]
	v_cndmask_b32_e64 v36, 0, 0x3ff00000, vcc_lo
	v_add_co_ci_u32_e64 v8, null, 0, v8, vcc_lo
	v_add_f64 v[11:12], v[11:12], v[15:16]
	v_add_f64 v[15:16], v[17:18], -v[35:36]
	v_add_f64 v[17:18], v[15:16], v[11:12]
	v_mul_f64 v[19:20], v[17:18], s[0:1]
	v_add_f64 v[15:16], v[17:18], -v[15:16]
	v_fma_f64 v[21:22], v[17:18], s[0:1], -v[19:20]
	v_add_f64 v[11:12], v[11:12], -v[15:16]
	v_fma_f64 v[15:16], v[17:18], s[14:15], v[21:22]
	v_fma_f64 v[15:16], v[11:12], s[0:1], v[15:16]
	v_add_f64 v[11:12], v[19:20], v[15:16]
	v_add_f64 v[17:18], v[11:12], -v[19:20]
	v_add_f64 v[15:16], v[15:16], -v[17:18]
.LBB9_1372:
	s_andn2_saveexec_b32 s0, s7
	s_cbranch_execz .LBB9_1374
; %bb.1373:
	s_mov_b32 s14, 0x6dc9c883
	s_mov_b32 s15, 0x3fe45f30
	;; [unrolled: 1-line block ×3, first 2 shown]
	v_mul_f64 v[11:12], |v[0:1]|, s[14:15]
	s_mov_b32 s14, 0x54442d18
	s_mov_b32 s15, 0xbff921fb
	s_mov_b32 s16, 0x33145c00
	v_rndne_f64_e32 v[17:18], v[11:12]
	v_fma_f64 v[11:12], v[17:18], s[14:15], |v[0:1]|
	v_mul_f64 v[15:16], v[17:18], s[16:17]
	s_mov_b32 s14, 0x252049c0
	s_mov_b32 s15, 0xb97b839a
	v_cvt_i32_f64_e32 v8, v[17:18]
	v_fma_f64 v[21:22], v[17:18], s[16:17], v[11:12]
	v_add_f64 v[19:20], v[11:12], v[15:16]
	s_mov_b32 s17, 0x3c91a626
	v_add_f64 v[11:12], v[11:12], -v[19:20]
	v_add_f64 v[19:20], v[19:20], -v[21:22]
	v_add_f64 v[11:12], v[11:12], v[15:16]
	v_fma_f64 v[15:16], v[17:18], s[16:17], v[15:16]
	v_add_f64 v[11:12], v[19:20], v[11:12]
	v_add_f64 v[11:12], v[11:12], -v[15:16]
	v_fma_f64 v[15:16], v[17:18], s[14:15], v[11:12]
	v_add_f64 v[11:12], v[21:22], v[15:16]
	v_add_f64 v[19:20], v[11:12], -v[21:22]
	v_add_f64 v[15:16], v[15:16], -v[19:20]
.LBB9_1374:
	s_or_b32 exec_lo, exec_lo, s0
	v_mul_f64 v[17:18], v[11:12], v[11:12]
	v_add_f64 v[19:20], v[15:16], v[15:16]
	s_mov_b32 s14, 0xa9a29f71
	s_mov_b32 s16, 0xc751c08c
	;; [unrolled: 1-line block ×4, first 2 shown]
	v_cmp_class_f64_e64 s0, v[0:1], 0x1f8
	v_and_b32_e32 v8, 1, v8
	v_and_b32_e32 v1, 0x80000000, v1
	v_add_f64 v[4:5], -v[4:5], 1.0
	s_mov_b32 s1, exec_lo
	v_cmp_eq_u32_e32 vcc_lo, 0, v8
	v_fma_f64 v[21:22], v[11:12], v[11:12], -v[17:18]
	v_fma_f64 v[19:20], v[11:12], v[19:20], v[21:22]
	v_add_f64 v[17:18], v[17:18], v[19:20]
	v_fma_f64 v[19:20], v[17:18], s[16:17], s[14:15]
	s_mov_b32 s14, 0x90a8aae0
	s_mov_b32 s15, 0x3f17746f
	v_fma_f64 v[19:20], v[17:18], v[19:20], s[14:15]
	s_mov_b32 s14, 0xa6fbf144
	s_mov_b32 s15, 0xbefbb44d
	;; [unrolled: 3-line block ×13, first 2 shown]
	v_mul_f64 v[17:18], v[17:18], v[19:20]
	v_mul_f64 v[19:20], v[11:12], v[17:18]
	v_add_f64 v[21:22], v[11:12], v[19:20]
	v_fma_f64 v[17:18], v[11:12], v[17:18], -v[19:20]
	v_add_f64 v[11:12], v[21:22], -v[11:12]
	v_add_f64 v[15:16], v[15:16], v[17:18]
	v_add_f64 v[11:12], v[19:20], -v[11:12]
	v_add_f64 v[11:12], v[15:16], v[11:12]
	v_add_f64 v[15:16], v[21:22], v[11:12]
	v_rcp_f64_e32 v[17:18], v[15:16]
	v_fma_f64 v[19:20], -v[15:16], v[17:18], 1.0
	v_fma_f64 v[17:18], v[19:20], v[17:18], v[17:18]
	v_fma_f64 v[19:20], -v[15:16], v[17:18], 1.0
	v_fma_f64 v[17:18], v[19:20], v[17:18], v[17:18]
	v_add_f64 v[19:20], v[15:16], -v[21:22]
	v_mul_f64 v[21:22], v[15:16], v[17:18]
	v_add_f64 v[11:12], v[11:12], -v[19:20]
	v_fma_f64 v[19:20], v[17:18], v[15:16], -v[21:22]
	v_fma_f64 v[11:12], v[17:18], v[11:12], v[19:20]
	v_add_f64 v[19:20], v[21:22], v[11:12]
	v_add_f64 v[23:24], -v[19:20], 1.0
	v_add_f64 v[21:22], v[19:20], -v[21:22]
	v_add_f64 v[25:26], -v[23:24], 1.0
	v_add_f64 v[11:12], v[21:22], -v[11:12]
	v_add_f64 v[19:20], v[25:26], -v[19:20]
	v_add_f64 v[11:12], v[11:12], v[19:20]
	v_add_f64 v[11:12], v[23:24], v[11:12]
	v_mul_f64 v[11:12], v[17:18], v[11:12]
	v_add_f64 v[11:12], v[17:18], v[11:12]
	v_xor_b32_e32 v0, 0x80000000, v12
	v_cndmask_b32_e32 v8, v11, v15, vcc_lo
	v_cndmask_b32_e32 v0, v0, v16, vcc_lo
	v_xor_b32_e32 v1, v0, v1
	v_cndmask_b32_e64 v0, 0, v8, s0
	v_cndmask_b32_e64 v1, 0x7ff80000, v1, s0
	v_div_scale_f64 v[11:12], null, v[0:1], v[0:1], s[14:15]
	v_div_scale_f64 v[19:20], vcc_lo, s[14:15], v[0:1], s[14:15]
	v_rcp_f64_e32 v[15:16], v[11:12]
	v_fma_f64 v[17:18], -v[11:12], v[15:16], 1.0
	v_fma_f64 v[15:16], v[15:16], v[17:18], v[15:16]
	v_fma_f64 v[17:18], -v[11:12], v[15:16], 1.0
	v_fma_f64 v[15:16], v[15:16], v[17:18], v[15:16]
	v_mul_f64 v[17:18], v[19:20], v[15:16]
	v_fma_f64 v[11:12], -v[11:12], v[17:18], v[19:20]
	v_div_fmas_f64 v[11:12], v[11:12], v[15:16], v[17:18]
	v_div_fixup_f64 v[11:12], v[11:12], v[0:1], s[14:15]
.LBB9_1375:
	s_or_b32 exec_lo, exec_lo, s6
	s_orn2_b32 s1, s1, exec_lo
.LBB9_1376:
	s_or_b32 exec_lo, exec_lo, s5
	v_mov_b32_e32 v0, 0
	v_mov_b32_e32 v1, 0x7ff80000
	s_and_saveexec_b32 s0, s1
	s_cbranch_execz .LBB9_1388
; %bb.1377:
	s_mov_b32 s1, exec_lo
	v_cmpx_gt_f64_e32 0x40240000, v[4:5]
	s_cbranch_execz .LBB9_1381
; %bb.1378:
	s_mov_b32 s5, 0
	.p2align	6
.LBB9_1379:                             ; =>This Inner Loop Header: Depth=1
	v_div_scale_f64 v[0:1], null, v[4:5], v[4:5], 1.0
	v_div_scale_f64 v[19:20], vcc_lo, 1.0, v[4:5], 1.0
	v_rcp_f64_e32 v[15:16], v[0:1]
	v_fma_f64 v[17:18], -v[0:1], v[15:16], 1.0
	v_fma_f64 v[15:16], v[15:16], v[17:18], v[15:16]
	v_fma_f64 v[17:18], -v[0:1], v[15:16], 1.0
	v_fma_f64 v[15:16], v[15:16], v[17:18], v[15:16]
	v_mul_f64 v[17:18], v[19:20], v[15:16]
	v_fma_f64 v[0:1], -v[0:1], v[17:18], v[19:20]
	v_div_fmas_f64 v[0:1], v[0:1], v[15:16], v[17:18]
	v_div_fixup_f64 v[0:1], v[0:1], v[4:5], 1.0
	v_add_f64 v[4:5], v[4:5], 1.0
	v_add_f64 v[11:12], v[11:12], -v[0:1]
	v_cmp_ngt_f64_e32 vcc_lo, 0x40240000, v[4:5]
	s_or_b32 s5, vcc_lo, s5
	s_andn2_b32 exec_lo, exec_lo, s5
	s_cbranch_execnz .LBB9_1379
; %bb.1380:
	s_or_b32 exec_lo, exec_lo, s5
.LBB9_1381:
	s_or_b32 exec_lo, exec_lo, s1
	s_mov_b32 s1, exec_lo
                                        ; implicit-def: $vgpr0_vgpr1
	v_cmpx_neq_f64_e32 0x40240000, v[4:5]
	s_xor_b32 s1, exec_lo, s1
	s_cbranch_execz .LBB9_1385
; %bb.1382:
	v_mov_b32_e32 v0, 0
	v_mov_b32_e32 v1, 0
	s_mov_b32 s6, 0x85d8a000
	s_mov_b32 s7, 0x43763457
	s_mov_b32 s5, exec_lo
	v_cmpx_gt_f64_e32 s[6:7], v[4:5]
	s_cbranch_execz .LBB9_1384
; %bb.1383:
	v_mul_f64 v[0:1], v[4:5], v[4:5]
	s_mov_b32 s6, 0x55555555
	s_mov_b32 s7, 0x3fb55555
	;; [unrolled: 1-line block ×6, first 2 shown]
	v_div_scale_f64 v[15:16], null, v[0:1], v[0:1], 1.0
	v_rcp_f64_e32 v[17:18], v[15:16]
	v_fma_f64 v[19:20], -v[15:16], v[17:18], 1.0
	v_fma_f64 v[17:18], v[17:18], v[19:20], v[17:18]
	v_fma_f64 v[19:20], -v[15:16], v[17:18], 1.0
	v_fma_f64 v[17:18], v[17:18], v[19:20], v[17:18]
	v_div_scale_f64 v[19:20], vcc_lo, 1.0, v[0:1], 1.0
	v_mul_f64 v[21:22], v[19:20], v[17:18]
	v_fma_f64 v[15:16], -v[15:16], v[21:22], v[19:20]
	v_div_fmas_f64 v[15:16], v[15:16], v[17:18], v[21:22]
	v_div_fixup_f64 v[0:1], v[15:16], v[0:1], 1.0
	v_fma_f64 v[15:16], v[0:1], 0, s[6:7]
	v_fma_f64 v[15:16], v[0:1], v[15:16], s[14:15]
	s_mov_b32 s14, 0xf07c1f08
	s_mov_b32 s15, 0x3f7f07c1
	v_fma_f64 v[15:16], v[0:1], v[15:16], s[14:15]
	s_mov_b32 s15, 0xbf711111
	s_mov_b32 s14, 0x11111111
	v_fma_f64 v[15:16], v[0:1], v[15:16], s[14:15]
	s_mov_b32 s15, 0xbf811111
	v_fma_f64 v[15:16], v[0:1], v[15:16], s[16:17]
	v_fma_f64 v[15:16], v[0:1], v[15:16], s[14:15]
	;; [unrolled: 1-line block ×3, first 2 shown]
	v_mul_f64 v[0:1], v[0:1], v[15:16]
.LBB9_1384:
	s_or_b32 exec_lo, exec_lo, s5
	v_frexp_mant_f64_e32 v[15:16], v[4:5]
	s_mov_b32 s7, 0x3fe55555
	s_mov_b32 s6, 0x55555555
	;; [unrolled: 1-line block ×6, first 2 shown]
	v_div_scale_f64 v[31:32], null, v[4:5], v[4:5], -0.5
	v_cmp_gt_f64_e32 vcc_lo, s[6:7], v[15:16]
	s_mov_b32 s6, 0x55555780
	v_rcp_f64_e32 v[35:36], v[31:32]
	v_cndmask_b32_e64 v8, 0, 1, vcc_lo
	v_ldexp_f64 v[15:16], v[15:16], v8
	v_frexp_exp_i32_f64_e32 v8, v[4:5]
	v_add_f64 v[17:18], v[15:16], 1.0
	v_add_f64 v[23:24], v[15:16], -1.0
	v_subrev_co_ci_u32_e64 v8, null, 0, v8, vcc_lo
	v_rcp_f64_e32 v[19:20], v[17:18]
	v_add_f64 v[25:26], v[17:18], -1.0
	v_add_f64 v[15:16], v[15:16], -v[25:26]
	v_fma_f64 v[21:22], -v[17:18], v[19:20], 1.0
	v_fma_f64 v[19:20], v[21:22], v[19:20], v[19:20]
	v_fma_f64 v[21:22], -v[17:18], v[19:20], 1.0
	v_fma_f64 v[19:20], v[21:22], v[19:20], v[19:20]
	v_mul_f64 v[21:22], v[23:24], v[19:20]
	v_mul_f64 v[27:28], v[17:18], v[21:22]
	v_fma_f64 v[17:18], v[21:22], v[17:18], -v[27:28]
	v_fma_f64 v[15:16], v[21:22], v[15:16], v[17:18]
	v_add_f64 v[17:18], v[27:28], v[15:16]
	v_add_f64 v[25:26], v[23:24], -v[17:18]
	v_add_f64 v[27:28], v[17:18], -v[27:28]
	v_add_f64 v[23:24], v[23:24], -v[25:26]
	v_add_f64 v[15:16], v[27:28], -v[15:16]
	v_add_f64 v[17:18], v[23:24], -v[17:18]
	v_add_f64 v[15:16], v[15:16], v[17:18]
	v_add_f64 v[15:16], v[25:26], v[15:16]
	v_mul_f64 v[15:16], v[19:20], v[15:16]
	v_add_f64 v[17:18], v[21:22], v[15:16]
	v_mul_f64 v[19:20], v[17:18], v[17:18]
	v_fma_f64 v[23:24], v[19:20], s[16:17], s[14:15]
	s_mov_b32 s14, 0xd7f4df2e
	s_mov_b32 s15, 0x3fc7474d
	v_mul_f64 v[25:26], v[17:18], v[19:20]
	v_fma_f64 v[23:24], v[19:20], v[23:24], s[14:15]
	s_mov_b32 s14, 0x16291751
	s_mov_b32 s15, 0x3fcc71c0
	v_fma_f64 v[23:24], v[19:20], v[23:24], s[14:15]
	s_mov_b32 s14, 0x9b27acf1
	s_mov_b32 s15, 0x3fd24924
	;; [unrolled: 3-line block ×3, first 2 shown]
	v_fma_f64 v[23:24], v[19:20], v[23:24], s[14:15]
	v_fma_f64 v[19:20], v[19:20], v[23:24], s[6:7]
	v_ldexp_f64 v[23:24], v[17:18], 1
	v_add_f64 v[17:18], v[17:18], -v[21:22]
	s_mov_b32 s6, 0xfefa39ef
	s_mov_b32 s7, 0x3fe62e42
	v_mul_f64 v[19:20], v[25:26], v[19:20]
	v_cvt_f64_i32_e32 v[25:26], v8
	v_add_f64 v[15:16], v[15:16], -v[17:18]
	v_add_f64 v[21:22], v[23:24], v[19:20]
	v_mul_f64 v[27:28], v[25:26], s[6:7]
	v_ldexp_f64 v[15:16], v[15:16], 1
	v_add_f64 v[17:18], v[21:22], -v[23:24]
	v_fma_f64 v[23:24], v[25:26], s[6:7], -v[27:28]
	s_mov_b32 s6, 0x3b39803f
	s_mov_b32 s7, 0x3c7abc9e
	v_add_f64 v[17:18], v[19:20], -v[17:18]
	v_fma_f64 v[19:20], v[25:26], s[6:7], v[23:24]
	v_add_f64 v[15:16], v[15:16], v[17:18]
	v_add_f64 v[17:18], v[27:28], v[19:20]
	;; [unrolled: 1-line block ×3, first 2 shown]
	v_add_f64 v[27:28], v[17:18], -v[27:28]
	v_add_f64 v[25:26], v[17:18], v[23:24]
	v_add_f64 v[21:22], v[23:24], -v[21:22]
	v_add_f64 v[19:20], v[19:20], -v[27:28]
	;; [unrolled: 1-line block ×6, first 2 shown]
	v_fma_f64 v[23:24], -v[31:32], v[35:36], 1.0
	v_add_f64 v[27:28], v[19:20], v[15:16]
	v_add_f64 v[17:18], v[17:18], -v[33:34]
	v_add_f64 v[17:18], v[21:22], v[17:18]
	v_fma_f64 v[21:22], v[35:36], v[23:24], v[35:36]
	v_add_f64 v[23:24], v[27:28], -v[19:20]
	v_div_scale_f64 v[35:36], vcc_lo, -0.5, v[4:5], -0.5
	v_add_f64 v[17:18], v[27:28], v[17:18]
	v_fma_f64 v[29:30], -v[31:32], v[21:22], 1.0
	v_add_f64 v[27:28], v[27:28], -v[23:24]
	v_add_f64 v[15:16], v[15:16], -v[23:24]
	v_add_f64 v[33:34], v[25:26], v[17:18]
	v_fma_f64 v[21:22], v[21:22], v[29:30], v[21:22]
	v_add_f64 v[19:20], v[19:20], -v[27:28]
	v_add_f64 v[23:24], v[33:34], -v[25:26]
	v_mul_f64 v[25:26], v[35:36], v[21:22]
	v_add_f64 v[15:16], v[15:16], v[19:20]
	v_add_f64 v[17:18], v[17:18], -v[23:24]
	v_fma_f64 v[19:20], -v[31:32], v[25:26], v[35:36]
	v_add_f64 v[15:16], v[15:16], v[17:18]
	v_div_fmas_f64 v[17:18], v[19:20], v[21:22], v[25:26]
	v_cmp_class_f64_e64 vcc_lo, v[4:5], 0x204
	v_add_f64 v[15:16], v[33:34], v[15:16]
	v_div_fixup_f64 v[17:18], v[17:18], v[4:5], -0.5
	v_cndmask_b32_e32 v5, v16, v5, vcc_lo
	v_cndmask_b32_e32 v4, v15, v4, vcc_lo
	v_add_f64 v[4:5], v[4:5], v[17:18]
	v_add_f64 v[0:1], v[4:5], -v[0:1]
	v_add_f64 v[0:1], v[11:12], v[0:1]
                                        ; implicit-def: $vgpr11_vgpr12
.LBB9_1385:
	s_andn2_saveexec_b32 s1, s1
; %bb.1386:
	s_mov_b32 s6, 0xdc85cc95
	s_mov_b32 s7, 0x40020396
	v_add_f64 v[0:1], v[11:12], s[6:7]
; %bb.1387:
	s_or_b32 exec_lo, exec_lo, s1
.LBB9_1388:
	s_or_b32 exec_lo, exec_lo, s0
                                        ; implicit-def: $vgpr4_vgpr5
.LBB9_1389:
	s_andn2_saveexec_b32 s0, s4
; %bb.1390:
	v_xor_b32_e32 v0, 0x80000000, v5
	s_mov_b32 s1, 0x7ff00000
	v_bfi_b32 v1, 0x7fffffff, s1, v0
	v_mov_b32_e32 v0, 0
; %bb.1391:
	s_or_b32 exec_lo, exec_lo, s0
	v_add_co_u32 v4, s1, s10, v9
	s_lshr_b32 s0, s3, 16
	v_add_co_ci_u32_e64 v5, null, s11, 0, s1
	s_and_b32 s4, s0, 0xff
	s_cmp_lt_i32 s4, 11
	s_cbranch_scc1 .LBB9_1398
; %bb.1392:
	s_and_b32 s0, 0xffff, s4
	s_mov_b32 s5, 0
	s_cmp_gt_i32 s0, 25
	s_cbranch_scc0 .LBB9_1400
; %bb.1393:
	s_cmp_gt_i32 s0, 28
	s_cbranch_scc0 .LBB9_1401
; %bb.1394:
	;; [unrolled: 3-line block ×4, first 2 shown]
	s_cmp_eq_u32 s0, 46
	s_mov_b32 s7, 0
	s_cbranch_scc0 .LBB9_1407
; %bb.1397:
	global_load_dword v8, v[4:5], off
	s_mov_b32 s1, 0
	s_mov_b32 s6, -1
	s_waitcnt vmcnt(0)
	v_lshlrev_b32_e32 v8, 16, v8
	v_cvt_f64_f32_e32 v[8:9], v8
	s_branch .LBB9_1409
.LBB9_1398:
	s_mov_b32 s6, 0
                                        ; implicit-def: $vgpr8_vgpr9
	s_cbranch_execnz .LBB9_1474
.LBB9_1399:
	s_andn2_b32 vcc_lo, exec_lo, s6
	s_cbranch_vccnz .LBB9_1932
	s_branch .LBB9_1521
.LBB9_1400:
	s_mov_b32 s6, 0
	s_mov_b32 s1, 0
                                        ; implicit-def: $vgpr8_vgpr9
	s_cbranch_execnz .LBB9_1440
	s_branch .LBB9_1470
.LBB9_1401:
	s_mov_b32 s7, -1
	s_mov_b32 s6, 0
	s_mov_b32 s1, 0
                                        ; implicit-def: $vgpr8_vgpr9
	s_branch .LBB9_1419
.LBB9_1402:
	s_mov_b32 s7, -1
	s_mov_b32 s6, 0
	s_mov_b32 s1, 0
                                        ; implicit-def: $vgpr8_vgpr9
	s_branch .LBB9_1414
.LBB9_1403:
	s_or_b32 s2, s12, exec_lo
	s_trap 2
	s_cbranch_execz .LBB9_1320
	s_branch .LBB9_1321
.LBB9_1404:
	s_mov_b32 s7, -1
	s_mov_b32 s6, 0
	s_mov_b32 s1, 0
	s_branch .LBB9_1408
.LBB9_1405:
	s_andn2_saveexec_b32 s12, s12
	s_cbranch_execz .LBB9_1110
.LBB9_1406:
	v_add_f32_e64 v3, 0x42800000, |v2|
	s_andn2_b32 s11, s11, exec_lo
	v_and_b32_e32 v3, 0xff, v3
	v_cmp_ne_u32_e32 vcc_lo, 0, v3
	s_and_b32 s13, vcc_lo, exec_lo
	s_or_b32 s11, s11, s13
	s_or_b32 exec_lo, exec_lo, s12
	v_mov_b32_e32 v4, 0
	s_and_saveexec_b32 s12, s11
	s_cbranch_execnz .LBB9_1111
	s_branch .LBB9_1112
.LBB9_1407:
	s_mov_b32 s1, -1
	s_mov_b32 s6, 0
.LBB9_1408:
                                        ; implicit-def: $vgpr8_vgpr9
.LBB9_1409:
	s_and_b32 vcc_lo, exec_lo, s7
	s_cbranch_vccz .LBB9_1413
; %bb.1410:
	s_cmp_eq_u32 s0, 44
	s_cbranch_scc0 .LBB9_1412
; %bb.1411:
	global_load_ubyte v11, v[4:5], off
	s_mov_b32 s1, 0
	s_mov_b32 s6, -1
	s_waitcnt vmcnt(0)
	v_lshlrev_b32_e32 v8, 23, v11
	v_cmp_ne_u32_e32 vcc_lo, 0xff, v11
	v_cvt_f64_f32_e32 v[8:9], v8
	v_cndmask_b32_e32 v8, 0x20000000, v8, vcc_lo
	v_cndmask_b32_e32 v9, 0x7ff80000, v9, vcc_lo
	v_cmp_ne_u32_e32 vcc_lo, 0, v11
	v_cndmask_b32_e32 v9, 0x38000000, v9, vcc_lo
	v_cndmask_b32_e32 v8, 0, v8, vcc_lo
	s_branch .LBB9_1413
.LBB9_1412:
	s_mov_b32 s1, -1
                                        ; implicit-def: $vgpr8_vgpr9
.LBB9_1413:
	s_mov_b32 s7, 0
.LBB9_1414:
	s_and_b32 vcc_lo, exec_lo, s7
	s_cbranch_vccz .LBB9_1418
; %bb.1415:
	s_cmp_eq_u32 s0, 29
	s_cbranch_scc0 .LBB9_1417
; %bb.1416:
	global_load_dwordx2 v[8:9], v[4:5], off
	s_mov_b32 s1, 0
	s_mov_b32 s6, -1
	s_mov_b32 s7, 0
	s_waitcnt vmcnt(0)
	v_cvt_f64_u32_e32 v[11:12], v9
	v_cvt_f64_u32_e32 v[8:9], v8
	v_ldexp_f64 v[11:12], v[11:12], 32
	v_add_f64 v[8:9], v[11:12], v[8:9]
	s_branch .LBB9_1419
.LBB9_1417:
	s_mov_b32 s1, -1
                                        ; implicit-def: $vgpr8_vgpr9
.LBB9_1418:
	s_mov_b32 s7, 0
.LBB9_1419:
	s_and_b32 vcc_lo, exec_lo, s7
	s_cbranch_vccz .LBB9_1439
; %bb.1420:
	s_cmp_lt_i32 s0, 27
	s_cbranch_scc1 .LBB9_1423
; %bb.1421:
	s_cmp_gt_i32 s0, 27
	s_cbranch_scc0 .LBB9_1424
; %bb.1422:
	global_load_dword v8, v[4:5], off
	s_mov_b32 s6, 0
	s_waitcnt vmcnt(0)
	v_cvt_f64_u32_e32 v[8:9], v8
	s_branch .LBB9_1425
.LBB9_1423:
	s_mov_b32 s6, -1
                                        ; implicit-def: $vgpr8_vgpr9
	s_branch .LBB9_1428
.LBB9_1424:
	s_mov_b32 s6, -1
                                        ; implicit-def: $vgpr8_vgpr9
.LBB9_1425:
	s_andn2_b32 vcc_lo, exec_lo, s6
	s_cbranch_vccnz .LBB9_1427
; %bb.1426:
	global_load_ushort v8, v[4:5], off
	s_waitcnt vmcnt(0)
	v_cvt_f64_u32_e32 v[8:9], v8
.LBB9_1427:
	s_mov_b32 s6, 0
.LBB9_1428:
	s_andn2_b32 vcc_lo, exec_lo, s6
	s_cbranch_vccnz .LBB9_1438
; %bb.1429:
	global_load_ubyte v11, v[4:5], off
	s_mov_b32 s6, 0
	s_mov_b32 s7, exec_lo
	s_waitcnt vmcnt(0)
	v_cmpx_lt_i16_e32 0x7f, v11
	s_xor_b32 s7, exec_lo, s7
	s_cbranch_execz .LBB9_1433
; %bb.1430:
	s_mov_b32 s6, -1
	s_mov_b32 s14, exec_lo
	v_cmpx_eq_u16_e32 0x80, v11
; %bb.1431:
	s_xor_b32 s6, exec_lo, -1
; %bb.1432:
	s_or_b32 exec_lo, exec_lo, s14
	s_and_b32 s6, s6, exec_lo
.LBB9_1433:
	s_or_saveexec_b32 s7, s7
	v_bfrev_b32_e32 v8, 4
	v_mov_b32_e32 v9, 0x7ff80000
	s_xor_b32 exec_lo, exec_lo, s7
; %bb.1434:
	v_cmp_ne_u16_e32 vcc_lo, 0, v11
	v_mov_b32_e32 v8, 0
	v_mov_b32_e32 v9, 0
	s_andn2_b32 s6, s6, exec_lo
	s_and_b32 s14, vcc_lo, exec_lo
	s_or_b32 s6, s6, s14
; %bb.1435:
	s_or_b32 exec_lo, exec_lo, s7
	s_and_saveexec_b32 s7, s6
	s_cbranch_execz .LBB9_1437
; %bb.1436:
	v_and_b32_e32 v8, 0xffff, v11
	v_lshlrev_b32_e32 v11, 24, v11
	v_and_b32_e32 v9, 7, v8
	v_bfe_u32 v15, v8, 3, 4
	v_ffbh_u32_e32 v12, v9
	v_cmp_eq_u32_e32 vcc_lo, 0, v15
	v_min_u32_e32 v12, 32, v12
	v_subrev_nc_u32_e32 v13, 28, v12
	v_sub_nc_u32_e32 v12, 29, v12
	v_lshlrev_b32_e32 v8, v13, v8
	v_cndmask_b32_e32 v12, v15, v12, vcc_lo
	v_and_b32_e32 v8, 7, v8
	v_cndmask_b32_e32 v8, v9, v8, vcc_lo
	v_and_b32_e32 v9, 0x80000000, v11
	v_lshl_add_u32 v11, v12, 23, 0x3b800000
	v_lshlrev_b32_e32 v8, 20, v8
	v_or3_b32 v8, v9, v11, v8
	v_cvt_f64_f32_e32 v[8:9], v8
.LBB9_1437:
	s_or_b32 exec_lo, exec_lo, s7
.LBB9_1438:
	s_mov_b32 s6, -1
.LBB9_1439:
	s_branch .LBB9_1470
.LBB9_1440:
	s_cmp_gt_i32 s0, 22
	s_cbranch_scc0 .LBB9_1452
; %bb.1441:
	s_cmp_lt_i32 s0, 24
	s_cbranch_scc1 .LBB9_1453
; %bb.1442:
	s_cmp_gt_i32 s0, 24
	s_cbranch_scc0 .LBB9_1454
; %bb.1443:
	global_load_ubyte v11, v[4:5], off
	s_mov_b32 s6, exec_lo
	s_waitcnt vmcnt(0)
	v_cmpx_lt_i16_e32 0x7f, v11
	s_xor_b32 s6, exec_lo, s6
	s_cbranch_execz .LBB9_1447
; %bb.1444:
	s_mov_b32 s5, -1
	s_mov_b32 s7, exec_lo
	v_cmpx_eq_u16_e32 0x80, v11
; %bb.1445:
	s_xor_b32 s5, exec_lo, -1
; %bb.1446:
	s_or_b32 exec_lo, exec_lo, s7
	s_and_b32 s5, s5, exec_lo
.LBB9_1447:
	s_or_saveexec_b32 s6, s6
	v_bfrev_b32_e32 v8, 4
	v_mov_b32_e32 v9, 0x7ff80000
	s_xor_b32 exec_lo, exec_lo, s6
; %bb.1448:
	v_cmp_ne_u16_e32 vcc_lo, 0, v11
	v_mov_b32_e32 v8, 0
	v_mov_b32_e32 v9, 0
	s_andn2_b32 s5, s5, exec_lo
	s_and_b32 s7, vcc_lo, exec_lo
	s_or_b32 s5, s5, s7
; %bb.1449:
	s_or_b32 exec_lo, exec_lo, s6
	s_and_saveexec_b32 s6, s5
	s_cbranch_execz .LBB9_1451
; %bb.1450:
	v_and_b32_e32 v8, 0xffff, v11
	v_lshlrev_b32_e32 v11, 24, v11
	v_and_b32_e32 v9, 3, v8
	v_bfe_u32 v15, v8, 2, 5
	v_ffbh_u32_e32 v12, v9
	v_cmp_eq_u32_e32 vcc_lo, 0, v15
	v_min_u32_e32 v12, 32, v12
	v_subrev_nc_u32_e32 v13, 29, v12
	v_sub_nc_u32_e32 v12, 30, v12
	v_lshlrev_b32_e32 v8, v13, v8
	v_cndmask_b32_e32 v12, v15, v12, vcc_lo
	v_and_b32_e32 v8, 3, v8
	v_cndmask_b32_e32 v8, v9, v8, vcc_lo
	v_and_b32_e32 v9, 0x80000000, v11
	v_lshl_add_u32 v11, v12, 23, 0x37800000
	v_lshlrev_b32_e32 v8, 21, v8
	v_or3_b32 v8, v9, v11, v8
	v_cvt_f64_f32_e32 v[8:9], v8
.LBB9_1451:
	s_or_b32 exec_lo, exec_lo, s6
	s_mov_b32 s5, 0
	s_branch .LBB9_1455
.LBB9_1452:
	s_mov_b32 s5, -1
                                        ; implicit-def: $vgpr8_vgpr9
	s_branch .LBB9_1461
.LBB9_1453:
	s_mov_b32 s5, -1
                                        ; implicit-def: $vgpr8_vgpr9
	s_branch .LBB9_1458
.LBB9_1454:
	s_mov_b32 s5, -1
                                        ; implicit-def: $vgpr8_vgpr9
.LBB9_1455:
	s_and_b32 vcc_lo, exec_lo, s5
	s_cbranch_vccz .LBB9_1457
; %bb.1456:
	global_load_ubyte v8, v[4:5], off
	s_waitcnt vmcnt(0)
	v_lshlrev_b32_e32 v8, 24, v8
	v_and_b32_e32 v9, 0x7f000000, v8
	v_ffbh_u32_e32 v11, v9
	v_add_nc_u32_e32 v13, 0x1000000, v9
	v_cmp_ne_u32_e32 vcc_lo, 0, v9
	v_min_u32_e32 v11, 32, v11
	v_sub_nc_u32_e64 v11, v11, 4 clamp
	v_lshlrev_b32_e32 v12, v11, v9
	v_lshlrev_b32_e32 v11, 23, v11
	v_lshrrev_b32_e32 v12, 4, v12
	v_sub_nc_u32_e32 v11, v12, v11
	v_ashrrev_i32_e32 v12, 8, v13
	v_add_nc_u32_e32 v11, 0x3c000000, v11
	v_and_or_b32 v11, 0x7f800000, v12, v11
	v_cndmask_b32_e32 v9, 0, v11, vcc_lo
	v_and_or_b32 v8, 0x80000000, v8, v9
	v_cvt_f64_f32_e32 v[8:9], v8
.LBB9_1457:
	s_mov_b32 s5, 0
.LBB9_1458:
	s_andn2_b32 vcc_lo, exec_lo, s5
	s_cbranch_vccnz .LBB9_1460
; %bb.1459:
	global_load_ubyte v8, v[4:5], off
	s_waitcnt vmcnt(0)
	v_lshlrev_b32_e32 v9, 25, v8
	v_lshlrev_b16 v8, 8, v8
	v_lshrrev_b32_e32 v11, 4, v9
	v_and_or_b32 v12, 0x7f00, v8, 0.5
	v_cmp_gt_u32_e32 vcc_lo, 0x8000000, v9
	v_bfe_i32 v8, v8, 0, 16
	v_or_b32_e32 v11, 0x70000000, v11
	v_add_f32_e32 v12, -0.5, v12
	v_mul_f32_e32 v11, 0x7800000, v11
	v_cndmask_b32_e32 v9, v11, v12, vcc_lo
	v_and_or_b32 v8, 0x80000000, v8, v9
	v_cvt_f64_f32_e32 v[8:9], v8
.LBB9_1460:
	s_mov_b32 s5, 0
	s_mov_b32 s6, -1
.LBB9_1461:
	s_andn2_b32 vcc_lo, exec_lo, s5
	s_mov_b32 s5, 0
	s_cbranch_vccnz .LBB9_1470
; %bb.1462:
	s_cmp_gt_i32 s0, 14
	s_cbranch_scc0 .LBB9_1465
; %bb.1463:
	s_cmp_eq_u32 s0, 15
	s_cbranch_scc0 .LBB9_1466
; %bb.1464:
	global_load_ushort v8, v[4:5], off
	s_mov_b32 s1, 0
	s_mov_b32 s6, -1
	s_waitcnt vmcnt(0)
	v_lshlrev_b32_e32 v8, 16, v8
	v_cvt_f64_f32_e32 v[8:9], v8
	s_branch .LBB9_1468
.LBB9_1465:
	s_mov_b32 s5, -1
	s_branch .LBB9_1467
.LBB9_1466:
	s_mov_b32 s1, -1
.LBB9_1467:
                                        ; implicit-def: $vgpr8_vgpr9
.LBB9_1468:
	s_and_b32 vcc_lo, exec_lo, s5
	s_mov_b32 s5, 0
	s_cbranch_vccz .LBB9_1470
; %bb.1469:
	s_cmp_lg_u32 s0, 11
	s_mov_b32 s5, -1
	s_cselect_b32 s1, -1, 0
.LBB9_1470:
	s_and_b32 vcc_lo, exec_lo, s1
	s_cbranch_vccnz .LBB9_1557
; %bb.1471:
	s_andn2_b32 vcc_lo, exec_lo, s5
	s_cbranch_vccnz .LBB9_1473
.LBB9_1472:
	global_load_ubyte v8, v[4:5], off
	s_mov_b32 s6, -1
	s_waitcnt vmcnt(0)
	v_cmp_ne_u16_e32 vcc_lo, 0, v8
	v_mov_b32_e32 v8, 0
	v_cndmask_b32_e64 v9, 0, 0x3ff00000, vcc_lo
.LBB9_1473:
	s_branch .LBB9_1399
.LBB9_1474:
	s_and_b32 s0, 0xffff, s4
	s_cmp_lt_i32 s0, 5
	s_cbranch_scc1 .LBB9_1479
; %bb.1475:
	s_cmp_lt_i32 s0, 8
	s_cbranch_scc1 .LBB9_1480
; %bb.1476:
	s_cmp_lt_i32 s0, 9
	s_cbranch_scc1 .LBB9_1481
; %bb.1477:
	s_cmp_gt_i32 s0, 9
	s_cbranch_scc0 .LBB9_1482
; %bb.1478:
	global_load_dwordx2 v[8:9], v[4:5], off
	s_mov_b32 s1, 0
	s_branch .LBB9_1483
.LBB9_1479:
                                        ; implicit-def: $vgpr8_vgpr9
	s_branch .LBB9_1501
.LBB9_1480:
	s_mov_b32 s1, -1
                                        ; implicit-def: $vgpr8_vgpr9
	s_branch .LBB9_1489
.LBB9_1481:
	s_mov_b32 s1, -1
                                        ; implicit-def: $vgpr8_vgpr9
	s_branch .LBB9_1486
.LBB9_1482:
	s_mov_b32 s1, -1
                                        ; implicit-def: $vgpr8_vgpr9
.LBB9_1483:
	s_andn2_b32 vcc_lo, exec_lo, s1
	s_cbranch_vccnz .LBB9_1485
; %bb.1484:
	global_load_dword v8, v[4:5], off
	s_waitcnt vmcnt(0)
	v_cvt_f64_f32_e32 v[8:9], v8
.LBB9_1485:
	s_mov_b32 s1, 0
.LBB9_1486:
	s_andn2_b32 vcc_lo, exec_lo, s1
	s_cbranch_vccnz .LBB9_1488
; %bb.1487:
	global_load_dword v8, v[4:5], off
	s_waitcnt vmcnt(0)
	v_cvt_f32_f16_e32 v8, v8
	v_cvt_f64_f32_e32 v[8:9], v8
.LBB9_1488:
	s_mov_b32 s1, 0
.LBB9_1489:
	s_andn2_b32 vcc_lo, exec_lo, s1
	s_cbranch_vccnz .LBB9_1500
; %bb.1490:
	s_cmp_lt_i32 s0, 6
	s_cbranch_scc1 .LBB9_1493
; %bb.1491:
	s_cmp_gt_i32 s0, 6
	s_cbranch_scc0 .LBB9_1494
; %bb.1492:
	global_load_dwordx2 v[8:9], v[4:5], off
	s_mov_b32 s1, 0
	s_branch .LBB9_1495
.LBB9_1493:
	s_mov_b32 s1, -1
                                        ; implicit-def: $vgpr8_vgpr9
	s_branch .LBB9_1498
.LBB9_1494:
	s_mov_b32 s1, -1
                                        ; implicit-def: $vgpr8_vgpr9
.LBB9_1495:
	s_andn2_b32 vcc_lo, exec_lo, s1
	s_cbranch_vccnz .LBB9_1497
; %bb.1496:
	global_load_dword v8, v[4:5], off
	s_waitcnt vmcnt(0)
	v_cvt_f64_f32_e32 v[8:9], v8
.LBB9_1497:
	s_mov_b32 s1, 0
.LBB9_1498:
	s_andn2_b32 vcc_lo, exec_lo, s1
	s_cbranch_vccnz .LBB9_1500
; %bb.1499:
	global_load_ushort v8, v[4:5], off
	s_waitcnt vmcnt(0)
	v_cvt_f32_f16_e32 v8, v8
	v_cvt_f64_f32_e32 v[8:9], v8
.LBB9_1500:
	s_cbranch_execnz .LBB9_1520
.LBB9_1501:
	s_cmp_lt_i32 s0, 2
	s_cbranch_scc1 .LBB9_1505
; %bb.1502:
	s_cmp_lt_i32 s0, 3
	s_cbranch_scc1 .LBB9_1506
; %bb.1503:
	s_cmp_gt_i32 s0, 3
	s_cbranch_scc0 .LBB9_1507
; %bb.1504:
	global_load_dwordx2 v[8:9], v[4:5], off
	s_mov_b32 s1, 0
	s_waitcnt vmcnt(0)
	v_cvt_f64_i32_e32 v[11:12], v9
	v_cvt_f64_u32_e32 v[8:9], v8
	v_ldexp_f64 v[11:12], v[11:12], 32
	v_add_f64 v[8:9], v[11:12], v[8:9]
	s_branch .LBB9_1508
.LBB9_1505:
	s_mov_b32 s1, -1
                                        ; implicit-def: $vgpr8_vgpr9
	s_branch .LBB9_1514
.LBB9_1506:
	s_mov_b32 s1, -1
                                        ; implicit-def: $vgpr8_vgpr9
	s_branch .LBB9_1511
.LBB9_1507:
	s_mov_b32 s1, -1
                                        ; implicit-def: $vgpr8_vgpr9
.LBB9_1508:
	s_andn2_b32 vcc_lo, exec_lo, s1
	s_cbranch_vccnz .LBB9_1510
; %bb.1509:
	global_load_dword v8, v[4:5], off
	s_waitcnt vmcnt(0)
	v_cvt_f64_i32_e32 v[8:9], v8
.LBB9_1510:
	s_mov_b32 s1, 0
.LBB9_1511:
	s_andn2_b32 vcc_lo, exec_lo, s1
	s_cbranch_vccnz .LBB9_1513
; %bb.1512:
	global_load_sshort v8, v[4:5], off
	s_waitcnt vmcnt(0)
	v_cvt_f64_i32_e32 v[8:9], v8
.LBB9_1513:
	s_mov_b32 s1, 0
.LBB9_1514:
	s_andn2_b32 vcc_lo, exec_lo, s1
	s_cbranch_vccnz .LBB9_1520
; %bb.1515:
	s_cmp_gt_i32 s0, 0
	s_mov_b32 s0, 0
	s_cbranch_scc0 .LBB9_1517
; %bb.1516:
	global_load_sbyte v8, v[4:5], off
	s_waitcnt vmcnt(0)
	v_cvt_f64_i32_e32 v[8:9], v8
	s_branch .LBB9_1518
.LBB9_1517:
	s_mov_b32 s0, -1
                                        ; implicit-def: $vgpr8_vgpr9
.LBB9_1518:
	s_andn2_b32 vcc_lo, exec_lo, s0
	s_cbranch_vccnz .LBB9_1520
; %bb.1519:
	global_load_ubyte v4, v[4:5], off
	s_waitcnt vmcnt(0)
	v_cvt_f64_u32_e32 v[8:9], v4
.LBB9_1520:
.LBB9_1521:
                                        ; implicit-def: $vgpr4_vgpr5
	s_mov_b32 s0, exec_lo
	s_waitcnt vmcnt(0)
	v_cmpx_neq_f64_e32 0, v[8:9]
	s_xor_b32 s5, exec_lo, s0
	s_cbranch_execz .LBB9_1543
; %bb.1522:
	v_mov_b32_e32 v11, 0
	v_mov_b32_e32 v12, 0
	s_mov_b32 s1, -1
	s_mov_b32 s6, exec_lo
	v_cmpx_gt_f64_e32 0, v[8:9]
	s_cbranch_execz .LBB9_1530
; %bb.1523:
	v_trunc_f64_e32 v[4:5], v[8:9]
	v_mov_b32_e32 v11, 0
	v_mov_b32_e32 v12, 0
	s_mov_b32 s1, 0
	s_mov_b32 s7, exec_lo
	v_cmpx_neq_f64_e32 v[8:9], v[4:5]
	s_cbranch_execz .LBB9_1529
; %bb.1524:
	v_add_f64 v[4:5], v[8:9], -v[4:5]
	s_mov_b32 s1, 0xc00921fb
	s_mov_b32 s0, 0x54442d18
	v_cmp_neq_f64_e64 vcc_lo, 0x7ff00000, |v[8:9]|
	s_mov_b32 s14, exec_lo
                                        ; implicit-def: $vgpr13
                                        ; implicit-def: $vgpr11_vgpr12
                                        ; implicit-def: $vgpr15_vgpr16
	v_mul_f64 v[4:5], |v[4:5]|, s[0:1]
	v_cndmask_b32_e32 v5, 0x80000000, v5, vcc_lo
	v_cndmask_b32_e32 v4, 0, v4, vcc_lo
	v_cmpx_ngt_f64_e64 0x41d00000, |v[4:5]|
	s_xor_b32 s14, exec_lo, s14
	s_cbranch_execz .LBB9_1526
; %bb.1525:
	v_ldexp_f64 v[11:12], |v[4:5]|, 0xffffff80
	v_cmp_le_f64_e64 vcc_lo, 0x7b000000, |v[4:5]|
	v_trig_preop_f64 v[15:16], |v[4:5]|, 0
	v_and_b32_e32 v13, 0x7fffffff, v5
	v_trig_preop_f64 v[17:18], |v[4:5]|, 1
	v_trig_preop_f64 v[27:28], |v[4:5]|, 2
	v_mov_b32_e32 v35, 0
	s_mov_b32 s1, 0x3ff921fb
	s_mov_b32 s16, 0x33145c07
	s_mov_b32 s17, 0x3c91a626
	v_cndmask_b32_e32 v12, v13, v12, vcc_lo
	v_cndmask_b32_e32 v11, v4, v11, vcc_lo
	v_mul_f64 v[19:20], v[15:16], v[11:12]
	v_mul_f64 v[21:22], v[17:18], v[11:12]
	;; [unrolled: 1-line block ×3, first 2 shown]
	v_fma_f64 v[15:16], v[15:16], v[11:12], -v[19:20]
	v_fma_f64 v[17:18], v[17:18], v[11:12], -v[21:22]
	;; [unrolled: 1-line block ×3, first 2 shown]
	v_add_f64 v[23:24], v[21:22], v[15:16]
	v_add_f64 v[25:26], v[23:24], -v[21:22]
	v_add_f64 v[31:32], v[19:20], v[23:24]
	v_add_f64 v[29:30], v[23:24], -v[25:26]
	v_add_f64 v[15:16], v[15:16], -v[25:26]
	v_ldexp_f64 v[25:26], v[31:32], -2
	v_add_f64 v[19:20], v[31:32], -v[19:20]
	v_add_f64 v[21:22], v[21:22], -v[29:30]
	v_add_f64 v[29:30], v[33:34], v[17:18]
	v_cmp_neq_f64_e64 vcc_lo, 0x7ff00000, |v[25:26]|
	v_add_f64 v[19:20], v[23:24], -v[19:20]
	v_add_f64 v[15:16], v[15:16], v[21:22]
	v_fract_f64_e32 v[21:22], v[25:26]
	v_add_f64 v[23:24], v[29:30], v[15:16]
	v_ldexp_f64 v[21:22], v[21:22], 2
	v_add_f64 v[25:26], v[19:20], v[23:24]
	v_cndmask_b32_e32 v22, 0, v22, vcc_lo
	v_cndmask_b32_e32 v21, 0, v21, vcc_lo
	v_add_f64 v[31:32], v[25:26], v[21:22]
	v_add_f64 v[19:20], v[25:26], -v[19:20]
	v_cmp_gt_f64_e32 vcc_lo, 0, v[31:32]
	v_add_f64 v[31:32], v[29:30], -v[33:34]
	v_add_f64 v[19:20], v[23:24], -v[19:20]
	v_cndmask_b32_e64 v36, 0, 0x40100000, vcc_lo
	v_add_f64 v[40:41], v[29:30], -v[31:32]
	v_add_f64 v[17:18], v[17:18], -v[31:32]
	v_add_f64 v[21:22], v[21:22], v[35:36]
	v_add_f64 v[36:37], v[23:24], -v[29:30]
	v_add_f64 v[31:32], v[33:34], -v[40:41]
	v_add_f64 v[38:39], v[25:26], v[21:22]
	;; [unrolled: 3-line block ×3, first 2 shown]
	v_cvt_i32_f64_e32 v13, v[38:39]
	v_add_f64 v[29:30], v[29:30], -v[42:43]
	v_cvt_f64_i32_e32 v[36:37], v13
	v_add_f64 v[15:16], v[15:16], v[29:30]
	v_add_f64 v[21:22], v[21:22], -v[36:37]
	v_add_f64 v[15:16], v[17:18], v[15:16]
	v_add_f64 v[17:18], v[25:26], v[21:22]
	;; [unrolled: 1-line block ×3, first 2 shown]
	v_add_f64 v[15:16], v[17:18], -v[21:22]
	v_cmp_le_f64_e32 vcc_lo, 0.5, v[17:18]
	v_add_f64 v[11:12], v[19:20], v[11:12]
	v_add_f64 v[15:16], v[25:26], -v[15:16]
	v_cndmask_b32_e64 v36, 0, 0x3ff00000, vcc_lo
	v_add_co_ci_u32_e64 v13, null, 0, v13, vcc_lo
	v_add_f64 v[11:12], v[11:12], v[15:16]
	v_add_f64 v[15:16], v[17:18], -v[35:36]
	v_add_f64 v[17:18], v[15:16], v[11:12]
	v_mul_f64 v[19:20], v[17:18], s[0:1]
	v_add_f64 v[15:16], v[17:18], -v[15:16]
	v_fma_f64 v[21:22], v[17:18], s[0:1], -v[19:20]
	v_add_f64 v[11:12], v[11:12], -v[15:16]
	v_fma_f64 v[15:16], v[17:18], s[16:17], v[21:22]
	v_fma_f64 v[15:16], v[11:12], s[0:1], v[15:16]
	v_add_f64 v[11:12], v[19:20], v[15:16]
	v_add_f64 v[17:18], v[11:12], -v[19:20]
	v_add_f64 v[15:16], v[15:16], -v[17:18]
.LBB9_1526:
	s_andn2_saveexec_b32 s0, s14
	s_cbranch_execz .LBB9_1528
; %bb.1527:
	s_mov_b32 s14, 0x6dc9c883
	s_mov_b32 s15, 0x3fe45f30
	;; [unrolled: 1-line block ×3, first 2 shown]
	v_mul_f64 v[11:12], |v[4:5]|, s[14:15]
	s_mov_b32 s14, 0x54442d18
	s_mov_b32 s15, 0xbff921fb
	;; [unrolled: 1-line block ×3, first 2 shown]
	v_rndne_f64_e32 v[17:18], v[11:12]
	v_fma_f64 v[11:12], v[17:18], s[14:15], |v[4:5]|
	v_mul_f64 v[15:16], v[17:18], s[16:17]
	s_mov_b32 s14, 0x252049c0
	s_mov_b32 s15, 0xb97b839a
	v_cvt_i32_f64_e32 v13, v[17:18]
	v_fma_f64 v[21:22], v[17:18], s[16:17], v[11:12]
	v_add_f64 v[19:20], v[11:12], v[15:16]
	s_mov_b32 s17, 0x3c91a626
	v_add_f64 v[11:12], v[11:12], -v[19:20]
	v_add_f64 v[19:20], v[19:20], -v[21:22]
	v_add_f64 v[11:12], v[11:12], v[15:16]
	v_fma_f64 v[15:16], v[17:18], s[16:17], v[15:16]
	v_add_f64 v[11:12], v[19:20], v[11:12]
	v_add_f64 v[11:12], v[11:12], -v[15:16]
	v_fma_f64 v[15:16], v[17:18], s[14:15], v[11:12]
	v_add_f64 v[11:12], v[21:22], v[15:16]
	v_add_f64 v[19:20], v[11:12], -v[21:22]
	v_add_f64 v[15:16], v[15:16], -v[19:20]
.LBB9_1528:
	s_or_b32 exec_lo, exec_lo, s0
	v_mul_f64 v[17:18], v[11:12], v[11:12]
	v_add_f64 v[19:20], v[15:16], v[15:16]
	s_mov_b32 s14, 0xa9a29f71
	s_mov_b32 s16, 0xc751c08c
	;; [unrolled: 1-line block ×4, first 2 shown]
	v_cmp_class_f64_e64 s0, v[4:5], 0x1f8
	v_and_b32_e32 v13, 1, v13
	v_and_b32_e32 v5, 0x80000000, v5
	v_add_f64 v[8:9], -v[8:9], 1.0
	s_mov_b32 s1, exec_lo
	v_cmp_eq_u32_e32 vcc_lo, 0, v13
	v_fma_f64 v[21:22], v[11:12], v[11:12], -v[17:18]
	v_fma_f64 v[19:20], v[11:12], v[19:20], v[21:22]
	v_add_f64 v[17:18], v[17:18], v[19:20]
	v_fma_f64 v[19:20], v[17:18], s[16:17], s[14:15]
	s_mov_b32 s14, 0x90a8aae0
	s_mov_b32 s15, 0x3f17746f
	v_fma_f64 v[19:20], v[17:18], v[19:20], s[14:15]
	s_mov_b32 s14, 0xa6fbf144
	s_mov_b32 s15, 0xbefbb44d
	;; [unrolled: 3-line block ×13, first 2 shown]
	v_mul_f64 v[17:18], v[17:18], v[19:20]
	v_mul_f64 v[19:20], v[11:12], v[17:18]
	v_add_f64 v[21:22], v[11:12], v[19:20]
	v_fma_f64 v[17:18], v[11:12], v[17:18], -v[19:20]
	v_add_f64 v[11:12], v[21:22], -v[11:12]
	v_add_f64 v[15:16], v[15:16], v[17:18]
	v_add_f64 v[11:12], v[19:20], -v[11:12]
	v_add_f64 v[11:12], v[15:16], v[11:12]
	v_add_f64 v[15:16], v[21:22], v[11:12]
	v_rcp_f64_e32 v[17:18], v[15:16]
	v_fma_f64 v[19:20], -v[15:16], v[17:18], 1.0
	v_fma_f64 v[17:18], v[19:20], v[17:18], v[17:18]
	v_fma_f64 v[19:20], -v[15:16], v[17:18], 1.0
	v_fma_f64 v[17:18], v[19:20], v[17:18], v[17:18]
	v_add_f64 v[19:20], v[15:16], -v[21:22]
	v_mul_f64 v[21:22], v[15:16], v[17:18]
	v_add_f64 v[11:12], v[11:12], -v[19:20]
	v_fma_f64 v[19:20], v[17:18], v[15:16], -v[21:22]
	v_fma_f64 v[11:12], v[17:18], v[11:12], v[19:20]
	v_add_f64 v[19:20], v[21:22], v[11:12]
	v_add_f64 v[23:24], -v[19:20], 1.0
	v_add_f64 v[21:22], v[19:20], -v[21:22]
	v_add_f64 v[25:26], -v[23:24], 1.0
	v_add_f64 v[11:12], v[21:22], -v[11:12]
	v_add_f64 v[19:20], v[25:26], -v[19:20]
	v_add_f64 v[11:12], v[11:12], v[19:20]
	v_add_f64 v[11:12], v[23:24], v[11:12]
	v_mul_f64 v[11:12], v[17:18], v[11:12]
	v_add_f64 v[11:12], v[17:18], v[11:12]
	v_xor_b32_e32 v4, 0x80000000, v12
	v_cndmask_b32_e32 v11, v11, v15, vcc_lo
	v_cndmask_b32_e32 v4, v4, v16, vcc_lo
	v_xor_b32_e32 v5, v4, v5
	v_cndmask_b32_e64 v4, 0, v11, s0
	v_cndmask_b32_e64 v5, 0x7ff80000, v5, s0
	v_div_scale_f64 v[11:12], null, v[4:5], v[4:5], s[14:15]
	v_div_scale_f64 v[19:20], vcc_lo, s[14:15], v[4:5], s[14:15]
	v_rcp_f64_e32 v[15:16], v[11:12]
	v_fma_f64 v[17:18], -v[11:12], v[15:16], 1.0
	v_fma_f64 v[15:16], v[15:16], v[17:18], v[15:16]
	v_fma_f64 v[17:18], -v[11:12], v[15:16], 1.0
	v_fma_f64 v[15:16], v[15:16], v[17:18], v[15:16]
	v_mul_f64 v[17:18], v[19:20], v[15:16]
	v_fma_f64 v[11:12], -v[11:12], v[17:18], v[19:20]
	v_div_fmas_f64 v[11:12], v[11:12], v[15:16], v[17:18]
	v_div_fixup_f64 v[11:12], v[11:12], v[4:5], s[14:15]
.LBB9_1529:
	s_or_b32 exec_lo, exec_lo, s7
	s_orn2_b32 s1, s1, exec_lo
.LBB9_1530:
	s_or_b32 exec_lo, exec_lo, s6
	v_mov_b32_e32 v4, 0
	v_mov_b32_e32 v5, 0x7ff80000
	s_and_saveexec_b32 s0, s1
	s_cbranch_execz .LBB9_1542
; %bb.1531:
	s_mov_b32 s1, exec_lo
	v_cmpx_gt_f64_e32 0x40240000, v[8:9]
	s_cbranch_execz .LBB9_1535
; %bb.1532:
	s_mov_b32 s6, 0
	.p2align	6
.LBB9_1533:                             ; =>This Inner Loop Header: Depth=1
	v_div_scale_f64 v[4:5], null, v[8:9], v[8:9], 1.0
	v_div_scale_f64 v[19:20], vcc_lo, 1.0, v[8:9], 1.0
	v_rcp_f64_e32 v[15:16], v[4:5]
	v_fma_f64 v[17:18], -v[4:5], v[15:16], 1.0
	v_fma_f64 v[15:16], v[15:16], v[17:18], v[15:16]
	v_fma_f64 v[17:18], -v[4:5], v[15:16], 1.0
	v_fma_f64 v[15:16], v[15:16], v[17:18], v[15:16]
	v_mul_f64 v[17:18], v[19:20], v[15:16]
	v_fma_f64 v[4:5], -v[4:5], v[17:18], v[19:20]
	v_div_fmas_f64 v[4:5], v[4:5], v[15:16], v[17:18]
	v_div_fixup_f64 v[4:5], v[4:5], v[8:9], 1.0
	v_add_f64 v[8:9], v[8:9], 1.0
	v_add_f64 v[11:12], v[11:12], -v[4:5]
	v_cmp_ngt_f64_e32 vcc_lo, 0x40240000, v[8:9]
	s_or_b32 s6, vcc_lo, s6
	s_andn2_b32 exec_lo, exec_lo, s6
	s_cbranch_execnz .LBB9_1533
; %bb.1534:
	s_or_b32 exec_lo, exec_lo, s6
.LBB9_1535:
	s_or_b32 exec_lo, exec_lo, s1
	s_mov_b32 s1, exec_lo
                                        ; implicit-def: $vgpr4_vgpr5
	v_cmpx_neq_f64_e32 0x40240000, v[8:9]
	s_xor_b32 s1, exec_lo, s1
	s_cbranch_execz .LBB9_1539
; %bb.1536:
	s_mov_b32 s6, 0x85d8a000
	s_mov_b32 s7, 0x43763457
	v_mov_b32_e32 v4, 0
	v_cmp_gt_f64_e32 vcc_lo, s[6:7], v[8:9]
	v_mov_b32_e32 v5, 0
	s_and_saveexec_b32 s6, vcc_lo
	s_cbranch_execz .LBB9_1538
; %bb.1537:
	v_mul_f64 v[4:5], v[8:9], v[8:9]
	s_mov_b32 s14, 0x55555555
	s_mov_b32 s15, 0x3fb55555
	;; [unrolled: 1-line block ×6, first 2 shown]
	v_div_scale_f64 v[15:16], null, v[4:5], v[4:5], 1.0
	v_rcp_f64_e32 v[17:18], v[15:16]
	v_fma_f64 v[19:20], -v[15:16], v[17:18], 1.0
	v_fma_f64 v[17:18], v[17:18], v[19:20], v[17:18]
	v_fma_f64 v[19:20], -v[15:16], v[17:18], 1.0
	v_fma_f64 v[17:18], v[17:18], v[19:20], v[17:18]
	v_div_scale_f64 v[19:20], vcc_lo, 1.0, v[4:5], 1.0
	v_mul_f64 v[21:22], v[19:20], v[17:18]
	v_fma_f64 v[15:16], -v[15:16], v[21:22], v[19:20]
	v_div_fmas_f64 v[15:16], v[15:16], v[17:18], v[21:22]
	v_div_fixup_f64 v[4:5], v[15:16], v[4:5], 1.0
	v_fma_f64 v[15:16], v[4:5], 0, s[14:15]
	v_fma_f64 v[15:16], v[4:5], v[15:16], s[16:17]
	s_mov_b32 s16, 0xf07c1f08
	s_mov_b32 s17, 0x3f7f07c1
	v_fma_f64 v[15:16], v[4:5], v[15:16], s[16:17]
	s_mov_b32 s17, 0xbf711111
	s_mov_b32 s16, 0x11111111
	v_fma_f64 v[15:16], v[4:5], v[15:16], s[16:17]
	s_mov_b32 s17, 0xbf811111
	v_fma_f64 v[15:16], v[4:5], v[15:16], s[18:19]
	v_fma_f64 v[15:16], v[4:5], v[15:16], s[16:17]
	;; [unrolled: 1-line block ×3, first 2 shown]
	v_mul_f64 v[4:5], v[4:5], v[15:16]
.LBB9_1538:
	s_or_b32 exec_lo, exec_lo, s6
	v_frexp_mant_f64_e32 v[15:16], v[8:9]
	s_mov_b32 s7, 0x3fe55555
	s_mov_b32 s6, 0x55555555
	;; [unrolled: 1-line block ×6, first 2 shown]
	v_div_scale_f64 v[31:32], null, v[8:9], v[8:9], -0.5
	v_cmp_gt_f64_e32 vcc_lo, s[6:7], v[15:16]
	s_mov_b32 s6, 0x55555780
	v_rcp_f64_e32 v[35:36], v[31:32]
	v_cndmask_b32_e64 v13, 0, 1, vcc_lo
	v_ldexp_f64 v[15:16], v[15:16], v13
	v_frexp_exp_i32_f64_e32 v13, v[8:9]
	v_add_f64 v[17:18], v[15:16], 1.0
	v_add_f64 v[23:24], v[15:16], -1.0
	v_subrev_co_ci_u32_e64 v13, null, 0, v13, vcc_lo
	v_rcp_f64_e32 v[19:20], v[17:18]
	v_add_f64 v[25:26], v[17:18], -1.0
	v_add_f64 v[15:16], v[15:16], -v[25:26]
	v_fma_f64 v[21:22], -v[17:18], v[19:20], 1.0
	v_fma_f64 v[19:20], v[21:22], v[19:20], v[19:20]
	v_fma_f64 v[21:22], -v[17:18], v[19:20], 1.0
	v_fma_f64 v[19:20], v[21:22], v[19:20], v[19:20]
	v_mul_f64 v[21:22], v[23:24], v[19:20]
	v_mul_f64 v[27:28], v[17:18], v[21:22]
	v_fma_f64 v[17:18], v[21:22], v[17:18], -v[27:28]
	v_fma_f64 v[15:16], v[21:22], v[15:16], v[17:18]
	v_add_f64 v[17:18], v[27:28], v[15:16]
	v_add_f64 v[25:26], v[23:24], -v[17:18]
	v_add_f64 v[27:28], v[17:18], -v[27:28]
	;; [unrolled: 1-line block ×5, first 2 shown]
	v_add_f64 v[15:16], v[15:16], v[17:18]
	v_add_f64 v[15:16], v[25:26], v[15:16]
	v_mul_f64 v[15:16], v[19:20], v[15:16]
	v_add_f64 v[17:18], v[21:22], v[15:16]
	v_mul_f64 v[19:20], v[17:18], v[17:18]
	v_fma_f64 v[23:24], v[19:20], s[16:17], s[14:15]
	s_mov_b32 s14, 0xd7f4df2e
	s_mov_b32 s15, 0x3fc7474d
	v_mul_f64 v[25:26], v[17:18], v[19:20]
	v_fma_f64 v[23:24], v[19:20], v[23:24], s[14:15]
	s_mov_b32 s14, 0x16291751
	s_mov_b32 s15, 0x3fcc71c0
	v_fma_f64 v[23:24], v[19:20], v[23:24], s[14:15]
	s_mov_b32 s14, 0x9b27acf1
	s_mov_b32 s15, 0x3fd24924
	;; [unrolled: 3-line block ×3, first 2 shown]
	v_fma_f64 v[23:24], v[19:20], v[23:24], s[14:15]
	v_fma_f64 v[19:20], v[19:20], v[23:24], s[6:7]
	v_ldexp_f64 v[23:24], v[17:18], 1
	v_add_f64 v[17:18], v[17:18], -v[21:22]
	s_mov_b32 s6, 0xfefa39ef
	s_mov_b32 s7, 0x3fe62e42
	v_mul_f64 v[19:20], v[25:26], v[19:20]
	v_cvt_f64_i32_e32 v[25:26], v13
	v_add_f64 v[15:16], v[15:16], -v[17:18]
	v_add_f64 v[21:22], v[23:24], v[19:20]
	v_mul_f64 v[27:28], v[25:26], s[6:7]
	v_ldexp_f64 v[15:16], v[15:16], 1
	v_add_f64 v[17:18], v[21:22], -v[23:24]
	v_fma_f64 v[23:24], v[25:26], s[6:7], -v[27:28]
	s_mov_b32 s6, 0x3b39803f
	s_mov_b32 s7, 0x3c7abc9e
	v_add_f64 v[17:18], v[19:20], -v[17:18]
	v_fma_f64 v[19:20], v[25:26], s[6:7], v[23:24]
	v_add_f64 v[15:16], v[15:16], v[17:18]
	v_add_f64 v[17:18], v[27:28], v[19:20]
	;; [unrolled: 1-line block ×3, first 2 shown]
	v_add_f64 v[27:28], v[17:18], -v[27:28]
	v_add_f64 v[25:26], v[17:18], v[23:24]
	v_add_f64 v[21:22], v[23:24], -v[21:22]
	v_add_f64 v[19:20], v[19:20], -v[27:28]
	v_add_f64 v[29:30], v[25:26], -v[17:18]
	v_add_f64 v[15:16], v[15:16], -v[21:22]
	v_add_f64 v[33:34], v[25:26], -v[29:30]
	v_add_f64 v[21:22], v[23:24], -v[29:30]
	v_fma_f64 v[23:24], -v[31:32], v[35:36], 1.0
	v_add_f64 v[27:28], v[19:20], v[15:16]
	v_add_f64 v[17:18], v[17:18], -v[33:34]
	v_add_f64 v[17:18], v[21:22], v[17:18]
	v_fma_f64 v[21:22], v[35:36], v[23:24], v[35:36]
	v_add_f64 v[23:24], v[27:28], -v[19:20]
	v_div_scale_f64 v[35:36], vcc_lo, -0.5, v[8:9], -0.5
	v_add_f64 v[17:18], v[27:28], v[17:18]
	v_fma_f64 v[29:30], -v[31:32], v[21:22], 1.0
	v_add_f64 v[27:28], v[27:28], -v[23:24]
	v_add_f64 v[15:16], v[15:16], -v[23:24]
	v_add_f64 v[33:34], v[25:26], v[17:18]
	v_fma_f64 v[21:22], v[21:22], v[29:30], v[21:22]
	v_add_f64 v[19:20], v[19:20], -v[27:28]
	v_add_f64 v[23:24], v[33:34], -v[25:26]
	v_mul_f64 v[25:26], v[35:36], v[21:22]
	v_add_f64 v[15:16], v[15:16], v[19:20]
	v_add_f64 v[17:18], v[17:18], -v[23:24]
	v_fma_f64 v[19:20], -v[31:32], v[25:26], v[35:36]
	v_add_f64 v[15:16], v[15:16], v[17:18]
	v_div_fmas_f64 v[17:18], v[19:20], v[21:22], v[25:26]
	v_cmp_class_f64_e64 vcc_lo, v[8:9], 0x204
	v_add_f64 v[15:16], v[33:34], v[15:16]
	v_div_fixup_f64 v[17:18], v[17:18], v[8:9], -0.5
	v_cndmask_b32_e32 v9, v16, v9, vcc_lo
	v_cndmask_b32_e32 v8, v15, v8, vcc_lo
	v_add_f64 v[8:9], v[8:9], v[17:18]
	v_add_f64 v[4:5], v[8:9], -v[4:5]
	v_add_f64 v[4:5], v[11:12], v[4:5]
                                        ; implicit-def: $vgpr11_vgpr12
.LBB9_1539:
	s_andn2_saveexec_b32 s1, s1
; %bb.1540:
	s_mov_b32 s6, 0xdc85cc95
	s_mov_b32 s7, 0x40020396
	v_add_f64 v[4:5], v[11:12], s[6:7]
; %bb.1541:
	s_or_b32 exec_lo, exec_lo, s1
.LBB9_1542:
	s_or_b32 exec_lo, exec_lo, s0
                                        ; implicit-def: $vgpr8_vgpr9
.LBB9_1543:
	s_andn2_saveexec_b32 s0, s5
; %bb.1544:
	v_xor_b32_e32 v4, 0x80000000, v9
	s_mov_b32 s1, 0x7ff00000
	v_bfi_b32 v5, 0x7fffffff, s1, v4
	v_mov_b32_e32 v4, 0
; %bb.1545:
	s_or_b32 exec_lo, exec_lo, s0
	v_add_co_u32 v7, s0, s10, v7
	v_add_co_ci_u32_e64 v8, null, s11, 0, s0
	s_cmp_lt_i32 s4, 11
	s_cbranch_scc1 .LBB9_1552
; %bb.1546:
	s_and_b32 s0, 0xffff, s4
	s_mov_b32 s5, 0
	s_cmp_gt_i32 s0, 25
	s_cbranch_scc0 .LBB9_1554
; %bb.1547:
	s_cmp_gt_i32 s0, 28
	s_cbranch_scc0 .LBB9_1555
; %bb.1548:
	;; [unrolled: 3-line block ×4, first 2 shown]
	s_cmp_eq_u32 s0, 46
	s_mov_b32 s7, 0
	s_cbranch_scc0 .LBB9_1559
; %bb.1551:
	global_load_dword v9, v[7:8], off
	s_mov_b32 s1, 0
	s_mov_b32 s6, -1
	s_waitcnt vmcnt(0)
	v_lshlrev_b32_e32 v9, 16, v9
	v_cvt_f64_f32_e32 v[11:12], v9
	s_branch .LBB9_1561
.LBB9_1552:
	s_mov_b32 s6, 0
                                        ; implicit-def: $vgpr11_vgpr12
	s_cbranch_execnz .LBB9_1627
.LBB9_1553:
	s_andn2_b32 vcc_lo, exec_lo, s6
	s_cbranch_vccnz .LBB9_1932
	s_branch .LBB9_1675
.LBB9_1554:
	s_mov_b32 s7, -1
	s_mov_b32 s6, 0
	s_mov_b32 s1, 0
                                        ; implicit-def: $vgpr11_vgpr12
	s_branch .LBB9_1592
.LBB9_1555:
	s_mov_b32 s7, -1
	s_mov_b32 s6, 0
	s_mov_b32 s1, 0
                                        ; implicit-def: $vgpr11_vgpr12
	s_branch .LBB9_1571
.LBB9_1556:
	s_mov_b32 s7, -1
	s_mov_b32 s6, 0
	s_mov_b32 s1, 0
                                        ; implicit-def: $vgpr11_vgpr12
	s_branch .LBB9_1566
.LBB9_1557:
	s_or_b32 s2, s2, exec_lo
	s_trap 2
	s_cbranch_execz .LBB9_1472
	s_branch .LBB9_1473
.LBB9_1558:
	s_mov_b32 s7, -1
	s_mov_b32 s6, 0
	s_mov_b32 s1, 0
	s_branch .LBB9_1560
.LBB9_1559:
	s_mov_b32 s1, -1
	s_mov_b32 s6, 0
.LBB9_1560:
                                        ; implicit-def: $vgpr11_vgpr12
.LBB9_1561:
	s_and_b32 vcc_lo, exec_lo, s7
	s_cbranch_vccz .LBB9_1565
; %bb.1562:
	s_cmp_eq_u32 s0, 44
	s_cbranch_scc0 .LBB9_1564
; %bb.1563:
	global_load_ubyte v9, v[7:8], off
	s_mov_b32 s1, 0
	s_mov_b32 s6, -1
	s_waitcnt vmcnt(0)
	v_lshlrev_b32_e32 v11, 23, v9
	v_cmp_ne_u32_e32 vcc_lo, 0xff, v9
	v_cvt_f64_f32_e32 v[11:12], v11
	v_cndmask_b32_e32 v11, 0x20000000, v11, vcc_lo
	v_cndmask_b32_e32 v12, 0x7ff80000, v12, vcc_lo
	v_cmp_ne_u32_e32 vcc_lo, 0, v9
	v_cndmask_b32_e32 v12, 0x38000000, v12, vcc_lo
	v_cndmask_b32_e32 v11, 0, v11, vcc_lo
	s_branch .LBB9_1565
.LBB9_1564:
	s_mov_b32 s1, -1
                                        ; implicit-def: $vgpr11_vgpr12
.LBB9_1565:
	s_mov_b32 s7, 0
.LBB9_1566:
	s_and_b32 vcc_lo, exec_lo, s7
	s_cbranch_vccz .LBB9_1570
; %bb.1567:
	s_cmp_eq_u32 s0, 29
	s_cbranch_scc0 .LBB9_1569
; %bb.1568:
	global_load_dwordx2 v[11:12], v[7:8], off
	s_mov_b32 s1, 0
	s_mov_b32 s6, -1
	s_mov_b32 s7, 0
	s_waitcnt vmcnt(0)
	v_cvt_f64_u32_e32 v[12:13], v12
	v_cvt_f64_u32_e32 v[15:16], v11
	v_ldexp_f64 v[12:13], v[12:13], 32
	v_add_f64 v[11:12], v[12:13], v[15:16]
	s_branch .LBB9_1571
.LBB9_1569:
	s_mov_b32 s1, -1
                                        ; implicit-def: $vgpr11_vgpr12
.LBB9_1570:
	s_mov_b32 s7, 0
.LBB9_1571:
	s_and_b32 vcc_lo, exec_lo, s7
	s_cbranch_vccz .LBB9_1591
; %bb.1572:
	s_cmp_lt_i32 s0, 27
	s_cbranch_scc1 .LBB9_1575
; %bb.1573:
	s_cmp_gt_i32 s0, 27
	s_cbranch_scc0 .LBB9_1576
; %bb.1574:
	global_load_dword v9, v[7:8], off
	s_mov_b32 s6, 0
	s_waitcnt vmcnt(0)
	v_cvt_f64_u32_e32 v[11:12], v9
	s_branch .LBB9_1577
.LBB9_1575:
	s_mov_b32 s6, -1
                                        ; implicit-def: $vgpr11_vgpr12
	s_branch .LBB9_1580
.LBB9_1576:
	s_mov_b32 s6, -1
                                        ; implicit-def: $vgpr11_vgpr12
.LBB9_1577:
	s_andn2_b32 vcc_lo, exec_lo, s6
	s_cbranch_vccnz .LBB9_1579
; %bb.1578:
	global_load_ushort v9, v[7:8], off
	s_waitcnt vmcnt(0)
	v_cvt_f64_u32_e32 v[11:12], v9
.LBB9_1579:
	s_mov_b32 s6, 0
.LBB9_1580:
	s_andn2_b32 vcc_lo, exec_lo, s6
	s_cbranch_vccnz .LBB9_1590
; %bb.1581:
	global_load_ubyte v9, v[7:8], off
	s_mov_b32 s6, 0
	s_mov_b32 s7, exec_lo
	s_waitcnt vmcnt(0)
	v_cmpx_lt_i16_e32 0x7f, v9
	s_xor_b32 s7, exec_lo, s7
	s_cbranch_execz .LBB9_1585
; %bb.1582:
	s_mov_b32 s6, -1
	s_mov_b32 s14, exec_lo
	v_cmpx_eq_u16_e32 0x80, v9
; %bb.1583:
	s_xor_b32 s6, exec_lo, -1
; %bb.1584:
	s_or_b32 exec_lo, exec_lo, s14
	s_and_b32 s6, s6, exec_lo
.LBB9_1585:
	s_or_saveexec_b32 s7, s7
	v_bfrev_b32_e32 v11, 4
	v_mov_b32_e32 v12, 0x7ff80000
	s_xor_b32 exec_lo, exec_lo, s7
; %bb.1586:
	v_cmp_ne_u16_e32 vcc_lo, 0, v9
	v_mov_b32_e32 v11, 0
	v_mov_b32_e32 v12, 0
	s_andn2_b32 s6, s6, exec_lo
	s_and_b32 s14, vcc_lo, exec_lo
	s_or_b32 s6, s6, s14
; %bb.1587:
	s_or_b32 exec_lo, exec_lo, s7
	s_and_saveexec_b32 s7, s6
	s_cbranch_execz .LBB9_1589
; %bb.1588:
	v_and_b32_e32 v11, 0xffff, v9
	v_lshlrev_b32_e32 v9, 24, v9
	v_and_b32_e32 v12, 7, v11
	v_bfe_u32 v16, v11, 3, 4
	v_and_b32_e32 v9, 0x80000000, v9
	v_ffbh_u32_e32 v13, v12
	v_cmp_eq_u32_e32 vcc_lo, 0, v16
	v_min_u32_e32 v13, 32, v13
	v_subrev_nc_u32_e32 v15, 28, v13
	v_sub_nc_u32_e32 v13, 29, v13
	v_lshlrev_b32_e32 v11, v15, v11
	v_cndmask_b32_e32 v13, v16, v13, vcc_lo
	v_and_b32_e32 v11, 7, v11
	v_cndmask_b32_e32 v11, v12, v11, vcc_lo
	v_lshl_add_u32 v12, v13, 23, 0x3b800000
	v_lshlrev_b32_e32 v11, 20, v11
	v_or3_b32 v9, v9, v12, v11
	v_cvt_f64_f32_e32 v[11:12], v9
.LBB9_1589:
	s_or_b32 exec_lo, exec_lo, s7
.LBB9_1590:
	s_mov_b32 s6, -1
.LBB9_1591:
	s_mov_b32 s7, 0
.LBB9_1592:
	s_and_b32 vcc_lo, exec_lo, s7
	s_cbranch_vccz .LBB9_1623
; %bb.1593:
	s_cmp_gt_i32 s0, 22
	s_cbranch_scc0 .LBB9_1605
; %bb.1594:
	s_cmp_lt_i32 s0, 24
	s_cbranch_scc1 .LBB9_1606
; %bb.1595:
	s_cmp_gt_i32 s0, 24
	s_cbranch_scc0 .LBB9_1607
; %bb.1596:
	global_load_ubyte v9, v[7:8], off
	s_mov_b32 s6, exec_lo
	s_waitcnt vmcnt(0)
	v_cmpx_lt_i16_e32 0x7f, v9
	s_xor_b32 s6, exec_lo, s6
	s_cbranch_execz .LBB9_1600
; %bb.1597:
	s_mov_b32 s5, -1
	s_mov_b32 s7, exec_lo
	v_cmpx_eq_u16_e32 0x80, v9
; %bb.1598:
	s_xor_b32 s5, exec_lo, -1
; %bb.1599:
	s_or_b32 exec_lo, exec_lo, s7
	s_and_b32 s5, s5, exec_lo
.LBB9_1600:
	s_or_saveexec_b32 s6, s6
	v_bfrev_b32_e32 v11, 4
	v_mov_b32_e32 v12, 0x7ff80000
	s_xor_b32 exec_lo, exec_lo, s6
; %bb.1601:
	v_cmp_ne_u16_e32 vcc_lo, 0, v9
	v_mov_b32_e32 v11, 0
	v_mov_b32_e32 v12, 0
	s_andn2_b32 s5, s5, exec_lo
	s_and_b32 s7, vcc_lo, exec_lo
	s_or_b32 s5, s5, s7
; %bb.1602:
	s_or_b32 exec_lo, exec_lo, s6
	s_and_saveexec_b32 s6, s5
	s_cbranch_execz .LBB9_1604
; %bb.1603:
	v_and_b32_e32 v11, 0xffff, v9
	v_lshlrev_b32_e32 v9, 24, v9
	v_and_b32_e32 v12, 3, v11
	v_bfe_u32 v16, v11, 2, 5
	v_and_b32_e32 v9, 0x80000000, v9
	v_ffbh_u32_e32 v13, v12
	v_cmp_eq_u32_e32 vcc_lo, 0, v16
	v_min_u32_e32 v13, 32, v13
	v_subrev_nc_u32_e32 v15, 29, v13
	v_sub_nc_u32_e32 v13, 30, v13
	v_lshlrev_b32_e32 v11, v15, v11
	v_cndmask_b32_e32 v13, v16, v13, vcc_lo
	v_and_b32_e32 v11, 3, v11
	v_cndmask_b32_e32 v11, v12, v11, vcc_lo
	v_lshl_add_u32 v12, v13, 23, 0x37800000
	v_lshlrev_b32_e32 v11, 21, v11
	v_or3_b32 v9, v9, v12, v11
	v_cvt_f64_f32_e32 v[11:12], v9
.LBB9_1604:
	s_or_b32 exec_lo, exec_lo, s6
	s_mov_b32 s5, 0
	s_branch .LBB9_1608
.LBB9_1605:
	s_mov_b32 s5, -1
                                        ; implicit-def: $vgpr11_vgpr12
	s_branch .LBB9_1614
.LBB9_1606:
	s_mov_b32 s5, -1
                                        ; implicit-def: $vgpr11_vgpr12
	s_branch .LBB9_1611
.LBB9_1607:
	s_mov_b32 s5, -1
                                        ; implicit-def: $vgpr11_vgpr12
.LBB9_1608:
	s_and_b32 vcc_lo, exec_lo, s5
	s_cbranch_vccz .LBB9_1610
; %bb.1609:
	global_load_ubyte v9, v[7:8], off
	s_waitcnt vmcnt(0)
	v_lshlrev_b32_e32 v9, 24, v9
	v_and_b32_e32 v11, 0x7f000000, v9
	v_ffbh_u32_e32 v12, v11
	v_add_nc_u32_e32 v15, 0x1000000, v11
	v_cmp_ne_u32_e32 vcc_lo, 0, v11
	v_min_u32_e32 v12, 32, v12
	v_sub_nc_u32_e64 v12, v12, 4 clamp
	v_lshlrev_b32_e32 v13, v12, v11
	v_lshlrev_b32_e32 v12, 23, v12
	v_lshrrev_b32_e32 v13, 4, v13
	v_sub_nc_u32_e32 v12, v13, v12
	v_ashrrev_i32_e32 v13, 8, v15
	v_add_nc_u32_e32 v12, 0x3c000000, v12
	v_and_or_b32 v12, 0x7f800000, v13, v12
	v_cndmask_b32_e32 v11, 0, v12, vcc_lo
	v_and_or_b32 v9, 0x80000000, v9, v11
	v_cvt_f64_f32_e32 v[11:12], v9
.LBB9_1610:
	s_mov_b32 s5, 0
.LBB9_1611:
	s_andn2_b32 vcc_lo, exec_lo, s5
	s_cbranch_vccnz .LBB9_1613
; %bb.1612:
	global_load_ubyte v9, v[7:8], off
	s_waitcnt vmcnt(0)
	v_lshlrev_b32_e32 v11, 25, v9
	v_lshlrev_b16 v9, 8, v9
	v_lshrrev_b32_e32 v12, 4, v11
	v_and_or_b32 v13, 0x7f00, v9, 0.5
	v_cmp_gt_u32_e32 vcc_lo, 0x8000000, v11
	v_bfe_i32 v9, v9, 0, 16
	v_or_b32_e32 v12, 0x70000000, v12
	v_add_f32_e32 v13, -0.5, v13
	v_mul_f32_e32 v12, 0x7800000, v12
	v_cndmask_b32_e32 v11, v12, v13, vcc_lo
	v_and_or_b32 v9, 0x80000000, v9, v11
	v_cvt_f64_f32_e32 v[11:12], v9
.LBB9_1613:
	s_mov_b32 s5, 0
	s_mov_b32 s6, -1
.LBB9_1614:
	s_andn2_b32 vcc_lo, exec_lo, s5
	s_mov_b32 s5, 0
	s_cbranch_vccnz .LBB9_1623
; %bb.1615:
	s_cmp_gt_i32 s0, 14
	s_cbranch_scc0 .LBB9_1618
; %bb.1616:
	s_cmp_eq_u32 s0, 15
	s_cbranch_scc0 .LBB9_1619
; %bb.1617:
	global_load_ushort v9, v[7:8], off
	s_mov_b32 s1, 0
	s_mov_b32 s6, -1
	s_waitcnt vmcnt(0)
	v_lshlrev_b32_e32 v9, 16, v9
	v_cvt_f64_f32_e32 v[11:12], v9
	s_branch .LBB9_1621
.LBB9_1618:
	s_mov_b32 s5, -1
	s_branch .LBB9_1620
.LBB9_1619:
	s_mov_b32 s1, -1
.LBB9_1620:
                                        ; implicit-def: $vgpr11_vgpr12
.LBB9_1621:
	s_and_b32 vcc_lo, exec_lo, s5
	s_mov_b32 s5, 0
	s_cbranch_vccz .LBB9_1623
; %bb.1622:
	s_cmp_lg_u32 s0, 11
	s_mov_b32 s5, -1
	s_cselect_b32 s1, -1, 0
.LBB9_1623:
	s_and_b32 vcc_lo, exec_lo, s1
	s_cbranch_vccnz .LBB9_1710
; %bb.1624:
	s_andn2_b32 vcc_lo, exec_lo, s5
	s_cbranch_vccnz .LBB9_1626
.LBB9_1625:
	global_load_ubyte v9, v[7:8], off
	v_mov_b32_e32 v11, 0
	s_mov_b32 s6, -1
	s_waitcnt vmcnt(0)
	v_cmp_ne_u16_e32 vcc_lo, 0, v9
	v_cndmask_b32_e64 v12, 0, 0x3ff00000, vcc_lo
.LBB9_1626:
	s_branch .LBB9_1553
.LBB9_1627:
	s_and_b32 s0, 0xffff, s4
	s_cmp_lt_i32 s0, 5
	s_cbranch_scc1 .LBB9_1632
; %bb.1628:
	s_cmp_lt_i32 s0, 8
	s_cbranch_scc1 .LBB9_1633
; %bb.1629:
	;; [unrolled: 3-line block ×3, first 2 shown]
	s_cmp_gt_i32 s0, 9
	s_cbranch_scc0 .LBB9_1635
; %bb.1631:
	global_load_dwordx2 v[11:12], v[7:8], off
	s_mov_b32 s1, 0
	s_branch .LBB9_1636
.LBB9_1632:
	s_mov_b32 s1, -1
                                        ; implicit-def: $vgpr11_vgpr12
	s_branch .LBB9_1654
.LBB9_1633:
	s_mov_b32 s1, -1
                                        ; implicit-def: $vgpr11_vgpr12
	s_branch .LBB9_1642
.LBB9_1634:
	s_mov_b32 s1, -1
                                        ; implicit-def: $vgpr11_vgpr12
	s_branch .LBB9_1639
.LBB9_1635:
	s_mov_b32 s1, -1
                                        ; implicit-def: $vgpr11_vgpr12
.LBB9_1636:
	s_andn2_b32 vcc_lo, exec_lo, s1
	s_cbranch_vccnz .LBB9_1638
; %bb.1637:
	global_load_dword v9, v[7:8], off
	s_waitcnt vmcnt(0)
	v_cvt_f64_f32_e32 v[11:12], v9
.LBB9_1638:
	s_mov_b32 s1, 0
.LBB9_1639:
	s_andn2_b32 vcc_lo, exec_lo, s1
	s_cbranch_vccnz .LBB9_1641
; %bb.1640:
	global_load_dword v9, v[7:8], off
	s_waitcnt vmcnt(0)
	v_cvt_f32_f16_e32 v9, v9
	v_cvt_f64_f32_e32 v[11:12], v9
.LBB9_1641:
	s_mov_b32 s1, 0
.LBB9_1642:
	s_andn2_b32 vcc_lo, exec_lo, s1
	s_cbranch_vccnz .LBB9_1653
; %bb.1643:
	s_cmp_lt_i32 s0, 6
	s_cbranch_scc1 .LBB9_1646
; %bb.1644:
	s_cmp_gt_i32 s0, 6
	s_cbranch_scc0 .LBB9_1647
; %bb.1645:
	global_load_dwordx2 v[11:12], v[7:8], off
	s_mov_b32 s1, 0
	s_branch .LBB9_1648
.LBB9_1646:
	s_mov_b32 s1, -1
                                        ; implicit-def: $vgpr11_vgpr12
	s_branch .LBB9_1651
.LBB9_1647:
	s_mov_b32 s1, -1
                                        ; implicit-def: $vgpr11_vgpr12
.LBB9_1648:
	s_andn2_b32 vcc_lo, exec_lo, s1
	s_cbranch_vccnz .LBB9_1650
; %bb.1649:
	global_load_dword v9, v[7:8], off
	s_waitcnt vmcnt(0)
	v_cvt_f64_f32_e32 v[11:12], v9
.LBB9_1650:
	s_mov_b32 s1, 0
.LBB9_1651:
	s_andn2_b32 vcc_lo, exec_lo, s1
	s_cbranch_vccnz .LBB9_1653
; %bb.1652:
	global_load_ushort v9, v[7:8], off
	s_waitcnt vmcnt(0)
	v_cvt_f32_f16_e32 v9, v9
	v_cvt_f64_f32_e32 v[11:12], v9
.LBB9_1653:
	s_mov_b32 s1, 0
.LBB9_1654:
	s_andn2_b32 vcc_lo, exec_lo, s1
	s_cbranch_vccnz .LBB9_1674
; %bb.1655:
	s_cmp_lt_i32 s0, 2
	s_cbranch_scc1 .LBB9_1659
; %bb.1656:
	s_cmp_lt_i32 s0, 3
	s_cbranch_scc1 .LBB9_1660
; %bb.1657:
	s_cmp_gt_i32 s0, 3
	s_cbranch_scc0 .LBB9_1661
; %bb.1658:
	global_load_dwordx2 v[11:12], v[7:8], off
	s_mov_b32 s1, 0
	s_waitcnt vmcnt(0)
	v_cvt_f64_i32_e32 v[12:13], v12
	v_cvt_f64_u32_e32 v[15:16], v11
	v_ldexp_f64 v[12:13], v[12:13], 32
	v_add_f64 v[11:12], v[12:13], v[15:16]
	s_branch .LBB9_1662
.LBB9_1659:
	s_mov_b32 s1, -1
                                        ; implicit-def: $vgpr11_vgpr12
	s_branch .LBB9_1668
.LBB9_1660:
	s_mov_b32 s1, -1
                                        ; implicit-def: $vgpr11_vgpr12
	s_branch .LBB9_1665
.LBB9_1661:
	s_mov_b32 s1, -1
                                        ; implicit-def: $vgpr11_vgpr12
.LBB9_1662:
	s_andn2_b32 vcc_lo, exec_lo, s1
	s_cbranch_vccnz .LBB9_1664
; %bb.1663:
	global_load_dword v9, v[7:8], off
	s_waitcnt vmcnt(0)
	v_cvt_f64_i32_e32 v[11:12], v9
.LBB9_1664:
	s_mov_b32 s1, 0
.LBB9_1665:
	s_andn2_b32 vcc_lo, exec_lo, s1
	s_cbranch_vccnz .LBB9_1667
; %bb.1666:
	global_load_sshort v9, v[7:8], off
	s_waitcnt vmcnt(0)
	v_cvt_f64_i32_e32 v[11:12], v9
.LBB9_1667:
	s_mov_b32 s1, 0
.LBB9_1668:
	s_andn2_b32 vcc_lo, exec_lo, s1
	s_cbranch_vccnz .LBB9_1674
; %bb.1669:
	s_cmp_gt_i32 s0, 0
	s_mov_b32 s0, 0
	s_cbranch_scc0 .LBB9_1671
; %bb.1670:
	global_load_sbyte v9, v[7:8], off
	s_waitcnt vmcnt(0)
	v_cvt_f64_i32_e32 v[11:12], v9
	s_branch .LBB9_1672
.LBB9_1671:
	s_mov_b32 s0, -1
                                        ; implicit-def: $vgpr11_vgpr12
.LBB9_1672:
	s_andn2_b32 vcc_lo, exec_lo, s0
	s_cbranch_vccnz .LBB9_1674
; %bb.1673:
	global_load_ubyte v7, v[7:8], off
	s_waitcnt vmcnt(0)
	v_cvt_f64_u32_e32 v[11:12], v7
.LBB9_1674:
.LBB9_1675:
                                        ; implicit-def: $vgpr8_vgpr9
	s_mov_b32 s0, exec_lo
	s_waitcnt vmcnt(0)
	v_cmpx_neq_f64_e32 0, v[11:12]
	s_xor_b32 s5, exec_lo, s0
	s_cbranch_execz .LBB9_1697
; %bb.1676:
	v_mov_b32_e32 v15, 0
	v_mov_b32_e32 v16, 0
	s_mov_b32 s1, -1
	s_mov_b32 s6, exec_lo
	v_cmpx_gt_f64_e32 0, v[11:12]
	s_cbranch_execz .LBB9_1684
; %bb.1677:
	v_trunc_f64_e32 v[7:8], v[11:12]
	v_mov_b32_e32 v15, 0
	v_mov_b32_e32 v16, 0
	s_mov_b32 s1, 0
	s_mov_b32 s7, exec_lo
	v_cmpx_neq_f64_e32 v[11:12], v[7:8]
	s_cbranch_execz .LBB9_1683
; %bb.1678:
	v_add_f64 v[7:8], v[11:12], -v[7:8]
	s_mov_b32 s1, 0xc00921fb
	s_mov_b32 s0, 0x54442d18
	v_cmp_neq_f64_e64 vcc_lo, 0x7ff00000, |v[11:12]|
	s_mov_b32 s14, exec_lo
                                        ; implicit-def: $vgpr9
                                        ; implicit-def: $vgpr15_vgpr16
                                        ; implicit-def: $vgpr17_vgpr18
	v_mul_f64 v[7:8], |v[7:8]|, s[0:1]
	v_cndmask_b32_e32 v8, 0x80000000, v8, vcc_lo
	v_cndmask_b32_e32 v7, 0, v7, vcc_lo
	v_cmpx_ngt_f64_e64 0x41d00000, |v[7:8]|
	s_xor_b32 s14, exec_lo, s14
	s_cbranch_execz .LBB9_1680
; %bb.1679:
	v_ldexp_f64 v[15:16], |v[7:8]|, 0xffffff80
	v_cmp_le_f64_e64 vcc_lo, 0x7b000000, |v[7:8]|
	v_trig_preop_f64 v[17:18], |v[7:8]|, 0
	v_and_b32_e32 v9, 0x7fffffff, v8
	v_trig_preop_f64 v[19:20], |v[7:8]|, 1
	v_trig_preop_f64 v[29:30], |v[7:8]|, 2
	v_mov_b32_e32 v37, 0
	s_mov_b32 s1, 0x3ff921fb
	s_mov_b32 s16, 0x33145c07
	;; [unrolled: 1-line block ×3, first 2 shown]
	v_cndmask_b32_e32 v16, v9, v16, vcc_lo
	v_cndmask_b32_e32 v15, v7, v15, vcc_lo
	v_mul_f64 v[21:22], v[17:18], v[15:16]
	v_mul_f64 v[23:24], v[19:20], v[15:16]
	;; [unrolled: 1-line block ×3, first 2 shown]
	v_fma_f64 v[17:18], v[17:18], v[15:16], -v[21:22]
	v_fma_f64 v[19:20], v[19:20], v[15:16], -v[23:24]
	;; [unrolled: 1-line block ×3, first 2 shown]
	v_add_f64 v[25:26], v[23:24], v[17:18]
	v_add_f64 v[27:28], v[25:26], -v[23:24]
	v_add_f64 v[33:34], v[21:22], v[25:26]
	v_add_f64 v[31:32], v[25:26], -v[27:28]
	v_add_f64 v[17:18], v[17:18], -v[27:28]
	v_ldexp_f64 v[27:28], v[33:34], -2
	v_add_f64 v[21:22], v[33:34], -v[21:22]
	v_add_f64 v[23:24], v[23:24], -v[31:32]
	v_add_f64 v[31:32], v[35:36], v[19:20]
	v_cmp_neq_f64_e64 vcc_lo, 0x7ff00000, |v[27:28]|
	v_add_f64 v[21:22], v[25:26], -v[21:22]
	v_add_f64 v[17:18], v[17:18], v[23:24]
	v_fract_f64_e32 v[23:24], v[27:28]
	v_add_f64 v[25:26], v[31:32], v[17:18]
	v_ldexp_f64 v[23:24], v[23:24], 2
	v_add_f64 v[27:28], v[21:22], v[25:26]
	v_cndmask_b32_e32 v24, 0, v24, vcc_lo
	v_cndmask_b32_e32 v23, 0, v23, vcc_lo
	v_add_f64 v[33:34], v[27:28], v[23:24]
	v_add_f64 v[21:22], v[27:28], -v[21:22]
	v_cmp_gt_f64_e32 vcc_lo, 0, v[33:34]
	v_add_f64 v[33:34], v[31:32], -v[35:36]
	v_add_f64 v[21:22], v[25:26], -v[21:22]
	v_cndmask_b32_e64 v38, 0, 0x40100000, vcc_lo
	v_add_f64 v[42:43], v[31:32], -v[33:34]
	v_add_f64 v[19:20], v[19:20], -v[33:34]
	v_add_f64 v[23:24], v[23:24], v[37:38]
	v_add_f64 v[38:39], v[25:26], -v[31:32]
	v_add_f64 v[33:34], v[35:36], -v[42:43]
	v_add_f64 v[40:41], v[27:28], v[23:24]
	;; [unrolled: 3-line block ×3, first 2 shown]
	v_cvt_i32_f64_e32 v9, v[40:41]
	v_add_f64 v[31:32], v[31:32], -v[44:45]
	v_cvt_f64_i32_e32 v[38:39], v9
	v_add_f64 v[17:18], v[17:18], v[31:32]
	v_add_f64 v[23:24], v[23:24], -v[38:39]
	v_add_f64 v[17:18], v[19:20], v[17:18]
	v_add_f64 v[19:20], v[27:28], v[23:24]
	;; [unrolled: 1-line block ×3, first 2 shown]
	v_add_f64 v[17:18], v[19:20], -v[23:24]
	v_cmp_le_f64_e32 vcc_lo, 0.5, v[19:20]
	v_add_f64 v[15:16], v[21:22], v[15:16]
	v_add_f64 v[17:18], v[27:28], -v[17:18]
	v_cndmask_b32_e64 v38, 0, 0x3ff00000, vcc_lo
	v_add_co_ci_u32_e64 v9, null, 0, v9, vcc_lo
	v_add_f64 v[15:16], v[15:16], v[17:18]
	v_add_f64 v[17:18], v[19:20], -v[37:38]
	v_add_f64 v[19:20], v[17:18], v[15:16]
	v_mul_f64 v[21:22], v[19:20], s[0:1]
	v_add_f64 v[17:18], v[19:20], -v[17:18]
	v_fma_f64 v[23:24], v[19:20], s[0:1], -v[21:22]
	v_add_f64 v[15:16], v[15:16], -v[17:18]
	v_fma_f64 v[17:18], v[19:20], s[16:17], v[23:24]
	v_fma_f64 v[17:18], v[15:16], s[0:1], v[17:18]
	v_add_f64 v[15:16], v[21:22], v[17:18]
	v_add_f64 v[19:20], v[15:16], -v[21:22]
	v_add_f64 v[17:18], v[17:18], -v[19:20]
.LBB9_1680:
	s_andn2_saveexec_b32 s0, s14
	s_cbranch_execz .LBB9_1682
; %bb.1681:
	s_mov_b32 s14, 0x6dc9c883
	s_mov_b32 s15, 0x3fe45f30
	;; [unrolled: 1-line block ×3, first 2 shown]
	v_mul_f64 v[15:16], |v[7:8]|, s[14:15]
	s_mov_b32 s14, 0x54442d18
	s_mov_b32 s15, 0xbff921fb
	;; [unrolled: 1-line block ×3, first 2 shown]
	v_rndne_f64_e32 v[19:20], v[15:16]
	v_fma_f64 v[15:16], v[19:20], s[14:15], |v[7:8]|
	v_mul_f64 v[17:18], v[19:20], s[16:17]
	s_mov_b32 s14, 0x252049c0
	s_mov_b32 s15, 0xb97b839a
	v_cvt_i32_f64_e32 v9, v[19:20]
	v_fma_f64 v[23:24], v[19:20], s[16:17], v[15:16]
	v_add_f64 v[21:22], v[15:16], v[17:18]
	s_mov_b32 s17, 0x3c91a626
	v_add_f64 v[15:16], v[15:16], -v[21:22]
	v_add_f64 v[21:22], v[21:22], -v[23:24]
	v_add_f64 v[15:16], v[15:16], v[17:18]
	v_fma_f64 v[17:18], v[19:20], s[16:17], v[17:18]
	v_add_f64 v[15:16], v[21:22], v[15:16]
	v_add_f64 v[15:16], v[15:16], -v[17:18]
	v_fma_f64 v[17:18], v[19:20], s[14:15], v[15:16]
	v_add_f64 v[15:16], v[23:24], v[17:18]
	v_add_f64 v[21:22], v[15:16], -v[23:24]
	v_add_f64 v[17:18], v[17:18], -v[21:22]
.LBB9_1682:
	s_or_b32 exec_lo, exec_lo, s0
	v_mul_f64 v[19:20], v[15:16], v[15:16]
	v_add_f64 v[21:22], v[17:18], v[17:18]
	s_mov_b32 s14, 0xa9a29f71
	s_mov_b32 s16, 0xc751c08c
	;; [unrolled: 1-line block ×4, first 2 shown]
	v_cmp_class_f64_e64 s0, v[7:8], 0x1f8
	v_and_b32_e32 v9, 1, v9
	v_and_b32_e32 v8, 0x80000000, v8
	v_add_f64 v[11:12], -v[11:12], 1.0
	s_mov_b32 s1, exec_lo
	v_cmp_eq_u32_e32 vcc_lo, 0, v9
	v_fma_f64 v[23:24], v[15:16], v[15:16], -v[19:20]
	v_fma_f64 v[21:22], v[15:16], v[21:22], v[23:24]
	v_add_f64 v[19:20], v[19:20], v[21:22]
	v_fma_f64 v[21:22], v[19:20], s[16:17], s[14:15]
	s_mov_b32 s14, 0x90a8aae0
	s_mov_b32 s15, 0x3f17746f
	v_fma_f64 v[21:22], v[19:20], v[21:22], s[14:15]
	s_mov_b32 s14, 0xa6fbf144
	s_mov_b32 s15, 0xbefbb44d
	;; [unrolled: 3-line block ×13, first 2 shown]
	v_mul_f64 v[19:20], v[19:20], v[21:22]
	v_mul_f64 v[21:22], v[15:16], v[19:20]
	v_add_f64 v[23:24], v[15:16], v[21:22]
	v_fma_f64 v[19:20], v[15:16], v[19:20], -v[21:22]
	v_add_f64 v[15:16], v[23:24], -v[15:16]
	v_add_f64 v[17:18], v[17:18], v[19:20]
	v_add_f64 v[15:16], v[21:22], -v[15:16]
	v_add_f64 v[15:16], v[17:18], v[15:16]
	v_add_f64 v[17:18], v[23:24], v[15:16]
	v_rcp_f64_e32 v[19:20], v[17:18]
	v_fma_f64 v[21:22], -v[17:18], v[19:20], 1.0
	v_fma_f64 v[19:20], v[21:22], v[19:20], v[19:20]
	v_fma_f64 v[21:22], -v[17:18], v[19:20], 1.0
	v_fma_f64 v[19:20], v[21:22], v[19:20], v[19:20]
	v_add_f64 v[21:22], v[17:18], -v[23:24]
	v_mul_f64 v[23:24], v[17:18], v[19:20]
	v_add_f64 v[15:16], v[15:16], -v[21:22]
	v_fma_f64 v[21:22], v[19:20], v[17:18], -v[23:24]
	v_fma_f64 v[15:16], v[19:20], v[15:16], v[21:22]
	v_add_f64 v[21:22], v[23:24], v[15:16]
	v_add_f64 v[25:26], -v[21:22], 1.0
	v_add_f64 v[23:24], v[21:22], -v[23:24]
	v_add_f64 v[27:28], -v[25:26], 1.0
	v_add_f64 v[15:16], v[23:24], -v[15:16]
	v_add_f64 v[21:22], v[27:28], -v[21:22]
	v_add_f64 v[15:16], v[15:16], v[21:22]
	v_add_f64 v[15:16], v[25:26], v[15:16]
	v_mul_f64 v[15:16], v[19:20], v[15:16]
	v_add_f64 v[15:16], v[19:20], v[15:16]
	v_xor_b32_e32 v7, 0x80000000, v16
	v_cndmask_b32_e32 v9, v15, v17, vcc_lo
	v_cndmask_b32_e32 v7, v7, v18, vcc_lo
	v_xor_b32_e32 v8, v7, v8
	v_cndmask_b32_e64 v7, 0, v9, s0
	v_cndmask_b32_e64 v8, 0x7ff80000, v8, s0
	v_div_scale_f64 v[15:16], null, v[7:8], v[7:8], s[14:15]
	v_div_scale_f64 v[21:22], vcc_lo, s[14:15], v[7:8], s[14:15]
	v_rcp_f64_e32 v[17:18], v[15:16]
	v_fma_f64 v[19:20], -v[15:16], v[17:18], 1.0
	v_fma_f64 v[17:18], v[17:18], v[19:20], v[17:18]
	v_fma_f64 v[19:20], -v[15:16], v[17:18], 1.0
	v_fma_f64 v[17:18], v[17:18], v[19:20], v[17:18]
	v_mul_f64 v[19:20], v[21:22], v[17:18]
	v_fma_f64 v[15:16], -v[15:16], v[19:20], v[21:22]
	v_div_fmas_f64 v[15:16], v[15:16], v[17:18], v[19:20]
	v_div_fixup_f64 v[15:16], v[15:16], v[7:8], s[14:15]
.LBB9_1683:
	s_or_b32 exec_lo, exec_lo, s7
	s_orn2_b32 s1, s1, exec_lo
.LBB9_1684:
	s_or_b32 exec_lo, exec_lo, s6
	v_mov_b32_e32 v8, 0
	v_mov_b32_e32 v9, 0x7ff80000
	s_and_saveexec_b32 s0, s1
	s_cbranch_execz .LBB9_1696
; %bb.1685:
	s_mov_b32 s1, exec_lo
	v_cmpx_gt_f64_e32 0x40240000, v[11:12]
	s_cbranch_execz .LBB9_1689
; %bb.1686:
	s_mov_b32 s6, 0
	.p2align	6
.LBB9_1687:                             ; =>This Inner Loop Header: Depth=1
	v_div_scale_f64 v[7:8], null, v[11:12], v[11:12], 1.0
	v_div_scale_f64 v[21:22], vcc_lo, 1.0, v[11:12], 1.0
	v_rcp_f64_e32 v[17:18], v[7:8]
	v_fma_f64 v[19:20], -v[7:8], v[17:18], 1.0
	v_fma_f64 v[17:18], v[17:18], v[19:20], v[17:18]
	v_fma_f64 v[19:20], -v[7:8], v[17:18], 1.0
	v_fma_f64 v[17:18], v[17:18], v[19:20], v[17:18]
	v_mul_f64 v[19:20], v[21:22], v[17:18]
	v_fma_f64 v[7:8], -v[7:8], v[19:20], v[21:22]
	v_div_fmas_f64 v[7:8], v[7:8], v[17:18], v[19:20]
	v_div_fixup_f64 v[7:8], v[7:8], v[11:12], 1.0
	v_add_f64 v[11:12], v[11:12], 1.0
	v_add_f64 v[15:16], v[15:16], -v[7:8]
	v_cmp_ngt_f64_e32 vcc_lo, 0x40240000, v[11:12]
	s_or_b32 s6, vcc_lo, s6
	s_andn2_b32 exec_lo, exec_lo, s6
	s_cbranch_execnz .LBB9_1687
; %bb.1688:
	s_or_b32 exec_lo, exec_lo, s6
.LBB9_1689:
	s_or_b32 exec_lo, exec_lo, s1
	s_mov_b32 s1, exec_lo
                                        ; implicit-def: $vgpr8_vgpr9
	v_cmpx_neq_f64_e32 0x40240000, v[11:12]
	s_xor_b32 s1, exec_lo, s1
	s_cbranch_execz .LBB9_1693
; %bb.1690:
	s_mov_b32 s6, 0x85d8a000
	s_mov_b32 s7, 0x43763457
	v_mov_b32_e32 v7, 0
	v_cmp_gt_f64_e32 vcc_lo, s[6:7], v[11:12]
	v_mov_b32_e32 v8, 0
	s_and_saveexec_b32 s6, vcc_lo
	s_cbranch_execz .LBB9_1692
; %bb.1691:
	v_mul_f64 v[7:8], v[11:12], v[11:12]
	s_mov_b32 s14, 0x55555555
	s_mov_b32 s15, 0x3fb55555
	s_mov_b32 s16, 0x95995996
	s_mov_b32 s17, 0xbf959959
	s_mov_b32 s18, 0x10410410
	s_mov_b32 s19, 0x3f704104
	v_div_scale_f64 v[17:18], null, v[7:8], v[7:8], 1.0
	v_rcp_f64_e32 v[19:20], v[17:18]
	v_fma_f64 v[21:22], -v[17:18], v[19:20], 1.0
	v_fma_f64 v[19:20], v[19:20], v[21:22], v[19:20]
	v_fma_f64 v[21:22], -v[17:18], v[19:20], 1.0
	v_fma_f64 v[19:20], v[19:20], v[21:22], v[19:20]
	v_div_scale_f64 v[21:22], vcc_lo, 1.0, v[7:8], 1.0
	v_mul_f64 v[23:24], v[21:22], v[19:20]
	v_fma_f64 v[17:18], -v[17:18], v[23:24], v[21:22]
	v_div_fmas_f64 v[17:18], v[17:18], v[19:20], v[23:24]
	v_div_fixup_f64 v[7:8], v[17:18], v[7:8], 1.0
	v_fma_f64 v[17:18], v[7:8], 0, s[14:15]
	v_fma_f64 v[17:18], v[7:8], v[17:18], s[16:17]
	s_mov_b32 s16, 0xf07c1f08
	s_mov_b32 s17, 0x3f7f07c1
	v_fma_f64 v[17:18], v[7:8], v[17:18], s[16:17]
	s_mov_b32 s17, 0xbf711111
	s_mov_b32 s16, 0x11111111
	v_fma_f64 v[17:18], v[7:8], v[17:18], s[16:17]
	s_mov_b32 s17, 0xbf811111
	v_fma_f64 v[17:18], v[7:8], v[17:18], s[18:19]
	v_fma_f64 v[17:18], v[7:8], v[17:18], s[16:17]
	;; [unrolled: 1-line block ×3, first 2 shown]
	v_mul_f64 v[7:8], v[7:8], v[17:18]
.LBB9_1692:
	s_or_b32 exec_lo, exec_lo, s6
	v_frexp_mant_f64_e32 v[17:18], v[11:12]
	s_mov_b32 s7, 0x3fe55555
	s_mov_b32 s6, 0x55555555
	;; [unrolled: 1-line block ×6, first 2 shown]
	v_div_scale_f64 v[33:34], null, v[11:12], v[11:12], -0.5
	v_cmp_gt_f64_e32 vcc_lo, s[6:7], v[17:18]
	s_mov_b32 s6, 0x55555780
	v_rcp_f64_e32 v[37:38], v[33:34]
	v_cndmask_b32_e64 v9, 0, 1, vcc_lo
	v_ldexp_f64 v[17:18], v[17:18], v9
	v_frexp_exp_i32_f64_e32 v9, v[11:12]
	v_add_f64 v[19:20], v[17:18], 1.0
	v_add_f64 v[25:26], v[17:18], -1.0
	v_subrev_co_ci_u32_e64 v9, null, 0, v9, vcc_lo
	v_rcp_f64_e32 v[21:22], v[19:20]
	v_add_f64 v[27:28], v[19:20], -1.0
	v_add_f64 v[17:18], v[17:18], -v[27:28]
	v_fma_f64 v[23:24], -v[19:20], v[21:22], 1.0
	v_fma_f64 v[21:22], v[23:24], v[21:22], v[21:22]
	v_fma_f64 v[23:24], -v[19:20], v[21:22], 1.0
	v_fma_f64 v[21:22], v[23:24], v[21:22], v[21:22]
	v_mul_f64 v[23:24], v[25:26], v[21:22]
	v_mul_f64 v[29:30], v[19:20], v[23:24]
	v_fma_f64 v[19:20], v[23:24], v[19:20], -v[29:30]
	v_fma_f64 v[17:18], v[23:24], v[17:18], v[19:20]
	v_add_f64 v[19:20], v[29:30], v[17:18]
	v_add_f64 v[27:28], v[25:26], -v[19:20]
	v_add_f64 v[29:30], v[19:20], -v[29:30]
	;; [unrolled: 1-line block ×5, first 2 shown]
	v_add_f64 v[17:18], v[17:18], v[19:20]
	v_add_f64 v[17:18], v[27:28], v[17:18]
	v_mul_f64 v[17:18], v[21:22], v[17:18]
	v_add_f64 v[19:20], v[23:24], v[17:18]
	v_mul_f64 v[21:22], v[19:20], v[19:20]
	v_fma_f64 v[25:26], v[21:22], s[16:17], s[14:15]
	s_mov_b32 s14, 0xd7f4df2e
	s_mov_b32 s15, 0x3fc7474d
	v_mul_f64 v[27:28], v[19:20], v[21:22]
	v_fma_f64 v[25:26], v[21:22], v[25:26], s[14:15]
	s_mov_b32 s14, 0x16291751
	s_mov_b32 s15, 0x3fcc71c0
	v_fma_f64 v[25:26], v[21:22], v[25:26], s[14:15]
	s_mov_b32 s14, 0x9b27acf1
	s_mov_b32 s15, 0x3fd24924
	;; [unrolled: 3-line block ×3, first 2 shown]
	v_fma_f64 v[25:26], v[21:22], v[25:26], s[14:15]
	v_fma_f64 v[21:22], v[21:22], v[25:26], s[6:7]
	v_ldexp_f64 v[25:26], v[19:20], 1
	v_add_f64 v[19:20], v[19:20], -v[23:24]
	s_mov_b32 s6, 0xfefa39ef
	s_mov_b32 s7, 0x3fe62e42
	v_mul_f64 v[21:22], v[27:28], v[21:22]
	v_cvt_f64_i32_e32 v[27:28], v9
	v_add_f64 v[17:18], v[17:18], -v[19:20]
	v_add_f64 v[23:24], v[25:26], v[21:22]
	v_mul_f64 v[29:30], v[27:28], s[6:7]
	v_ldexp_f64 v[17:18], v[17:18], 1
	v_add_f64 v[19:20], v[23:24], -v[25:26]
	v_fma_f64 v[25:26], v[27:28], s[6:7], -v[29:30]
	s_mov_b32 s6, 0x3b39803f
	s_mov_b32 s7, 0x3c7abc9e
	v_add_f64 v[19:20], v[21:22], -v[19:20]
	v_fma_f64 v[21:22], v[27:28], s[6:7], v[25:26]
	v_add_f64 v[17:18], v[17:18], v[19:20]
	v_add_f64 v[19:20], v[29:30], v[21:22]
	;; [unrolled: 1-line block ×3, first 2 shown]
	v_add_f64 v[29:30], v[19:20], -v[29:30]
	v_add_f64 v[27:28], v[19:20], v[25:26]
	v_add_f64 v[23:24], v[25:26], -v[23:24]
	v_add_f64 v[21:22], v[21:22], -v[29:30]
	;; [unrolled: 1-line block ×6, first 2 shown]
	v_fma_f64 v[25:26], -v[33:34], v[37:38], 1.0
	v_add_f64 v[29:30], v[21:22], v[17:18]
	v_add_f64 v[19:20], v[19:20], -v[35:36]
	v_add_f64 v[19:20], v[23:24], v[19:20]
	v_fma_f64 v[23:24], v[37:38], v[25:26], v[37:38]
	v_add_f64 v[25:26], v[29:30], -v[21:22]
	v_div_scale_f64 v[37:38], vcc_lo, -0.5, v[11:12], -0.5
	v_add_f64 v[19:20], v[29:30], v[19:20]
	v_fma_f64 v[31:32], -v[33:34], v[23:24], 1.0
	v_add_f64 v[29:30], v[29:30], -v[25:26]
	v_add_f64 v[17:18], v[17:18], -v[25:26]
	v_add_f64 v[35:36], v[27:28], v[19:20]
	v_fma_f64 v[23:24], v[23:24], v[31:32], v[23:24]
	v_add_f64 v[21:22], v[21:22], -v[29:30]
	v_add_f64 v[25:26], v[35:36], -v[27:28]
	v_mul_f64 v[27:28], v[37:38], v[23:24]
	v_add_f64 v[17:18], v[17:18], v[21:22]
	v_add_f64 v[19:20], v[19:20], -v[25:26]
	v_fma_f64 v[21:22], -v[33:34], v[27:28], v[37:38]
	v_add_f64 v[17:18], v[17:18], v[19:20]
	v_div_fmas_f64 v[19:20], v[21:22], v[23:24], v[27:28]
	v_cmp_class_f64_e64 vcc_lo, v[11:12], 0x204
	v_add_f64 v[17:18], v[35:36], v[17:18]
	v_div_fixup_f64 v[19:20], v[19:20], v[11:12], -0.5
	v_cndmask_b32_e32 v12, v18, v12, vcc_lo
	v_cndmask_b32_e32 v11, v17, v11, vcc_lo
	v_add_f64 v[11:12], v[11:12], v[19:20]
	v_add_f64 v[7:8], v[11:12], -v[7:8]
	v_add_f64 v[8:9], v[15:16], v[7:8]
                                        ; implicit-def: $vgpr15_vgpr16
.LBB9_1693:
	s_andn2_saveexec_b32 s1, s1
; %bb.1694:
	s_mov_b32 s6, 0xdc85cc95
	s_mov_b32 s7, 0x40020396
	v_add_f64 v[8:9], v[15:16], s[6:7]
; %bb.1695:
	s_or_b32 exec_lo, exec_lo, s1
.LBB9_1696:
	s_or_b32 exec_lo, exec_lo, s0
                                        ; implicit-def: $vgpr11_vgpr12
.LBB9_1697:
	s_andn2_saveexec_b32 s0, s5
; %bb.1698:
	v_xor_b32_e32 v7, 0x80000000, v12
	s_mov_b32 s1, 0x7ff00000
	v_mov_b32_e32 v8, 0
	v_bfi_b32 v9, 0x7fffffff, s1, v7
; %bb.1699:
	s_or_b32 exec_lo, exec_lo, s0
	v_add_co_u32 v11, s0, s10, v3
	v_add_co_ci_u32_e64 v12, null, s11, 0, s0
	s_cmp_lt_i32 s4, 11
	s_cbranch_scc1 .LBB9_1706
; %bb.1700:
	s_and_b32 s0, 0xffff, s4
	s_mov_b32 s5, 0
	s_cmp_gt_i32 s0, 25
	s_cbranch_scc0 .LBB9_1707
; %bb.1701:
	s_cmp_gt_i32 s0, 28
	s_cbranch_scc0 .LBB9_1708
; %bb.1702:
	;; [unrolled: 3-line block ×4, first 2 shown]
	s_cmp_eq_u32 s0, 46
	s_mov_b32 s7, 0
	s_cbranch_scc0 .LBB9_1712
; %bb.1705:
	global_load_dword v3, v[11:12], off
	s_mov_b32 s1, 0
	s_mov_b32 s6, -1
	s_waitcnt vmcnt(0)
	v_lshlrev_b32_e32 v3, 16, v3
	v_cvt_f64_f32_e32 v[15:16], v3
	s_branch .LBB9_1714
.LBB9_1706:
	s_mov_b32 s0, -1
	s_mov_b32 s6, 0
                                        ; implicit-def: $vgpr15_vgpr16
	s_branch .LBB9_1780
.LBB9_1707:
	s_mov_b32 s7, -1
	s_mov_b32 s6, 0
	s_mov_b32 s1, 0
                                        ; implicit-def: $vgpr15_vgpr16
	s_branch .LBB9_1745
.LBB9_1708:
	s_mov_b32 s7, -1
	s_mov_b32 s6, 0
	s_mov_b32 s1, 0
                                        ; implicit-def: $vgpr15_vgpr16
	s_branch .LBB9_1724
.LBB9_1709:
	s_mov_b32 s7, -1
	s_mov_b32 s6, 0
	s_mov_b32 s1, 0
                                        ; implicit-def: $vgpr15_vgpr16
	s_branch .LBB9_1719
.LBB9_1710:
	s_or_b32 s2, s2, exec_lo
	s_trap 2
	s_cbranch_execz .LBB9_1625
	s_branch .LBB9_1626
.LBB9_1711:
	s_mov_b32 s7, -1
	s_mov_b32 s6, 0
	s_mov_b32 s1, 0
	s_branch .LBB9_1713
.LBB9_1712:
	s_mov_b32 s1, -1
	s_mov_b32 s6, 0
.LBB9_1713:
                                        ; implicit-def: $vgpr15_vgpr16
.LBB9_1714:
	s_and_b32 vcc_lo, exec_lo, s7
	s_cbranch_vccz .LBB9_1718
; %bb.1715:
	s_cmp_eq_u32 s0, 44
	s_cbranch_scc0 .LBB9_1717
; %bb.1716:
	global_load_ubyte v3, v[11:12], off
	s_mov_b32 s1, 0
	s_mov_b32 s6, -1
	s_waitcnt vmcnt(0)
	v_lshlrev_b32_e32 v7, 23, v3
	v_cmp_ne_u32_e32 vcc_lo, 0xff, v3
	v_cvt_f64_f32_e32 v[15:16], v7
	v_cndmask_b32_e32 v7, 0x20000000, v15, vcc_lo
	v_cndmask_b32_e32 v13, 0x7ff80000, v16, vcc_lo
	v_cmp_ne_u32_e32 vcc_lo, 0, v3
	v_cndmask_b32_e32 v16, 0x38000000, v13, vcc_lo
	v_cndmask_b32_e32 v15, 0, v7, vcc_lo
	s_branch .LBB9_1718
.LBB9_1717:
	s_mov_b32 s1, -1
                                        ; implicit-def: $vgpr15_vgpr16
.LBB9_1718:
	s_mov_b32 s7, 0
.LBB9_1719:
	s_and_b32 vcc_lo, exec_lo, s7
	s_cbranch_vccz .LBB9_1723
; %bb.1720:
	s_cmp_eq_u32 s0, 29
	s_cbranch_scc0 .LBB9_1722
; %bb.1721:
	global_load_dwordx2 v[15:16], v[11:12], off
	s_mov_b32 s1, 0
	s_mov_b32 s6, -1
	s_mov_b32 s7, 0
	s_waitcnt vmcnt(0)
	v_cvt_f64_u32_e32 v[16:17], v16
	v_cvt_f64_u32_e32 v[18:19], v15
	v_ldexp_f64 v[16:17], v[16:17], 32
	v_add_f64 v[15:16], v[16:17], v[18:19]
	s_branch .LBB9_1724
.LBB9_1722:
	s_mov_b32 s1, -1
                                        ; implicit-def: $vgpr15_vgpr16
.LBB9_1723:
	s_mov_b32 s7, 0
.LBB9_1724:
	s_and_b32 vcc_lo, exec_lo, s7
	s_cbranch_vccz .LBB9_1744
; %bb.1725:
	s_cmp_lt_i32 s0, 27
	s_cbranch_scc1 .LBB9_1728
; %bb.1726:
	s_cmp_gt_i32 s0, 27
	s_cbranch_scc0 .LBB9_1729
; %bb.1727:
	global_load_dword v3, v[11:12], off
	s_mov_b32 s6, 0
	s_waitcnt vmcnt(0)
	v_cvt_f64_u32_e32 v[15:16], v3
	s_branch .LBB9_1730
.LBB9_1728:
	s_mov_b32 s6, -1
                                        ; implicit-def: $vgpr15_vgpr16
	s_branch .LBB9_1733
.LBB9_1729:
	s_mov_b32 s6, -1
                                        ; implicit-def: $vgpr15_vgpr16
.LBB9_1730:
	s_andn2_b32 vcc_lo, exec_lo, s6
	s_cbranch_vccnz .LBB9_1732
; %bb.1731:
	global_load_ushort v3, v[11:12], off
	s_waitcnt vmcnt(0)
	v_cvt_f64_u32_e32 v[15:16], v3
.LBB9_1732:
	s_mov_b32 s6, 0
.LBB9_1733:
	s_andn2_b32 vcc_lo, exec_lo, s6
	s_cbranch_vccnz .LBB9_1743
; %bb.1734:
	global_load_ubyte v3, v[11:12], off
	s_mov_b32 s6, 0
	s_mov_b32 s7, exec_lo
	s_waitcnt vmcnt(0)
	v_cmpx_lt_i16_e32 0x7f, v3
	s_xor_b32 s7, exec_lo, s7
	s_cbranch_execz .LBB9_1738
; %bb.1735:
	s_mov_b32 s6, -1
	s_mov_b32 s10, exec_lo
	v_cmpx_eq_u16_e32 0x80, v3
; %bb.1736:
	s_xor_b32 s6, exec_lo, -1
; %bb.1737:
	s_or_b32 exec_lo, exec_lo, s10
	s_and_b32 s6, s6, exec_lo
.LBB9_1738:
	s_or_saveexec_b32 s7, s7
	v_bfrev_b32_e32 v15, 4
	v_mov_b32_e32 v16, 0x7ff80000
	s_xor_b32 exec_lo, exec_lo, s7
; %bb.1739:
	v_cmp_ne_u16_e32 vcc_lo, 0, v3
	v_mov_b32_e32 v15, 0
	v_mov_b32_e32 v16, 0
	s_andn2_b32 s6, s6, exec_lo
	s_and_b32 s10, vcc_lo, exec_lo
	s_or_b32 s6, s6, s10
; %bb.1740:
	s_or_b32 exec_lo, exec_lo, s7
	s_and_saveexec_b32 s7, s6
	s_cbranch_execz .LBB9_1742
; %bb.1741:
	v_and_b32_e32 v7, 0xffff, v3
	v_lshlrev_b32_e32 v3, 24, v3
	v_and_b32_e32 v13, 7, v7
	v_bfe_u32 v17, v7, 3, 4
	v_and_b32_e32 v3, 0x80000000, v3
	v_ffbh_u32_e32 v15, v13
	v_cmp_eq_u32_e32 vcc_lo, 0, v17
	v_min_u32_e32 v15, 32, v15
	v_subrev_nc_u32_e32 v16, 28, v15
	v_sub_nc_u32_e32 v15, 29, v15
	v_lshlrev_b32_e32 v7, v16, v7
	v_cndmask_b32_e32 v15, v17, v15, vcc_lo
	v_and_b32_e32 v7, 7, v7
	v_cndmask_b32_e32 v7, v13, v7, vcc_lo
	v_lshl_add_u32 v13, v15, 23, 0x3b800000
	v_lshlrev_b32_e32 v7, 20, v7
	v_or3_b32 v3, v3, v13, v7
	v_cvt_f64_f32_e32 v[15:16], v3
.LBB9_1742:
	s_or_b32 exec_lo, exec_lo, s7
.LBB9_1743:
	s_mov_b32 s6, -1
.LBB9_1744:
	s_mov_b32 s7, 0
.LBB9_1745:
	s_and_b32 vcc_lo, exec_lo, s7
	s_cbranch_vccz .LBB9_1776
; %bb.1746:
	s_cmp_gt_i32 s0, 22
	s_cbranch_scc0 .LBB9_1758
; %bb.1747:
	s_cmp_lt_i32 s0, 24
	s_cbranch_scc1 .LBB9_1759
; %bb.1748:
	s_cmp_gt_i32 s0, 24
	s_cbranch_scc0 .LBB9_1760
; %bb.1749:
	global_load_ubyte v3, v[11:12], off
	s_mov_b32 s6, exec_lo
	s_waitcnt vmcnt(0)
	v_cmpx_lt_i16_e32 0x7f, v3
	s_xor_b32 s6, exec_lo, s6
	s_cbranch_execz .LBB9_1753
; %bb.1750:
	s_mov_b32 s5, -1
	s_mov_b32 s7, exec_lo
	v_cmpx_eq_u16_e32 0x80, v3
; %bb.1751:
	s_xor_b32 s5, exec_lo, -1
; %bb.1752:
	s_or_b32 exec_lo, exec_lo, s7
	s_and_b32 s5, s5, exec_lo
.LBB9_1753:
	s_or_saveexec_b32 s6, s6
	v_bfrev_b32_e32 v15, 4
	v_mov_b32_e32 v16, 0x7ff80000
	s_xor_b32 exec_lo, exec_lo, s6
; %bb.1754:
	v_cmp_ne_u16_e32 vcc_lo, 0, v3
	v_mov_b32_e32 v15, 0
	v_mov_b32_e32 v16, 0
	s_andn2_b32 s5, s5, exec_lo
	s_and_b32 s7, vcc_lo, exec_lo
	s_or_b32 s5, s5, s7
; %bb.1755:
	s_or_b32 exec_lo, exec_lo, s6
	s_and_saveexec_b32 s6, s5
	s_cbranch_execz .LBB9_1757
; %bb.1756:
	v_and_b32_e32 v7, 0xffff, v3
	v_lshlrev_b32_e32 v3, 24, v3
	v_and_b32_e32 v13, 3, v7
	v_bfe_u32 v17, v7, 2, 5
	v_and_b32_e32 v3, 0x80000000, v3
	v_ffbh_u32_e32 v15, v13
	v_cmp_eq_u32_e32 vcc_lo, 0, v17
	v_min_u32_e32 v15, 32, v15
	v_subrev_nc_u32_e32 v16, 29, v15
	v_sub_nc_u32_e32 v15, 30, v15
	v_lshlrev_b32_e32 v7, v16, v7
	v_cndmask_b32_e32 v15, v17, v15, vcc_lo
	v_and_b32_e32 v7, 3, v7
	v_cndmask_b32_e32 v7, v13, v7, vcc_lo
	v_lshl_add_u32 v13, v15, 23, 0x37800000
	v_lshlrev_b32_e32 v7, 21, v7
	v_or3_b32 v3, v3, v13, v7
	v_cvt_f64_f32_e32 v[15:16], v3
.LBB9_1757:
	s_or_b32 exec_lo, exec_lo, s6
	s_mov_b32 s5, 0
	s_branch .LBB9_1761
.LBB9_1758:
	s_mov_b32 s5, -1
                                        ; implicit-def: $vgpr15_vgpr16
	s_branch .LBB9_1767
.LBB9_1759:
	s_mov_b32 s5, -1
                                        ; implicit-def: $vgpr15_vgpr16
	s_branch .LBB9_1764
.LBB9_1760:
	s_mov_b32 s5, -1
                                        ; implicit-def: $vgpr15_vgpr16
.LBB9_1761:
	s_and_b32 vcc_lo, exec_lo, s5
	s_cbranch_vccz .LBB9_1763
; %bb.1762:
	global_load_ubyte v3, v[11:12], off
	s_waitcnt vmcnt(0)
	v_lshlrev_b32_e32 v3, 24, v3
	v_and_b32_e32 v7, 0x7f000000, v3
	v_ffbh_u32_e32 v13, v7
	v_add_nc_u32_e32 v16, 0x1000000, v7
	v_cmp_ne_u32_e32 vcc_lo, 0, v7
	v_min_u32_e32 v13, 32, v13
	v_sub_nc_u32_e64 v13, v13, 4 clamp
	v_lshlrev_b32_e32 v15, v13, v7
	v_lshlrev_b32_e32 v13, 23, v13
	v_lshrrev_b32_e32 v15, 4, v15
	v_sub_nc_u32_e32 v13, v15, v13
	v_ashrrev_i32_e32 v15, 8, v16
	v_add_nc_u32_e32 v13, 0x3c000000, v13
	v_and_or_b32 v13, 0x7f800000, v15, v13
	v_cndmask_b32_e32 v7, 0, v13, vcc_lo
	v_and_or_b32 v3, 0x80000000, v3, v7
	v_cvt_f64_f32_e32 v[15:16], v3
.LBB9_1763:
	s_mov_b32 s5, 0
.LBB9_1764:
	s_andn2_b32 vcc_lo, exec_lo, s5
	s_cbranch_vccnz .LBB9_1766
; %bb.1765:
	global_load_ubyte v3, v[11:12], off
	s_waitcnt vmcnt(0)
	v_lshlrev_b32_e32 v7, 25, v3
	v_lshlrev_b16 v3, 8, v3
	v_lshrrev_b32_e32 v13, 4, v7
	v_and_or_b32 v15, 0x7f00, v3, 0.5
	v_cmp_gt_u32_e32 vcc_lo, 0x8000000, v7
	v_bfe_i32 v3, v3, 0, 16
	v_or_b32_e32 v13, 0x70000000, v13
	v_add_f32_e32 v15, -0.5, v15
	v_mul_f32_e32 v13, 0x7800000, v13
	v_cndmask_b32_e32 v7, v13, v15, vcc_lo
	v_and_or_b32 v3, 0x80000000, v3, v7
	v_cvt_f64_f32_e32 v[15:16], v3
.LBB9_1766:
	s_mov_b32 s5, 0
	s_mov_b32 s6, -1
.LBB9_1767:
	s_andn2_b32 vcc_lo, exec_lo, s5
	s_mov_b32 s5, 0
	s_cbranch_vccnz .LBB9_1776
; %bb.1768:
	s_cmp_gt_i32 s0, 14
	s_cbranch_scc0 .LBB9_1771
; %bb.1769:
	s_cmp_eq_u32 s0, 15
	s_cbranch_scc0 .LBB9_1772
; %bb.1770:
	global_load_ushort v3, v[11:12], off
	s_mov_b32 s1, 0
	s_mov_b32 s6, -1
	s_waitcnt vmcnt(0)
	v_lshlrev_b32_e32 v3, 16, v3
	v_cvt_f64_f32_e32 v[15:16], v3
	s_branch .LBB9_1774
.LBB9_1771:
	s_mov_b32 s5, -1
	s_branch .LBB9_1773
.LBB9_1772:
	s_mov_b32 s1, -1
.LBB9_1773:
                                        ; implicit-def: $vgpr15_vgpr16
.LBB9_1774:
	s_and_b32 vcc_lo, exec_lo, s5
	s_mov_b32 s5, 0
	s_cbranch_vccz .LBB9_1776
; %bb.1775:
	s_cmp_lg_u32 s0, 11
	s_mov_b32 s5, -1
	s_cselect_b32 s1, -1, 0
.LBB9_1776:
	s_and_b32 vcc_lo, exec_lo, s1
	s_cbranch_vccnz .LBB9_2334
; %bb.1777:
	s_andn2_b32 vcc_lo, exec_lo, s5
	s_cbranch_vccnz .LBB9_1779
.LBB9_1778:
	global_load_ubyte v3, v[11:12], off
	v_mov_b32_e32 v15, 0
	s_mov_b32 s6, -1
	s_waitcnt vmcnt(0)
	v_cmp_ne_u16_e32 vcc_lo, 0, v3
	v_cndmask_b32_e64 v16, 0, 0x3ff00000, vcc_lo
.LBB9_1779:
	s_mov_b32 s0, 0
.LBB9_1780:
	s_and_b32 vcc_lo, exec_lo, s0
	s_cbranch_vccz .LBB9_1829
; %bb.1781:
	s_and_b32 s0, 0xffff, s4
	s_cmp_lt_i32 s0, 5
	s_cbranch_scc1 .LBB9_1786
; %bb.1782:
	s_cmp_lt_i32 s0, 8
	s_cbranch_scc1 .LBB9_1787
; %bb.1783:
	;; [unrolled: 3-line block ×3, first 2 shown]
	s_cmp_gt_i32 s0, 9
	s_cbranch_scc0 .LBB9_1789
; %bb.1785:
	global_load_dwordx2 v[15:16], v[11:12], off
	s_mov_b32 s1, 0
	s_branch .LBB9_1790
.LBB9_1786:
	s_mov_b32 s1, -1
                                        ; implicit-def: $vgpr15_vgpr16
	s_branch .LBB9_1808
.LBB9_1787:
	s_mov_b32 s1, -1
                                        ; implicit-def: $vgpr15_vgpr16
	s_branch .LBB9_1796
.LBB9_1788:
	s_mov_b32 s1, -1
                                        ; implicit-def: $vgpr15_vgpr16
	s_branch .LBB9_1793
.LBB9_1789:
	s_mov_b32 s1, -1
                                        ; implicit-def: $vgpr15_vgpr16
.LBB9_1790:
	s_andn2_b32 vcc_lo, exec_lo, s1
	s_cbranch_vccnz .LBB9_1792
; %bb.1791:
	global_load_dword v3, v[11:12], off
	s_waitcnt vmcnt(0)
	v_cvt_f64_f32_e32 v[15:16], v3
.LBB9_1792:
	s_mov_b32 s1, 0
.LBB9_1793:
	s_andn2_b32 vcc_lo, exec_lo, s1
	s_cbranch_vccnz .LBB9_1795
; %bb.1794:
	global_load_dword v3, v[11:12], off
	s_waitcnt vmcnt(0)
	v_cvt_f32_f16_e32 v3, v3
	v_cvt_f64_f32_e32 v[15:16], v3
.LBB9_1795:
	s_mov_b32 s1, 0
.LBB9_1796:
	s_andn2_b32 vcc_lo, exec_lo, s1
	s_cbranch_vccnz .LBB9_1807
; %bb.1797:
	s_cmp_lt_i32 s0, 6
	s_cbranch_scc1 .LBB9_1800
; %bb.1798:
	s_cmp_gt_i32 s0, 6
	s_cbranch_scc0 .LBB9_1801
; %bb.1799:
	global_load_dwordx2 v[15:16], v[11:12], off
	s_mov_b32 s1, 0
	s_branch .LBB9_1802
.LBB9_1800:
	s_mov_b32 s1, -1
                                        ; implicit-def: $vgpr15_vgpr16
	s_branch .LBB9_1805
.LBB9_1801:
	s_mov_b32 s1, -1
                                        ; implicit-def: $vgpr15_vgpr16
.LBB9_1802:
	s_andn2_b32 vcc_lo, exec_lo, s1
	s_cbranch_vccnz .LBB9_1804
; %bb.1803:
	global_load_dword v3, v[11:12], off
	s_waitcnt vmcnt(0)
	v_cvt_f64_f32_e32 v[15:16], v3
.LBB9_1804:
	s_mov_b32 s1, 0
.LBB9_1805:
	s_andn2_b32 vcc_lo, exec_lo, s1
	s_cbranch_vccnz .LBB9_1807
; %bb.1806:
	global_load_ushort v3, v[11:12], off
	s_waitcnt vmcnt(0)
	v_cvt_f32_f16_e32 v3, v3
	v_cvt_f64_f32_e32 v[15:16], v3
.LBB9_1807:
	s_mov_b32 s1, 0
.LBB9_1808:
	s_andn2_b32 vcc_lo, exec_lo, s1
	s_cbranch_vccnz .LBB9_1828
; %bb.1809:
	s_cmp_lt_i32 s0, 2
	s_cbranch_scc1 .LBB9_1813
; %bb.1810:
	s_cmp_lt_i32 s0, 3
	s_cbranch_scc1 .LBB9_1814
; %bb.1811:
	s_cmp_gt_i32 s0, 3
	s_cbranch_scc0 .LBB9_1815
; %bb.1812:
	global_load_dwordx2 v[15:16], v[11:12], off
	s_mov_b32 s1, 0
	s_waitcnt vmcnt(0)
	v_cvt_f64_i32_e32 v[16:17], v16
	v_cvt_f64_u32_e32 v[18:19], v15
	v_ldexp_f64 v[16:17], v[16:17], 32
	v_add_f64 v[15:16], v[16:17], v[18:19]
	s_branch .LBB9_1816
.LBB9_1813:
	s_mov_b32 s1, -1
                                        ; implicit-def: $vgpr15_vgpr16
	s_branch .LBB9_1822
.LBB9_1814:
	s_mov_b32 s1, -1
                                        ; implicit-def: $vgpr15_vgpr16
	s_branch .LBB9_1819
.LBB9_1815:
	s_mov_b32 s1, -1
                                        ; implicit-def: $vgpr15_vgpr16
.LBB9_1816:
	s_andn2_b32 vcc_lo, exec_lo, s1
	s_cbranch_vccnz .LBB9_1818
; %bb.1817:
	global_load_dword v3, v[11:12], off
	s_waitcnt vmcnt(0)
	v_cvt_f64_i32_e32 v[15:16], v3
.LBB9_1818:
	s_mov_b32 s1, 0
.LBB9_1819:
	s_andn2_b32 vcc_lo, exec_lo, s1
	s_cbranch_vccnz .LBB9_1821
; %bb.1820:
	global_load_sshort v3, v[11:12], off
	s_waitcnt vmcnt(0)
	v_cvt_f64_i32_e32 v[15:16], v3
.LBB9_1821:
	s_mov_b32 s1, 0
.LBB9_1822:
	s_andn2_b32 vcc_lo, exec_lo, s1
	s_cbranch_vccnz .LBB9_1828
; %bb.1823:
	s_cmp_gt_i32 s0, 0
	s_mov_b32 s0, 0
	s_cbranch_scc0 .LBB9_1825
; %bb.1824:
	global_load_sbyte v3, v[11:12], off
	s_waitcnt vmcnt(0)
	v_cvt_f64_i32_e32 v[15:16], v3
	s_branch .LBB9_1826
.LBB9_1825:
	s_mov_b32 s0, -1
                                        ; implicit-def: $vgpr15_vgpr16
.LBB9_1826:
	s_andn2_b32 vcc_lo, exec_lo, s0
	s_cbranch_vccnz .LBB9_1828
; %bb.1827:
	global_load_ubyte v3, v[11:12], off
	s_waitcnt vmcnt(0)
	v_cvt_f64_u32_e32 v[15:16], v3
.LBB9_1828:
	s_mov_b32 s6, -1
.LBB9_1829:
	s_andn2_b32 vcc_lo, exec_lo, s6
	s_cbranch_vccnz .LBB9_1932
; %bb.1830:
                                        ; implicit-def: $vgpr12_vgpr13
	s_mov_b32 s0, exec_lo
	s_waitcnt vmcnt(0)
	v_cmpx_neq_f64_e32 0, v[15:16]
	s_xor_b32 s4, exec_lo, s0
	s_cbranch_execz .LBB9_1852
; %bb.1831:
	v_mov_b32_e32 v17, 0
	v_mov_b32_e32 v18, 0
	s_mov_b32 s1, -1
	s_mov_b32 s5, exec_lo
	v_cmpx_gt_f64_e32 0, v[15:16]
	s_cbranch_execz .LBB9_1839
; %bb.1832:
	v_trunc_f64_e32 v[11:12], v[15:16]
	v_mov_b32_e32 v17, 0
	v_mov_b32_e32 v18, 0
	s_mov_b32 s1, 0
	s_mov_b32 s6, exec_lo
	v_cmpx_neq_f64_e32 v[15:16], v[11:12]
	s_cbranch_execz .LBB9_1838
; %bb.1833:
	v_add_f64 v[11:12], v[15:16], -v[11:12]
	s_mov_b32 s1, 0xc00921fb
	s_mov_b32 s0, 0x54442d18
	v_cmp_neq_f64_e64 vcc_lo, 0x7ff00000, |v[15:16]|
	s_mov_b32 s7, exec_lo
                                        ; implicit-def: $vgpr3
                                        ; implicit-def: $vgpr17_vgpr18
                                        ; implicit-def: $vgpr19_vgpr20
	v_mul_f64 v[11:12], |v[11:12]|, s[0:1]
	v_cndmask_b32_e32 v12, 0x80000000, v12, vcc_lo
	v_cndmask_b32_e32 v11, 0, v11, vcc_lo
	v_cmpx_ngt_f64_e64 0x41d00000, |v[11:12]|
	s_xor_b32 s7, exec_lo, s7
	s_cbranch_execz .LBB9_1835
; %bb.1834:
	v_ldexp_f64 v[17:18], |v[11:12]|, 0xffffff80
	v_cmp_le_f64_e64 vcc_lo, 0x7b000000, |v[11:12]|
	v_trig_preop_f64 v[19:20], |v[11:12]|, 0
	v_and_b32_e32 v3, 0x7fffffff, v12
	v_trig_preop_f64 v[21:22], |v[11:12]|, 1
	v_trig_preop_f64 v[31:32], |v[11:12]|, 2
	v_mov_b32_e32 v39, 0
	s_mov_b32 s1, 0x3ff921fb
	s_mov_b32 s10, 0x33145c07
	s_mov_b32 s11, 0x3c91a626
	v_cndmask_b32_e32 v18, v3, v18, vcc_lo
	v_cndmask_b32_e32 v17, v11, v17, vcc_lo
	v_mul_f64 v[23:24], v[19:20], v[17:18]
	v_mul_f64 v[25:26], v[21:22], v[17:18]
	;; [unrolled: 1-line block ×3, first 2 shown]
	v_fma_f64 v[19:20], v[19:20], v[17:18], -v[23:24]
	v_fma_f64 v[21:22], v[21:22], v[17:18], -v[25:26]
	;; [unrolled: 1-line block ×3, first 2 shown]
	v_add_f64 v[27:28], v[25:26], v[19:20]
	v_add_f64 v[29:30], v[27:28], -v[25:26]
	v_add_f64 v[35:36], v[23:24], v[27:28]
	v_add_f64 v[33:34], v[27:28], -v[29:30]
	v_add_f64 v[19:20], v[19:20], -v[29:30]
	v_ldexp_f64 v[29:30], v[35:36], -2
	v_add_f64 v[23:24], v[35:36], -v[23:24]
	v_add_f64 v[25:26], v[25:26], -v[33:34]
	v_add_f64 v[33:34], v[37:38], v[21:22]
	v_cmp_neq_f64_e64 vcc_lo, 0x7ff00000, |v[29:30]|
	v_add_f64 v[23:24], v[27:28], -v[23:24]
	v_add_f64 v[19:20], v[19:20], v[25:26]
	v_fract_f64_e32 v[25:26], v[29:30]
	v_add_f64 v[27:28], v[33:34], v[19:20]
	v_ldexp_f64 v[25:26], v[25:26], 2
	v_add_f64 v[29:30], v[23:24], v[27:28]
	v_cndmask_b32_e32 v26, 0, v26, vcc_lo
	v_cndmask_b32_e32 v25, 0, v25, vcc_lo
	v_add_f64 v[35:36], v[29:30], v[25:26]
	v_add_f64 v[23:24], v[29:30], -v[23:24]
	v_cmp_gt_f64_e32 vcc_lo, 0, v[35:36]
	v_add_f64 v[35:36], v[33:34], -v[37:38]
	v_add_f64 v[23:24], v[27:28], -v[23:24]
	v_cndmask_b32_e64 v40, 0, 0x40100000, vcc_lo
	v_add_f64 v[44:45], v[33:34], -v[35:36]
	v_add_f64 v[21:22], v[21:22], -v[35:36]
	v_add_f64 v[25:26], v[25:26], v[39:40]
	v_add_f64 v[40:41], v[27:28], -v[33:34]
	v_add_f64 v[35:36], v[37:38], -v[44:45]
	v_add_f64 v[42:43], v[29:30], v[25:26]
	;; [unrolled: 3-line block ×3, first 2 shown]
	v_cvt_i32_f64_e32 v3, v[42:43]
	v_add_f64 v[33:34], v[33:34], -v[46:47]
	v_cvt_f64_i32_e32 v[40:41], v3
	v_add_f64 v[19:20], v[19:20], v[33:34]
	v_add_f64 v[25:26], v[25:26], -v[40:41]
	v_add_f64 v[19:20], v[21:22], v[19:20]
	v_add_f64 v[21:22], v[29:30], v[25:26]
	;; [unrolled: 1-line block ×3, first 2 shown]
	v_add_f64 v[19:20], v[21:22], -v[25:26]
	v_cmp_le_f64_e32 vcc_lo, 0.5, v[21:22]
	v_add_f64 v[17:18], v[23:24], v[17:18]
	v_add_f64 v[19:20], v[29:30], -v[19:20]
	v_cndmask_b32_e64 v40, 0, 0x3ff00000, vcc_lo
	v_add_co_ci_u32_e64 v3, null, 0, v3, vcc_lo
	v_add_f64 v[17:18], v[17:18], v[19:20]
	v_add_f64 v[19:20], v[21:22], -v[39:40]
	v_add_f64 v[21:22], v[19:20], v[17:18]
	v_mul_f64 v[23:24], v[21:22], s[0:1]
	v_add_f64 v[19:20], v[21:22], -v[19:20]
	v_fma_f64 v[25:26], v[21:22], s[0:1], -v[23:24]
	v_add_f64 v[17:18], v[17:18], -v[19:20]
	v_fma_f64 v[19:20], v[21:22], s[10:11], v[25:26]
	v_fma_f64 v[19:20], v[17:18], s[0:1], v[19:20]
	v_add_f64 v[17:18], v[23:24], v[19:20]
	v_add_f64 v[21:22], v[17:18], -v[23:24]
	v_add_f64 v[19:20], v[19:20], -v[21:22]
.LBB9_1835:
	s_andn2_saveexec_b32 s0, s7
	s_cbranch_execz .LBB9_1837
; %bb.1836:
	s_mov_b32 s10, 0x6dc9c883
	s_mov_b32 s11, 0x3fe45f30
	;; [unrolled: 1-line block ×3, first 2 shown]
	v_mul_f64 v[17:18], |v[11:12]|, s[10:11]
	s_mov_b32 s10, 0x54442d18
	s_mov_b32 s11, 0xbff921fb
	;; [unrolled: 1-line block ×3, first 2 shown]
	v_rndne_f64_e32 v[21:22], v[17:18]
	v_fma_f64 v[17:18], v[21:22], s[10:11], |v[11:12]|
	v_mul_f64 v[19:20], v[21:22], s[14:15]
	s_mov_b32 s10, 0x252049c0
	s_mov_b32 s11, 0xb97b839a
	v_cvt_i32_f64_e32 v3, v[21:22]
	v_fma_f64 v[25:26], v[21:22], s[14:15], v[17:18]
	v_add_f64 v[23:24], v[17:18], v[19:20]
	s_mov_b32 s15, 0x3c91a626
	v_add_f64 v[17:18], v[17:18], -v[23:24]
	v_add_f64 v[23:24], v[23:24], -v[25:26]
	v_add_f64 v[17:18], v[17:18], v[19:20]
	v_fma_f64 v[19:20], v[21:22], s[14:15], v[19:20]
	v_add_f64 v[17:18], v[23:24], v[17:18]
	v_add_f64 v[17:18], v[17:18], -v[19:20]
	v_fma_f64 v[19:20], v[21:22], s[10:11], v[17:18]
	v_add_f64 v[17:18], v[25:26], v[19:20]
	v_add_f64 v[23:24], v[17:18], -v[25:26]
	v_add_f64 v[19:20], v[19:20], -v[23:24]
.LBB9_1837:
	s_or_b32 exec_lo, exec_lo, s0
	v_mul_f64 v[21:22], v[17:18], v[17:18]
	v_add_f64 v[23:24], v[19:20], v[19:20]
	s_mov_b32 s10, 0xa9a29f71
	s_mov_b32 s14, 0xc751c08c
	;; [unrolled: 1-line block ×4, first 2 shown]
	v_cmp_class_f64_e64 s0, v[11:12], 0x1f8
	v_and_b32_e32 v3, 1, v3
	v_and_b32_e32 v11, 0x80000000, v12
	v_add_f64 v[15:16], -v[15:16], 1.0
	s_mov_b32 s1, exec_lo
	v_cmp_eq_u32_e32 vcc_lo, 0, v3
	v_fma_f64 v[25:26], v[17:18], v[17:18], -v[21:22]
	v_fma_f64 v[23:24], v[17:18], v[23:24], v[25:26]
	v_add_f64 v[21:22], v[21:22], v[23:24]
	v_fma_f64 v[23:24], v[21:22], s[14:15], s[10:11]
	s_mov_b32 s10, 0x90a8aae0
	s_mov_b32 s11, 0x3f17746f
	v_fma_f64 v[23:24], v[21:22], v[23:24], s[10:11]
	s_mov_b32 s10, 0xa6fbf144
	s_mov_b32 s11, 0xbefbb44d
	v_fma_f64 v[23:24], v[21:22], v[23:24], s[10:11]
	s_mov_b32 s10, 0xa7943acf
	s_mov_b32 s11, 0x3f21e634
	v_fma_f64 v[23:24], v[21:22], v[23:24], s[10:11]
	s_mov_b32 s10, 0xdeb68feb
	s_mov_b32 s11, 0x3f2d250f
	v_fma_f64 v[23:24], v[21:22], v[23:24], s[10:11]
	s_mov_b32 s10, 0xb58c4d95
	s_mov_b32 s11, 0x3f437fd9
	v_fma_f64 v[23:24], v[21:22], v[23:24], s[10:11]
	s_mov_b32 s10, 0x15120e2c
	s_mov_b32 s11, 0x3f57d5af
	v_fma_f64 v[23:24], v[21:22], v[23:24], s[10:11]
	s_mov_b32 s10, 0xe09491df
	s_mov_b32 s11, 0x3f6d6d93
	v_fma_f64 v[23:24], v[21:22], v[23:24], s[10:11]
	s_mov_b32 s10, 0x2033784d
	s_mov_b32 s11, 0x3f8226e1
	v_fma_f64 v[23:24], v[21:22], v[23:24], s[10:11]
	s_mov_b32 s10, 0x9ac36ae2
	s_mov_b32 s11, 0x3f9664f4
	v_fma_f64 v[23:24], v[21:22], v[23:24], s[10:11]
	s_mov_b32 s10, 0x1b451c21
	s_mov_b32 s11, 0x3faba1ba
	v_fma_f64 v[23:24], v[21:22], v[23:24], s[10:11]
	s_mov_b32 s10, 0x111185b7
	s_mov_b32 s11, 0x3fc11111
	v_fma_f64 v[23:24], v[21:22], v[23:24], s[10:11]
	s_mov_b32 s10, 0x555554ee
	s_mov_b32 s11, 0x3fd55555
	v_fma_f64 v[23:24], v[21:22], v[23:24], s[10:11]
	s_mov_b32 s10, 0x54442d18
	s_mov_b32 s11, 0xc00921fb
	v_mul_f64 v[21:22], v[21:22], v[23:24]
	v_mul_f64 v[23:24], v[17:18], v[21:22]
	v_add_f64 v[25:26], v[17:18], v[23:24]
	v_fma_f64 v[21:22], v[17:18], v[21:22], -v[23:24]
	v_add_f64 v[17:18], v[25:26], -v[17:18]
	v_add_f64 v[19:20], v[19:20], v[21:22]
	v_add_f64 v[17:18], v[23:24], -v[17:18]
	v_add_f64 v[17:18], v[19:20], v[17:18]
	v_add_f64 v[19:20], v[25:26], v[17:18]
	v_rcp_f64_e32 v[21:22], v[19:20]
	v_fma_f64 v[23:24], -v[19:20], v[21:22], 1.0
	v_fma_f64 v[21:22], v[23:24], v[21:22], v[21:22]
	v_fma_f64 v[23:24], -v[19:20], v[21:22], 1.0
	v_fma_f64 v[21:22], v[23:24], v[21:22], v[21:22]
	v_add_f64 v[23:24], v[19:20], -v[25:26]
	v_mul_f64 v[25:26], v[19:20], v[21:22]
	v_add_f64 v[17:18], v[17:18], -v[23:24]
	v_fma_f64 v[23:24], v[21:22], v[19:20], -v[25:26]
	v_fma_f64 v[17:18], v[21:22], v[17:18], v[23:24]
	v_add_f64 v[23:24], v[25:26], v[17:18]
	v_add_f64 v[27:28], -v[23:24], 1.0
	v_add_f64 v[25:26], v[23:24], -v[25:26]
	v_add_f64 v[29:30], -v[27:28], 1.0
	v_add_f64 v[17:18], v[25:26], -v[17:18]
	v_add_f64 v[23:24], v[29:30], -v[23:24]
	v_add_f64 v[17:18], v[17:18], v[23:24]
	v_add_f64 v[17:18], v[27:28], v[17:18]
	v_mul_f64 v[17:18], v[21:22], v[17:18]
	v_add_f64 v[17:18], v[21:22], v[17:18]
	v_xor_b32_e32 v7, 0x80000000, v18
	v_cndmask_b32_e32 v3, v17, v19, vcc_lo
	v_cndmask_b32_e32 v7, v7, v20, vcc_lo
	v_xor_b32_e32 v7, v7, v11
	v_cndmask_b32_e64 v11, 0, v3, s0
	v_cndmask_b32_e64 v12, 0x7ff80000, v7, s0
	v_div_scale_f64 v[17:18], null, v[11:12], v[11:12], s[10:11]
	v_div_scale_f64 v[23:24], vcc_lo, s[10:11], v[11:12], s[10:11]
	v_rcp_f64_e32 v[19:20], v[17:18]
	v_fma_f64 v[21:22], -v[17:18], v[19:20], 1.0
	v_fma_f64 v[19:20], v[19:20], v[21:22], v[19:20]
	v_fma_f64 v[21:22], -v[17:18], v[19:20], 1.0
	v_fma_f64 v[19:20], v[19:20], v[21:22], v[19:20]
	v_mul_f64 v[21:22], v[23:24], v[19:20]
	v_fma_f64 v[17:18], -v[17:18], v[21:22], v[23:24]
	v_div_fmas_f64 v[17:18], v[17:18], v[19:20], v[21:22]
	v_div_fixup_f64 v[17:18], v[17:18], v[11:12], s[10:11]
.LBB9_1838:
	s_or_b32 exec_lo, exec_lo, s6
	s_orn2_b32 s1, s1, exec_lo
.LBB9_1839:
	s_or_b32 exec_lo, exec_lo, s5
	v_mov_b32_e32 v12, 0
	v_mov_b32_e32 v13, 0x7ff80000
	s_and_saveexec_b32 s0, s1
	s_cbranch_execz .LBB9_1851
; %bb.1840:
	s_mov_b32 s1, exec_lo
	v_cmpx_gt_f64_e32 0x40240000, v[15:16]
	s_cbranch_execz .LBB9_1844
; %bb.1841:
	s_mov_b32 s5, 0
.LBB9_1842:                             ; =>This Inner Loop Header: Depth=1
	v_div_scale_f64 v[11:12], null, v[15:16], v[15:16], 1.0
	v_div_scale_f64 v[23:24], vcc_lo, 1.0, v[15:16], 1.0
	v_rcp_f64_e32 v[19:20], v[11:12]
	v_fma_f64 v[21:22], -v[11:12], v[19:20], 1.0
	v_fma_f64 v[19:20], v[19:20], v[21:22], v[19:20]
	v_fma_f64 v[21:22], -v[11:12], v[19:20], 1.0
	v_fma_f64 v[19:20], v[19:20], v[21:22], v[19:20]
	v_mul_f64 v[21:22], v[23:24], v[19:20]
	v_fma_f64 v[11:12], -v[11:12], v[21:22], v[23:24]
	v_div_fmas_f64 v[11:12], v[11:12], v[19:20], v[21:22]
	v_div_fixup_f64 v[11:12], v[11:12], v[15:16], 1.0
	v_add_f64 v[15:16], v[15:16], 1.0
	v_add_f64 v[17:18], v[17:18], -v[11:12]
	v_cmp_ngt_f64_e32 vcc_lo, 0x40240000, v[15:16]
	s_or_b32 s5, vcc_lo, s5
	s_andn2_b32 exec_lo, exec_lo, s5
	s_cbranch_execnz .LBB9_1842
; %bb.1843:
	s_or_b32 exec_lo, exec_lo, s5
.LBB9_1844:
	s_or_b32 exec_lo, exec_lo, s1
	s_mov_b32 s1, exec_lo
                                        ; implicit-def: $vgpr12_vgpr13
	v_cmpx_neq_f64_e32 0x40240000, v[15:16]
	s_xor_b32 s1, exec_lo, s1
	s_cbranch_execz .LBB9_1848
; %bb.1845:
	v_mov_b32_e32 v11, 0
	v_mov_b32_e32 v12, 0
	s_mov_b32 s6, 0x85d8a000
	s_mov_b32 s7, 0x43763457
	s_mov_b32 s5, exec_lo
	v_cmpx_gt_f64_e32 s[6:7], v[15:16]
	s_cbranch_execz .LBB9_1847
; %bb.1846:
	v_mul_f64 v[11:12], v[15:16], v[15:16]
	s_mov_b32 s6, 0x55555555
	s_mov_b32 s7, 0x3fb55555
	;; [unrolled: 1-line block ×6, first 2 shown]
	v_div_scale_f64 v[19:20], null, v[11:12], v[11:12], 1.0
	v_rcp_f64_e32 v[21:22], v[19:20]
	v_fma_f64 v[23:24], -v[19:20], v[21:22], 1.0
	v_fma_f64 v[21:22], v[21:22], v[23:24], v[21:22]
	v_fma_f64 v[23:24], -v[19:20], v[21:22], 1.0
	v_fma_f64 v[21:22], v[21:22], v[23:24], v[21:22]
	v_div_scale_f64 v[23:24], vcc_lo, 1.0, v[11:12], 1.0
	v_mul_f64 v[25:26], v[23:24], v[21:22]
	v_fma_f64 v[19:20], -v[19:20], v[25:26], v[23:24]
	v_div_fmas_f64 v[19:20], v[19:20], v[21:22], v[25:26]
	v_div_fixup_f64 v[11:12], v[19:20], v[11:12], 1.0
	v_fma_f64 v[19:20], v[11:12], 0, s[6:7]
	v_fma_f64 v[19:20], v[11:12], v[19:20], s[10:11]
	s_mov_b32 s10, 0xf07c1f08
	s_mov_b32 s11, 0x3f7f07c1
	v_fma_f64 v[19:20], v[11:12], v[19:20], s[10:11]
	s_mov_b32 s11, 0xbf711111
	s_mov_b32 s10, 0x11111111
	v_fma_f64 v[19:20], v[11:12], v[19:20], s[10:11]
	s_mov_b32 s11, 0xbf811111
	v_fma_f64 v[19:20], v[11:12], v[19:20], s[14:15]
	v_fma_f64 v[19:20], v[11:12], v[19:20], s[10:11]
	;; [unrolled: 1-line block ×3, first 2 shown]
	v_mul_f64 v[11:12], v[11:12], v[19:20]
.LBB9_1847:
	s_or_b32 exec_lo, exec_lo, s5
	v_frexp_mant_f64_e32 v[19:20], v[15:16]
	s_mov_b32 s7, 0x3fe55555
	s_mov_b32 s6, 0x55555555
	s_mov_b32 s10, 0x6b47b09a
	s_mov_b32 s14, 0xbf559e2b
	s_mov_b32 s11, 0x3fc38538
	s_mov_b32 s15, 0x3fc3ab76
	v_div_scale_f64 v[35:36], null, v[15:16], v[15:16], -0.5
	v_cmp_gt_f64_e32 vcc_lo, s[6:7], v[19:20]
	s_mov_b32 s6, 0x55555780
	v_rcp_f64_e32 v[39:40], v[35:36]
	v_cndmask_b32_e64 v3, 0, 1, vcc_lo
	v_ldexp_f64 v[19:20], v[19:20], v3
	v_frexp_exp_i32_f64_e32 v3, v[15:16]
	v_add_f64 v[21:22], v[19:20], 1.0
	v_add_f64 v[27:28], v[19:20], -1.0
	v_subrev_co_ci_u32_e64 v3, null, 0, v3, vcc_lo
	v_rcp_f64_e32 v[23:24], v[21:22]
	v_add_f64 v[29:30], v[21:22], -1.0
	v_add_f64 v[19:20], v[19:20], -v[29:30]
	v_fma_f64 v[25:26], -v[21:22], v[23:24], 1.0
	v_fma_f64 v[23:24], v[25:26], v[23:24], v[23:24]
	v_fma_f64 v[25:26], -v[21:22], v[23:24], 1.0
	v_fma_f64 v[23:24], v[25:26], v[23:24], v[23:24]
	v_mul_f64 v[25:26], v[27:28], v[23:24]
	v_mul_f64 v[31:32], v[21:22], v[25:26]
	v_fma_f64 v[21:22], v[25:26], v[21:22], -v[31:32]
	v_fma_f64 v[19:20], v[25:26], v[19:20], v[21:22]
	v_add_f64 v[21:22], v[31:32], v[19:20]
	v_add_f64 v[29:30], v[27:28], -v[21:22]
	v_add_f64 v[31:32], v[21:22], -v[31:32]
	;; [unrolled: 1-line block ×5, first 2 shown]
	v_add_f64 v[19:20], v[19:20], v[21:22]
	v_add_f64 v[19:20], v[29:30], v[19:20]
	v_mul_f64 v[19:20], v[23:24], v[19:20]
	v_add_f64 v[21:22], v[25:26], v[19:20]
	v_mul_f64 v[23:24], v[21:22], v[21:22]
	v_fma_f64 v[27:28], v[23:24], s[14:15], s[10:11]
	s_mov_b32 s10, 0xd7f4df2e
	s_mov_b32 s11, 0x3fc7474d
	v_mul_f64 v[29:30], v[21:22], v[23:24]
	v_fma_f64 v[27:28], v[23:24], v[27:28], s[10:11]
	s_mov_b32 s10, 0x16291751
	s_mov_b32 s11, 0x3fcc71c0
	v_fma_f64 v[27:28], v[23:24], v[27:28], s[10:11]
	s_mov_b32 s10, 0x9b27acf1
	s_mov_b32 s11, 0x3fd24924
	;; [unrolled: 3-line block ×3, first 2 shown]
	v_fma_f64 v[27:28], v[23:24], v[27:28], s[10:11]
	v_fma_f64 v[23:24], v[23:24], v[27:28], s[6:7]
	v_ldexp_f64 v[27:28], v[21:22], 1
	v_add_f64 v[21:22], v[21:22], -v[25:26]
	s_mov_b32 s6, 0xfefa39ef
	s_mov_b32 s7, 0x3fe62e42
	v_mul_f64 v[23:24], v[29:30], v[23:24]
	v_cvt_f64_i32_e32 v[29:30], v3
	v_add_f64 v[19:20], v[19:20], -v[21:22]
	v_add_f64 v[25:26], v[27:28], v[23:24]
	v_mul_f64 v[31:32], v[29:30], s[6:7]
	v_ldexp_f64 v[19:20], v[19:20], 1
	v_add_f64 v[21:22], v[25:26], -v[27:28]
	v_fma_f64 v[27:28], v[29:30], s[6:7], -v[31:32]
	s_mov_b32 s6, 0x3b39803f
	s_mov_b32 s7, 0x3c7abc9e
	v_add_f64 v[21:22], v[23:24], -v[21:22]
	v_fma_f64 v[23:24], v[29:30], s[6:7], v[27:28]
	v_add_f64 v[19:20], v[19:20], v[21:22]
	v_add_f64 v[21:22], v[31:32], v[23:24]
	;; [unrolled: 1-line block ×3, first 2 shown]
	v_add_f64 v[31:32], v[21:22], -v[31:32]
	v_add_f64 v[29:30], v[21:22], v[27:28]
	v_add_f64 v[25:26], v[27:28], -v[25:26]
	v_add_f64 v[23:24], v[23:24], -v[31:32]
	;; [unrolled: 1-line block ×6, first 2 shown]
	v_fma_f64 v[27:28], -v[35:36], v[39:40], 1.0
	v_add_f64 v[31:32], v[23:24], v[19:20]
	v_add_f64 v[21:22], v[21:22], -v[37:38]
	v_add_f64 v[21:22], v[25:26], v[21:22]
	v_fma_f64 v[25:26], v[39:40], v[27:28], v[39:40]
	v_add_f64 v[27:28], v[31:32], -v[23:24]
	v_div_scale_f64 v[39:40], vcc_lo, -0.5, v[15:16], -0.5
	v_add_f64 v[21:22], v[31:32], v[21:22]
	v_fma_f64 v[33:34], -v[35:36], v[25:26], 1.0
	v_add_f64 v[31:32], v[31:32], -v[27:28]
	v_add_f64 v[19:20], v[19:20], -v[27:28]
	v_add_f64 v[37:38], v[29:30], v[21:22]
	v_fma_f64 v[25:26], v[25:26], v[33:34], v[25:26]
	v_add_f64 v[23:24], v[23:24], -v[31:32]
	v_add_f64 v[27:28], v[37:38], -v[29:30]
	v_mul_f64 v[29:30], v[39:40], v[25:26]
	v_add_f64 v[19:20], v[19:20], v[23:24]
	v_add_f64 v[21:22], v[21:22], -v[27:28]
	v_fma_f64 v[23:24], -v[35:36], v[29:30], v[39:40]
	v_add_f64 v[19:20], v[19:20], v[21:22]
	v_div_fmas_f64 v[21:22], v[23:24], v[25:26], v[29:30]
	v_cmp_class_f64_e64 vcc_lo, v[15:16], 0x204
	v_add_f64 v[19:20], v[37:38], v[19:20]
	v_div_fixup_f64 v[21:22], v[21:22], v[15:16], -0.5
	v_cndmask_b32_e32 v16, v20, v16, vcc_lo
	v_cndmask_b32_e32 v15, v19, v15, vcc_lo
	v_add_f64 v[15:16], v[15:16], v[21:22]
	v_add_f64 v[11:12], v[15:16], -v[11:12]
	v_add_f64 v[12:13], v[17:18], v[11:12]
                                        ; implicit-def: $vgpr17_vgpr18
.LBB9_1848:
	s_andn2_saveexec_b32 s1, s1
; %bb.1849:
	s_mov_b32 s6, 0xdc85cc95
	s_mov_b32 s7, 0x40020396
	v_add_f64 v[12:13], v[17:18], s[6:7]
; %bb.1850:
	s_or_b32 exec_lo, exec_lo, s1
.LBB9_1851:
	s_or_b32 exec_lo, exec_lo, s0
                                        ; implicit-def: $vgpr15_vgpr16
.LBB9_1852:
	s_andn2_saveexec_b32 s0, s4
; %bb.1853:
	v_xor_b32_e32 v3, 0x80000000, v16
	s_mov_b32 s1, 0x7ff00000
	v_mov_b32_e32 v12, 0
	v_bfi_b32 v13, 0x7fffffff, s1, v3
; %bb.1854:
	s_or_b32 exec_lo, exec_lo, s0
	v_add_co_u32 v15, s0, s8, v2
	v_add_co_ci_u32_e64 v16, null, s9, 0, s0
	s_bfe_u32 s1, s3, 0x80008
	s_cmp_lt_i32 s1, 11
	s_cbranch_scc1 .LBB9_1977
; %bb.1855:
	s_and_b32 s4, 0xffff, s1
	s_mov_b32 s7, -1
	s_mov_b32 s5, 0
	s_cmp_gt_i32 s4, 25
	s_mov_b32 s6, 0
	s_mov_b32 s0, 0
	s_cbranch_scc0 .LBB9_1888
; %bb.1856:
	s_cmp_gt_i32 s4, 28
	s_cbranch_scc0 .LBB9_1871
; %bb.1857:
	s_cmp_gt_i32 s4, 43
	s_cbranch_scc0 .LBB9_1867
; %bb.1858:
	s_cmp_gt_i32 s4, 45
	s_cbranch_scc0 .LBB9_1861
; %bb.1859:
	s_mov_b32 s0, -1
	s_mov_b32 s7, 0
	s_cmp_eq_u32 s4, 46
	s_cbranch_scc0 .LBB9_1861
; %bb.1860:
	v_cvt_f32_f64_e32 v2, v[0:1]
	s_mov_b32 s0, 0
	s_mov_b32 s6, -1
	v_bfe_u32 v3, v2, 16, 1
	v_cmp_o_f32_e32 vcc_lo, v2, v2
	v_add3_u32 v2, v2, v3, 0x7fff
	v_mov_b32_e32 v3, 0x7fc0
	v_cndmask_b32_sdwa v2, v3, v2, vcc_lo dst_sel:DWORD dst_unused:UNUSED_PAD src0_sel:DWORD src1_sel:WORD_1
	global_store_dword v[15:16], v2, off
.LBB9_1861:
	s_and_b32 vcc_lo, exec_lo, s7
	s_cbranch_vccz .LBB9_1866
; %bb.1862:
	s_cmp_eq_u32 s4, 44
	s_mov_b32 s0, -1
	s_cbranch_scc0 .LBB9_1866
; %bb.1863:
	v_cvt_f32_f64_e32 v2, v[0:1]
	v_mov_b32_e32 v3, 0xff
	s_mov_b32 s6, exec_lo
	v_bfe_u32 v7, v2, 23, 8
	v_cmpx_ne_u32_e32 0xff, v7
	s_cbranch_execz .LBB9_1865
; %bb.1864:
	v_and_b32_e32 v3, 0x400000, v2
	v_and_or_b32 v7, 0x3fffff, v2, v7
	v_lshrrev_b32_e32 v2, 23, v2
	v_cmp_ne_u32_e32 vcc_lo, 0, v3
	v_cmp_ne_u32_e64 s0, 0, v7
	s_and_b32 s0, vcc_lo, s0
	v_cndmask_b32_e64 v3, 0, 1, s0
	v_add_nc_u32_e32 v3, v2, v3
.LBB9_1865:
	s_or_b32 exec_lo, exec_lo, s6
	s_mov_b32 s0, 0
	s_mov_b32 s6, -1
	global_store_byte v[15:16], v3, off
.LBB9_1866:
	s_mov_b32 s7, 0
.LBB9_1867:
	s_and_b32 vcc_lo, exec_lo, s7
	s_cbranch_vccz .LBB9_1870
; %bb.1868:
	s_cmp_eq_u32 s4, 29
	s_mov_b32 s0, -1
	s_cbranch_scc0 .LBB9_1870
; %bb.1869:
	v_trunc_f64_e32 v[2:3], v[0:1]
	s_mov_b32 s0, 0
	s_mov_b32 s6, -1
	v_ldexp_f64 v[17:18], v[2:3], 0xffffffe0
	v_floor_f64_e32 v[17:18], v[17:18]
	v_fma_f64 v[2:3], 0xc1f00000, v[17:18], v[2:3]
	v_cvt_u32_f64_e32 v18, v[17:18]
	v_cvt_u32_f64_e32 v17, v[2:3]
	global_store_dwordx2 v[15:16], v[17:18], off
.LBB9_1870:
	s_mov_b32 s7, 0
.LBB9_1871:
	s_and_b32 vcc_lo, exec_lo, s7
	s_cbranch_vccz .LBB9_1887
; %bb.1872:
	s_cmp_lt_i32 s4, 27
	s_mov_b32 s6, -1
	s_cbranch_scc1 .LBB9_1878
; %bb.1873:
	v_cvt_u32_f64_e32 v2, v[0:1]
	s_cmp_gt_i32 s4, 27
	s_cbranch_scc0 .LBB9_1875
; %bb.1874:
	s_mov_b32 s6, 0
	global_store_dword v[15:16], v2, off
.LBB9_1875:
	s_andn2_b32 vcc_lo, exec_lo, s6
	s_cbranch_vccnz .LBB9_1877
; %bb.1876:
	global_store_short v[15:16], v2, off
.LBB9_1877:
	s_mov_b32 s6, 0
.LBB9_1878:
	s_andn2_b32 vcc_lo, exec_lo, s6
	s_cbranch_vccnz .LBB9_1886
; %bb.1879:
	v_cvt_f32_f64_e32 v2, v[0:1]
	v_mov_b32_e32 v7, 0x80
	s_mov_b32 s6, exec_lo
	v_and_b32_e32 v3, 0x7fffffff, v2
	v_cmpx_gt_u32_e32 0x43800000, v3
	s_cbranch_execz .LBB9_1885
; %bb.1880:
	v_cmp_lt_u32_e32 vcc_lo, 0x3bffffff, v3
	s_mov_b32 s7, 0
                                        ; implicit-def: $vgpr3
	s_and_saveexec_b32 s10, vcc_lo
	s_xor_b32 s10, exec_lo, s10
	s_cbranch_execz .LBB9_2335
; %bb.1881:
	v_bfe_u32 v3, v2, 20, 1
	s_mov_b32 s7, exec_lo
	v_add3_u32 v3, v2, v3, 0x487ffff
	v_lshrrev_b32_e32 v3, 20, v3
	s_andn2_saveexec_b32 s10, s10
	s_cbranch_execnz .LBB9_2336
.LBB9_1882:
	s_or_b32 exec_lo, exec_lo, s10
	v_mov_b32_e32 v7, 0
	s_and_saveexec_b32 s10, s7
.LBB9_1883:
	v_lshrrev_b32_e32 v2, 24, v2
	v_and_or_b32 v7, 0x80, v2, v3
.LBB9_1884:
	s_or_b32 exec_lo, exec_lo, s10
.LBB9_1885:
	s_or_b32 exec_lo, exec_lo, s6
	global_store_byte v[15:16], v7, off
.LBB9_1886:
	s_mov_b32 s6, -1
.LBB9_1887:
	s_mov_b32 s7, 0
.LBB9_1888:
	s_and_b32 vcc_lo, exec_lo, s7
	s_cbranch_vccz .LBB9_1928
; %bb.1889:
	s_cmp_gt_i32 s4, 22
	s_mov_b32 s5, -1
	s_cbranch_scc0 .LBB9_1921
; %bb.1890:
	s_cmp_lt_i32 s4, 24
	s_cbranch_scc1 .LBB9_1910
; %bb.1891:
	s_cmp_gt_i32 s4, 24
	s_cbranch_scc0 .LBB9_1899
; %bb.1892:
	v_cvt_f32_f64_e32 v2, v[0:1]
	v_mov_b32_e32 v7, 0x80
	s_mov_b32 s5, exec_lo
	v_and_b32_e32 v3, 0x7fffffff, v2
	v_cmpx_gt_u32_e32 0x47800000, v3
	s_cbranch_execz .LBB9_1898
; %bb.1893:
	v_cmp_lt_u32_e32 vcc_lo, 0x37ffffff, v3
	s_mov_b32 s6, 0
                                        ; implicit-def: $vgpr3
	s_and_saveexec_b32 s7, vcc_lo
	s_xor_b32 s7, exec_lo, s7
	s_cbranch_execz .LBB9_2338
; %bb.1894:
	v_bfe_u32 v3, v2, 21, 1
	s_mov_b32 s6, exec_lo
	v_add3_u32 v3, v2, v3, 0x88fffff
	v_lshrrev_b32_e32 v3, 21, v3
	s_andn2_saveexec_b32 s7, s7
	s_cbranch_execnz .LBB9_2339
.LBB9_1895:
	s_or_b32 exec_lo, exec_lo, s7
	v_mov_b32_e32 v7, 0
	s_and_saveexec_b32 s7, s6
.LBB9_1896:
	v_lshrrev_b32_e32 v2, 24, v2
	v_and_or_b32 v7, 0x80, v2, v3
.LBB9_1897:
	s_or_b32 exec_lo, exec_lo, s7
.LBB9_1898:
	s_or_b32 exec_lo, exec_lo, s5
	s_mov_b32 s5, 0
	global_store_byte v[15:16], v7, off
.LBB9_1899:
	s_and_b32 vcc_lo, exec_lo, s5
	s_cbranch_vccz .LBB9_1909
; %bb.1900:
	v_cvt_f32_f64_e32 v2, v[0:1]
	s_mov_b32 s5, exec_lo
                                        ; implicit-def: $vgpr3
	v_and_b32_e32 v7, 0x7fffffff, v2
	v_cmpx_gt_u32_e32 0x43f00000, v7
	s_xor_b32 s5, exec_lo, s5
	s_cbranch_execz .LBB9_1906
; %bb.1901:
	s_mov_b32 s6, exec_lo
                                        ; implicit-def: $vgpr3
	v_cmpx_lt_u32_e32 0x3c7fffff, v7
	s_xor_b32 s6, exec_lo, s6
; %bb.1902:
	v_bfe_u32 v3, v2, 20, 1
	v_add3_u32 v3, v2, v3, 0x407ffff
	v_and_b32_e32 v7, 0xff00000, v3
	v_lshrrev_b32_e32 v3, 20, v3
	v_cmp_ne_u32_e32 vcc_lo, 0x7f00000, v7
	v_cndmask_b32_e32 v3, 0x7e, v3, vcc_lo
; %bb.1903:
	s_andn2_saveexec_b32 s6, s6
; %bb.1904:
	v_add_f32_e64 v3, 0x46800000, |v2|
; %bb.1905:
	s_or_b32 exec_lo, exec_lo, s6
                                        ; implicit-def: $vgpr7
.LBB9_1906:
	s_andn2_saveexec_b32 s5, s5
; %bb.1907:
	v_mov_b32_e32 v3, 0x7f
	v_cmp_lt_u32_e32 vcc_lo, 0x7f800000, v7
	v_cndmask_b32_e32 v3, 0x7e, v3, vcc_lo
; %bb.1908:
	s_or_b32 exec_lo, exec_lo, s5
	v_lshrrev_b32_e32 v2, 24, v2
	v_and_or_b32 v2, 0x80, v2, v3
	global_store_byte v[15:16], v2, off
.LBB9_1909:
	s_mov_b32 s5, 0
.LBB9_1910:
	s_andn2_b32 vcc_lo, exec_lo, s5
	s_cbranch_vccnz .LBB9_1920
; %bb.1911:
	v_cvt_f32_f64_e32 v2, v[0:1]
	s_mov_b32 s5, exec_lo
                                        ; implicit-def: $vgpr3
	v_and_b32_e32 v7, 0x7fffffff, v2
	v_cmpx_gt_u32_e32 0x47800000, v7
	s_xor_b32 s5, exec_lo, s5
	s_cbranch_execz .LBB9_1917
; %bb.1912:
	s_mov_b32 s6, exec_lo
                                        ; implicit-def: $vgpr3
	v_cmpx_lt_u32_e32 0x387fffff, v7
	s_xor_b32 s6, exec_lo, s6
; %bb.1913:
	v_bfe_u32 v3, v2, 21, 1
	v_add3_u32 v3, v2, v3, 0x80fffff
	v_lshrrev_b32_e32 v3, 21, v3
; %bb.1914:
	s_andn2_saveexec_b32 s6, s6
; %bb.1915:
	v_add_f32_e64 v3, 0x43000000, |v2|
; %bb.1916:
	s_or_b32 exec_lo, exec_lo, s6
                                        ; implicit-def: $vgpr7
.LBB9_1917:
	s_andn2_saveexec_b32 s5, s5
; %bb.1918:
	v_mov_b32_e32 v3, 0x7f
	v_cmp_lt_u32_e32 vcc_lo, 0x7f800000, v7
	v_cndmask_b32_e32 v3, 0x7c, v3, vcc_lo
; %bb.1919:
	s_or_b32 exec_lo, exec_lo, s5
	v_lshrrev_b32_e32 v2, 24, v2
	v_and_or_b32 v2, 0x80, v2, v3
	global_store_byte v[15:16], v2, off
.LBB9_1920:
	s_mov_b32 s5, 0
	s_mov_b32 s6, -1
.LBB9_1921:
	s_andn2_b32 vcc_lo, exec_lo, s5
	s_mov_b32 s5, 0
	s_cbranch_vccnz .LBB9_1928
; %bb.1922:
	s_cmp_gt_i32 s4, 14
	s_mov_b32 s5, -1
	s_cbranch_scc0 .LBB9_1926
; %bb.1923:
	s_cmp_eq_u32 s4, 15
	s_mov_b32 s0, -1
	s_cbranch_scc0 .LBB9_1925
; %bb.1924:
	v_cvt_f32_f64_e32 v2, v[0:1]
	s_mov_b32 s0, 0
	s_mov_b32 s6, -1
	v_bfe_u32 v3, v2, 16, 1
	v_cmp_o_f32_e32 vcc_lo, v2, v2
	v_add3_u32 v2, v2, v3, 0x7fff
	v_mov_b32_e32 v3, 0x7fc0
	v_cndmask_b32_sdwa v2, v3, v2, vcc_lo dst_sel:DWORD dst_unused:UNUSED_PAD src0_sel:DWORD src1_sel:WORD_1
	global_store_short v[15:16], v2, off
.LBB9_1925:
	s_mov_b32 s5, 0
.LBB9_1926:
	s_and_b32 vcc_lo, exec_lo, s5
	s_mov_b32 s5, 0
	s_cbranch_vccz .LBB9_1928
; %bb.1927:
	s_cmp_lg_u32 s4, 11
	s_mov_b32 s5, -1
	s_cselect_b32 s0, -1, 0
.LBB9_1928:
	s_and_b32 vcc_lo, exec_lo, s0
	s_cbranch_vccnz .LBB9_2337
; %bb.1929:
	s_andn2_b32 vcc_lo, exec_lo, s5
	s_cbranch_vccnz .LBB9_1931
.LBB9_1930:
	v_cmp_neq_f64_e32 vcc_lo, 0, v[0:1]
	s_mov_b32 s6, -1
	v_cndmask_b32_e64 v2, 0, 1, vcc_lo
	global_store_byte v[15:16], v2, off
.LBB9_1931:
	s_mov_b32 s0, 0
	s_branch .LBB9_1978
.LBB9_1932:
	s_mov_b32 s0, 0
	s_mov_b32 s4, 0
                                        ; implicit-def: $vgpr0_vgpr1
                                        ; implicit-def: $sgpr1
                                        ; implicit-def: $vgpr12_vgpr13
.LBB9_1933:
	s_andn2_b32 s3, s12, exec_lo
	s_and_b32 s2, s2, exec_lo
	s_and_b32 s0, s0, exec_lo
	;; [unrolled: 1-line block ×3, first 2 shown]
	s_or_b32 s12, s3, s2
.LBB9_1934:
	s_or_b32 exec_lo, exec_lo, s13
	s_and_saveexec_b32 s2, s12
	s_cbranch_execz .LBB9_1937
; %bb.1935:
	; divergent unreachable
	s_or_b32 exec_lo, exec_lo, s2
	s_and_saveexec_b32 s2, s26
	s_xor_b32 s2, exec_lo, s2
	s_cbranch_execnz .LBB9_1938
.LBB9_1936:
	s_or_b32 exec_lo, exec_lo, s2
	s_and_saveexec_b32 s2, s0
	s_cbranch_execnz .LBB9_1939
	s_branch .LBB9_1976
.LBB9_1937:
	s_or_b32 exec_lo, exec_lo, s2
	s_and_saveexec_b32 s2, s26
	s_xor_b32 s2, exec_lo, s2
	s_cbranch_execz .LBB9_1936
.LBB9_1938:
	s_waitcnt vmcnt(0)
	v_cmp_neq_f64_e32 vcc_lo, 0, v[12:13]
	v_cndmask_b32_e64 v2, 0, 1, vcc_lo
	global_store_byte v[0:1], v2, off
	s_or_b32 exec_lo, exec_lo, s2
	s_and_saveexec_b32 s2, s0
	s_cbranch_execz .LBB9_1976
.LBB9_1939:
	s_sext_i32_i16 s2, s1
	s_mov_b32 s0, -1
	s_cmp_lt_i32 s2, 5
	s_cbranch_scc1 .LBB9_1960
; %bb.1940:
	s_cmp_lt_i32 s2, 8
	s_cbranch_scc1 .LBB9_1950
; %bb.1941:
	;; [unrolled: 3-line block ×3, first 2 shown]
	s_cmp_gt_i32 s2, 9
	s_cbranch_scc0 .LBB9_1944
; %bb.1943:
	v_mov_b32_e32 v14, 0
	s_mov_b32 s0, 0
	s_waitcnt vmcnt(0)
	v_mov_b32_e32 v15, v14
	global_store_dwordx4 v[0:1], v[12:15], off
.LBB9_1944:
	s_andn2_b32 vcc_lo, exec_lo, s0
	s_cbranch_vccnz .LBB9_1946
; %bb.1945:
	s_waitcnt vmcnt(0)
	v_cvt_f32_f64_e32 v2, v[12:13]
	v_mov_b32_e32 v3, 0
	global_store_dwordx2 v[0:1], v[2:3], off
.LBB9_1946:
	s_mov_b32 s0, 0
.LBB9_1947:
	s_andn2_b32 vcc_lo, exec_lo, s0
	s_cbranch_vccnz .LBB9_1949
; %bb.1948:
	s_waitcnt vmcnt(0)
	v_and_or_b32 v2, 0x1ff, v13, v12
	v_lshrrev_b32_e32 v3, 8, v13
	v_bfe_u32 v4, v13, 20, 11
	v_cmp_ne_u32_e32 vcc_lo, 0, v2
	v_sub_nc_u32_e32 v5, 0x3f1, v4
	v_add_nc_u32_e32 v4, 0xfffffc10, v4
	v_cndmask_b32_e64 v2, 0, 1, vcc_lo
	v_and_or_b32 v2, 0xffe, v3, v2
	v_med3_i32 v3, v5, 0, 13
	v_or_b32_e32 v5, 0x1000, v2
	v_lshrrev_b32_e32 v6, v3, v5
	v_lshlrev_b32_e32 v3, v3, v6
	v_cmp_ne_u32_e32 vcc_lo, v3, v5
	v_lshl_or_b32 v5, v4, 12, v2
	v_cndmask_b32_e64 v3, 0, 1, vcc_lo
	v_cmp_gt_i32_e32 vcc_lo, 1, v4
	v_or_b32_e32 v3, v6, v3
	v_cndmask_b32_e32 v3, v5, v3, vcc_lo
	v_and_b32_e32 v5, 7, v3
	v_lshrrev_b32_e32 v3, 2, v3
	v_cmp_lt_i32_e32 vcc_lo, 5, v5
	v_cndmask_b32_e64 v6, 0, 1, vcc_lo
	v_cmp_eq_u32_e32 vcc_lo, 3, v5
	v_cndmask_b32_e64 v5, 0, 1, vcc_lo
	v_cmp_ne_u32_e32 vcc_lo, 0, v2
	v_or_b32_e32 v5, v5, v6
	v_mov_b32_e32 v6, 0x7e00
	v_add_nc_u32_e32 v3, v3, v5
	v_cndmask_b32_e32 v2, 0x7c00, v6, vcc_lo
	v_cmp_gt_i32_e32 vcc_lo, 31, v4
	v_cndmask_b32_e32 v3, 0x7c00, v3, vcc_lo
	v_cmp_eq_u32_e32 vcc_lo, 0x40f, v4
	v_cndmask_b32_e32 v2, v3, v2, vcc_lo
	v_lshrrev_b32_e32 v3, 16, v13
	v_and_or_b32 v2, 0x8000, v3, v2
	v_and_b32_e32 v2, 0xffff, v2
	global_store_dword v[0:1], v2, off
.LBB9_1949:
	s_mov_b32 s0, 0
.LBB9_1950:
	s_andn2_b32 vcc_lo, exec_lo, s0
	s_cbranch_vccnz .LBB9_1959
; %bb.1951:
	s_sext_i32_i16 s2, s1
	s_mov_b32 s0, -1
	s_cmp_lt_i32 s2, 6
	s_cbranch_scc1 .LBB9_1957
; %bb.1952:
	s_cmp_gt_i32 s2, 6
	s_cbranch_scc0 .LBB9_1954
; %bb.1953:
	s_mov_b32 s0, 0
	s_waitcnt vmcnt(0)
	global_store_dwordx2 v[0:1], v[12:13], off
.LBB9_1954:
	s_andn2_b32 vcc_lo, exec_lo, s0
	s_cbranch_vccnz .LBB9_1956
; %bb.1955:
	s_waitcnt vmcnt(0)
	v_cvt_f32_f64_e32 v2, v[12:13]
	global_store_dword v[0:1], v2, off
.LBB9_1956:
	s_mov_b32 s0, 0
.LBB9_1957:
	s_andn2_b32 vcc_lo, exec_lo, s0
	s_cbranch_vccnz .LBB9_1959
; %bb.1958:
	s_waitcnt vmcnt(0)
	v_and_or_b32 v2, 0x1ff, v13, v12
	v_lshrrev_b32_e32 v3, 8, v13
	v_bfe_u32 v4, v13, 20, 11
	v_cmp_ne_u32_e32 vcc_lo, 0, v2
	v_sub_nc_u32_e32 v5, 0x3f1, v4
	v_add_nc_u32_e32 v4, 0xfffffc10, v4
	v_cndmask_b32_e64 v2, 0, 1, vcc_lo
	v_and_or_b32 v2, 0xffe, v3, v2
	v_med3_i32 v3, v5, 0, 13
	v_or_b32_e32 v5, 0x1000, v2
	v_lshrrev_b32_e32 v6, v3, v5
	v_lshlrev_b32_e32 v3, v3, v6
	v_cmp_ne_u32_e32 vcc_lo, v3, v5
	v_lshl_or_b32 v5, v4, 12, v2
	v_cndmask_b32_e64 v3, 0, 1, vcc_lo
	v_cmp_gt_i32_e32 vcc_lo, 1, v4
	v_or_b32_e32 v3, v6, v3
	v_cndmask_b32_e32 v3, v5, v3, vcc_lo
	v_and_b32_e32 v5, 7, v3
	v_lshrrev_b32_e32 v3, 2, v3
	v_cmp_lt_i32_e32 vcc_lo, 5, v5
	v_cndmask_b32_e64 v6, 0, 1, vcc_lo
	v_cmp_eq_u32_e32 vcc_lo, 3, v5
	v_cndmask_b32_e64 v5, 0, 1, vcc_lo
	v_cmp_ne_u32_e32 vcc_lo, 0, v2
	v_or_b32_e32 v5, v5, v6
	v_mov_b32_e32 v6, 0x7e00
	v_add_nc_u32_e32 v3, v3, v5
	v_cndmask_b32_e32 v2, 0x7c00, v6, vcc_lo
	v_cmp_gt_i32_e32 vcc_lo, 31, v4
	v_cndmask_b32_e32 v3, 0x7c00, v3, vcc_lo
	v_cmp_eq_u32_e32 vcc_lo, 0x40f, v4
	v_cndmask_b32_e32 v2, v3, v2, vcc_lo
	v_lshrrev_b32_e32 v3, 16, v13
	v_and_or_b32 v2, 0x8000, v3, v2
	global_store_short v[0:1], v2, off
.LBB9_1959:
	s_mov_b32 s0, 0
.LBB9_1960:
	s_andn2_b32 vcc_lo, exec_lo, s0
	s_cbranch_vccnz .LBB9_1976
; %bb.1961:
	s_sext_i32_i16 s2, s1
	s_mov_b32 s0, -1
	s_cmp_lt_i32 s2, 2
	s_cbranch_scc1 .LBB9_1971
; %bb.1962:
	s_cmp_lt_i32 s2, 3
	s_cbranch_scc1 .LBB9_1968
; %bb.1963:
	s_cmp_gt_i32 s2, 3
	s_cbranch_scc0 .LBB9_1965
; %bb.1964:
	s_waitcnt vmcnt(0)
	v_trunc_f64_e32 v[2:3], v[12:13]
	s_mov_b32 s0, 0
	v_ldexp_f64 v[4:5], v[2:3], 0xffffffe0
	v_floor_f64_e32 v[4:5], v[4:5]
	v_fma_f64 v[2:3], 0xc1f00000, v[4:5], v[2:3]
	v_cvt_i32_f64_e32 v4, v[4:5]
	v_cvt_u32_f64_e32 v3, v[2:3]
	global_store_dwordx2 v[0:1], v[3:4], off
.LBB9_1965:
	s_andn2_b32 vcc_lo, exec_lo, s0
	s_cbranch_vccnz .LBB9_1967
; %bb.1966:
	s_waitcnt vmcnt(0)
	v_cvt_i32_f64_e32 v2, v[12:13]
	global_store_dword v[0:1], v2, off
.LBB9_1967:
	s_mov_b32 s0, 0
.LBB9_1968:
	s_andn2_b32 vcc_lo, exec_lo, s0
	s_cbranch_vccnz .LBB9_1970
; %bb.1969:
	s_waitcnt vmcnt(0)
	v_cvt_i32_f64_e32 v2, v[12:13]
	global_store_short v[0:1], v2, off
.LBB9_1970:
	s_mov_b32 s0, 0
.LBB9_1971:
	s_andn2_b32 vcc_lo, exec_lo, s0
	s_cbranch_vccnz .LBB9_1976
; %bb.1972:
	s_sext_i32_i16 s0, s1
	s_cmp_gt_i32 s0, 0
	s_mov_b32 s0, -1
	s_cbranch_scc0 .LBB9_1974
; %bb.1973:
	s_waitcnt vmcnt(0)
	v_cvt_i32_f64_e32 v2, v[12:13]
	s_mov_b32 s0, 0
	global_store_byte v[0:1], v2, off
.LBB9_1974:
	s_andn2_b32 vcc_lo, exec_lo, s0
	s_cbranch_vccnz .LBB9_1976
; %bb.1975:
	s_waitcnt vmcnt(0)
	v_trunc_f64_e32 v[2:3], v[12:13]
	v_ldexp_f64 v[4:5], v[2:3], 0xffffffe0
	v_floor_f64_e32 v[4:5], v[4:5]
	v_fma_f64 v[2:3], 0xc1f00000, v[4:5], v[2:3]
	v_cvt_u32_f64_e32 v2, v[2:3]
	global_store_byte v[0:1], v2, off
	s_endpgm
.LBB9_1976:
	s_endpgm
.LBB9_1977:
	s_mov_b32 s0, -1
	s_mov_b32 s6, 0
.LBB9_1978:
	s_and_b32 vcc_lo, exec_lo, s0
	s_cbranch_vccz .LBB9_2017
; %bb.1979:
	s_and_b32 s0, 0xffff, s1
	s_mov_b32 s1, -1
	s_cmp_lt_i32 s0, 5
	s_cbranch_scc1 .LBB9_2000
; %bb.1980:
	s_cmp_lt_i32 s0, 8
	s_cbranch_scc1 .LBB9_1990
; %bb.1981:
	;; [unrolled: 3-line block ×3, first 2 shown]
	s_cmp_gt_i32 s0, 9
	s_cbranch_scc0 .LBB9_1984
; %bb.1983:
	v_mov_b32_e32 v2, 0
	s_mov_b32 s1, 0
	v_mov_b32_e32 v3, v2
	global_store_dwordx4 v[15:16], v[0:3], off
.LBB9_1984:
	s_andn2_b32 vcc_lo, exec_lo, s1
	s_cbranch_vccnz .LBB9_1986
; %bb.1985:
	v_cvt_f32_f64_e32 v2, v[0:1]
	v_mov_b32_e32 v3, 0
	global_store_dwordx2 v[15:16], v[2:3], off
.LBB9_1986:
	s_mov_b32 s1, 0
.LBB9_1987:
	s_andn2_b32 vcc_lo, exec_lo, s1
	s_cbranch_vccnz .LBB9_1989
; %bb.1988:
	v_and_or_b32 v2, 0x1ff, v1, v0
	v_lshrrev_b32_e32 v3, 8, v1
	v_bfe_u32 v7, v1, 20, 11
	v_cmp_ne_u32_e32 vcc_lo, 0, v2
	v_sub_nc_u32_e32 v11, 0x3f1, v7
	v_add_nc_u32_e32 v7, 0xfffffc10, v7
	v_cndmask_b32_e64 v2, 0, 1, vcc_lo
	v_and_or_b32 v2, 0xffe, v3, v2
	v_med3_i32 v3, v11, 0, 13
	v_or_b32_e32 v11, 0x1000, v2
	v_lshrrev_b32_e32 v17, v3, v11
	v_lshlrev_b32_e32 v3, v3, v17
	v_cmp_ne_u32_e32 vcc_lo, v3, v11
	v_lshl_or_b32 v11, v7, 12, v2
	v_cndmask_b32_e64 v3, 0, 1, vcc_lo
	v_cmp_gt_i32_e32 vcc_lo, 1, v7
	v_or_b32_e32 v3, v17, v3
	v_cndmask_b32_e32 v3, v11, v3, vcc_lo
	v_and_b32_e32 v11, 7, v3
	v_lshrrev_b32_e32 v3, 2, v3
	v_cmp_lt_i32_e32 vcc_lo, 5, v11
	v_cndmask_b32_e64 v17, 0, 1, vcc_lo
	v_cmp_eq_u32_e32 vcc_lo, 3, v11
	v_cndmask_b32_e64 v11, 0, 1, vcc_lo
	v_cmp_ne_u32_e32 vcc_lo, 0, v2
	v_or_b32_e32 v11, v11, v17
	v_mov_b32_e32 v17, 0x7e00
	v_add_nc_u32_e32 v3, v3, v11
	v_cndmask_b32_e32 v2, 0x7c00, v17, vcc_lo
	v_cmp_gt_i32_e32 vcc_lo, 31, v7
	v_cndmask_b32_e32 v3, 0x7c00, v3, vcc_lo
	v_cmp_eq_u32_e32 vcc_lo, 0x40f, v7
	v_cndmask_b32_e32 v2, v3, v2, vcc_lo
	v_lshrrev_b32_e32 v3, 16, v1
	v_and_or_b32 v2, 0x8000, v3, v2
	v_and_b32_e32 v2, 0xffff, v2
	global_store_dword v[15:16], v2, off
.LBB9_1989:
	s_mov_b32 s1, 0
.LBB9_1990:
	s_andn2_b32 vcc_lo, exec_lo, s1
	s_cbranch_vccnz .LBB9_1999
; %bb.1991:
	s_cmp_lt_i32 s0, 6
	s_mov_b32 s1, -1
	s_cbranch_scc1 .LBB9_1997
; %bb.1992:
	s_cmp_gt_i32 s0, 6
	s_cbranch_scc0 .LBB9_1994
; %bb.1993:
	s_mov_b32 s1, 0
	global_store_dwordx2 v[15:16], v[0:1], off
.LBB9_1994:
	s_andn2_b32 vcc_lo, exec_lo, s1
	s_cbranch_vccnz .LBB9_1996
; %bb.1995:
	v_cvt_f32_f64_e32 v2, v[0:1]
	global_store_dword v[15:16], v2, off
.LBB9_1996:
	s_mov_b32 s1, 0
.LBB9_1997:
	s_andn2_b32 vcc_lo, exec_lo, s1
	s_cbranch_vccnz .LBB9_1999
; %bb.1998:
	v_and_or_b32 v2, 0x1ff, v1, v0
	v_lshrrev_b32_e32 v3, 8, v1
	v_bfe_u32 v7, v1, 20, 11
	v_cmp_ne_u32_e32 vcc_lo, 0, v2
	v_sub_nc_u32_e32 v11, 0x3f1, v7
	v_add_nc_u32_e32 v7, 0xfffffc10, v7
	v_cndmask_b32_e64 v2, 0, 1, vcc_lo
	v_and_or_b32 v2, 0xffe, v3, v2
	v_med3_i32 v3, v11, 0, 13
	v_or_b32_e32 v11, 0x1000, v2
	v_lshrrev_b32_e32 v17, v3, v11
	v_lshlrev_b32_e32 v3, v3, v17
	v_cmp_ne_u32_e32 vcc_lo, v3, v11
	v_lshl_or_b32 v11, v7, 12, v2
	v_cndmask_b32_e64 v3, 0, 1, vcc_lo
	v_cmp_gt_i32_e32 vcc_lo, 1, v7
	v_or_b32_e32 v3, v17, v3
	v_cndmask_b32_e32 v3, v11, v3, vcc_lo
	v_and_b32_e32 v11, 7, v3
	v_lshrrev_b32_e32 v3, 2, v3
	v_cmp_lt_i32_e32 vcc_lo, 5, v11
	v_cndmask_b32_e64 v17, 0, 1, vcc_lo
	v_cmp_eq_u32_e32 vcc_lo, 3, v11
	v_cndmask_b32_e64 v11, 0, 1, vcc_lo
	v_cmp_ne_u32_e32 vcc_lo, 0, v2
	v_or_b32_e32 v11, v11, v17
	v_mov_b32_e32 v17, 0x7e00
	v_add_nc_u32_e32 v3, v3, v11
	v_cndmask_b32_e32 v2, 0x7c00, v17, vcc_lo
	v_cmp_gt_i32_e32 vcc_lo, 31, v7
	v_cndmask_b32_e32 v3, 0x7c00, v3, vcc_lo
	v_cmp_eq_u32_e32 vcc_lo, 0x40f, v7
	v_cndmask_b32_e32 v2, v3, v2, vcc_lo
	v_lshrrev_b32_e32 v3, 16, v1
	v_and_or_b32 v2, 0x8000, v3, v2
	global_store_short v[15:16], v2, off
.LBB9_1999:
	s_mov_b32 s1, 0
.LBB9_2000:
	s_andn2_b32 vcc_lo, exec_lo, s1
	s_cbranch_vccnz .LBB9_2016
; %bb.2001:
	s_cmp_lt_i32 s0, 2
	s_mov_b32 s1, -1
	s_cbranch_scc1 .LBB9_2011
; %bb.2002:
	s_cmp_lt_i32 s0, 3
	s_cbranch_scc1 .LBB9_2008
; %bb.2003:
	s_cmp_gt_i32 s0, 3
	s_cbranch_scc0 .LBB9_2005
; %bb.2004:
	v_trunc_f64_e32 v[2:3], v[0:1]
	s_mov_b32 s1, 0
	v_ldexp_f64 v[17:18], v[2:3], 0xffffffe0
	v_floor_f64_e32 v[17:18], v[17:18]
	v_fma_f64 v[2:3], 0xc1f00000, v[17:18], v[2:3]
	v_cvt_i32_f64_e32 v18, v[17:18]
	v_cvt_u32_f64_e32 v17, v[2:3]
	global_store_dwordx2 v[15:16], v[17:18], off
.LBB9_2005:
	s_andn2_b32 vcc_lo, exec_lo, s1
	s_cbranch_vccnz .LBB9_2007
; %bb.2006:
	v_cvt_i32_f64_e32 v2, v[0:1]
	global_store_dword v[15:16], v2, off
.LBB9_2007:
	s_mov_b32 s1, 0
.LBB9_2008:
	s_andn2_b32 vcc_lo, exec_lo, s1
	s_cbranch_vccnz .LBB9_2010
; %bb.2009:
	v_cvt_i32_f64_e32 v2, v[0:1]
	global_store_short v[15:16], v2, off
.LBB9_2010:
	s_mov_b32 s1, 0
.LBB9_2011:
	s_andn2_b32 vcc_lo, exec_lo, s1
	s_cbranch_vccnz .LBB9_2016
; %bb.2012:
	s_cmp_gt_i32 s0, 0
	s_mov_b32 s0, -1
	s_cbranch_scc0 .LBB9_2014
; %bb.2013:
	v_cvt_i32_f64_e32 v2, v[0:1]
	s_mov_b32 s0, 0
	global_store_byte v[15:16], v2, off
.LBB9_2014:
	s_andn2_b32 vcc_lo, exec_lo, s0
	s_cbranch_vccnz .LBB9_2016
; %bb.2015:
	v_trunc_f64_e32 v[0:1], v[0:1]
	v_ldexp_f64 v[2:3], v[0:1], 0xffffffe0
	v_floor_f64_e32 v[2:3], v[2:3]
	v_fma_f64 v[0:1], 0xc1f00000, v[2:3], v[0:1]
	v_cvt_u32_f64_e32 v0, v[0:1]
	global_store_byte v[15:16], v0, off
.LBB9_2016:
	s_mov_b32 s6, -1
.LBB9_2017:
	s_andn2_b32 vcc_lo, exec_lo, s6
	s_cbranch_vccnz .LBB9_2332
; %bb.2018:
	s_lshr_b32 s0, s3, 8
	s_and_b32 s1, s0, 0xff
	v_add_co_u32 v0, s0, s8, v6
	v_add_co_ci_u32_e64 v1, null, s9, 0, s0
	s_cmp_lt_i32 s1, 11
	s_cbranch_scc1 .LBB9_2096
; %bb.2019:
	s_and_b32 s3, 0xffff, s1
	s_mov_b32 s6, -1
	s_mov_b32 s4, 0
	s_cmp_gt_i32 s3, 25
	s_mov_b32 s5, 0
	s_mov_b32 s0, 0
	s_cbranch_scc0 .LBB9_2052
; %bb.2020:
	s_cmp_gt_i32 s3, 28
	s_cbranch_scc0 .LBB9_2035
; %bb.2021:
	s_cmp_gt_i32 s3, 43
	;; [unrolled: 3-line block ×3, first 2 shown]
	s_cbranch_scc0 .LBB9_2025
; %bb.2023:
	s_mov_b32 s0, -1
	s_mov_b32 s6, 0
	s_cmp_eq_u32 s3, 46
	s_cbranch_scc0 .LBB9_2025
; %bb.2024:
	v_cvt_f32_f64_e32 v2, v[4:5]
	s_mov_b32 s0, 0
	s_mov_b32 s5, -1
	v_bfe_u32 v3, v2, 16, 1
	v_cmp_o_f32_e32 vcc_lo, v2, v2
	v_add3_u32 v2, v2, v3, 0x7fff
	v_mov_b32_e32 v3, 0x7fc0
	v_cndmask_b32_sdwa v2, v3, v2, vcc_lo dst_sel:DWORD dst_unused:UNUSED_PAD src0_sel:DWORD src1_sel:WORD_1
	global_store_dword v[0:1], v2, off
.LBB9_2025:
	s_and_b32 vcc_lo, exec_lo, s6
	s_cbranch_vccz .LBB9_2030
; %bb.2026:
	s_cmp_eq_u32 s3, 44
	s_mov_b32 s0, -1
	s_cbranch_scc0 .LBB9_2030
; %bb.2027:
	v_cvt_f32_f64_e32 v2, v[4:5]
	v_mov_b32_e32 v3, 0xff
	s_mov_b32 s5, exec_lo
	v_bfe_u32 v6, v2, 23, 8
	v_cmpx_ne_u32_e32 0xff, v6
	s_cbranch_execz .LBB9_2029
; %bb.2028:
	v_and_b32_e32 v3, 0x400000, v2
	v_and_or_b32 v6, 0x3fffff, v2, v6
	v_lshrrev_b32_e32 v2, 23, v2
	v_cmp_ne_u32_e32 vcc_lo, 0, v3
	v_cmp_ne_u32_e64 s0, 0, v6
	s_and_b32 s0, vcc_lo, s0
	v_cndmask_b32_e64 v3, 0, 1, s0
	v_add_nc_u32_e32 v3, v2, v3
.LBB9_2029:
	s_or_b32 exec_lo, exec_lo, s5
	s_mov_b32 s0, 0
	s_mov_b32 s5, -1
	global_store_byte v[0:1], v3, off
.LBB9_2030:
	s_mov_b32 s6, 0
.LBB9_2031:
	s_and_b32 vcc_lo, exec_lo, s6
	s_cbranch_vccz .LBB9_2034
; %bb.2032:
	s_cmp_eq_u32 s3, 29
	s_mov_b32 s0, -1
	s_cbranch_scc0 .LBB9_2034
; %bb.2033:
	v_trunc_f64_e32 v[2:3], v[4:5]
	s_mov_b32 s0, 0
	s_mov_b32 s5, -1
	v_ldexp_f64 v[6:7], v[2:3], 0xffffffe0
	v_floor_f64_e32 v[6:7], v[6:7]
	v_fma_f64 v[2:3], 0xc1f00000, v[6:7], v[2:3]
	v_cvt_u32_f64_e32 v7, v[6:7]
	v_cvt_u32_f64_e32 v6, v[2:3]
	global_store_dwordx2 v[0:1], v[6:7], off
.LBB9_2034:
	s_mov_b32 s6, 0
.LBB9_2035:
	s_and_b32 vcc_lo, exec_lo, s6
	s_cbranch_vccz .LBB9_2051
; %bb.2036:
	s_cmp_lt_i32 s3, 27
	s_mov_b32 s5, -1
	s_cbranch_scc1 .LBB9_2042
; %bb.2037:
	s_cmp_gt_i32 s3, 27
	s_cbranch_scc0 .LBB9_2039
; %bb.2038:
	v_cvt_u32_f64_e32 v2, v[4:5]
	s_mov_b32 s5, 0
	global_store_dword v[0:1], v2, off
.LBB9_2039:
	s_andn2_b32 vcc_lo, exec_lo, s5
	s_cbranch_vccnz .LBB9_2041
; %bb.2040:
	v_cvt_u32_f64_e32 v2, v[4:5]
	global_store_short v[0:1], v2, off
.LBB9_2041:
	s_mov_b32 s5, 0
.LBB9_2042:
	s_andn2_b32 vcc_lo, exec_lo, s5
	s_cbranch_vccnz .LBB9_2050
; %bb.2043:
	v_cvt_f32_f64_e32 v2, v[4:5]
	v_mov_b32_e32 v6, 0x80
	s_mov_b32 s5, exec_lo
	v_and_b32_e32 v3, 0x7fffffff, v2
	v_cmpx_gt_u32_e32 0x43800000, v3
	s_cbranch_execz .LBB9_2049
; %bb.2044:
	v_cmp_lt_u32_e32 vcc_lo, 0x3bffffff, v3
	s_mov_b32 s6, 0
                                        ; implicit-def: $vgpr3
	s_and_saveexec_b32 s7, vcc_lo
	s_xor_b32 s7, exec_lo, s7
	s_cbranch_execz .LBB9_2340
; %bb.2045:
	v_bfe_u32 v3, v2, 20, 1
	s_mov_b32 s6, exec_lo
	v_add3_u32 v3, v2, v3, 0x487ffff
	v_lshrrev_b32_e32 v3, 20, v3
	s_andn2_saveexec_b32 s7, s7
	s_cbranch_execnz .LBB9_2341
.LBB9_2046:
	s_or_b32 exec_lo, exec_lo, s7
	v_mov_b32_e32 v6, 0
	s_and_saveexec_b32 s7, s6
.LBB9_2047:
	v_lshrrev_b32_e32 v2, 24, v2
	v_and_or_b32 v6, 0x80, v2, v3
.LBB9_2048:
	s_or_b32 exec_lo, exec_lo, s7
.LBB9_2049:
	s_or_b32 exec_lo, exec_lo, s5
	global_store_byte v[0:1], v6, off
.LBB9_2050:
	s_mov_b32 s5, -1
.LBB9_2051:
	s_mov_b32 s6, 0
.LBB9_2052:
	s_and_b32 vcc_lo, exec_lo, s6
	s_cbranch_vccz .LBB9_2092
; %bb.2053:
	s_cmp_gt_i32 s3, 22
	s_mov_b32 s4, -1
	s_cbranch_scc0 .LBB9_2085
; %bb.2054:
	s_cmp_lt_i32 s3, 24
	s_cbranch_scc1 .LBB9_2074
; %bb.2055:
	s_cmp_gt_i32 s3, 24
	s_cbranch_scc0 .LBB9_2063
; %bb.2056:
	v_cvt_f32_f64_e32 v2, v[4:5]
	v_mov_b32_e32 v6, 0x80
	s_mov_b32 s4, exec_lo
	v_and_b32_e32 v3, 0x7fffffff, v2
	v_cmpx_gt_u32_e32 0x47800000, v3
	s_cbranch_execz .LBB9_2062
; %bb.2057:
	v_cmp_lt_u32_e32 vcc_lo, 0x37ffffff, v3
	s_mov_b32 s5, 0
                                        ; implicit-def: $vgpr3
	s_and_saveexec_b32 s6, vcc_lo
	s_xor_b32 s6, exec_lo, s6
	s_cbranch_execz .LBB9_2343
; %bb.2058:
	v_bfe_u32 v3, v2, 21, 1
	s_mov_b32 s5, exec_lo
	v_add3_u32 v3, v2, v3, 0x88fffff
	v_lshrrev_b32_e32 v3, 21, v3
	s_andn2_saveexec_b32 s6, s6
	s_cbranch_execnz .LBB9_2344
.LBB9_2059:
	s_or_b32 exec_lo, exec_lo, s6
	v_mov_b32_e32 v6, 0
	s_and_saveexec_b32 s6, s5
.LBB9_2060:
	v_lshrrev_b32_e32 v2, 24, v2
	v_and_or_b32 v6, 0x80, v2, v3
.LBB9_2061:
	s_or_b32 exec_lo, exec_lo, s6
.LBB9_2062:
	s_or_b32 exec_lo, exec_lo, s4
	s_mov_b32 s4, 0
	global_store_byte v[0:1], v6, off
.LBB9_2063:
	s_and_b32 vcc_lo, exec_lo, s4
	s_cbranch_vccz .LBB9_2073
; %bb.2064:
	v_cvt_f32_f64_e32 v2, v[4:5]
	s_mov_b32 s4, exec_lo
                                        ; implicit-def: $vgpr3
	v_and_b32_e32 v6, 0x7fffffff, v2
	v_cmpx_gt_u32_e32 0x43f00000, v6
	s_xor_b32 s4, exec_lo, s4
	s_cbranch_execz .LBB9_2070
; %bb.2065:
	s_mov_b32 s5, exec_lo
                                        ; implicit-def: $vgpr3
	v_cmpx_lt_u32_e32 0x3c7fffff, v6
	s_xor_b32 s5, exec_lo, s5
; %bb.2066:
	v_bfe_u32 v3, v2, 20, 1
	v_add3_u32 v3, v2, v3, 0x407ffff
	v_and_b32_e32 v6, 0xff00000, v3
	v_lshrrev_b32_e32 v3, 20, v3
	v_cmp_ne_u32_e32 vcc_lo, 0x7f00000, v6
	v_cndmask_b32_e32 v3, 0x7e, v3, vcc_lo
; %bb.2067:
	s_andn2_saveexec_b32 s5, s5
; %bb.2068:
	v_add_f32_e64 v3, 0x46800000, |v2|
; %bb.2069:
	s_or_b32 exec_lo, exec_lo, s5
                                        ; implicit-def: $vgpr6
.LBB9_2070:
	s_andn2_saveexec_b32 s4, s4
; %bb.2071:
	v_mov_b32_e32 v3, 0x7f
	v_cmp_lt_u32_e32 vcc_lo, 0x7f800000, v6
	v_cndmask_b32_e32 v3, 0x7e, v3, vcc_lo
; %bb.2072:
	s_or_b32 exec_lo, exec_lo, s4
	v_lshrrev_b32_e32 v2, 24, v2
	v_and_or_b32 v2, 0x80, v2, v3
	global_store_byte v[0:1], v2, off
.LBB9_2073:
	s_mov_b32 s4, 0
.LBB9_2074:
	s_andn2_b32 vcc_lo, exec_lo, s4
	s_cbranch_vccnz .LBB9_2084
; %bb.2075:
	v_cvt_f32_f64_e32 v2, v[4:5]
	s_mov_b32 s4, exec_lo
                                        ; implicit-def: $vgpr3
	v_and_b32_e32 v6, 0x7fffffff, v2
	v_cmpx_gt_u32_e32 0x47800000, v6
	s_xor_b32 s4, exec_lo, s4
	s_cbranch_execz .LBB9_2081
; %bb.2076:
	s_mov_b32 s5, exec_lo
                                        ; implicit-def: $vgpr3
	v_cmpx_lt_u32_e32 0x387fffff, v6
	s_xor_b32 s5, exec_lo, s5
; %bb.2077:
	v_bfe_u32 v3, v2, 21, 1
	v_add3_u32 v3, v2, v3, 0x80fffff
	v_lshrrev_b32_e32 v3, 21, v3
; %bb.2078:
	s_andn2_saveexec_b32 s5, s5
; %bb.2079:
	v_add_f32_e64 v3, 0x43000000, |v2|
; %bb.2080:
	s_or_b32 exec_lo, exec_lo, s5
                                        ; implicit-def: $vgpr6
.LBB9_2081:
	s_andn2_saveexec_b32 s4, s4
; %bb.2082:
	v_mov_b32_e32 v3, 0x7f
	v_cmp_lt_u32_e32 vcc_lo, 0x7f800000, v6
	v_cndmask_b32_e32 v3, 0x7c, v3, vcc_lo
; %bb.2083:
	s_or_b32 exec_lo, exec_lo, s4
	v_lshrrev_b32_e32 v2, 24, v2
	v_and_or_b32 v2, 0x80, v2, v3
	global_store_byte v[0:1], v2, off
.LBB9_2084:
	s_mov_b32 s4, 0
	s_mov_b32 s5, -1
.LBB9_2085:
	s_andn2_b32 vcc_lo, exec_lo, s4
	s_mov_b32 s4, 0
	s_cbranch_vccnz .LBB9_2092
; %bb.2086:
	s_cmp_gt_i32 s3, 14
	s_mov_b32 s4, -1
	s_cbranch_scc0 .LBB9_2090
; %bb.2087:
	s_cmp_eq_u32 s3, 15
	s_mov_b32 s0, -1
	s_cbranch_scc0 .LBB9_2089
; %bb.2088:
	v_cvt_f32_f64_e32 v2, v[4:5]
	s_mov_b32 s0, 0
	s_mov_b32 s5, -1
	v_bfe_u32 v3, v2, 16, 1
	v_cmp_o_f32_e32 vcc_lo, v2, v2
	v_add3_u32 v2, v2, v3, 0x7fff
	v_mov_b32_e32 v3, 0x7fc0
	v_cndmask_b32_sdwa v2, v3, v2, vcc_lo dst_sel:DWORD dst_unused:UNUSED_PAD src0_sel:DWORD src1_sel:WORD_1
	global_store_short v[0:1], v2, off
.LBB9_2089:
	s_mov_b32 s4, 0
.LBB9_2090:
	s_and_b32 vcc_lo, exec_lo, s4
	s_mov_b32 s4, 0
	s_cbranch_vccz .LBB9_2092
; %bb.2091:
	s_cmp_lg_u32 s3, 11
	s_mov_b32 s4, -1
	s_cselect_b32 s0, -1, 0
.LBB9_2092:
	s_and_b32 vcc_lo, exec_lo, s0
	s_cbranch_vccnz .LBB9_2342
; %bb.2093:
	s_andn2_b32 vcc_lo, exec_lo, s4
	s_cbranch_vccnz .LBB9_2095
.LBB9_2094:
	v_cmp_neq_f64_e32 vcc_lo, 0, v[4:5]
	s_mov_b32 s5, -1
	v_cndmask_b32_e64 v2, 0, 1, vcc_lo
	global_store_byte v[0:1], v2, off
.LBB9_2095:
	s_mov_b32 s0, 0
	s_branch .LBB9_2097
.LBB9_2096:
	s_mov_b32 s0, -1
	s_mov_b32 s5, 0
.LBB9_2097:
	s_and_b32 vcc_lo, exec_lo, s0
	s_cbranch_vccz .LBB9_2136
; %bb.2098:
	s_and_b32 s0, 0xffff, s1
	s_mov_b32 s3, -1
	s_cmp_lt_i32 s0, 5
	s_cbranch_scc1 .LBB9_2119
; %bb.2099:
	s_cmp_lt_i32 s0, 8
	s_cbranch_scc1 .LBB9_2109
; %bb.2100:
	;; [unrolled: 3-line block ×3, first 2 shown]
	s_cmp_gt_i32 s0, 9
	s_cbranch_scc0 .LBB9_2103
; %bb.2102:
	v_mov_b32_e32 v6, 0
	s_mov_b32 s3, 0
	v_mov_b32_e32 v7, v6
	global_store_dwordx4 v[0:1], v[4:7], off
.LBB9_2103:
	s_andn2_b32 vcc_lo, exec_lo, s3
	s_cbranch_vccnz .LBB9_2105
; %bb.2104:
	v_cvt_f32_f64_e32 v2, v[4:5]
	v_mov_b32_e32 v3, 0
	global_store_dwordx2 v[0:1], v[2:3], off
.LBB9_2105:
	s_mov_b32 s3, 0
.LBB9_2106:
	s_andn2_b32 vcc_lo, exec_lo, s3
	s_cbranch_vccnz .LBB9_2108
; %bb.2107:
	v_and_or_b32 v2, 0x1ff, v5, v4
	v_lshrrev_b32_e32 v3, 8, v5
	v_bfe_u32 v6, v5, 20, 11
	v_cmp_ne_u32_e32 vcc_lo, 0, v2
	v_sub_nc_u32_e32 v7, 0x3f1, v6
	v_add_nc_u32_e32 v6, 0xfffffc10, v6
	v_cndmask_b32_e64 v2, 0, 1, vcc_lo
	v_and_or_b32 v2, 0xffe, v3, v2
	v_med3_i32 v3, v7, 0, 13
	v_or_b32_e32 v7, 0x1000, v2
	v_lshrrev_b32_e32 v11, v3, v7
	v_lshlrev_b32_e32 v3, v3, v11
	v_cmp_ne_u32_e32 vcc_lo, v3, v7
	v_lshl_or_b32 v7, v6, 12, v2
	v_cndmask_b32_e64 v3, 0, 1, vcc_lo
	v_cmp_gt_i32_e32 vcc_lo, 1, v6
	v_or_b32_e32 v3, v11, v3
	v_cndmask_b32_e32 v3, v7, v3, vcc_lo
	v_and_b32_e32 v7, 7, v3
	v_lshrrev_b32_e32 v3, 2, v3
	v_cmp_lt_i32_e32 vcc_lo, 5, v7
	v_cndmask_b32_e64 v11, 0, 1, vcc_lo
	v_cmp_eq_u32_e32 vcc_lo, 3, v7
	v_cndmask_b32_e64 v7, 0, 1, vcc_lo
	v_cmp_ne_u32_e32 vcc_lo, 0, v2
	v_or_b32_e32 v7, v7, v11
	v_mov_b32_e32 v11, 0x7e00
	v_add_nc_u32_e32 v3, v3, v7
	v_cndmask_b32_e32 v2, 0x7c00, v11, vcc_lo
	v_cmp_gt_i32_e32 vcc_lo, 31, v6
	v_cndmask_b32_e32 v3, 0x7c00, v3, vcc_lo
	v_cmp_eq_u32_e32 vcc_lo, 0x40f, v6
	v_cndmask_b32_e32 v2, v3, v2, vcc_lo
	v_lshrrev_b32_e32 v3, 16, v5
	v_and_or_b32 v2, 0x8000, v3, v2
	v_and_b32_e32 v2, 0xffff, v2
	global_store_dword v[0:1], v2, off
.LBB9_2108:
	s_mov_b32 s3, 0
.LBB9_2109:
	s_andn2_b32 vcc_lo, exec_lo, s3
	s_cbranch_vccnz .LBB9_2118
; %bb.2110:
	s_cmp_lt_i32 s0, 6
	s_mov_b32 s3, -1
	s_cbranch_scc1 .LBB9_2116
; %bb.2111:
	s_cmp_gt_i32 s0, 6
	s_cbranch_scc0 .LBB9_2113
; %bb.2112:
	s_mov_b32 s3, 0
	global_store_dwordx2 v[0:1], v[4:5], off
.LBB9_2113:
	s_andn2_b32 vcc_lo, exec_lo, s3
	s_cbranch_vccnz .LBB9_2115
; %bb.2114:
	v_cvt_f32_f64_e32 v2, v[4:5]
	global_store_dword v[0:1], v2, off
.LBB9_2115:
	s_mov_b32 s3, 0
.LBB9_2116:
	s_andn2_b32 vcc_lo, exec_lo, s3
	s_cbranch_vccnz .LBB9_2118
; %bb.2117:
	v_and_or_b32 v2, 0x1ff, v5, v4
	v_lshrrev_b32_e32 v3, 8, v5
	v_bfe_u32 v6, v5, 20, 11
	v_cmp_ne_u32_e32 vcc_lo, 0, v2
	v_sub_nc_u32_e32 v7, 0x3f1, v6
	v_add_nc_u32_e32 v6, 0xfffffc10, v6
	v_cndmask_b32_e64 v2, 0, 1, vcc_lo
	v_and_or_b32 v2, 0xffe, v3, v2
	v_med3_i32 v3, v7, 0, 13
	v_or_b32_e32 v7, 0x1000, v2
	v_lshrrev_b32_e32 v11, v3, v7
	v_lshlrev_b32_e32 v3, v3, v11
	v_cmp_ne_u32_e32 vcc_lo, v3, v7
	v_lshl_or_b32 v7, v6, 12, v2
	v_cndmask_b32_e64 v3, 0, 1, vcc_lo
	v_cmp_gt_i32_e32 vcc_lo, 1, v6
	v_or_b32_e32 v3, v11, v3
	v_cndmask_b32_e32 v3, v7, v3, vcc_lo
	v_and_b32_e32 v7, 7, v3
	v_lshrrev_b32_e32 v3, 2, v3
	v_cmp_lt_i32_e32 vcc_lo, 5, v7
	v_cndmask_b32_e64 v11, 0, 1, vcc_lo
	v_cmp_eq_u32_e32 vcc_lo, 3, v7
	v_cndmask_b32_e64 v7, 0, 1, vcc_lo
	v_cmp_ne_u32_e32 vcc_lo, 0, v2
	v_or_b32_e32 v7, v7, v11
	v_mov_b32_e32 v11, 0x7e00
	v_add_nc_u32_e32 v3, v3, v7
	v_cndmask_b32_e32 v2, 0x7c00, v11, vcc_lo
	v_cmp_gt_i32_e32 vcc_lo, 31, v6
	v_cndmask_b32_e32 v3, 0x7c00, v3, vcc_lo
	v_cmp_eq_u32_e32 vcc_lo, 0x40f, v6
	v_cndmask_b32_e32 v2, v3, v2, vcc_lo
	v_lshrrev_b32_e32 v3, 16, v5
	v_and_or_b32 v2, 0x8000, v3, v2
	global_store_short v[0:1], v2, off
.LBB9_2118:
	s_mov_b32 s3, 0
.LBB9_2119:
	s_andn2_b32 vcc_lo, exec_lo, s3
	s_cbranch_vccnz .LBB9_2135
; %bb.2120:
	s_cmp_lt_i32 s0, 2
	s_mov_b32 s3, -1
	s_cbranch_scc1 .LBB9_2130
; %bb.2121:
	s_cmp_lt_i32 s0, 3
	s_cbranch_scc1 .LBB9_2127
; %bb.2122:
	s_cmp_gt_i32 s0, 3
	s_cbranch_scc0 .LBB9_2124
; %bb.2123:
	v_trunc_f64_e32 v[2:3], v[4:5]
	s_mov_b32 s3, 0
	v_ldexp_f64 v[6:7], v[2:3], 0xffffffe0
	v_floor_f64_e32 v[6:7], v[6:7]
	v_fma_f64 v[2:3], 0xc1f00000, v[6:7], v[2:3]
	v_cvt_i32_f64_e32 v7, v[6:7]
	v_cvt_u32_f64_e32 v6, v[2:3]
	global_store_dwordx2 v[0:1], v[6:7], off
.LBB9_2124:
	s_andn2_b32 vcc_lo, exec_lo, s3
	s_cbranch_vccnz .LBB9_2126
; %bb.2125:
	v_cvt_i32_f64_e32 v2, v[4:5]
	global_store_dword v[0:1], v2, off
.LBB9_2126:
	s_mov_b32 s3, 0
.LBB9_2127:
	s_andn2_b32 vcc_lo, exec_lo, s3
	s_cbranch_vccnz .LBB9_2129
; %bb.2128:
	v_cvt_i32_f64_e32 v2, v[4:5]
	global_store_short v[0:1], v2, off
.LBB9_2129:
	s_mov_b32 s3, 0
.LBB9_2130:
	s_andn2_b32 vcc_lo, exec_lo, s3
	s_cbranch_vccnz .LBB9_2135
; %bb.2131:
	s_cmp_gt_i32 s0, 0
	s_mov_b32 s0, -1
	s_cbranch_scc0 .LBB9_2133
; %bb.2132:
	v_cvt_i32_f64_e32 v2, v[4:5]
	s_mov_b32 s0, 0
	global_store_byte v[0:1], v2, off
.LBB9_2133:
	s_andn2_b32 vcc_lo, exec_lo, s0
	s_cbranch_vccnz .LBB9_2135
; %bb.2134:
	v_trunc_f64_e32 v[2:3], v[4:5]
	v_ldexp_f64 v[4:5], v[2:3], 0xffffffe0
	v_floor_f64_e32 v[4:5], v[4:5]
	v_fma_f64 v[2:3], 0xc1f00000, v[4:5], v[2:3]
	v_cvt_u32_f64_e32 v2, v[2:3]
	global_store_byte v[0:1], v2, off
.LBB9_2135:
	s_mov_b32 s5, -1
.LBB9_2136:
	s_andn2_b32 vcc_lo, exec_lo, s5
	s_cbranch_vccnz .LBB9_2332
; %bb.2137:
	v_add_co_u32 v0, s0, s8, v10
	v_add_co_ci_u32_e64 v1, null, s9, 0, s0
	s_cmp_lt_i32 s1, 11
	s_cbranch_scc1 .LBB9_2215
; %bb.2138:
	s_and_b32 s3, 0xffff, s1
	s_mov_b32 s6, -1
	s_mov_b32 s4, 0
	s_cmp_gt_i32 s3, 25
	s_mov_b32 s5, 0
	s_mov_b32 s0, 0
	s_cbranch_scc0 .LBB9_2171
; %bb.2139:
	s_cmp_gt_i32 s3, 28
	s_cbranch_scc0 .LBB9_2154
; %bb.2140:
	s_cmp_gt_i32 s3, 43
	;; [unrolled: 3-line block ×3, first 2 shown]
	s_cbranch_scc0 .LBB9_2144
; %bb.2142:
	s_mov_b32 s0, -1
	s_mov_b32 s6, 0
	s_cmp_eq_u32 s3, 46
	s_cbranch_scc0 .LBB9_2144
; %bb.2143:
	v_cvt_f32_f64_e32 v2, v[8:9]
	s_mov_b32 s0, 0
	s_mov_b32 s5, -1
	v_bfe_u32 v3, v2, 16, 1
	v_cmp_o_f32_e32 vcc_lo, v2, v2
	v_add3_u32 v2, v2, v3, 0x7fff
	v_mov_b32_e32 v3, 0x7fc0
	v_cndmask_b32_sdwa v2, v3, v2, vcc_lo dst_sel:DWORD dst_unused:UNUSED_PAD src0_sel:DWORD src1_sel:WORD_1
	global_store_dword v[0:1], v2, off
.LBB9_2144:
	s_and_b32 vcc_lo, exec_lo, s6
	s_cbranch_vccz .LBB9_2149
; %bb.2145:
	s_cmp_eq_u32 s3, 44
	s_mov_b32 s0, -1
	s_cbranch_scc0 .LBB9_2149
; %bb.2146:
	v_cvt_f32_f64_e32 v2, v[8:9]
	v_mov_b32_e32 v3, 0xff
	s_mov_b32 s5, exec_lo
	v_bfe_u32 v4, v2, 23, 8
	v_cmpx_ne_u32_e32 0xff, v4
	s_cbranch_execz .LBB9_2148
; %bb.2147:
	v_and_b32_e32 v3, 0x400000, v2
	v_and_or_b32 v4, 0x3fffff, v2, v4
	v_lshrrev_b32_e32 v2, 23, v2
	v_cmp_ne_u32_e32 vcc_lo, 0, v3
	v_cmp_ne_u32_e64 s0, 0, v4
	s_and_b32 s0, vcc_lo, s0
	v_cndmask_b32_e64 v3, 0, 1, s0
	v_add_nc_u32_e32 v3, v2, v3
.LBB9_2148:
	s_or_b32 exec_lo, exec_lo, s5
	s_mov_b32 s0, 0
	s_mov_b32 s5, -1
	global_store_byte v[0:1], v3, off
.LBB9_2149:
	s_mov_b32 s6, 0
.LBB9_2150:
	s_and_b32 vcc_lo, exec_lo, s6
	s_cbranch_vccz .LBB9_2153
; %bb.2151:
	s_cmp_eq_u32 s3, 29
	s_mov_b32 s0, -1
	s_cbranch_scc0 .LBB9_2153
; %bb.2152:
	v_trunc_f64_e32 v[2:3], v[8:9]
	s_mov_b32 s0, 0
	s_mov_b32 s5, -1
	v_ldexp_f64 v[4:5], v[2:3], 0xffffffe0
	v_floor_f64_e32 v[4:5], v[4:5]
	v_fma_f64 v[2:3], 0xc1f00000, v[4:5], v[2:3]
	v_cvt_u32_f64_e32 v4, v[4:5]
	v_cvt_u32_f64_e32 v3, v[2:3]
	global_store_dwordx2 v[0:1], v[3:4], off
.LBB9_2153:
	s_mov_b32 s6, 0
.LBB9_2154:
	s_and_b32 vcc_lo, exec_lo, s6
	s_cbranch_vccz .LBB9_2170
; %bb.2155:
	s_cmp_lt_i32 s3, 27
	s_mov_b32 s5, -1
	s_cbranch_scc1 .LBB9_2161
; %bb.2156:
	v_cvt_u32_f64_e32 v2, v[8:9]
	s_cmp_gt_i32 s3, 27
	s_cbranch_scc0 .LBB9_2158
; %bb.2157:
	s_mov_b32 s5, 0
	global_store_dword v[0:1], v2, off
.LBB9_2158:
	s_andn2_b32 vcc_lo, exec_lo, s5
	s_cbranch_vccnz .LBB9_2160
; %bb.2159:
	global_store_short v[0:1], v2, off
.LBB9_2160:
	s_mov_b32 s5, 0
.LBB9_2161:
	s_andn2_b32 vcc_lo, exec_lo, s5
	s_cbranch_vccnz .LBB9_2169
; %bb.2162:
	v_cvt_f32_f64_e32 v2, v[8:9]
	v_mov_b32_e32 v4, 0x80
	s_mov_b32 s5, exec_lo
	v_and_b32_e32 v3, 0x7fffffff, v2
	v_cmpx_gt_u32_e32 0x43800000, v3
	s_cbranch_execz .LBB9_2168
; %bb.2163:
	v_cmp_lt_u32_e32 vcc_lo, 0x3bffffff, v3
	s_mov_b32 s6, 0
                                        ; implicit-def: $vgpr3
	s_and_saveexec_b32 s7, vcc_lo
	s_xor_b32 s7, exec_lo, s7
	s_cbranch_execz .LBB9_2345
; %bb.2164:
	v_bfe_u32 v3, v2, 20, 1
	s_mov_b32 s6, exec_lo
	v_add3_u32 v3, v2, v3, 0x487ffff
	v_lshrrev_b32_e32 v3, 20, v3
	s_andn2_saveexec_b32 s7, s7
	s_cbranch_execnz .LBB9_2346
.LBB9_2165:
	s_or_b32 exec_lo, exec_lo, s7
	v_mov_b32_e32 v4, 0
	s_and_saveexec_b32 s7, s6
.LBB9_2166:
	v_lshrrev_b32_e32 v2, 24, v2
	v_and_or_b32 v4, 0x80, v2, v3
.LBB9_2167:
	s_or_b32 exec_lo, exec_lo, s7
.LBB9_2168:
	s_or_b32 exec_lo, exec_lo, s5
	global_store_byte v[0:1], v4, off
.LBB9_2169:
	s_mov_b32 s5, -1
.LBB9_2170:
	s_mov_b32 s6, 0
.LBB9_2171:
	s_and_b32 vcc_lo, exec_lo, s6
	s_cbranch_vccz .LBB9_2211
; %bb.2172:
	s_cmp_gt_i32 s3, 22
	s_mov_b32 s4, -1
	s_cbranch_scc0 .LBB9_2204
; %bb.2173:
	s_cmp_lt_i32 s3, 24
	s_cbranch_scc1 .LBB9_2193
; %bb.2174:
	s_cmp_gt_i32 s3, 24
	s_cbranch_scc0 .LBB9_2182
; %bb.2175:
	v_cvt_f32_f64_e32 v2, v[8:9]
	v_mov_b32_e32 v4, 0x80
	s_mov_b32 s4, exec_lo
	v_and_b32_e32 v3, 0x7fffffff, v2
	v_cmpx_gt_u32_e32 0x47800000, v3
	s_cbranch_execz .LBB9_2181
; %bb.2176:
	v_cmp_lt_u32_e32 vcc_lo, 0x37ffffff, v3
	s_mov_b32 s5, 0
                                        ; implicit-def: $vgpr3
	s_and_saveexec_b32 s6, vcc_lo
	s_xor_b32 s6, exec_lo, s6
	s_cbranch_execz .LBB9_2348
; %bb.2177:
	v_bfe_u32 v3, v2, 21, 1
	s_mov_b32 s5, exec_lo
	v_add3_u32 v3, v2, v3, 0x88fffff
	v_lshrrev_b32_e32 v3, 21, v3
	s_andn2_saveexec_b32 s6, s6
	s_cbranch_execnz .LBB9_2349
.LBB9_2178:
	s_or_b32 exec_lo, exec_lo, s6
	v_mov_b32_e32 v4, 0
	s_and_saveexec_b32 s6, s5
.LBB9_2179:
	v_lshrrev_b32_e32 v2, 24, v2
	v_and_or_b32 v4, 0x80, v2, v3
.LBB9_2180:
	s_or_b32 exec_lo, exec_lo, s6
.LBB9_2181:
	s_or_b32 exec_lo, exec_lo, s4
	s_mov_b32 s4, 0
	global_store_byte v[0:1], v4, off
.LBB9_2182:
	s_and_b32 vcc_lo, exec_lo, s4
	s_cbranch_vccz .LBB9_2192
; %bb.2183:
	v_cvt_f32_f64_e32 v2, v[8:9]
	s_mov_b32 s4, exec_lo
                                        ; implicit-def: $vgpr3
	v_and_b32_e32 v4, 0x7fffffff, v2
	v_cmpx_gt_u32_e32 0x43f00000, v4
	s_xor_b32 s4, exec_lo, s4
	s_cbranch_execz .LBB9_2189
; %bb.2184:
	s_mov_b32 s5, exec_lo
                                        ; implicit-def: $vgpr3
	v_cmpx_lt_u32_e32 0x3c7fffff, v4
	s_xor_b32 s5, exec_lo, s5
; %bb.2185:
	v_bfe_u32 v3, v2, 20, 1
	v_add3_u32 v3, v2, v3, 0x407ffff
	v_and_b32_e32 v4, 0xff00000, v3
	v_lshrrev_b32_e32 v3, 20, v3
	v_cmp_ne_u32_e32 vcc_lo, 0x7f00000, v4
	v_cndmask_b32_e32 v3, 0x7e, v3, vcc_lo
; %bb.2186:
	s_andn2_saveexec_b32 s5, s5
; %bb.2187:
	v_add_f32_e64 v3, 0x46800000, |v2|
; %bb.2188:
	s_or_b32 exec_lo, exec_lo, s5
                                        ; implicit-def: $vgpr4
.LBB9_2189:
	s_andn2_saveexec_b32 s4, s4
; %bb.2190:
	v_mov_b32_e32 v3, 0x7f
	v_cmp_lt_u32_e32 vcc_lo, 0x7f800000, v4
	v_cndmask_b32_e32 v3, 0x7e, v3, vcc_lo
; %bb.2191:
	s_or_b32 exec_lo, exec_lo, s4
	v_lshrrev_b32_e32 v2, 24, v2
	v_and_or_b32 v2, 0x80, v2, v3
	global_store_byte v[0:1], v2, off
.LBB9_2192:
	s_mov_b32 s4, 0
.LBB9_2193:
	s_andn2_b32 vcc_lo, exec_lo, s4
	s_cbranch_vccnz .LBB9_2203
; %bb.2194:
	v_cvt_f32_f64_e32 v2, v[8:9]
	s_mov_b32 s4, exec_lo
                                        ; implicit-def: $vgpr3
	v_and_b32_e32 v4, 0x7fffffff, v2
	v_cmpx_gt_u32_e32 0x47800000, v4
	s_xor_b32 s4, exec_lo, s4
	s_cbranch_execz .LBB9_2200
; %bb.2195:
	s_mov_b32 s5, exec_lo
                                        ; implicit-def: $vgpr3
	v_cmpx_lt_u32_e32 0x387fffff, v4
	s_xor_b32 s5, exec_lo, s5
; %bb.2196:
	v_bfe_u32 v3, v2, 21, 1
	v_add3_u32 v3, v2, v3, 0x80fffff
	v_lshrrev_b32_e32 v3, 21, v3
; %bb.2197:
	s_andn2_saveexec_b32 s5, s5
; %bb.2198:
	v_add_f32_e64 v3, 0x43000000, |v2|
; %bb.2199:
	s_or_b32 exec_lo, exec_lo, s5
                                        ; implicit-def: $vgpr4
.LBB9_2200:
	s_andn2_saveexec_b32 s4, s4
; %bb.2201:
	v_mov_b32_e32 v3, 0x7f
	v_cmp_lt_u32_e32 vcc_lo, 0x7f800000, v4
	v_cndmask_b32_e32 v3, 0x7c, v3, vcc_lo
; %bb.2202:
	s_or_b32 exec_lo, exec_lo, s4
	v_lshrrev_b32_e32 v2, 24, v2
	v_and_or_b32 v2, 0x80, v2, v3
	global_store_byte v[0:1], v2, off
.LBB9_2203:
	s_mov_b32 s4, 0
	s_mov_b32 s5, -1
.LBB9_2204:
	s_andn2_b32 vcc_lo, exec_lo, s4
	s_mov_b32 s4, 0
	s_cbranch_vccnz .LBB9_2211
; %bb.2205:
	s_cmp_gt_i32 s3, 14
	s_mov_b32 s4, -1
	s_cbranch_scc0 .LBB9_2209
; %bb.2206:
	s_cmp_eq_u32 s3, 15
	s_mov_b32 s0, -1
	s_cbranch_scc0 .LBB9_2208
; %bb.2207:
	v_cvt_f32_f64_e32 v2, v[8:9]
	s_mov_b32 s0, 0
	s_mov_b32 s5, -1
	v_bfe_u32 v3, v2, 16, 1
	v_cmp_o_f32_e32 vcc_lo, v2, v2
	v_add3_u32 v2, v2, v3, 0x7fff
	v_mov_b32_e32 v3, 0x7fc0
	v_cndmask_b32_sdwa v2, v3, v2, vcc_lo dst_sel:DWORD dst_unused:UNUSED_PAD src0_sel:DWORD src1_sel:WORD_1
	global_store_short v[0:1], v2, off
.LBB9_2208:
	s_mov_b32 s4, 0
.LBB9_2209:
	s_and_b32 vcc_lo, exec_lo, s4
	s_mov_b32 s4, 0
	s_cbranch_vccz .LBB9_2211
; %bb.2210:
	s_cmp_lg_u32 s3, 11
	s_mov_b32 s4, -1
	s_cselect_b32 s0, -1, 0
.LBB9_2211:
	s_and_b32 vcc_lo, exec_lo, s0
	s_cbranch_vccnz .LBB9_2347
; %bb.2212:
	s_andn2_b32 vcc_lo, exec_lo, s4
	s_cbranch_vccnz .LBB9_2214
.LBB9_2213:
	v_cmp_neq_f64_e32 vcc_lo, 0, v[8:9]
	s_mov_b32 s5, -1
	v_cndmask_b32_e64 v2, 0, 1, vcc_lo
	global_store_byte v[0:1], v2, off
.LBB9_2214:
	s_mov_b32 s0, 0
	s_branch .LBB9_2216
.LBB9_2215:
	s_mov_b32 s0, -1
	s_mov_b32 s5, 0
.LBB9_2216:
	s_and_b32 vcc_lo, exec_lo, s0
	s_cbranch_vccz .LBB9_2255
; %bb.2217:
	s_and_b32 s0, 0xffff, s1
	s_mov_b32 s3, -1
	s_cmp_lt_i32 s0, 5
	s_cbranch_scc1 .LBB9_2238
; %bb.2218:
	s_cmp_lt_i32 s0, 8
	s_cbranch_scc1 .LBB9_2228
; %bb.2219:
	;; [unrolled: 3-line block ×3, first 2 shown]
	s_cmp_gt_i32 s0, 9
	s_cbranch_scc0 .LBB9_2222
; %bb.2221:
	v_mov_b32_e32 v10, 0
	s_mov_b32 s3, 0
	v_mov_b32_e32 v11, v10
	global_store_dwordx4 v[0:1], v[8:11], off
.LBB9_2222:
	s_andn2_b32 vcc_lo, exec_lo, s3
	s_cbranch_vccnz .LBB9_2224
; %bb.2223:
	v_cvt_f32_f64_e32 v2, v[8:9]
	v_mov_b32_e32 v3, 0
	global_store_dwordx2 v[0:1], v[2:3], off
.LBB9_2224:
	s_mov_b32 s3, 0
.LBB9_2225:
	s_andn2_b32 vcc_lo, exec_lo, s3
	s_cbranch_vccnz .LBB9_2227
; %bb.2226:
	v_and_or_b32 v2, 0x1ff, v9, v8
	v_lshrrev_b32_e32 v3, 8, v9
	v_bfe_u32 v4, v9, 20, 11
	v_cmp_ne_u32_e32 vcc_lo, 0, v2
	v_sub_nc_u32_e32 v5, 0x3f1, v4
	v_add_nc_u32_e32 v4, 0xfffffc10, v4
	v_cndmask_b32_e64 v2, 0, 1, vcc_lo
	v_and_or_b32 v2, 0xffe, v3, v2
	v_med3_i32 v3, v5, 0, 13
	v_or_b32_e32 v5, 0x1000, v2
	v_lshrrev_b32_e32 v6, v3, v5
	v_lshlrev_b32_e32 v3, v3, v6
	v_cmp_ne_u32_e32 vcc_lo, v3, v5
	v_lshl_or_b32 v5, v4, 12, v2
	v_cndmask_b32_e64 v3, 0, 1, vcc_lo
	v_cmp_gt_i32_e32 vcc_lo, 1, v4
	v_or_b32_e32 v3, v6, v3
	v_cndmask_b32_e32 v3, v5, v3, vcc_lo
	v_and_b32_e32 v5, 7, v3
	v_lshrrev_b32_e32 v3, 2, v3
	v_cmp_lt_i32_e32 vcc_lo, 5, v5
	v_cndmask_b32_e64 v6, 0, 1, vcc_lo
	v_cmp_eq_u32_e32 vcc_lo, 3, v5
	v_cndmask_b32_e64 v5, 0, 1, vcc_lo
	v_cmp_ne_u32_e32 vcc_lo, 0, v2
	v_or_b32_e32 v5, v5, v6
	v_mov_b32_e32 v6, 0x7e00
	v_add_nc_u32_e32 v3, v3, v5
	v_cndmask_b32_e32 v2, 0x7c00, v6, vcc_lo
	v_cmp_gt_i32_e32 vcc_lo, 31, v4
	v_cndmask_b32_e32 v3, 0x7c00, v3, vcc_lo
	v_cmp_eq_u32_e32 vcc_lo, 0x40f, v4
	v_cndmask_b32_e32 v2, v3, v2, vcc_lo
	v_lshrrev_b32_e32 v3, 16, v9
	v_and_or_b32 v2, 0x8000, v3, v2
	v_and_b32_e32 v2, 0xffff, v2
	global_store_dword v[0:1], v2, off
.LBB9_2227:
	s_mov_b32 s3, 0
.LBB9_2228:
	s_andn2_b32 vcc_lo, exec_lo, s3
	s_cbranch_vccnz .LBB9_2237
; %bb.2229:
	s_cmp_lt_i32 s0, 6
	s_mov_b32 s3, -1
	s_cbranch_scc1 .LBB9_2235
; %bb.2230:
	s_cmp_gt_i32 s0, 6
	s_cbranch_scc0 .LBB9_2232
; %bb.2231:
	s_mov_b32 s3, 0
	global_store_dwordx2 v[0:1], v[8:9], off
.LBB9_2232:
	s_andn2_b32 vcc_lo, exec_lo, s3
	s_cbranch_vccnz .LBB9_2234
; %bb.2233:
	v_cvt_f32_f64_e32 v2, v[8:9]
	global_store_dword v[0:1], v2, off
.LBB9_2234:
	s_mov_b32 s3, 0
.LBB9_2235:
	s_andn2_b32 vcc_lo, exec_lo, s3
	s_cbranch_vccnz .LBB9_2237
; %bb.2236:
	v_and_or_b32 v2, 0x1ff, v9, v8
	v_lshrrev_b32_e32 v3, 8, v9
	v_bfe_u32 v4, v9, 20, 11
	v_cmp_ne_u32_e32 vcc_lo, 0, v2
	v_sub_nc_u32_e32 v5, 0x3f1, v4
	v_add_nc_u32_e32 v4, 0xfffffc10, v4
	v_cndmask_b32_e64 v2, 0, 1, vcc_lo
	v_and_or_b32 v2, 0xffe, v3, v2
	v_med3_i32 v3, v5, 0, 13
	v_or_b32_e32 v5, 0x1000, v2
	v_lshrrev_b32_e32 v6, v3, v5
	v_lshlrev_b32_e32 v3, v3, v6
	v_cmp_ne_u32_e32 vcc_lo, v3, v5
	v_lshl_or_b32 v5, v4, 12, v2
	v_cndmask_b32_e64 v3, 0, 1, vcc_lo
	v_cmp_gt_i32_e32 vcc_lo, 1, v4
	v_or_b32_e32 v3, v6, v3
	v_cndmask_b32_e32 v3, v5, v3, vcc_lo
	v_and_b32_e32 v5, 7, v3
	v_lshrrev_b32_e32 v3, 2, v3
	v_cmp_lt_i32_e32 vcc_lo, 5, v5
	v_cndmask_b32_e64 v6, 0, 1, vcc_lo
	v_cmp_eq_u32_e32 vcc_lo, 3, v5
	v_cndmask_b32_e64 v5, 0, 1, vcc_lo
	v_cmp_ne_u32_e32 vcc_lo, 0, v2
	v_or_b32_e32 v5, v5, v6
	v_mov_b32_e32 v6, 0x7e00
	v_add_nc_u32_e32 v3, v3, v5
	v_cndmask_b32_e32 v2, 0x7c00, v6, vcc_lo
	v_cmp_gt_i32_e32 vcc_lo, 31, v4
	v_cndmask_b32_e32 v3, 0x7c00, v3, vcc_lo
	v_cmp_eq_u32_e32 vcc_lo, 0x40f, v4
	v_cndmask_b32_e32 v2, v3, v2, vcc_lo
	v_lshrrev_b32_e32 v3, 16, v9
	v_and_or_b32 v2, 0x8000, v3, v2
	global_store_short v[0:1], v2, off
.LBB9_2237:
	s_mov_b32 s3, 0
.LBB9_2238:
	s_andn2_b32 vcc_lo, exec_lo, s3
	s_cbranch_vccnz .LBB9_2254
; %bb.2239:
	s_cmp_lt_i32 s0, 2
	s_mov_b32 s3, -1
	s_cbranch_scc1 .LBB9_2249
; %bb.2240:
	s_cmp_lt_i32 s0, 3
	s_cbranch_scc1 .LBB9_2246
; %bb.2241:
	s_cmp_gt_i32 s0, 3
	s_cbranch_scc0 .LBB9_2243
; %bb.2242:
	v_trunc_f64_e32 v[2:3], v[8:9]
	s_mov_b32 s3, 0
	v_ldexp_f64 v[4:5], v[2:3], 0xffffffe0
	v_floor_f64_e32 v[4:5], v[4:5]
	v_fma_f64 v[2:3], 0xc1f00000, v[4:5], v[2:3]
	v_cvt_i32_f64_e32 v4, v[4:5]
	v_cvt_u32_f64_e32 v3, v[2:3]
	global_store_dwordx2 v[0:1], v[3:4], off
.LBB9_2243:
	s_andn2_b32 vcc_lo, exec_lo, s3
	s_cbranch_vccnz .LBB9_2245
; %bb.2244:
	v_cvt_i32_f64_e32 v2, v[8:9]
	global_store_dword v[0:1], v2, off
.LBB9_2245:
	s_mov_b32 s3, 0
.LBB9_2246:
	s_andn2_b32 vcc_lo, exec_lo, s3
	s_cbranch_vccnz .LBB9_2248
; %bb.2247:
	v_cvt_i32_f64_e32 v2, v[8:9]
	global_store_short v[0:1], v2, off
.LBB9_2248:
	s_mov_b32 s3, 0
.LBB9_2249:
	s_andn2_b32 vcc_lo, exec_lo, s3
	s_cbranch_vccnz .LBB9_2254
; %bb.2250:
	s_cmp_gt_i32 s0, 0
	s_mov_b32 s0, -1
	s_cbranch_scc0 .LBB9_2252
; %bb.2251:
	v_cvt_i32_f64_e32 v2, v[8:9]
	s_mov_b32 s0, 0
	global_store_byte v[0:1], v2, off
.LBB9_2252:
	s_andn2_b32 vcc_lo, exec_lo, s0
	s_cbranch_vccnz .LBB9_2254
; %bb.2253:
	v_trunc_f64_e32 v[2:3], v[8:9]
	v_ldexp_f64 v[4:5], v[2:3], 0xffffffe0
	v_floor_f64_e32 v[4:5], v[4:5]
	v_fma_f64 v[2:3], 0xc1f00000, v[4:5], v[2:3]
	v_cvt_u32_f64_e32 v2, v[2:3]
	global_store_byte v[0:1], v2, off
.LBB9_2254:
	s_mov_b32 s5, -1
.LBB9_2255:
	s_andn2_b32 vcc_lo, exec_lo, s5
	s_cbranch_vccnz .LBB9_2332
; %bb.2256:
	v_add_co_u32 v0, s0, s8, v14
	v_add_co_ci_u32_e64 v1, null, s9, 0, s0
	s_cmp_lt_i32 s1, 11
	s_cbranch_scc1 .LBB9_2333
; %bb.2257:
	s_and_b32 s3, 0xffff, s1
	s_mov_b32 s5, -1
	s_mov_b32 s4, 0
	s_cmp_gt_i32 s3, 25
	s_mov_b32 s0, 0
	s_cbranch_scc0 .LBB9_2290
; %bb.2258:
	s_cmp_gt_i32 s3, 28
	s_cbranch_scc0 .LBB9_2274
; %bb.2259:
	s_cmp_gt_i32 s3, 43
	;; [unrolled: 3-line block ×3, first 2 shown]
	s_cbranch_scc0 .LBB9_2264
; %bb.2261:
	s_cmp_eq_u32 s3, 46
	s_mov_b32 s0, -1
	s_cbranch_scc0 .LBB9_2263
; %bb.2262:
	v_cvt_f32_f64_e32 v2, v[12:13]
	s_mov_b32 s0, 0
	v_bfe_u32 v3, v2, 16, 1
	v_cmp_o_f32_e32 vcc_lo, v2, v2
	v_add3_u32 v2, v2, v3, 0x7fff
	v_mov_b32_e32 v3, 0x7fc0
	v_cndmask_b32_sdwa v2, v3, v2, vcc_lo dst_sel:DWORD dst_unused:UNUSED_PAD src0_sel:DWORD src1_sel:WORD_1
	global_store_dword v[0:1], v2, off
.LBB9_2263:
	s_mov_b32 s5, 0
.LBB9_2264:
	s_and_b32 vcc_lo, exec_lo, s5
	s_cbranch_vccz .LBB9_2269
; %bb.2265:
	s_cmp_eq_u32 s3, 44
	s_mov_b32 s0, -1
	s_cbranch_scc0 .LBB9_2269
; %bb.2266:
	v_cvt_f32_f64_e32 v2, v[12:13]
	v_mov_b32_e32 v3, 0xff
	s_mov_b32 s5, exec_lo
	v_bfe_u32 v4, v2, 23, 8
	v_cmpx_ne_u32_e32 0xff, v4
	s_cbranch_execz .LBB9_2268
; %bb.2267:
	v_and_b32_e32 v3, 0x400000, v2
	v_and_or_b32 v4, 0x3fffff, v2, v4
	v_lshrrev_b32_e32 v2, 23, v2
	v_cmp_ne_u32_e32 vcc_lo, 0, v3
	v_cmp_ne_u32_e64 s0, 0, v4
	s_and_b32 s0, vcc_lo, s0
	v_cndmask_b32_e64 v3, 0, 1, s0
	v_add_nc_u32_e32 v3, v2, v3
.LBB9_2268:
	s_or_b32 exec_lo, exec_lo, s5
	s_mov_b32 s0, 0
	global_store_byte v[0:1], v3, off
.LBB9_2269:
	s_mov_b32 s5, 0
.LBB9_2270:
	s_and_b32 vcc_lo, exec_lo, s5
	s_cbranch_vccz .LBB9_2273
; %bb.2271:
	s_cmp_eq_u32 s3, 29
	s_mov_b32 s0, -1
	s_cbranch_scc0 .LBB9_2273
; %bb.2272:
	v_trunc_f64_e32 v[2:3], v[12:13]
	s_mov_b32 s0, 0
	v_ldexp_f64 v[4:5], v[2:3], 0xffffffe0
	v_floor_f64_e32 v[4:5], v[4:5]
	v_fma_f64 v[2:3], 0xc1f00000, v[4:5], v[2:3]
	v_cvt_u32_f64_e32 v4, v[4:5]
	v_cvt_u32_f64_e32 v3, v[2:3]
	global_store_dwordx2 v[0:1], v[3:4], off
.LBB9_2273:
	s_mov_b32 s5, 0
.LBB9_2274:
	s_and_b32 vcc_lo, exec_lo, s5
	s_cbranch_vccz .LBB9_2289
; %bb.2275:
	s_cmp_lt_i32 s3, 27
	s_mov_b32 s5, -1
	s_cbranch_scc1 .LBB9_2281
; %bb.2276:
	s_cmp_gt_i32 s3, 27
	s_cbranch_scc0 .LBB9_2278
; %bb.2277:
	v_cvt_u32_f64_e32 v2, v[12:13]
	s_mov_b32 s5, 0
	global_store_dword v[0:1], v2, off
.LBB9_2278:
	s_andn2_b32 vcc_lo, exec_lo, s5
	s_cbranch_vccnz .LBB9_2280
; %bb.2279:
	v_cvt_u32_f64_e32 v2, v[12:13]
	global_store_short v[0:1], v2, off
.LBB9_2280:
	s_mov_b32 s5, 0
.LBB9_2281:
	s_andn2_b32 vcc_lo, exec_lo, s5
	s_cbranch_vccnz .LBB9_2289
; %bb.2282:
	v_cvt_f32_f64_e32 v2, v[12:13]
	v_mov_b32_e32 v4, 0x80
	s_mov_b32 s5, exec_lo
	v_and_b32_e32 v3, 0x7fffffff, v2
	v_cmpx_gt_u32_e32 0x43800000, v3
	s_cbranch_execz .LBB9_2288
; %bb.2283:
	v_cmp_lt_u32_e32 vcc_lo, 0x3bffffff, v3
	s_mov_b32 s6, 0
                                        ; implicit-def: $vgpr3
	s_and_saveexec_b32 s7, vcc_lo
	s_xor_b32 s7, exec_lo, s7
	s_cbranch_execz .LBB9_2350
; %bb.2284:
	v_bfe_u32 v3, v2, 20, 1
	s_mov_b32 s6, exec_lo
	v_add3_u32 v3, v2, v3, 0x487ffff
	v_lshrrev_b32_e32 v3, 20, v3
	s_andn2_saveexec_b32 s7, s7
	s_cbranch_execnz .LBB9_2351
.LBB9_2285:
	s_or_b32 exec_lo, exec_lo, s7
	v_mov_b32_e32 v4, 0
	s_and_saveexec_b32 s7, s6
.LBB9_2286:
	v_lshrrev_b32_e32 v2, 24, v2
	v_and_or_b32 v4, 0x80, v2, v3
.LBB9_2287:
	s_or_b32 exec_lo, exec_lo, s7
.LBB9_2288:
	s_or_b32 exec_lo, exec_lo, s5
	global_store_byte v[0:1], v4, off
.LBB9_2289:
	s_mov_b32 s5, 0
.LBB9_2290:
	s_and_b32 vcc_lo, exec_lo, s5
	s_cbranch_vccz .LBB9_2330
; %bb.2291:
	s_cmp_gt_i32 s3, 22
	s_mov_b32 s4, -1
	s_cbranch_scc0 .LBB9_2323
; %bb.2292:
	s_cmp_lt_i32 s3, 24
	s_cbranch_scc1 .LBB9_2312
; %bb.2293:
	s_cmp_gt_i32 s3, 24
	s_cbranch_scc0 .LBB9_2301
; %bb.2294:
	v_cvt_f32_f64_e32 v2, v[12:13]
	v_mov_b32_e32 v4, 0x80
	s_mov_b32 s4, exec_lo
	v_and_b32_e32 v3, 0x7fffffff, v2
	v_cmpx_gt_u32_e32 0x47800000, v3
	s_cbranch_execz .LBB9_2300
; %bb.2295:
	v_cmp_lt_u32_e32 vcc_lo, 0x37ffffff, v3
	s_mov_b32 s5, 0
                                        ; implicit-def: $vgpr3
	s_and_saveexec_b32 s6, vcc_lo
	s_xor_b32 s6, exec_lo, s6
	s_cbranch_execz .LBB9_2353
; %bb.2296:
	v_bfe_u32 v3, v2, 21, 1
	s_mov_b32 s5, exec_lo
	v_add3_u32 v3, v2, v3, 0x88fffff
	v_lshrrev_b32_e32 v3, 21, v3
	s_andn2_saveexec_b32 s6, s6
	s_cbranch_execnz .LBB9_2354
.LBB9_2297:
	s_or_b32 exec_lo, exec_lo, s6
	v_mov_b32_e32 v4, 0
	s_and_saveexec_b32 s6, s5
.LBB9_2298:
	v_lshrrev_b32_e32 v2, 24, v2
	v_and_or_b32 v4, 0x80, v2, v3
.LBB9_2299:
	s_or_b32 exec_lo, exec_lo, s6
.LBB9_2300:
	s_or_b32 exec_lo, exec_lo, s4
	s_mov_b32 s4, 0
	global_store_byte v[0:1], v4, off
.LBB9_2301:
	s_and_b32 vcc_lo, exec_lo, s4
	s_cbranch_vccz .LBB9_2311
; %bb.2302:
	v_cvt_f32_f64_e32 v2, v[12:13]
	s_mov_b32 s4, exec_lo
                                        ; implicit-def: $vgpr3
	v_and_b32_e32 v4, 0x7fffffff, v2
	v_cmpx_gt_u32_e32 0x43f00000, v4
	s_xor_b32 s4, exec_lo, s4
	s_cbranch_execz .LBB9_2308
; %bb.2303:
	s_mov_b32 s5, exec_lo
                                        ; implicit-def: $vgpr3
	v_cmpx_lt_u32_e32 0x3c7fffff, v4
	s_xor_b32 s5, exec_lo, s5
; %bb.2304:
	v_bfe_u32 v3, v2, 20, 1
	v_add3_u32 v3, v2, v3, 0x407ffff
	v_and_b32_e32 v4, 0xff00000, v3
	v_lshrrev_b32_e32 v3, 20, v3
	v_cmp_ne_u32_e32 vcc_lo, 0x7f00000, v4
	v_cndmask_b32_e32 v3, 0x7e, v3, vcc_lo
; %bb.2305:
	s_andn2_saveexec_b32 s5, s5
; %bb.2306:
	v_add_f32_e64 v3, 0x46800000, |v2|
; %bb.2307:
	s_or_b32 exec_lo, exec_lo, s5
                                        ; implicit-def: $vgpr4
.LBB9_2308:
	s_andn2_saveexec_b32 s4, s4
; %bb.2309:
	v_mov_b32_e32 v3, 0x7f
	v_cmp_lt_u32_e32 vcc_lo, 0x7f800000, v4
	v_cndmask_b32_e32 v3, 0x7e, v3, vcc_lo
; %bb.2310:
	s_or_b32 exec_lo, exec_lo, s4
	v_lshrrev_b32_e32 v2, 24, v2
	v_and_or_b32 v2, 0x80, v2, v3
	global_store_byte v[0:1], v2, off
.LBB9_2311:
	s_mov_b32 s4, 0
.LBB9_2312:
	s_andn2_b32 vcc_lo, exec_lo, s4
	s_cbranch_vccnz .LBB9_2322
; %bb.2313:
	v_cvt_f32_f64_e32 v2, v[12:13]
	s_mov_b32 s4, exec_lo
                                        ; implicit-def: $vgpr3
	v_and_b32_e32 v4, 0x7fffffff, v2
	v_cmpx_gt_u32_e32 0x47800000, v4
	s_xor_b32 s4, exec_lo, s4
	s_cbranch_execz .LBB9_2319
; %bb.2314:
	s_mov_b32 s5, exec_lo
                                        ; implicit-def: $vgpr3
	v_cmpx_lt_u32_e32 0x387fffff, v4
	s_xor_b32 s5, exec_lo, s5
; %bb.2315:
	v_bfe_u32 v3, v2, 21, 1
	v_add3_u32 v3, v2, v3, 0x80fffff
	v_lshrrev_b32_e32 v3, 21, v3
; %bb.2316:
	s_andn2_saveexec_b32 s5, s5
; %bb.2317:
	v_add_f32_e64 v3, 0x43000000, |v2|
; %bb.2318:
	s_or_b32 exec_lo, exec_lo, s5
                                        ; implicit-def: $vgpr4
.LBB9_2319:
	s_andn2_saveexec_b32 s4, s4
; %bb.2320:
	v_mov_b32_e32 v3, 0x7f
	v_cmp_lt_u32_e32 vcc_lo, 0x7f800000, v4
	v_cndmask_b32_e32 v3, 0x7c, v3, vcc_lo
; %bb.2321:
	s_or_b32 exec_lo, exec_lo, s4
	v_lshrrev_b32_e32 v2, 24, v2
	v_and_or_b32 v2, 0x80, v2, v3
	global_store_byte v[0:1], v2, off
.LBB9_2322:
	s_mov_b32 s4, 0
.LBB9_2323:
	s_andn2_b32 vcc_lo, exec_lo, s4
	s_mov_b32 s4, 0
	s_cbranch_vccnz .LBB9_2330
; %bb.2324:
	s_cmp_gt_i32 s3, 14
	s_mov_b32 s4, -1
	s_cbranch_scc0 .LBB9_2328
; %bb.2325:
	s_cmp_eq_u32 s3, 15
	s_mov_b32 s0, -1
	s_cbranch_scc0 .LBB9_2327
; %bb.2326:
	v_cvt_f32_f64_e32 v2, v[12:13]
	s_mov_b32 s0, 0
	v_bfe_u32 v3, v2, 16, 1
	v_cmp_o_f32_e32 vcc_lo, v2, v2
	v_add3_u32 v2, v2, v3, 0x7fff
	v_mov_b32_e32 v3, 0x7fc0
	v_cndmask_b32_sdwa v2, v3, v2, vcc_lo dst_sel:DWORD dst_unused:UNUSED_PAD src0_sel:DWORD src1_sel:WORD_1
	global_store_short v[0:1], v2, off
.LBB9_2327:
	s_mov_b32 s4, 0
.LBB9_2328:
	s_and_b32 vcc_lo, exec_lo, s4
	s_mov_b32 s4, 0
	s_cbranch_vccz .LBB9_2330
; %bb.2329:
	s_cmp_lg_u32 s3, 11
	s_mov_b32 s4, -1
	s_cselect_b32 s0, -1, 0
.LBB9_2330:
	s_and_b32 vcc_lo, exec_lo, s0
	s_cbranch_vccnz .LBB9_2352
.LBB9_2331:
	s_mov_b32 s0, 0
	s_branch .LBB9_1933
.LBB9_2332:
	s_mov_b32 s0, 0
	s_mov_b32 s4, 0
                                        ; implicit-def: $vgpr0_vgpr1
                                        ; implicit-def: $sgpr1
	s_branch .LBB9_1933
.LBB9_2333:
	s_mov_b32 s4, 0
	s_mov_b32 s0, -1
	s_branch .LBB9_1933
.LBB9_2334:
	s_or_b32 s2, s2, exec_lo
	s_trap 2
	s_cbranch_execz .LBB9_1778
	s_branch .LBB9_1779
.LBB9_2335:
	s_andn2_saveexec_b32 s10, s10
	s_cbranch_execz .LBB9_1882
.LBB9_2336:
	v_add_f32_e64 v3, 0x46000000, |v2|
	s_andn2_b32 s7, s7, exec_lo
	v_and_b32_e32 v3, 0xff, v3
	v_cmp_ne_u32_e32 vcc_lo, 0, v3
	s_and_b32 s11, vcc_lo, exec_lo
	s_or_b32 s7, s7, s11
	s_or_b32 exec_lo, exec_lo, s10
	v_mov_b32_e32 v7, 0
	s_and_saveexec_b32 s10, s7
	s_cbranch_execnz .LBB9_1883
	s_branch .LBB9_1884
.LBB9_2337:
	s_or_b32 s2, s2, exec_lo
	s_trap 2
	s_cbranch_execz .LBB9_1930
	s_branch .LBB9_1931
.LBB9_2338:
	s_andn2_saveexec_b32 s7, s7
	s_cbranch_execz .LBB9_1895
.LBB9_2339:
	v_add_f32_e64 v3, 0x42800000, |v2|
	s_andn2_b32 s6, s6, exec_lo
	v_and_b32_e32 v3, 0xff, v3
	v_cmp_ne_u32_e32 vcc_lo, 0, v3
	s_and_b32 s10, vcc_lo, exec_lo
	s_or_b32 s6, s6, s10
	s_or_b32 exec_lo, exec_lo, s7
	v_mov_b32_e32 v7, 0
	s_and_saveexec_b32 s7, s6
	s_cbranch_execnz .LBB9_1896
	s_branch .LBB9_1897
.LBB9_2340:
	s_andn2_saveexec_b32 s7, s7
	s_cbranch_execz .LBB9_2046
.LBB9_2341:
	v_add_f32_e64 v3, 0x46000000, |v2|
	s_andn2_b32 s6, s6, exec_lo
	v_and_b32_e32 v3, 0xff, v3
	v_cmp_ne_u32_e32 vcc_lo, 0, v3
	s_and_b32 s10, vcc_lo, exec_lo
	s_or_b32 s6, s6, s10
	s_or_b32 exec_lo, exec_lo, s7
	v_mov_b32_e32 v6, 0
	s_and_saveexec_b32 s7, s6
	s_cbranch_execnz .LBB9_2047
	s_branch .LBB9_2048
.LBB9_2342:
	s_or_b32 s2, s2, exec_lo
	s_trap 2
	s_cbranch_execz .LBB9_2094
	s_branch .LBB9_2095
.LBB9_2343:
	s_andn2_saveexec_b32 s6, s6
	s_cbranch_execz .LBB9_2059
.LBB9_2344:
	v_add_f32_e64 v3, 0x42800000, |v2|
	s_andn2_b32 s5, s5, exec_lo
	v_and_b32_e32 v3, 0xff, v3
	v_cmp_ne_u32_e32 vcc_lo, 0, v3
	s_and_b32 s7, vcc_lo, exec_lo
	s_or_b32 s5, s5, s7
	s_or_b32 exec_lo, exec_lo, s6
	v_mov_b32_e32 v6, 0
	s_and_saveexec_b32 s6, s5
	s_cbranch_execnz .LBB9_2060
	s_branch .LBB9_2061
.LBB9_2345:
	s_andn2_saveexec_b32 s7, s7
	s_cbranch_execz .LBB9_2165
.LBB9_2346:
	v_add_f32_e64 v3, 0x46000000, |v2|
	s_andn2_b32 s6, s6, exec_lo
	v_and_b32_e32 v3, 0xff, v3
	v_cmp_ne_u32_e32 vcc_lo, 0, v3
	s_and_b32 s10, vcc_lo, exec_lo
	s_or_b32 s6, s6, s10
	s_or_b32 exec_lo, exec_lo, s7
	v_mov_b32_e32 v4, 0
	s_and_saveexec_b32 s7, s6
	s_cbranch_execnz .LBB9_2166
	s_branch .LBB9_2167
.LBB9_2347:
	s_or_b32 s2, s2, exec_lo
	s_trap 2
	s_cbranch_execz .LBB9_2213
	s_branch .LBB9_2214
.LBB9_2348:
	s_andn2_saveexec_b32 s6, s6
	s_cbranch_execz .LBB9_2178
.LBB9_2349:
	v_add_f32_e64 v3, 0x42800000, |v2|
	s_andn2_b32 s5, s5, exec_lo
	v_and_b32_e32 v3, 0xff, v3
	v_cmp_ne_u32_e32 vcc_lo, 0, v3
	s_and_b32 s7, vcc_lo, exec_lo
	s_or_b32 s5, s5, s7
	s_or_b32 exec_lo, exec_lo, s6
	v_mov_b32_e32 v4, 0
	s_and_saveexec_b32 s6, s5
	s_cbranch_execnz .LBB9_2179
	s_branch .LBB9_2180
.LBB9_2350:
	s_andn2_saveexec_b32 s7, s7
	s_cbranch_execz .LBB9_2285
.LBB9_2351:
	v_add_f32_e64 v3, 0x46000000, |v2|
	s_andn2_b32 s6, s6, exec_lo
	v_and_b32_e32 v3, 0xff, v3
	v_cmp_ne_u32_e32 vcc_lo, 0, v3
	s_and_b32 s8, vcc_lo, exec_lo
	s_or_b32 s6, s6, s8
	s_or_b32 exec_lo, exec_lo, s7
	v_mov_b32_e32 v4, 0
	s_and_saveexec_b32 s7, s6
	s_cbranch_execnz .LBB9_2286
	s_branch .LBB9_2287
.LBB9_2352:
	s_mov_b32 s4, 0
	s_or_b32 s2, s2, exec_lo
	s_trap 2
	s_branch .LBB9_2331
.LBB9_2353:
	s_andn2_saveexec_b32 s6, s6
	s_cbranch_execz .LBB9_2297
.LBB9_2354:
	v_add_f32_e64 v3, 0x42800000, |v2|
	s_andn2_b32 s5, s5, exec_lo
	v_and_b32_e32 v3, 0xff, v3
	v_cmp_ne_u32_e32 vcc_lo, 0, v3
	s_and_b32 s7, vcc_lo, exec_lo
	s_or_b32 s5, s5, s7
	s_or_b32 exec_lo, exec_lo, s6
	v_mov_b32_e32 v4, 0
	s_and_saveexec_b32 s6, s5
	s_cbranch_execnz .LBB9_2298
	s_branch .LBB9_2299
	.section	.rodata,"a",@progbits
	.p2align	6, 0x0
	.amdhsa_kernel _ZN2at6native32elementwise_kernel_manual_unrollILi128ELi4EZNS0_15gpu_kernel_implIZZZNS0_19digamma_kernel_cudaERNS_18TensorIteratorBaseEENKUlvE_clEvENKUlvE_clEvEUldE_EEvS4_RKT_EUlibE0_EEviT1_
		.amdhsa_group_segment_fixed_size 0
		.amdhsa_private_segment_fixed_size 0
		.amdhsa_kernarg_size 360
		.amdhsa_user_sgpr_count 6
		.amdhsa_user_sgpr_private_segment_buffer 1
		.amdhsa_user_sgpr_dispatch_ptr 0
		.amdhsa_user_sgpr_queue_ptr 0
		.amdhsa_user_sgpr_kernarg_segment_ptr 1
		.amdhsa_user_sgpr_dispatch_id 0
		.amdhsa_user_sgpr_flat_scratch_init 0
		.amdhsa_user_sgpr_private_segment_size 0
		.amdhsa_wavefront_size32 1
		.amdhsa_uses_dynamic_stack 0
		.amdhsa_system_sgpr_private_segment_wavefront_offset 0
		.amdhsa_system_sgpr_workgroup_id_x 1
		.amdhsa_system_sgpr_workgroup_id_y 0
		.amdhsa_system_sgpr_workgroup_id_z 0
		.amdhsa_system_sgpr_workgroup_info 0
		.amdhsa_system_vgpr_workitem_id 0
		.amdhsa_next_free_vgpr 48
		.amdhsa_next_free_sgpr 68
		.amdhsa_reserve_vcc 1
		.amdhsa_reserve_flat_scratch 0
		.amdhsa_float_round_mode_32 0
		.amdhsa_float_round_mode_16_64 0
		.amdhsa_float_denorm_mode_32 3
		.amdhsa_float_denorm_mode_16_64 3
		.amdhsa_dx10_clamp 1
		.amdhsa_ieee_mode 1
		.amdhsa_fp16_overflow 0
		.amdhsa_workgroup_processor_mode 1
		.amdhsa_memory_ordered 1
		.amdhsa_forward_progress 1
		.amdhsa_shared_vgpr_count 0
		.amdhsa_exception_fp_ieee_invalid_op 0
		.amdhsa_exception_fp_denorm_src 0
		.amdhsa_exception_fp_ieee_div_zero 0
		.amdhsa_exception_fp_ieee_overflow 0
		.amdhsa_exception_fp_ieee_underflow 0
		.amdhsa_exception_fp_ieee_inexact 0
		.amdhsa_exception_int_div_zero 0
	.end_amdhsa_kernel
	.section	.text._ZN2at6native32elementwise_kernel_manual_unrollILi128ELi4EZNS0_15gpu_kernel_implIZZZNS0_19digamma_kernel_cudaERNS_18TensorIteratorBaseEENKUlvE_clEvENKUlvE_clEvEUldE_EEvS4_RKT_EUlibE0_EEviT1_,"axG",@progbits,_ZN2at6native32elementwise_kernel_manual_unrollILi128ELi4EZNS0_15gpu_kernel_implIZZZNS0_19digamma_kernel_cudaERNS_18TensorIteratorBaseEENKUlvE_clEvENKUlvE_clEvEUldE_EEvS4_RKT_EUlibE0_EEviT1_,comdat
.Lfunc_end9:
	.size	_ZN2at6native32elementwise_kernel_manual_unrollILi128ELi4EZNS0_15gpu_kernel_implIZZZNS0_19digamma_kernel_cudaERNS_18TensorIteratorBaseEENKUlvE_clEvENKUlvE_clEvEUldE_EEvS4_RKT_EUlibE0_EEviT1_, .Lfunc_end9-_ZN2at6native32elementwise_kernel_manual_unrollILi128ELi4EZNS0_15gpu_kernel_implIZZZNS0_19digamma_kernel_cudaERNS_18TensorIteratorBaseEENKUlvE_clEvENKUlvE_clEvEUldE_EEvS4_RKT_EUlibE0_EEviT1_
                                        ; -- End function
	.set _ZN2at6native32elementwise_kernel_manual_unrollILi128ELi4EZNS0_15gpu_kernel_implIZZZNS0_19digamma_kernel_cudaERNS_18TensorIteratorBaseEENKUlvE_clEvENKUlvE_clEvEUldE_EEvS4_RKT_EUlibE0_EEviT1_.num_vgpr, 48
	.set _ZN2at6native32elementwise_kernel_manual_unrollILi128ELi4EZNS0_15gpu_kernel_implIZZZNS0_19digamma_kernel_cudaERNS_18TensorIteratorBaseEENKUlvE_clEvENKUlvE_clEvEUldE_EEvS4_RKT_EUlibE0_EEviT1_.num_agpr, 0
	.set _ZN2at6native32elementwise_kernel_manual_unrollILi128ELi4EZNS0_15gpu_kernel_implIZZZNS0_19digamma_kernel_cudaERNS_18TensorIteratorBaseEENKUlvE_clEvENKUlvE_clEvEUldE_EEvS4_RKT_EUlibE0_EEviT1_.numbered_sgpr, 68
	.set _ZN2at6native32elementwise_kernel_manual_unrollILi128ELi4EZNS0_15gpu_kernel_implIZZZNS0_19digamma_kernel_cudaERNS_18TensorIteratorBaseEENKUlvE_clEvENKUlvE_clEvEUldE_EEvS4_RKT_EUlibE0_EEviT1_.num_named_barrier, 0
	.set _ZN2at6native32elementwise_kernel_manual_unrollILi128ELi4EZNS0_15gpu_kernel_implIZZZNS0_19digamma_kernel_cudaERNS_18TensorIteratorBaseEENKUlvE_clEvENKUlvE_clEvEUldE_EEvS4_RKT_EUlibE0_EEviT1_.private_seg_size, 0
	.set _ZN2at6native32elementwise_kernel_manual_unrollILi128ELi4EZNS0_15gpu_kernel_implIZZZNS0_19digamma_kernel_cudaERNS_18TensorIteratorBaseEENKUlvE_clEvENKUlvE_clEvEUldE_EEvS4_RKT_EUlibE0_EEviT1_.uses_vcc, 1
	.set _ZN2at6native32elementwise_kernel_manual_unrollILi128ELi4EZNS0_15gpu_kernel_implIZZZNS0_19digamma_kernel_cudaERNS_18TensorIteratorBaseEENKUlvE_clEvENKUlvE_clEvEUldE_EEvS4_RKT_EUlibE0_EEviT1_.uses_flat_scratch, 0
	.set _ZN2at6native32elementwise_kernel_manual_unrollILi128ELi4EZNS0_15gpu_kernel_implIZZZNS0_19digamma_kernel_cudaERNS_18TensorIteratorBaseEENKUlvE_clEvENKUlvE_clEvEUldE_EEvS4_RKT_EUlibE0_EEviT1_.has_dyn_sized_stack, 0
	.set _ZN2at6native32elementwise_kernel_manual_unrollILi128ELi4EZNS0_15gpu_kernel_implIZZZNS0_19digamma_kernel_cudaERNS_18TensorIteratorBaseEENKUlvE_clEvENKUlvE_clEvEUldE_EEvS4_RKT_EUlibE0_EEviT1_.has_recursion, 0
	.set _ZN2at6native32elementwise_kernel_manual_unrollILi128ELi4EZNS0_15gpu_kernel_implIZZZNS0_19digamma_kernel_cudaERNS_18TensorIteratorBaseEENKUlvE_clEvENKUlvE_clEvEUldE_EEvS4_RKT_EUlibE0_EEviT1_.has_indirect_call, 0
	.section	.AMDGPU.csdata,"",@progbits
; Kernel info:
; codeLenInByte = 65580
; TotalNumSgprs: 70
; NumVgprs: 48
; ScratchSize: 0
; MemoryBound: 1
; FloatMode: 240
; IeeeMode: 1
; LDSByteSize: 0 bytes/workgroup (compile time only)
; SGPRBlocks: 0
; VGPRBlocks: 5
; NumSGPRsForWavesPerEU: 70
; NumVGPRsForWavesPerEU: 48
; Occupancy: 16
; WaveLimiterHint : 1
; COMPUTE_PGM_RSRC2:SCRATCH_EN: 0
; COMPUTE_PGM_RSRC2:USER_SGPR: 6
; COMPUTE_PGM_RSRC2:TRAP_HANDLER: 0
; COMPUTE_PGM_RSRC2:TGID_X_EN: 1
; COMPUTE_PGM_RSRC2:TGID_Y_EN: 0
; COMPUTE_PGM_RSRC2:TGID_Z_EN: 0
; COMPUTE_PGM_RSRC2:TIDIG_COMP_CNT: 0
	.text
	.p2align	2                               ; -- Begin function _ZN2at6native25elementwise_kernel_helperILb0EZZZNS0_19digamma_kernel_cudaERNS_18TensorIteratorBaseEENKUlvE_clEvENKUlvE0_clEvEUlfE_NS0_6memory8policies11unroll_baseILi256ESt5arrayIPcLm2EE23TrivialOffsetCalculatorILi1EjESE_NS7_15LoadWithoutCastENS7_16StoreWithoutCastELi4ELi1EEEEEvT0_T1_
	.type	_ZN2at6native25elementwise_kernel_helperILb0EZZZNS0_19digamma_kernel_cudaERNS_18TensorIteratorBaseEENKUlvE_clEvENKUlvE0_clEvEUlfE_NS0_6memory8policies11unroll_baseILi256ESt5arrayIPcLm2EE23TrivialOffsetCalculatorILi1EjESE_NS7_15LoadWithoutCastENS7_16StoreWithoutCastELi4ELi1EEEEEvT0_T1_,@function
_ZN2at6native25elementwise_kernel_helperILb0EZZZNS0_19digamma_kernel_cudaERNS_18TensorIteratorBaseEENKUlvE_clEvENKUlvE0_clEvEUlfE_NS0_6memory8policies11unroll_baseILi256ESt5arrayIPcLm2EE23TrivialOffsetCalculatorILi1EjESE_NS7_15LoadWithoutCastENS7_16StoreWithoutCastELi4ELi1EEEEEvT0_T1_: ; @_ZN2at6native25elementwise_kernel_helperILb0EZZZNS0_19digamma_kernel_cudaERNS_18TensorIteratorBaseEENKUlvE_clEvENKUlvE0_clEvEUlfE_NS0_6memory8policies11unroll_baseILi256ESt5arrayIPcLm2EE23TrivialOffsetCalculatorILi1EjESE_NS7_15LoadWithoutCastENS7_16StoreWithoutCastELi4ELi1EEEEEvT0_T1_
; %bb.0:
	s_waitcnt vmcnt(0) expcnt(0) lgkmcnt(0)
	v_and_b32_e32 v10, 0x3ff, v31
	s_lshl_b32 s8, s12, 10
	v_mov_b32_e32 v18, 0
	v_mov_b32_e32 v19, 0
	v_cmp_lt_i32_e64 s4, v10, v4
	v_or_b32_e32 v5, s8, v10
	v_add_nc_u32_e32 v11, 0x100, v10
	v_mov_b32_e32 v6, v10
	s_and_saveexec_b32 s5, s4
	s_cbranch_execz .LBB10_2
; %bb.1:
	v_mov_b32_e32 v6, 0
	v_lshlrev_b64 v[6:7], 2, v[5:6]
	v_add_co_u32 v6, vcc_lo, v2, v6
	v_add_co_ci_u32_e64 v7, null, v3, v7, vcc_lo
	flat_load_dword v19, v[6:7]
	v_add_nc_u32_e32 v6, 0x100, v10
.LBB10_2:
	s_or_b32 exec_lo, exec_lo, s5
	s_mov_b32 s5, exec_lo
	v_cmpx_lt_i32_e64 v6, v4
	s_cbranch_execz .LBB10_4
; %bb.3:
	v_add_nc_u32_e32 v7, s8, v6
	v_mov_b32_e32 v8, 0
	v_add_nc_u32_e32 v6, 0x100, v6
	v_lshlrev_b64 v[7:8], 2, v[7:8]
	v_add_co_u32 v7, vcc_lo, v2, v7
	v_add_co_ci_u32_e64 v8, null, v3, v8, vcc_lo
	flat_load_dword v18, v[7:8]
.LBB10_4:
	s_or_b32 exec_lo, exec_lo, s5
	v_mov_b32_e32 v12, 0
	v_mov_b32_e32 v14, 0
	s_mov_b32 s5, exec_lo
	v_cmpx_lt_i32_e64 v6, v4
	s_cbranch_execz .LBB10_6
; %bb.5:
	v_add_nc_u32_e32 v7, s8, v6
	v_mov_b32_e32 v8, 0
	v_add_nc_u32_e32 v6, 0x100, v6
	v_lshlrev_b64 v[7:8], 2, v[7:8]
	v_add_co_u32 v7, vcc_lo, v2, v7
	v_add_co_ci_u32_e64 v8, null, v3, v8, vcc_lo
	flat_load_dword v14, v[7:8]
.LBB10_6:
	s_or_b32 exec_lo, exec_lo, s5
	s_mov_b32 s5, exec_lo
	v_cmpx_lt_i32_e64 v6, v4
	s_cbranch_execz .LBB10_8
; %bb.7:
	v_add_nc_u32_e32 v6, s8, v6
	v_mov_b32_e32 v7, 0
	v_lshlrev_b64 v[6:7], 2, v[6:7]
	v_add_co_u32 v2, vcc_lo, v2, v6
	v_add_co_ci_u32_e64 v3, null, v3, v7, vcc_lo
	flat_load_dword v12, v[2:3]
.LBB10_8:
	s_or_b32 exec_lo, exec_lo, s5
	v_mov_b32_e32 v13, 0
	v_mov_b32_e32 v17, v13
	;; [unrolled: 1-line block ×4, first 2 shown]
	s_and_saveexec_b32 s9, s4
	s_cbranch_execz .LBB10_34
; %bb.9:
                                        ; implicit-def: $vgpr13
	s_mov_b32 s5, exec_lo
	s_waitcnt vmcnt(0) lgkmcnt(0)
	v_cmpx_neq_f32_e32 0, v19
	s_xor_b32 s10, exec_lo, s5
	s_cbranch_execz .LBB10_31
; %bb.10:
	v_mov_b32_e32 v2, 0
	s_mov_b32 s5, -1
	s_mov_b32 s11, exec_lo
	v_cmpx_gt_f32_e32 0, v19
	s_cbranch_execz .LBB10_18
; %bb.11:
	v_trunc_f32_e32 v2, v19
	s_mov_b32 s6, 0
	v_cmp_neq_f32_e32 vcc_lo, v19, v2
	v_mov_b32_e32 v2, 0
	s_and_saveexec_b32 s12, vcc_lo
	s_cbranch_execz .LBB10_17
; %bb.12:
	v_cvt_f64_f32_e32 v[2:3], v19
	s_mov_b32 s7, 0xc00921fb
	s_mov_b32 s6, 0x54442d18
                                        ; implicit-def: $vgpr13
                                        ; implicit-def: $vgpr8_vgpr9
	v_trunc_f64_e32 v[6:7], v[2:3]
	v_cmp_neq_f64_e64 vcc_lo, 0x7ff00000, |v[2:3]|
	v_add_f64 v[6:7], v[2:3], -v[6:7]
	v_mul_f64 v[6:7], |v[6:7]|, s[6:7]
	v_cndmask_b32_e32 v3, 0x80000000, v7, vcc_lo
	v_cndmask_b32_e32 v2, 0, v6, vcc_lo
                                        ; implicit-def: $vgpr6_vgpr7
	v_cmp_ngt_f64_e64 s5, 0x41d00000, |v[2:3]|
	s_and_saveexec_b32 s7, s5
	s_xor_b32 s5, exec_lo, s7
	s_cbranch_execz .LBB10_14
; %bb.13:
	v_ldexp_f64 v[6:7], |v[2:3]|, 0xffffff80
	v_cmp_le_f64_e64 vcc_lo, 0x7b000000, |v[2:3]|
	v_trig_preop_f64 v[8:9], |v[2:3]|, 0
	v_and_b32_e32 v13, 0x7fffffff, v3
	v_trig_preop_f64 v[15:16], |v[2:3]|, 1
	v_trig_preop_f64 v[28:29], |v[2:3]|, 2
	v_mov_b32_e32 v36, 0
	s_mov_b32 s7, 0x3ff921fb
	s_mov_b32 s14, 0x33145c07
	s_mov_b32 s15, 0x3c91a626
	v_cndmask_b32_e32 v7, v13, v7, vcc_lo
	v_cndmask_b32_e32 v6, v2, v6, vcc_lo
	v_mul_f64 v[20:21], v[8:9], v[6:7]
	v_mul_f64 v[22:23], v[15:16], v[6:7]
	;; [unrolled: 1-line block ×3, first 2 shown]
	v_fma_f64 v[8:9], v[8:9], v[6:7], -v[20:21]
	v_fma_f64 v[15:16], v[15:16], v[6:7], -v[22:23]
	;; [unrolled: 1-line block ×3, first 2 shown]
	v_add_f64 v[24:25], v[22:23], v[8:9]
	v_add_f64 v[26:27], v[24:25], -v[22:23]
	v_add_f64 v[32:33], v[20:21], v[24:25]
	v_add_f64 v[30:31], v[24:25], -v[26:27]
	v_add_f64 v[8:9], v[8:9], -v[26:27]
	v_ldexp_f64 v[26:27], v[32:33], -2
	v_add_f64 v[20:21], v[32:33], -v[20:21]
	v_add_f64 v[22:23], v[22:23], -v[30:31]
	v_add_f64 v[30:31], v[34:35], v[15:16]
	v_cmp_neq_f64_e64 vcc_lo, 0x7ff00000, |v[26:27]|
	v_add_f64 v[20:21], v[24:25], -v[20:21]
	v_add_f64 v[8:9], v[8:9], v[22:23]
	v_fract_f64_e32 v[22:23], v[26:27]
	v_add_f64 v[24:25], v[30:31], v[8:9]
	v_ldexp_f64 v[22:23], v[22:23], 2
	v_add_f64 v[26:27], v[20:21], v[24:25]
	v_cndmask_b32_e32 v23, 0, v23, vcc_lo
	v_cndmask_b32_e32 v22, 0, v22, vcc_lo
	v_add_f64 v[32:33], v[26:27], v[22:23]
	v_add_f64 v[20:21], v[26:27], -v[20:21]
	v_cmp_gt_f64_e32 vcc_lo, 0, v[32:33]
	v_add_f64 v[32:33], v[30:31], -v[34:35]
	v_add_f64 v[20:21], v[24:25], -v[20:21]
	v_cndmask_b32_e64 v37, 0, 0x40100000, vcc_lo
	v_add_f64 v[50:51], v[30:31], -v[32:33]
	v_add_f64 v[15:16], v[15:16], -v[32:33]
	v_add_f64 v[22:23], v[22:23], v[36:37]
	v_add_f64 v[37:38], v[24:25], -v[30:31]
	v_add_f64 v[32:33], v[34:35], -v[50:51]
	v_add_f64 v[48:49], v[26:27], v[22:23]
	;; [unrolled: 3-line block ×3, first 2 shown]
	v_cvt_i32_f64_e32 v13, v[48:49]
	v_add_f64 v[30:31], v[30:31], -v[52:53]
	v_cvt_f64_i32_e32 v[37:38], v13
	v_add_f64 v[8:9], v[8:9], v[30:31]
	v_add_f64 v[22:23], v[22:23], -v[37:38]
	v_add_f64 v[8:9], v[15:16], v[8:9]
	v_add_f64 v[15:16], v[26:27], v[22:23]
	;; [unrolled: 1-line block ×3, first 2 shown]
	v_add_f64 v[8:9], v[15:16], -v[22:23]
	v_cmp_le_f64_e32 vcc_lo, 0.5, v[15:16]
	v_add_f64 v[6:7], v[20:21], v[6:7]
	v_add_f64 v[8:9], v[26:27], -v[8:9]
	v_cndmask_b32_e64 v37, 0, 0x3ff00000, vcc_lo
	v_add_co_ci_u32_e64 v13, null, 0, v13, vcc_lo
	v_add_f64 v[6:7], v[6:7], v[8:9]
	v_add_f64 v[8:9], v[15:16], -v[36:37]
	v_add_f64 v[15:16], v[8:9], v[6:7]
	v_mul_f64 v[20:21], v[15:16], s[6:7]
	v_add_f64 v[8:9], v[15:16], -v[8:9]
	v_fma_f64 v[22:23], v[15:16], s[6:7], -v[20:21]
	v_add_f64 v[6:7], v[6:7], -v[8:9]
	v_fma_f64 v[8:9], v[15:16], s[14:15], v[22:23]
	v_fma_f64 v[8:9], v[6:7], s[6:7], v[8:9]
	v_add_f64 v[6:7], v[20:21], v[8:9]
	v_add_f64 v[15:16], v[6:7], -v[20:21]
	v_add_f64 v[8:9], v[8:9], -v[15:16]
.LBB10_14:
	s_andn2_saveexec_b32 s5, s5
	s_cbranch_execz .LBB10_16
; %bb.15:
	s_mov_b32 s6, 0x6dc9c883
	s_mov_b32 s7, 0x3fe45f30
	;; [unrolled: 1-line block ×3, first 2 shown]
	v_mul_f64 v[6:7], |v[2:3]|, s[6:7]
	s_mov_b32 s6, 0x54442d18
	s_mov_b32 s7, 0xbff921fb
	;; [unrolled: 1-line block ×3, first 2 shown]
	v_rndne_f64_e32 v[15:16], v[6:7]
	v_fma_f64 v[6:7], v[15:16], s[6:7], |v[2:3]|
	v_mul_f64 v[8:9], v[15:16], s[14:15]
	s_mov_b32 s6, 0x252049c0
	s_mov_b32 s7, 0xb97b839a
	v_cvt_i32_f64_e32 v13, v[15:16]
	v_fma_f64 v[22:23], v[15:16], s[14:15], v[6:7]
	v_add_f64 v[20:21], v[6:7], v[8:9]
	s_mov_b32 s15, 0x3c91a626
	v_add_f64 v[6:7], v[6:7], -v[20:21]
	v_add_f64 v[20:21], v[20:21], -v[22:23]
	v_add_f64 v[6:7], v[6:7], v[8:9]
	v_fma_f64 v[8:9], v[15:16], s[14:15], v[8:9]
	v_add_f64 v[6:7], v[20:21], v[6:7]
	v_add_f64 v[6:7], v[6:7], -v[8:9]
	v_fma_f64 v[8:9], v[15:16], s[6:7], v[6:7]
	v_add_f64 v[6:7], v[22:23], v[8:9]
	v_add_f64 v[20:21], v[6:7], -v[22:23]
	v_add_f64 v[8:9], v[8:9], -v[20:21]
.LBB10_16:
	s_or_b32 exec_lo, exec_lo, s5
	v_mul_f64 v[15:16], v[6:7], v[6:7]
	v_add_f64 v[20:21], v[8:9], v[8:9]
	s_mov_b32 s14, 0xa9a29f71
	s_mov_b32 s16, 0xc751c08c
	;; [unrolled: 1-line block ×4, first 2 shown]
	v_cmp_class_f64_e64 s5, v[2:3], 0x1f8
	v_and_b32_e32 v13, 1, v13
	v_and_b32_e32 v3, 0x80000000, v3
	v_sub_f32_e32 v19, 1.0, v19
	s_mov_b32 s6, exec_lo
	v_cmp_eq_u32_e32 vcc_lo, 0, v13
	v_fma_f64 v[22:23], v[6:7], v[6:7], -v[15:16]
	v_fma_f64 v[20:21], v[6:7], v[20:21], v[22:23]
	v_add_f64 v[15:16], v[15:16], v[20:21]
	v_fma_f64 v[20:21], v[15:16], s[16:17], s[14:15]
	s_mov_b32 s14, 0x90a8aae0
	s_mov_b32 s15, 0x3f17746f
	v_fma_f64 v[20:21], v[15:16], v[20:21], s[14:15]
	s_mov_b32 s14, 0xa6fbf144
	s_mov_b32 s15, 0xbefbb44d
	;; [unrolled: 3-line block ×13, first 2 shown]
	v_mul_f64 v[15:16], v[15:16], v[20:21]
	v_mul_f64 v[20:21], v[6:7], v[15:16]
	v_add_f64 v[22:23], v[6:7], v[20:21]
	v_fma_f64 v[15:16], v[6:7], v[15:16], -v[20:21]
	v_add_f64 v[6:7], v[22:23], -v[6:7]
	v_add_f64 v[8:9], v[8:9], v[15:16]
	v_add_f64 v[6:7], v[20:21], -v[6:7]
	v_add_f64 v[6:7], v[8:9], v[6:7]
	v_add_f64 v[8:9], v[22:23], v[6:7]
	v_rcp_f64_e32 v[15:16], v[8:9]
	v_fma_f64 v[20:21], -v[8:9], v[15:16], 1.0
	v_fma_f64 v[15:16], v[20:21], v[15:16], v[15:16]
	v_fma_f64 v[20:21], -v[8:9], v[15:16], 1.0
	v_fma_f64 v[15:16], v[20:21], v[15:16], v[15:16]
	v_add_f64 v[20:21], v[8:9], -v[22:23]
	v_mul_f64 v[22:23], v[8:9], v[15:16]
	v_add_f64 v[6:7], v[6:7], -v[20:21]
	v_fma_f64 v[20:21], v[15:16], v[8:9], -v[22:23]
	v_fma_f64 v[6:7], v[15:16], v[6:7], v[20:21]
	v_add_f64 v[20:21], v[22:23], v[6:7]
	v_add_f64 v[24:25], -v[20:21], 1.0
	v_add_f64 v[22:23], v[20:21], -v[22:23]
	v_add_f64 v[26:27], -v[24:25], 1.0
	v_add_f64 v[6:7], v[22:23], -v[6:7]
	v_add_f64 v[20:21], v[26:27], -v[20:21]
	v_add_f64 v[6:7], v[6:7], v[20:21]
	v_add_f64 v[6:7], v[24:25], v[6:7]
	v_mul_f64 v[6:7], v[15:16], v[6:7]
	v_add_f64 v[6:7], v[15:16], v[6:7]
	v_xor_b32_e32 v2, 0x80000000, v7
	v_cndmask_b32_e32 v6, v6, v8, vcc_lo
	v_cndmask_b32_e32 v2, v2, v9, vcc_lo
	v_xor_b32_e32 v3, v2, v3
	v_cndmask_b32_e64 v2, 0, v6, s5
	v_cndmask_b32_e64 v3, 0x7ff80000, v3, s5
	v_div_scale_f64 v[6:7], null, v[2:3], v[2:3], s[14:15]
	v_rcp_f64_e32 v[8:9], v[6:7]
	v_fma_f64 v[15:16], -v[6:7], v[8:9], 1.0
	v_fma_f64 v[8:9], v[8:9], v[15:16], v[8:9]
	v_fma_f64 v[15:16], -v[6:7], v[8:9], 1.0
	v_fma_f64 v[8:9], v[8:9], v[15:16], v[8:9]
	v_div_scale_f64 v[15:16], vcc_lo, s[14:15], v[2:3], s[14:15]
	v_mul_f64 v[20:21], v[15:16], v[8:9]
	v_fma_f64 v[6:7], -v[6:7], v[20:21], v[15:16]
	v_div_fmas_f64 v[6:7], v[6:7], v[8:9], v[20:21]
	v_div_fixup_f64 v[2:3], v[6:7], v[2:3], s[14:15]
	v_cvt_f32_f64_e32 v2, v[2:3]
.LBB10_17:
	s_or_b32 exec_lo, exec_lo, s12
	s_orn2_b32 s5, s6, exec_lo
.LBB10_18:
	s_or_b32 exec_lo, exec_lo, s11
	v_mov_b32_e32 v13, 0x7fc00000
	s_and_saveexec_b32 s7, s5
	s_cbranch_execz .LBB10_30
; %bb.19:
	s_mov_b32 s5, exec_lo
	v_cmpx_gt_f32_e32 0x41200000, v19
	s_cbranch_execz .LBB10_23
; %bb.20:
	s_mov_b32 s6, 0
	.p2align	6
.LBB10_21:                              ; =>This Inner Loop Header: Depth=1
	v_div_scale_f32 v3, null, v19, v19, 1.0
	v_div_scale_f32 v8, vcc_lo, 1.0, v19, 1.0
	v_rcp_f32_e32 v6, v3
	v_fma_f32 v7, -v3, v6, 1.0
	v_fmac_f32_e32 v6, v7, v6
	v_mul_f32_e32 v7, v8, v6
	v_fma_f32 v9, -v3, v7, v8
	v_fmac_f32_e32 v7, v9, v6
	v_fma_f32 v3, -v3, v7, v8
	v_div_fmas_f32 v3, v3, v6, v7
	v_div_fixup_f32 v3, v3, v19, 1.0
	v_add_f32_e32 v19, 1.0, v19
	v_sub_f32_e32 v2, v2, v3
	v_cmp_ngt_f32_e32 vcc_lo, 0x41200000, v19
	s_or_b32 s6, vcc_lo, s6
	s_andn2_b32 exec_lo, exec_lo, s6
	s_cbranch_execnz .LBB10_21
; %bb.22:
	s_or_b32 exec_lo, exec_lo, s6
.LBB10_23:
	s_or_b32 exec_lo, exec_lo, s5
                                        ; implicit-def: $vgpr13
	s_mov_b32 s5, exec_lo
	v_cmpx_neq_f32_e32 0x41200000, v19
	s_xor_b32 s11, exec_lo, s5
	s_cbranch_execz .LBB10_27
; %bb.24:
	v_cvt_f64_f32_e32 v[6:7], v19
	v_mov_b32_e32 v3, 0
	s_mov_b32 s12, 0x85d8a000
	s_mov_b32 s13, 0x43763457
	s_mov_b32 s5, exec_lo
	v_cmpx_gt_f64_e32 s[12:13], v[6:7]
	s_cbranch_execz .LBB10_26
; %bb.25:
	v_mul_f32_e32 v3, v19, v19
	v_div_scale_f32 v6, null, v3, v3, 1.0
	v_rcp_f32_e32 v7, v6
	v_fma_f32 v8, -v6, v7, 1.0
	v_fmac_f32_e32 v7, v8, v7
	v_div_scale_f32 v8, vcc_lo, 1.0, v3, 1.0
	v_mul_f32_e32 v9, v8, v7
	v_fma_f32 v13, -v6, v9, v8
	v_fmac_f32_e32 v9, v13, v7
	v_fma_f32 v6, -v6, v9, v8
	v_div_fmas_f32 v6, v6, v7, v9
	v_div_fixup_f32 v3, v6, v3, 1.0
	v_fmaak_f32 v6, 0, v3, 0x3daaaaab
	v_fmaak_f32 v6, v3, v6, 0xbcaccacd
	;; [unrolled: 1-line block ×7, first 2 shown]
	v_mul_f32_e32 v3, v3, v6
.LBB10_26:
	s_or_b32 exec_lo, exec_lo, s5
	v_cmp_gt_f32_e32 vcc_lo, 0x800000, v19
	v_div_scale_f32 v6, null, v19, v19, -0.5
	v_div_scale_f32 v13, s5, -0.5, v19, -0.5
	v_cndmask_b32_e64 v7, 0, 32, vcc_lo
	v_rcp_f32_e32 v8, v6
	v_ldexp_f32 v7, v19, v7
	v_log_f32_e32 v7, v7
	v_fma_f32 v9, -v6, v8, 1.0
	v_fmac_f32_e32 v8, v9, v8
	v_mul_f32_e32 v9, 0x3f317217, v7
	v_mul_f32_e32 v15, v13, v8
	v_cmp_gt_f32_e64 s6, 0x7f800000, |v7|
	v_fma_f32 v9, 0x3f317217, v7, -v9
	v_fma_f32 v16, -v6, v15, v13
	v_fmamk_f32 v9, v7, 0x3377d1cf, v9
	v_fmac_f32_e32 v15, v16, v8
	v_fmac_f32_e32 v9, 0x3f317217, v7
	v_fma_f32 v6, -v6, v15, v13
	v_cndmask_b32_e64 v7, v7, v9, s6
	v_cndmask_b32_e64 v9, 0, 0x41b17218, vcc_lo
	s_mov_b32 vcc_lo, s5
	v_div_fmas_f32 v6, v6, v8, v15
	v_sub_f32_e32 v7, v7, v9
	v_div_fixup_f32 v6, v6, v19, -0.5
	v_add_f32_e32 v6, v7, v6
	v_sub_f32_e32 v3, v6, v3
	v_add_f32_e32 v13, v2, v3
                                        ; implicit-def: $vgpr2
.LBB10_27:
	s_andn2_saveexec_b32 s5, s11
; %bb.28:
	v_add_f32_e32 v13, 0x40101cb7, v2
; %bb.29:
	s_or_b32 exec_lo, exec_lo, s5
.LBB10_30:
	s_or_b32 exec_lo, exec_lo, s7
                                        ; implicit-def: $vgpr19
.LBB10_31:
	s_andn2_saveexec_b32 s5, s10
; %bb.32:
	v_xor_b32_e32 v2, 0x80000000, v19
	s_mov_b32 s6, 0x7f800000
	v_bfi_b32 v13, 0x7fffffff, s6, v2
; %bb.33:
	s_or_b32 exec_lo, exec_lo, s5
	v_mov_b32_e32 v17, 0
	v_mov_b32_e32 v16, v17
	;; [unrolled: 1-line block ×3, first 2 shown]
.LBB10_34:
	s_or_b32 exec_lo, exec_lo, s9
	s_mov_b32 s9, exec_lo
	v_cmpx_lt_i32_e64 v11, v4
	s_cbranch_execz .LBB10_60
; %bb.35:
	s_mov_b32 s5, exec_lo
	s_waitcnt vmcnt(0) lgkmcnt(0)
	v_cmpx_neq_f32_e32 0, v18
	s_xor_b32 s10, exec_lo, s5
                                        ; implicit-def: $vgpr17
	s_cbranch_execz .LBB10_57
; %bb.36:
	v_mov_b32_e32 v2, 0
	s_mov_b32 s5, -1
	s_mov_b32 s11, exec_lo
	v_cmpx_gt_f32_e32 0, v18
	s_cbranch_execz .LBB10_44
; %bb.37:
	v_trunc_f32_e32 v2, v18
	s_mov_b32 s6, 0
	v_cmp_neq_f32_e32 vcc_lo, v18, v2
	v_mov_b32_e32 v2, 0
	s_and_saveexec_b32 s12, vcc_lo
	s_cbranch_execz .LBB10_43
; %bb.38:
	v_cvt_f64_f32_e32 v[2:3], v18
	s_mov_b32 s7, 0xc00921fb
	s_mov_b32 s6, 0x54442d18
                                        ; implicit-def: $vgpr17
                                        ; implicit-def: $vgpr8_vgpr9
	v_trunc_f64_e32 v[6:7], v[2:3]
	v_cmp_neq_f64_e64 vcc_lo, 0x7ff00000, |v[2:3]|
	v_add_f64 v[6:7], v[2:3], -v[6:7]
	v_mul_f64 v[6:7], |v[6:7]|, s[6:7]
	v_cndmask_b32_e32 v3, 0x80000000, v7, vcc_lo
	v_cndmask_b32_e32 v2, 0, v6, vcc_lo
                                        ; implicit-def: $vgpr6_vgpr7
	v_cmp_ngt_f64_e64 s5, 0x41d00000, |v[2:3]|
	s_and_saveexec_b32 s7, s5
	s_xor_b32 s5, exec_lo, s7
	s_cbranch_execz .LBB10_40
; %bb.39:
	v_ldexp_f64 v[6:7], |v[2:3]|, 0xffffff80
	v_cmp_le_f64_e64 vcc_lo, 0x7b000000, |v[2:3]|
	v_trig_preop_f64 v[8:9], |v[2:3]|, 0
	v_and_b32_e32 v17, 0x7fffffff, v3
	v_trig_preop_f64 v[19:20], |v[2:3]|, 1
	v_trig_preop_f64 v[29:30], |v[2:3]|, 2
	v_mov_b32_e32 v37, 0
	s_mov_b32 s7, 0x3ff921fb
	s_mov_b32 s14, 0x33145c07
	;; [unrolled: 1-line block ×3, first 2 shown]
	v_cndmask_b32_e32 v7, v17, v7, vcc_lo
	v_cndmask_b32_e32 v6, v2, v6, vcc_lo
	v_mul_f64 v[21:22], v[8:9], v[6:7]
	v_mul_f64 v[23:24], v[19:20], v[6:7]
	;; [unrolled: 1-line block ×3, first 2 shown]
	v_fma_f64 v[8:9], v[8:9], v[6:7], -v[21:22]
	v_fma_f64 v[19:20], v[19:20], v[6:7], -v[23:24]
	;; [unrolled: 1-line block ×3, first 2 shown]
	v_add_f64 v[25:26], v[23:24], v[8:9]
	v_add_f64 v[27:28], v[25:26], -v[23:24]
	v_add_f64 v[33:34], v[21:22], v[25:26]
	v_add_f64 v[31:32], v[25:26], -v[27:28]
	v_add_f64 v[8:9], v[8:9], -v[27:28]
	v_ldexp_f64 v[27:28], v[33:34], -2
	v_add_f64 v[21:22], v[33:34], -v[21:22]
	v_add_f64 v[23:24], v[23:24], -v[31:32]
	v_add_f64 v[31:32], v[35:36], v[19:20]
	v_cmp_neq_f64_e64 vcc_lo, 0x7ff00000, |v[27:28]|
	v_add_f64 v[21:22], v[25:26], -v[21:22]
	v_add_f64 v[8:9], v[8:9], v[23:24]
	v_fract_f64_e32 v[23:24], v[27:28]
	v_add_f64 v[25:26], v[31:32], v[8:9]
	v_ldexp_f64 v[23:24], v[23:24], 2
	v_add_f64 v[27:28], v[21:22], v[25:26]
	v_cndmask_b32_e32 v24, 0, v24, vcc_lo
	v_cndmask_b32_e32 v23, 0, v23, vcc_lo
	v_add_f64 v[33:34], v[27:28], v[23:24]
	v_add_f64 v[21:22], v[27:28], -v[21:22]
	v_cmp_gt_f64_e32 vcc_lo, 0, v[33:34]
	v_add_f64 v[33:34], v[31:32], -v[35:36]
	v_add_f64 v[21:22], v[25:26], -v[21:22]
	v_cndmask_b32_e64 v38, 0, 0x40100000, vcc_lo
	v_add_f64 v[50:51], v[31:32], -v[33:34]
	v_add_f64 v[19:20], v[19:20], -v[33:34]
	v_add_f64 v[23:24], v[23:24], v[37:38]
	v_add_f64 v[38:39], v[25:26], -v[31:32]
	v_add_f64 v[33:34], v[35:36], -v[50:51]
	v_add_f64 v[48:49], v[27:28], v[23:24]
	;; [unrolled: 3-line block ×3, first 2 shown]
	v_cvt_i32_f64_e32 v17, v[48:49]
	v_add_f64 v[31:32], v[31:32], -v[52:53]
	v_cvt_f64_i32_e32 v[38:39], v17
	v_add_f64 v[8:9], v[8:9], v[31:32]
	v_add_f64 v[23:24], v[23:24], -v[38:39]
	v_add_f64 v[8:9], v[19:20], v[8:9]
	v_add_f64 v[19:20], v[27:28], v[23:24]
	;; [unrolled: 1-line block ×3, first 2 shown]
	v_add_f64 v[8:9], v[19:20], -v[23:24]
	v_cmp_le_f64_e32 vcc_lo, 0.5, v[19:20]
	v_add_f64 v[6:7], v[21:22], v[6:7]
	v_add_f64 v[8:9], v[27:28], -v[8:9]
	v_cndmask_b32_e64 v38, 0, 0x3ff00000, vcc_lo
	v_add_co_ci_u32_e64 v17, null, 0, v17, vcc_lo
	v_add_f64 v[6:7], v[6:7], v[8:9]
	v_add_f64 v[8:9], v[19:20], -v[37:38]
	v_add_f64 v[19:20], v[8:9], v[6:7]
	v_mul_f64 v[21:22], v[19:20], s[6:7]
	v_add_f64 v[8:9], v[19:20], -v[8:9]
	v_fma_f64 v[23:24], v[19:20], s[6:7], -v[21:22]
	v_add_f64 v[6:7], v[6:7], -v[8:9]
	v_fma_f64 v[8:9], v[19:20], s[14:15], v[23:24]
	v_fma_f64 v[8:9], v[6:7], s[6:7], v[8:9]
	v_add_f64 v[6:7], v[21:22], v[8:9]
	v_add_f64 v[19:20], v[6:7], -v[21:22]
	v_add_f64 v[8:9], v[8:9], -v[19:20]
.LBB10_40:
	s_andn2_saveexec_b32 s5, s5
	s_cbranch_execz .LBB10_42
; %bb.41:
	s_mov_b32 s6, 0x6dc9c883
	s_mov_b32 s7, 0x3fe45f30
	;; [unrolled: 1-line block ×3, first 2 shown]
	v_mul_f64 v[6:7], |v[2:3]|, s[6:7]
	s_mov_b32 s6, 0x54442d18
	s_mov_b32 s7, 0xbff921fb
	;; [unrolled: 1-line block ×3, first 2 shown]
	v_rndne_f64_e32 v[19:20], v[6:7]
	v_fma_f64 v[6:7], v[19:20], s[6:7], |v[2:3]|
	v_mul_f64 v[8:9], v[19:20], s[14:15]
	s_mov_b32 s6, 0x252049c0
	s_mov_b32 s7, 0xb97b839a
	v_cvt_i32_f64_e32 v17, v[19:20]
	v_fma_f64 v[23:24], v[19:20], s[14:15], v[6:7]
	v_add_f64 v[21:22], v[6:7], v[8:9]
	s_mov_b32 s15, 0x3c91a626
	v_add_f64 v[6:7], v[6:7], -v[21:22]
	v_add_f64 v[21:22], v[21:22], -v[23:24]
	v_add_f64 v[6:7], v[6:7], v[8:9]
	v_fma_f64 v[8:9], v[19:20], s[14:15], v[8:9]
	v_add_f64 v[6:7], v[21:22], v[6:7]
	v_add_f64 v[6:7], v[6:7], -v[8:9]
	v_fma_f64 v[8:9], v[19:20], s[6:7], v[6:7]
	v_add_f64 v[6:7], v[23:24], v[8:9]
	v_add_f64 v[21:22], v[6:7], -v[23:24]
	v_add_f64 v[8:9], v[8:9], -v[21:22]
.LBB10_42:
	s_or_b32 exec_lo, exec_lo, s5
	v_mul_f64 v[19:20], v[6:7], v[6:7]
	v_add_f64 v[21:22], v[8:9], v[8:9]
	s_mov_b32 s14, 0xa9a29f71
	s_mov_b32 s16, 0xc751c08c
	;; [unrolled: 1-line block ×4, first 2 shown]
	v_cmp_class_f64_e64 s5, v[2:3], 0x1f8
	v_and_b32_e32 v17, 1, v17
	v_and_b32_e32 v3, 0x80000000, v3
	v_sub_f32_e32 v18, 1.0, v18
	s_mov_b32 s6, exec_lo
	v_cmp_eq_u32_e32 vcc_lo, 0, v17
	v_fma_f64 v[23:24], v[6:7], v[6:7], -v[19:20]
	v_fma_f64 v[21:22], v[6:7], v[21:22], v[23:24]
	v_add_f64 v[19:20], v[19:20], v[21:22]
	v_fma_f64 v[21:22], v[19:20], s[16:17], s[14:15]
	s_mov_b32 s14, 0x90a8aae0
	s_mov_b32 s15, 0x3f17746f
	v_fma_f64 v[21:22], v[19:20], v[21:22], s[14:15]
	s_mov_b32 s14, 0xa6fbf144
	s_mov_b32 s15, 0xbefbb44d
	;; [unrolled: 3-line block ×13, first 2 shown]
	v_mul_f64 v[19:20], v[19:20], v[21:22]
	v_mul_f64 v[21:22], v[6:7], v[19:20]
	v_add_f64 v[23:24], v[6:7], v[21:22]
	v_fma_f64 v[19:20], v[6:7], v[19:20], -v[21:22]
	v_add_f64 v[6:7], v[23:24], -v[6:7]
	v_add_f64 v[8:9], v[8:9], v[19:20]
	v_add_f64 v[6:7], v[21:22], -v[6:7]
	v_add_f64 v[6:7], v[8:9], v[6:7]
	v_add_f64 v[8:9], v[23:24], v[6:7]
	v_rcp_f64_e32 v[19:20], v[8:9]
	v_fma_f64 v[21:22], -v[8:9], v[19:20], 1.0
	v_fma_f64 v[19:20], v[21:22], v[19:20], v[19:20]
	v_fma_f64 v[21:22], -v[8:9], v[19:20], 1.0
	v_fma_f64 v[19:20], v[21:22], v[19:20], v[19:20]
	v_add_f64 v[21:22], v[8:9], -v[23:24]
	v_mul_f64 v[23:24], v[8:9], v[19:20]
	v_add_f64 v[6:7], v[6:7], -v[21:22]
	v_fma_f64 v[21:22], v[19:20], v[8:9], -v[23:24]
	v_fma_f64 v[6:7], v[19:20], v[6:7], v[21:22]
	v_add_f64 v[21:22], v[23:24], v[6:7]
	v_add_f64 v[25:26], -v[21:22], 1.0
	v_add_f64 v[23:24], v[21:22], -v[23:24]
	v_add_f64 v[27:28], -v[25:26], 1.0
	v_add_f64 v[6:7], v[23:24], -v[6:7]
	v_add_f64 v[21:22], v[27:28], -v[21:22]
	v_add_f64 v[6:7], v[6:7], v[21:22]
	v_add_f64 v[6:7], v[25:26], v[6:7]
	v_mul_f64 v[6:7], v[19:20], v[6:7]
	v_add_f64 v[6:7], v[19:20], v[6:7]
	v_xor_b32_e32 v2, 0x80000000, v7
	v_cndmask_b32_e32 v6, v6, v8, vcc_lo
	v_cndmask_b32_e32 v2, v2, v9, vcc_lo
	v_xor_b32_e32 v3, v2, v3
	v_cndmask_b32_e64 v2, 0, v6, s5
	v_cndmask_b32_e64 v3, 0x7ff80000, v3, s5
	v_div_scale_f64 v[6:7], null, v[2:3], v[2:3], s[14:15]
	v_rcp_f64_e32 v[8:9], v[6:7]
	v_fma_f64 v[19:20], -v[6:7], v[8:9], 1.0
	v_fma_f64 v[8:9], v[8:9], v[19:20], v[8:9]
	v_fma_f64 v[19:20], -v[6:7], v[8:9], 1.0
	v_fma_f64 v[8:9], v[8:9], v[19:20], v[8:9]
	v_div_scale_f64 v[19:20], vcc_lo, s[14:15], v[2:3], s[14:15]
	v_mul_f64 v[21:22], v[19:20], v[8:9]
	v_fma_f64 v[6:7], -v[6:7], v[21:22], v[19:20]
	v_div_fmas_f64 v[6:7], v[6:7], v[8:9], v[21:22]
	v_div_fixup_f64 v[2:3], v[6:7], v[2:3], s[14:15]
	v_cvt_f32_f64_e32 v2, v[2:3]
.LBB10_43:
	s_or_b32 exec_lo, exec_lo, s12
	s_orn2_b32 s5, s6, exec_lo
.LBB10_44:
	s_or_b32 exec_lo, exec_lo, s11
	v_mov_b32_e32 v17, 0x7fc00000
	s_and_saveexec_b32 s7, s5
	s_cbranch_execz .LBB10_56
; %bb.45:
	s_mov_b32 s5, exec_lo
	v_cmpx_gt_f32_e32 0x41200000, v18
	s_cbranch_execz .LBB10_49
; %bb.46:
	s_mov_b32 s6, 0
	.p2align	6
.LBB10_47:                              ; =>This Inner Loop Header: Depth=1
	v_div_scale_f32 v3, null, v18, v18, 1.0
	v_div_scale_f32 v8, vcc_lo, 1.0, v18, 1.0
	v_rcp_f32_e32 v6, v3
	v_fma_f32 v7, -v3, v6, 1.0
	v_fmac_f32_e32 v6, v7, v6
	v_mul_f32_e32 v7, v8, v6
	v_fma_f32 v9, -v3, v7, v8
	v_fmac_f32_e32 v7, v9, v6
	v_fma_f32 v3, -v3, v7, v8
	v_div_fmas_f32 v3, v3, v6, v7
	v_div_fixup_f32 v3, v3, v18, 1.0
	v_add_f32_e32 v18, 1.0, v18
	v_sub_f32_e32 v2, v2, v3
	v_cmp_ngt_f32_e32 vcc_lo, 0x41200000, v18
	s_or_b32 s6, vcc_lo, s6
	s_andn2_b32 exec_lo, exec_lo, s6
	s_cbranch_execnz .LBB10_47
; %bb.48:
	s_or_b32 exec_lo, exec_lo, s6
.LBB10_49:
	s_or_b32 exec_lo, exec_lo, s5
	s_mov_b32 s5, exec_lo
	v_cmpx_neq_f32_e32 0x41200000, v18
	s_xor_b32 s11, exec_lo, s5
                                        ; implicit-def: $vgpr17
	s_cbranch_execz .LBB10_53
; %bb.50:
	v_cvt_f64_f32_e32 v[6:7], v18
	v_mov_b32_e32 v3, 0
	s_mov_b32 s12, 0x85d8a000
	s_mov_b32 s13, 0x43763457
	s_mov_b32 s5, exec_lo
	v_cmpx_gt_f64_e32 s[12:13], v[6:7]
	s_cbranch_execz .LBB10_52
; %bb.51:
	v_mul_f32_e32 v3, v18, v18
	v_div_scale_f32 v6, null, v3, v3, 1.0
	v_rcp_f32_e32 v7, v6
	v_fma_f32 v8, -v6, v7, 1.0
	v_fmac_f32_e32 v7, v8, v7
	v_div_scale_f32 v8, vcc_lo, 1.0, v3, 1.0
	v_mul_f32_e32 v9, v8, v7
	v_fma_f32 v17, -v6, v9, v8
	v_fmac_f32_e32 v9, v17, v7
	v_fma_f32 v6, -v6, v9, v8
	v_div_fmas_f32 v6, v6, v7, v9
	v_div_fixup_f32 v3, v6, v3, 1.0
	v_fmaak_f32 v6, 0, v3, 0x3daaaaab
	v_fmaak_f32 v6, v3, v6, 0xbcaccacd
	;; [unrolled: 1-line block ×7, first 2 shown]
	v_mul_f32_e32 v3, v3, v6
.LBB10_52:
	s_or_b32 exec_lo, exec_lo, s5
	v_cmp_gt_f32_e32 vcc_lo, 0x800000, v18
	v_div_scale_f32 v6, null, v18, v18, -0.5
	v_div_scale_f32 v17, s5, -0.5, v18, -0.5
	v_cndmask_b32_e64 v7, 0, 32, vcc_lo
	v_rcp_f32_e32 v8, v6
	v_ldexp_f32 v7, v18, v7
	v_log_f32_e32 v7, v7
	v_fma_f32 v9, -v6, v8, 1.0
	v_fmac_f32_e32 v8, v9, v8
	v_mul_f32_e32 v9, 0x3f317217, v7
	v_mul_f32_e32 v19, v17, v8
	v_cmp_gt_f32_e64 s6, 0x7f800000, |v7|
	v_fma_f32 v9, 0x3f317217, v7, -v9
	v_fma_f32 v20, -v6, v19, v17
	v_fmamk_f32 v9, v7, 0x3377d1cf, v9
	v_fmac_f32_e32 v19, v20, v8
	v_fmac_f32_e32 v9, 0x3f317217, v7
	v_fma_f32 v6, -v6, v19, v17
	v_cndmask_b32_e64 v7, v7, v9, s6
	v_cndmask_b32_e64 v9, 0, 0x41b17218, vcc_lo
	s_mov_b32 vcc_lo, s5
	v_div_fmas_f32 v6, v6, v8, v19
	v_sub_f32_e32 v7, v7, v9
	v_div_fixup_f32 v6, v6, v18, -0.5
	v_add_f32_e32 v6, v7, v6
	v_sub_f32_e32 v3, v6, v3
	v_add_f32_e32 v17, v2, v3
                                        ; implicit-def: $vgpr2
.LBB10_53:
	s_andn2_saveexec_b32 s5, s11
; %bb.54:
	v_add_f32_e32 v17, 0x40101cb7, v2
; %bb.55:
	s_or_b32 exec_lo, exec_lo, s5
.LBB10_56:
	s_or_b32 exec_lo, exec_lo, s7
                                        ; implicit-def: $vgpr18
.LBB10_57:
	s_andn2_saveexec_b32 s5, s10
; %bb.58:
	v_xor_b32_e32 v2, 0x80000000, v18
	s_mov_b32 s6, 0x7f800000
	v_bfi_b32 v17, 0x7fffffff, s6, v2
; %bb.59:
	s_or_b32 exec_lo, exec_lo, s5
.LBB10_60:
	s_or_b32 exec_lo, exec_lo, s9
	v_add_nc_u32_e32 v2, 0x200, v10
	s_mov_b32 s9, exec_lo
	v_cmpx_lt_i32_e64 v2, v4
	s_cbranch_execz .LBB10_86
; %bb.61:
	s_mov_b32 s5, exec_lo
	s_waitcnt vmcnt(0) lgkmcnt(0)
	v_cmpx_neq_f32_e32 0, v14
	s_xor_b32 s10, exec_lo, s5
                                        ; implicit-def: $vgpr16
	s_cbranch_execz .LBB10_83
; %bb.62:
	v_mov_b32_e32 v2, 0
	s_mov_b32 s5, -1
	s_mov_b32 s11, exec_lo
	v_cmpx_gt_f32_e32 0, v14
	s_cbranch_execz .LBB10_70
; %bb.63:
	v_trunc_f32_e32 v2, v14
	s_mov_b32 s6, 0
	v_cmp_neq_f32_e32 vcc_lo, v14, v2
	v_mov_b32_e32 v2, 0
	s_and_saveexec_b32 s12, vcc_lo
	s_cbranch_execz .LBB10_69
; %bb.64:
	v_cvt_f64_f32_e32 v[2:3], v14
	s_mov_b32 s7, 0xc00921fb
	s_mov_b32 s6, 0x54442d18
                                        ; implicit-def: $vgpr16
                                        ; implicit-def: $vgpr8_vgpr9
	v_trunc_f64_e32 v[6:7], v[2:3]
	v_cmp_neq_f64_e64 vcc_lo, 0x7ff00000, |v[2:3]|
	v_add_f64 v[6:7], v[2:3], -v[6:7]
	v_mul_f64 v[6:7], |v[6:7]|, s[6:7]
	v_cndmask_b32_e32 v3, 0x80000000, v7, vcc_lo
	v_cndmask_b32_e32 v2, 0, v6, vcc_lo
                                        ; implicit-def: $vgpr6_vgpr7
	v_cmp_ngt_f64_e64 s5, 0x41d00000, |v[2:3]|
	s_and_saveexec_b32 s7, s5
	s_xor_b32 s5, exec_lo, s7
	s_cbranch_execz .LBB10_66
; %bb.65:
	v_ldexp_f64 v[6:7], |v[2:3]|, 0xffffff80
	v_cmp_le_f64_e64 vcc_lo, 0x7b000000, |v[2:3]|
	v_trig_preop_f64 v[8:9], |v[2:3]|, 0
	v_and_b32_e32 v16, 0x7fffffff, v3
	v_trig_preop_f64 v[18:19], |v[2:3]|, 1
	v_trig_preop_f64 v[28:29], |v[2:3]|, 2
	v_mov_b32_e32 v36, 0
	s_mov_b32 s7, 0x3ff921fb
	s_mov_b32 s14, 0x33145c07
	;; [unrolled: 1-line block ×3, first 2 shown]
	v_cndmask_b32_e32 v7, v16, v7, vcc_lo
	v_cndmask_b32_e32 v6, v2, v6, vcc_lo
	v_mul_f64 v[20:21], v[8:9], v[6:7]
	v_mul_f64 v[22:23], v[18:19], v[6:7]
	;; [unrolled: 1-line block ×3, first 2 shown]
	v_fma_f64 v[8:9], v[8:9], v[6:7], -v[20:21]
	v_fma_f64 v[18:19], v[18:19], v[6:7], -v[22:23]
	;; [unrolled: 1-line block ×3, first 2 shown]
	v_add_f64 v[24:25], v[22:23], v[8:9]
	v_add_f64 v[26:27], v[24:25], -v[22:23]
	v_add_f64 v[32:33], v[20:21], v[24:25]
	v_add_f64 v[30:31], v[24:25], -v[26:27]
	v_add_f64 v[8:9], v[8:9], -v[26:27]
	v_ldexp_f64 v[26:27], v[32:33], -2
	v_add_f64 v[20:21], v[32:33], -v[20:21]
	v_add_f64 v[22:23], v[22:23], -v[30:31]
	v_add_f64 v[30:31], v[34:35], v[18:19]
	v_cmp_neq_f64_e64 vcc_lo, 0x7ff00000, |v[26:27]|
	v_add_f64 v[20:21], v[24:25], -v[20:21]
	v_add_f64 v[8:9], v[8:9], v[22:23]
	v_fract_f64_e32 v[22:23], v[26:27]
	v_add_f64 v[24:25], v[30:31], v[8:9]
	v_ldexp_f64 v[22:23], v[22:23], 2
	v_add_f64 v[26:27], v[20:21], v[24:25]
	v_cndmask_b32_e32 v23, 0, v23, vcc_lo
	v_cndmask_b32_e32 v22, 0, v22, vcc_lo
	v_add_f64 v[32:33], v[26:27], v[22:23]
	v_add_f64 v[20:21], v[26:27], -v[20:21]
	v_cmp_gt_f64_e32 vcc_lo, 0, v[32:33]
	v_add_f64 v[32:33], v[30:31], -v[34:35]
	v_add_f64 v[20:21], v[24:25], -v[20:21]
	v_cndmask_b32_e64 v37, 0, 0x40100000, vcc_lo
	v_add_f64 v[50:51], v[30:31], -v[32:33]
	v_add_f64 v[18:19], v[18:19], -v[32:33]
	v_add_f64 v[22:23], v[22:23], v[36:37]
	v_add_f64 v[37:38], v[24:25], -v[30:31]
	v_add_f64 v[32:33], v[34:35], -v[50:51]
	v_add_f64 v[48:49], v[26:27], v[22:23]
	;; [unrolled: 3-line block ×3, first 2 shown]
	v_cvt_i32_f64_e32 v16, v[48:49]
	v_add_f64 v[30:31], v[30:31], -v[52:53]
	v_cvt_f64_i32_e32 v[37:38], v16
	v_add_f64 v[8:9], v[8:9], v[30:31]
	v_add_f64 v[22:23], v[22:23], -v[37:38]
	v_add_f64 v[8:9], v[18:19], v[8:9]
	v_add_f64 v[18:19], v[26:27], v[22:23]
	;; [unrolled: 1-line block ×3, first 2 shown]
	v_add_f64 v[8:9], v[18:19], -v[22:23]
	v_cmp_le_f64_e32 vcc_lo, 0.5, v[18:19]
	v_add_f64 v[6:7], v[20:21], v[6:7]
	v_add_f64 v[8:9], v[26:27], -v[8:9]
	v_cndmask_b32_e64 v37, 0, 0x3ff00000, vcc_lo
	v_add_co_ci_u32_e64 v16, null, 0, v16, vcc_lo
	v_add_f64 v[6:7], v[6:7], v[8:9]
	v_add_f64 v[8:9], v[18:19], -v[36:37]
	v_add_f64 v[18:19], v[8:9], v[6:7]
	v_mul_f64 v[20:21], v[18:19], s[6:7]
	v_add_f64 v[8:9], v[18:19], -v[8:9]
	v_fma_f64 v[22:23], v[18:19], s[6:7], -v[20:21]
	v_add_f64 v[6:7], v[6:7], -v[8:9]
	v_fma_f64 v[8:9], v[18:19], s[14:15], v[22:23]
	v_fma_f64 v[8:9], v[6:7], s[6:7], v[8:9]
	v_add_f64 v[6:7], v[20:21], v[8:9]
	v_add_f64 v[18:19], v[6:7], -v[20:21]
	v_add_f64 v[8:9], v[8:9], -v[18:19]
.LBB10_66:
	s_andn2_saveexec_b32 s5, s5
	s_cbranch_execz .LBB10_68
; %bb.67:
	s_mov_b32 s6, 0x6dc9c883
	s_mov_b32 s7, 0x3fe45f30
	;; [unrolled: 1-line block ×3, first 2 shown]
	v_mul_f64 v[6:7], |v[2:3]|, s[6:7]
	s_mov_b32 s6, 0x54442d18
	s_mov_b32 s7, 0xbff921fb
	;; [unrolled: 1-line block ×3, first 2 shown]
	v_rndne_f64_e32 v[18:19], v[6:7]
	v_fma_f64 v[6:7], v[18:19], s[6:7], |v[2:3]|
	v_mul_f64 v[8:9], v[18:19], s[14:15]
	s_mov_b32 s6, 0x252049c0
	s_mov_b32 s7, 0xb97b839a
	v_cvt_i32_f64_e32 v16, v[18:19]
	v_fma_f64 v[22:23], v[18:19], s[14:15], v[6:7]
	v_add_f64 v[20:21], v[6:7], v[8:9]
	s_mov_b32 s15, 0x3c91a626
	v_add_f64 v[6:7], v[6:7], -v[20:21]
	v_add_f64 v[20:21], v[20:21], -v[22:23]
	v_add_f64 v[6:7], v[6:7], v[8:9]
	v_fma_f64 v[8:9], v[18:19], s[14:15], v[8:9]
	v_add_f64 v[6:7], v[20:21], v[6:7]
	v_add_f64 v[6:7], v[6:7], -v[8:9]
	v_fma_f64 v[8:9], v[18:19], s[6:7], v[6:7]
	v_add_f64 v[6:7], v[22:23], v[8:9]
	v_add_f64 v[20:21], v[6:7], -v[22:23]
	v_add_f64 v[8:9], v[8:9], -v[20:21]
.LBB10_68:
	s_or_b32 exec_lo, exec_lo, s5
	v_mul_f64 v[18:19], v[6:7], v[6:7]
	v_add_f64 v[20:21], v[8:9], v[8:9]
	s_mov_b32 s14, 0xa9a29f71
	s_mov_b32 s16, 0xc751c08c
	;; [unrolled: 1-line block ×4, first 2 shown]
	v_cmp_class_f64_e64 s5, v[2:3], 0x1f8
	v_and_b32_e32 v16, 1, v16
	v_and_b32_e32 v3, 0x80000000, v3
	v_sub_f32_e32 v14, 1.0, v14
	s_mov_b32 s6, exec_lo
	v_cmp_eq_u32_e32 vcc_lo, 0, v16
	v_fma_f64 v[22:23], v[6:7], v[6:7], -v[18:19]
	v_fma_f64 v[20:21], v[6:7], v[20:21], v[22:23]
	v_add_f64 v[18:19], v[18:19], v[20:21]
	v_fma_f64 v[20:21], v[18:19], s[16:17], s[14:15]
	s_mov_b32 s14, 0x90a8aae0
	s_mov_b32 s15, 0x3f17746f
	v_fma_f64 v[20:21], v[18:19], v[20:21], s[14:15]
	s_mov_b32 s14, 0xa6fbf144
	s_mov_b32 s15, 0xbefbb44d
	;; [unrolled: 3-line block ×13, first 2 shown]
	v_mul_f64 v[18:19], v[18:19], v[20:21]
	v_mul_f64 v[20:21], v[6:7], v[18:19]
	v_add_f64 v[22:23], v[6:7], v[20:21]
	v_fma_f64 v[18:19], v[6:7], v[18:19], -v[20:21]
	v_add_f64 v[6:7], v[22:23], -v[6:7]
	v_add_f64 v[8:9], v[8:9], v[18:19]
	v_add_f64 v[6:7], v[20:21], -v[6:7]
	v_add_f64 v[6:7], v[8:9], v[6:7]
	v_add_f64 v[8:9], v[22:23], v[6:7]
	v_rcp_f64_e32 v[18:19], v[8:9]
	v_fma_f64 v[20:21], -v[8:9], v[18:19], 1.0
	v_fma_f64 v[18:19], v[20:21], v[18:19], v[18:19]
	v_fma_f64 v[20:21], -v[8:9], v[18:19], 1.0
	v_fma_f64 v[18:19], v[20:21], v[18:19], v[18:19]
	v_add_f64 v[20:21], v[8:9], -v[22:23]
	v_mul_f64 v[22:23], v[8:9], v[18:19]
	v_add_f64 v[6:7], v[6:7], -v[20:21]
	v_fma_f64 v[20:21], v[18:19], v[8:9], -v[22:23]
	v_fma_f64 v[6:7], v[18:19], v[6:7], v[20:21]
	v_add_f64 v[20:21], v[22:23], v[6:7]
	v_add_f64 v[24:25], -v[20:21], 1.0
	v_add_f64 v[22:23], v[20:21], -v[22:23]
	v_add_f64 v[26:27], -v[24:25], 1.0
	v_add_f64 v[6:7], v[22:23], -v[6:7]
	v_add_f64 v[20:21], v[26:27], -v[20:21]
	v_add_f64 v[6:7], v[6:7], v[20:21]
	v_add_f64 v[6:7], v[24:25], v[6:7]
	v_mul_f64 v[6:7], v[18:19], v[6:7]
	v_add_f64 v[6:7], v[18:19], v[6:7]
	v_xor_b32_e32 v2, 0x80000000, v7
	v_cndmask_b32_e32 v6, v6, v8, vcc_lo
	v_cndmask_b32_e32 v2, v2, v9, vcc_lo
	v_xor_b32_e32 v3, v2, v3
	v_cndmask_b32_e64 v2, 0, v6, s5
	v_cndmask_b32_e64 v3, 0x7ff80000, v3, s5
	v_div_scale_f64 v[6:7], null, v[2:3], v[2:3], s[14:15]
	v_rcp_f64_e32 v[8:9], v[6:7]
	v_fma_f64 v[18:19], -v[6:7], v[8:9], 1.0
	v_fma_f64 v[8:9], v[8:9], v[18:19], v[8:9]
	v_fma_f64 v[18:19], -v[6:7], v[8:9], 1.0
	v_fma_f64 v[8:9], v[8:9], v[18:19], v[8:9]
	v_div_scale_f64 v[18:19], vcc_lo, s[14:15], v[2:3], s[14:15]
	v_mul_f64 v[20:21], v[18:19], v[8:9]
	v_fma_f64 v[6:7], -v[6:7], v[20:21], v[18:19]
	v_div_fmas_f64 v[6:7], v[6:7], v[8:9], v[20:21]
	v_div_fixup_f64 v[2:3], v[6:7], v[2:3], s[14:15]
	v_cvt_f32_f64_e32 v2, v[2:3]
.LBB10_69:
	s_or_b32 exec_lo, exec_lo, s12
	s_orn2_b32 s5, s6, exec_lo
.LBB10_70:
	s_or_b32 exec_lo, exec_lo, s11
	v_mov_b32_e32 v16, 0x7fc00000
	s_and_saveexec_b32 s7, s5
	s_cbranch_execz .LBB10_82
; %bb.71:
	s_mov_b32 s5, exec_lo
	v_cmpx_gt_f32_e32 0x41200000, v14
	s_cbranch_execz .LBB10_75
; %bb.72:
	s_mov_b32 s6, 0
	.p2align	6
.LBB10_73:                              ; =>This Inner Loop Header: Depth=1
	v_div_scale_f32 v3, null, v14, v14, 1.0
	v_div_scale_f32 v8, vcc_lo, 1.0, v14, 1.0
	v_rcp_f32_e32 v6, v3
	v_fma_f32 v7, -v3, v6, 1.0
	v_fmac_f32_e32 v6, v7, v6
	v_mul_f32_e32 v7, v8, v6
	v_fma_f32 v9, -v3, v7, v8
	v_fmac_f32_e32 v7, v9, v6
	v_fma_f32 v3, -v3, v7, v8
	v_div_fmas_f32 v3, v3, v6, v7
	v_div_fixup_f32 v3, v3, v14, 1.0
	v_add_f32_e32 v14, 1.0, v14
	v_sub_f32_e32 v2, v2, v3
	v_cmp_ngt_f32_e32 vcc_lo, 0x41200000, v14
	s_or_b32 s6, vcc_lo, s6
	s_andn2_b32 exec_lo, exec_lo, s6
	s_cbranch_execnz .LBB10_73
; %bb.74:
	s_or_b32 exec_lo, exec_lo, s6
.LBB10_75:
	s_or_b32 exec_lo, exec_lo, s5
	s_mov_b32 s5, exec_lo
	v_cmpx_neq_f32_e32 0x41200000, v14
	s_xor_b32 s11, exec_lo, s5
                                        ; implicit-def: $vgpr16
	s_cbranch_execz .LBB10_79
; %bb.76:
	v_cvt_f64_f32_e32 v[6:7], v14
	v_mov_b32_e32 v3, 0
	s_mov_b32 s12, 0x85d8a000
	s_mov_b32 s13, 0x43763457
	s_mov_b32 s5, exec_lo
	v_cmpx_gt_f64_e32 s[12:13], v[6:7]
	s_cbranch_execz .LBB10_78
; %bb.77:
	v_mul_f32_e32 v3, v14, v14
	v_div_scale_f32 v6, null, v3, v3, 1.0
	v_rcp_f32_e32 v7, v6
	v_fma_f32 v8, -v6, v7, 1.0
	v_fmac_f32_e32 v7, v8, v7
	v_div_scale_f32 v8, vcc_lo, 1.0, v3, 1.0
	v_mul_f32_e32 v9, v8, v7
	v_fma_f32 v16, -v6, v9, v8
	v_fmac_f32_e32 v9, v16, v7
	v_fma_f32 v6, -v6, v9, v8
	v_div_fmas_f32 v6, v6, v7, v9
	v_div_fixup_f32 v3, v6, v3, 1.0
	v_fmaak_f32 v6, 0, v3, 0x3daaaaab
	v_fmaak_f32 v6, v3, v6, 0xbcaccacd
	;; [unrolled: 1-line block ×7, first 2 shown]
	v_mul_f32_e32 v3, v3, v6
.LBB10_78:
	s_or_b32 exec_lo, exec_lo, s5
	v_cmp_gt_f32_e32 vcc_lo, 0x800000, v14
	v_div_scale_f32 v6, null, v14, v14, -0.5
	v_div_scale_f32 v16, s5, -0.5, v14, -0.5
	v_cndmask_b32_e64 v7, 0, 32, vcc_lo
	v_rcp_f32_e32 v8, v6
	v_ldexp_f32 v7, v14, v7
	v_log_f32_e32 v7, v7
	v_fma_f32 v9, -v6, v8, 1.0
	v_fmac_f32_e32 v8, v9, v8
	v_mul_f32_e32 v9, 0x3f317217, v7
	v_mul_f32_e32 v18, v16, v8
	v_cmp_gt_f32_e64 s6, 0x7f800000, |v7|
	v_fma_f32 v9, 0x3f317217, v7, -v9
	v_fma_f32 v19, -v6, v18, v16
	v_fmamk_f32 v9, v7, 0x3377d1cf, v9
	v_fmac_f32_e32 v18, v19, v8
	v_fmac_f32_e32 v9, 0x3f317217, v7
	v_fma_f32 v6, -v6, v18, v16
	v_cndmask_b32_e64 v7, v7, v9, s6
	v_cndmask_b32_e64 v9, 0, 0x41b17218, vcc_lo
	s_mov_b32 vcc_lo, s5
	v_div_fmas_f32 v6, v6, v8, v18
	v_sub_f32_e32 v7, v7, v9
	v_div_fixup_f32 v6, v6, v14, -0.5
	v_add_f32_e32 v6, v7, v6
	v_sub_f32_e32 v3, v6, v3
	v_add_f32_e32 v16, v2, v3
                                        ; implicit-def: $vgpr2
.LBB10_79:
	s_andn2_saveexec_b32 s5, s11
; %bb.80:
	v_add_f32_e32 v16, 0x40101cb7, v2
; %bb.81:
	s_or_b32 exec_lo, exec_lo, s5
.LBB10_82:
	s_or_b32 exec_lo, exec_lo, s7
                                        ; implicit-def: $vgpr14
.LBB10_83:
	s_andn2_saveexec_b32 s5, s10
; %bb.84:
	v_xor_b32_e32 v2, 0x80000000, v14
	s_mov_b32 s6, 0x7f800000
	v_bfi_b32 v16, 0x7fffffff, s6, v2
; %bb.85:
	s_or_b32 exec_lo, exec_lo, s5
.LBB10_86:
	s_or_b32 exec_lo, exec_lo, s9
	v_add_nc_u32_e32 v2, 0x300, v10
	s_mov_b32 s9, exec_lo
	v_cmpx_lt_i32_e64 v2, v4
	s_cbranch_execnz .LBB10_92
; %bb.87:
	s_or_b32 exec_lo, exec_lo, s9
	s_and_saveexec_b32 s5, s4
	s_xor_b32 s4, exec_lo, s5
	s_cbranch_execnz .LBB10_117
.LBB10_88:
	s_or_b32 exec_lo, exec_lo, s4
	s_mov_b32 s4, exec_lo
	v_cmpx_lt_i32_e64 v10, v4
	s_cbranch_execnz .LBB10_118
.LBB10_89:
	s_or_b32 exec_lo, exec_lo, s4
	s_mov_b32 s4, exec_lo
	v_cmpx_lt_i32_e64 v10, v4
	s_cbranch_execnz .LBB10_119
.LBB10_90:
	s_or_b32 exec_lo, exec_lo, s4
	s_mov_b32 s4, exec_lo
	v_cmpx_lt_i32_e64 v10, v4
	s_cbranch_execnz .LBB10_120
.LBB10_91:
	s_or_b32 exec_lo, exec_lo, s4
	s_waitcnt vmcnt(0) lgkmcnt(0)
	s_setpc_b64 s[30:31]
.LBB10_92:
	s_mov_b32 s5, exec_lo
	s_waitcnt vmcnt(0) lgkmcnt(0)
	v_cmpx_neq_f32_e32 0, v12
	s_xor_b32 s10, exec_lo, s5
                                        ; implicit-def: $vgpr15
	s_cbranch_execz .LBB10_114
; %bb.93:
	v_mov_b32_e32 v2, 0
	s_mov_b32 s5, -1
	s_mov_b32 s11, exec_lo
	v_cmpx_gt_f32_e32 0, v12
	s_cbranch_execz .LBB10_101
; %bb.94:
	v_trunc_f32_e32 v2, v12
	s_mov_b32 s6, 0
	v_cmp_neq_f32_e32 vcc_lo, v12, v2
	v_mov_b32_e32 v2, 0
	s_and_saveexec_b32 s12, vcc_lo
	s_cbranch_execz .LBB10_100
; %bb.95:
	v_cvt_f64_f32_e32 v[2:3], v12
	s_mov_b32 s7, 0xc00921fb
	s_mov_b32 s6, 0x54442d18
                                        ; implicit-def: $vgpr14
                                        ; implicit-def: $vgpr8_vgpr9
	v_trunc_f64_e32 v[6:7], v[2:3]
	v_cmp_neq_f64_e64 vcc_lo, 0x7ff00000, |v[2:3]|
	v_add_f64 v[6:7], v[2:3], -v[6:7]
	v_mul_f64 v[6:7], |v[6:7]|, s[6:7]
	v_cndmask_b32_e32 v3, 0x80000000, v7, vcc_lo
	v_cndmask_b32_e32 v2, 0, v6, vcc_lo
                                        ; implicit-def: $vgpr6_vgpr7
	v_cmp_ngt_f64_e64 s5, 0x41d00000, |v[2:3]|
	s_and_saveexec_b32 s7, s5
	s_xor_b32 s5, exec_lo, s7
	s_cbranch_execz .LBB10_97
; %bb.96:
	v_ldexp_f64 v[6:7], |v[2:3]|, 0xffffff80
	v_cmp_le_f64_e64 vcc_lo, 0x7b000000, |v[2:3]|
	v_trig_preop_f64 v[8:9], |v[2:3]|, 0
	v_and_b32_e32 v14, 0x7fffffff, v3
	v_trig_preop_f64 v[26:27], |v[2:3]|, 2
	v_mov_b32_e32 v34, 0
	s_mov_b32 s7, 0x3ff921fb
	s_mov_b32 s14, 0x33145c07
	;; [unrolled: 1-line block ×3, first 2 shown]
	v_cndmask_b32_e32 v7, v14, v7, vcc_lo
	v_cndmask_b32_e32 v6, v2, v6, vcc_lo
	v_trig_preop_f64 v[14:15], |v[2:3]|, 1
	v_mul_f64 v[18:19], v[8:9], v[6:7]
	v_mul_f64 v[32:33], v[26:27], v[6:7]
	;; [unrolled: 1-line block ×3, first 2 shown]
	v_fma_f64 v[8:9], v[8:9], v[6:7], -v[18:19]
	v_fma_f64 v[14:15], v[14:15], v[6:7], -v[20:21]
	;; [unrolled: 1-line block ×3, first 2 shown]
	v_add_f64 v[22:23], v[20:21], v[8:9]
	v_add_f64 v[24:25], v[22:23], -v[20:21]
	v_add_f64 v[30:31], v[18:19], v[22:23]
	v_add_f64 v[28:29], v[22:23], -v[24:25]
	v_add_f64 v[8:9], v[8:9], -v[24:25]
	v_ldexp_f64 v[24:25], v[30:31], -2
	v_add_f64 v[18:19], v[30:31], -v[18:19]
	v_add_f64 v[20:21], v[20:21], -v[28:29]
	v_add_f64 v[28:29], v[32:33], v[14:15]
	v_cmp_neq_f64_e64 vcc_lo, 0x7ff00000, |v[24:25]|
	v_add_f64 v[18:19], v[22:23], -v[18:19]
	v_add_f64 v[8:9], v[8:9], v[20:21]
	v_fract_f64_e32 v[20:21], v[24:25]
	v_add_f64 v[22:23], v[28:29], v[8:9]
	v_ldexp_f64 v[20:21], v[20:21], 2
	v_add_f64 v[24:25], v[18:19], v[22:23]
	v_cndmask_b32_e32 v21, 0, v21, vcc_lo
	v_cndmask_b32_e32 v20, 0, v20, vcc_lo
	v_add_f64 v[30:31], v[24:25], v[20:21]
	v_add_f64 v[18:19], v[24:25], -v[18:19]
	v_cmp_gt_f64_e32 vcc_lo, 0, v[30:31]
	v_add_f64 v[30:31], v[28:29], -v[32:33]
	v_cndmask_b32_e64 v35, 0, 0x40100000, vcc_lo
	v_add_f64 v[48:49], v[28:29], -v[30:31]
	v_add_f64 v[14:15], v[14:15], -v[30:31]
	v_add_f64 v[20:21], v[20:21], v[34:35]
	v_add_f64 v[35:36], v[22:23], -v[28:29]
	v_add_f64 v[30:31], v[32:33], -v[48:49]
	v_add_f64 v[37:38], v[24:25], v[20:21]
	;; [unrolled: 3-line block ×3, first 2 shown]
	v_cvt_i32_f64_e32 v37, v[37:38]
	v_add_f64 v[28:29], v[28:29], -v[50:51]
	v_cvt_f64_i32_e32 v[35:36], v37
	v_add_f64 v[8:9], v[8:9], v[28:29]
	v_add_f64 v[20:21], v[20:21], -v[35:36]
	v_add_f64 v[8:9], v[14:15], v[8:9]
	v_add_f64 v[14:15], v[22:23], -v[18:19]
	v_add_f64 v[26:27], v[24:25], v[20:21]
	v_add_f64 v[6:7], v[6:7], v[8:9]
	v_add_f64 v[8:9], v[26:27], -v[20:21]
	v_cmp_le_f64_e32 vcc_lo, 0.5, v[26:27]
	v_add_f64 v[6:7], v[14:15], v[6:7]
	v_add_f64 v[8:9], v[24:25], -v[8:9]
	v_cndmask_b32_e64 v35, 0, 0x3ff00000, vcc_lo
	v_add_co_ci_u32_e64 v14, null, 0, v37, vcc_lo
	v_add_f64 v[6:7], v[6:7], v[8:9]
	v_add_f64 v[8:9], v[26:27], -v[34:35]
	v_add_f64 v[18:19], v[8:9], v[6:7]
	v_mul_f64 v[20:21], v[18:19], s[6:7]
	v_add_f64 v[8:9], v[18:19], -v[8:9]
	v_fma_f64 v[22:23], v[18:19], s[6:7], -v[20:21]
	v_add_f64 v[6:7], v[6:7], -v[8:9]
	v_fma_f64 v[8:9], v[18:19], s[14:15], v[22:23]
	v_fma_f64 v[8:9], v[6:7], s[6:7], v[8:9]
	v_add_f64 v[6:7], v[20:21], v[8:9]
	v_add_f64 v[18:19], v[6:7], -v[20:21]
	v_add_f64 v[8:9], v[8:9], -v[18:19]
.LBB10_97:
	s_andn2_saveexec_b32 s5, s5
	s_cbranch_execz .LBB10_99
; %bb.98:
	s_mov_b32 s6, 0x6dc9c883
	s_mov_b32 s7, 0x3fe45f30
	;; [unrolled: 1-line block ×3, first 2 shown]
	v_mul_f64 v[6:7], |v[2:3]|, s[6:7]
	s_mov_b32 s6, 0x54442d18
	s_mov_b32 s7, 0xbff921fb
	;; [unrolled: 1-line block ×3, first 2 shown]
	v_rndne_f64_e32 v[14:15], v[6:7]
	v_fma_f64 v[6:7], v[14:15], s[6:7], |v[2:3]|
	v_mul_f64 v[8:9], v[14:15], s[14:15]
	s_mov_b32 s6, 0x252049c0
	s_mov_b32 s7, 0xb97b839a
	v_fma_f64 v[20:21], v[14:15], s[14:15], v[6:7]
	v_add_f64 v[18:19], v[6:7], v[8:9]
	s_mov_b32 s15, 0x3c91a626
	v_add_f64 v[6:7], v[6:7], -v[18:19]
	v_add_f64 v[18:19], v[18:19], -v[20:21]
	v_add_f64 v[6:7], v[6:7], v[8:9]
	v_fma_f64 v[8:9], v[14:15], s[14:15], v[8:9]
	v_add_f64 v[6:7], v[18:19], v[6:7]
	v_add_f64 v[6:7], v[6:7], -v[8:9]
	v_fma_f64 v[8:9], v[14:15], s[6:7], v[6:7]
	v_cvt_i32_f64_e32 v14, v[14:15]
	v_add_f64 v[6:7], v[20:21], v[8:9]
	v_add_f64 v[18:19], v[6:7], -v[20:21]
	v_add_f64 v[8:9], v[8:9], -v[18:19]
.LBB10_99:
	s_or_b32 exec_lo, exec_lo, s5
	v_mul_f64 v[18:19], v[6:7], v[6:7]
	v_add_f64 v[20:21], v[8:9], v[8:9]
	s_mov_b32 s14, 0xa9a29f71
	s_mov_b32 s16, 0xc751c08c
	;; [unrolled: 1-line block ×4, first 2 shown]
	v_cmp_class_f64_e64 s5, v[2:3], 0x1f8
	v_and_b32_e32 v14, 1, v14
	v_and_b32_e32 v3, 0x80000000, v3
	v_sub_f32_e32 v12, 1.0, v12
	s_mov_b32 s6, exec_lo
	v_cmp_eq_u32_e32 vcc_lo, 0, v14
	v_fma_f64 v[22:23], v[6:7], v[6:7], -v[18:19]
	v_fma_f64 v[20:21], v[6:7], v[20:21], v[22:23]
	v_add_f64 v[18:19], v[18:19], v[20:21]
	v_fma_f64 v[20:21], v[18:19], s[16:17], s[14:15]
	s_mov_b32 s14, 0x90a8aae0
	s_mov_b32 s15, 0x3f17746f
	v_fma_f64 v[20:21], v[18:19], v[20:21], s[14:15]
	s_mov_b32 s14, 0xa6fbf144
	s_mov_b32 s15, 0xbefbb44d
	;; [unrolled: 3-line block ×13, first 2 shown]
	v_mul_f64 v[18:19], v[18:19], v[20:21]
	v_mul_f64 v[20:21], v[6:7], v[18:19]
	v_add_f64 v[22:23], v[6:7], v[20:21]
	v_fma_f64 v[18:19], v[6:7], v[18:19], -v[20:21]
	v_add_f64 v[6:7], v[22:23], -v[6:7]
	v_add_f64 v[8:9], v[8:9], v[18:19]
	v_add_f64 v[6:7], v[20:21], -v[6:7]
	v_add_f64 v[6:7], v[8:9], v[6:7]
	v_add_f64 v[8:9], v[22:23], v[6:7]
	v_rcp_f64_e32 v[18:19], v[8:9]
	v_fma_f64 v[20:21], -v[8:9], v[18:19], 1.0
	v_fma_f64 v[18:19], v[20:21], v[18:19], v[18:19]
	v_fma_f64 v[20:21], -v[8:9], v[18:19], 1.0
	v_fma_f64 v[18:19], v[20:21], v[18:19], v[18:19]
	v_add_f64 v[20:21], v[8:9], -v[22:23]
	v_mul_f64 v[22:23], v[8:9], v[18:19]
	v_add_f64 v[6:7], v[6:7], -v[20:21]
	v_fma_f64 v[20:21], v[18:19], v[8:9], -v[22:23]
	v_fma_f64 v[6:7], v[18:19], v[6:7], v[20:21]
	v_add_f64 v[20:21], v[22:23], v[6:7]
	v_add_f64 v[24:25], -v[20:21], 1.0
	v_add_f64 v[22:23], v[20:21], -v[22:23]
	v_add_f64 v[26:27], -v[24:25], 1.0
	v_add_f64 v[6:7], v[22:23], -v[6:7]
	v_add_f64 v[20:21], v[26:27], -v[20:21]
	v_add_f64 v[6:7], v[6:7], v[20:21]
	v_add_f64 v[6:7], v[24:25], v[6:7]
	v_mul_f64 v[6:7], v[18:19], v[6:7]
	v_add_f64 v[6:7], v[18:19], v[6:7]
	v_xor_b32_e32 v2, 0x80000000, v7
	v_cndmask_b32_e32 v6, v6, v8, vcc_lo
	v_cndmask_b32_e32 v2, v2, v9, vcc_lo
	v_xor_b32_e32 v3, v2, v3
	v_cndmask_b32_e64 v2, 0, v6, s5
	v_cndmask_b32_e64 v3, 0x7ff80000, v3, s5
	v_div_scale_f64 v[6:7], null, v[2:3], v[2:3], s[14:15]
	v_rcp_f64_e32 v[8:9], v[6:7]
	v_fma_f64 v[14:15], -v[6:7], v[8:9], 1.0
	v_fma_f64 v[8:9], v[8:9], v[14:15], v[8:9]
	v_fma_f64 v[14:15], -v[6:7], v[8:9], 1.0
	v_fma_f64 v[8:9], v[8:9], v[14:15], v[8:9]
	v_div_scale_f64 v[14:15], vcc_lo, s[14:15], v[2:3], s[14:15]
	v_mul_f64 v[18:19], v[14:15], v[8:9]
	v_fma_f64 v[6:7], -v[6:7], v[18:19], v[14:15]
	v_div_fmas_f64 v[6:7], v[6:7], v[8:9], v[18:19]
	v_div_fixup_f64 v[2:3], v[6:7], v[2:3], s[14:15]
	v_cvt_f32_f64_e32 v2, v[2:3]
.LBB10_100:
	s_or_b32 exec_lo, exec_lo, s12
	s_orn2_b32 s5, s6, exec_lo
.LBB10_101:
	s_or_b32 exec_lo, exec_lo, s11
	v_mov_b32_e32 v15, 0x7fc00000
	s_and_saveexec_b32 s7, s5
	s_cbranch_execz .LBB10_113
; %bb.102:
	s_mov_b32 s5, exec_lo
	v_cmpx_gt_f32_e32 0x41200000, v12
	s_cbranch_execz .LBB10_106
; %bb.103:
	s_mov_b32 s6, 0
	.p2align	6
.LBB10_104:                             ; =>This Inner Loop Header: Depth=1
	v_div_scale_f32 v3, null, v12, v12, 1.0
	v_div_scale_f32 v8, vcc_lo, 1.0, v12, 1.0
	v_rcp_f32_e32 v6, v3
	v_fma_f32 v7, -v3, v6, 1.0
	v_fmac_f32_e32 v6, v7, v6
	v_mul_f32_e32 v7, v8, v6
	v_fma_f32 v9, -v3, v7, v8
	v_fmac_f32_e32 v7, v9, v6
	v_fma_f32 v3, -v3, v7, v8
	v_div_fmas_f32 v3, v3, v6, v7
	v_div_fixup_f32 v3, v3, v12, 1.0
	v_add_f32_e32 v12, 1.0, v12
	v_sub_f32_e32 v2, v2, v3
	v_cmp_ngt_f32_e32 vcc_lo, 0x41200000, v12
	s_or_b32 s6, vcc_lo, s6
	s_andn2_b32 exec_lo, exec_lo, s6
	s_cbranch_execnz .LBB10_104
; %bb.105:
	s_or_b32 exec_lo, exec_lo, s6
.LBB10_106:
	s_or_b32 exec_lo, exec_lo, s5
	s_mov_b32 s5, exec_lo
	v_cmpx_neq_f32_e32 0x41200000, v12
	s_xor_b32 s11, exec_lo, s5
                                        ; implicit-def: $vgpr15
	s_cbranch_execz .LBB10_110
; %bb.107:
	v_cvt_f64_f32_e32 v[6:7], v12
	v_mov_b32_e32 v3, 0
	s_mov_b32 s12, 0x85d8a000
	s_mov_b32 s13, 0x43763457
	s_mov_b32 s5, exec_lo
	v_cmpx_gt_f64_e32 s[12:13], v[6:7]
	s_cbranch_execz .LBB10_109
; %bb.108:
	v_mul_f32_e32 v3, v12, v12
	v_div_scale_f32 v6, null, v3, v3, 1.0
	v_rcp_f32_e32 v7, v6
	v_fma_f32 v8, -v6, v7, 1.0
	v_fmac_f32_e32 v7, v8, v7
	v_div_scale_f32 v8, vcc_lo, 1.0, v3, 1.0
	v_mul_f32_e32 v9, v8, v7
	v_fma_f32 v14, -v6, v9, v8
	v_fmac_f32_e32 v9, v14, v7
	v_fma_f32 v6, -v6, v9, v8
	v_div_fmas_f32 v6, v6, v7, v9
	v_div_fixup_f32 v3, v6, v3, 1.0
	v_fmaak_f32 v6, 0, v3, 0x3daaaaab
	v_fmaak_f32 v6, v3, v6, 0xbcaccacd
	;; [unrolled: 1-line block ×7, first 2 shown]
	v_mul_f32_e32 v3, v3, v6
.LBB10_109:
	s_or_b32 exec_lo, exec_lo, s5
	v_cmp_gt_f32_e32 vcc_lo, 0x800000, v12
	v_div_scale_f32 v6, null, v12, v12, -0.5
	v_div_scale_f32 v14, s5, -0.5, v12, -0.5
	v_cndmask_b32_e64 v7, 0, 32, vcc_lo
	v_rcp_f32_e32 v8, v6
	v_ldexp_f32 v7, v12, v7
	v_log_f32_e32 v7, v7
	v_fma_f32 v9, -v6, v8, 1.0
	v_fmac_f32_e32 v8, v9, v8
	v_mul_f32_e32 v9, 0x3f317217, v7
	v_mul_f32_e32 v15, v14, v8
	v_cmp_gt_f32_e64 s6, 0x7f800000, |v7|
	v_fma_f32 v9, 0x3f317217, v7, -v9
	v_fma_f32 v18, -v6, v15, v14
	v_fmamk_f32 v9, v7, 0x3377d1cf, v9
	v_fmac_f32_e32 v15, v18, v8
	v_fmac_f32_e32 v9, 0x3f317217, v7
	v_fma_f32 v6, -v6, v15, v14
	v_cndmask_b32_e64 v7, v7, v9, s6
	v_cndmask_b32_e64 v9, 0, 0x41b17218, vcc_lo
	s_mov_b32 vcc_lo, s5
	v_div_fmas_f32 v6, v6, v8, v15
	v_sub_f32_e32 v7, v7, v9
	v_div_fixup_f32 v6, v6, v12, -0.5
	v_add_f32_e32 v6, v7, v6
	v_sub_f32_e32 v3, v6, v3
	v_add_f32_e32 v15, v2, v3
                                        ; implicit-def: $vgpr2
.LBB10_110:
	s_andn2_saveexec_b32 s5, s11
; %bb.111:
	v_add_f32_e32 v15, 0x40101cb7, v2
; %bb.112:
	s_or_b32 exec_lo, exec_lo, s5
.LBB10_113:
	s_or_b32 exec_lo, exec_lo, s7
                                        ; implicit-def: $vgpr12
.LBB10_114:
	s_andn2_saveexec_b32 s5, s10
; %bb.115:
	v_xor_b32_e32 v2, 0x80000000, v12
	s_mov_b32 s6, 0x7f800000
	v_bfi_b32 v15, 0x7fffffff, s6, v2
; %bb.116:
	s_or_b32 exec_lo, exec_lo, s5
	s_or_b32 exec_lo, exec_lo, s9
	s_and_saveexec_b32 s5, s4
	s_xor_b32 s4, exec_lo, s5
	s_cbranch_execz .LBB10_88
.LBB10_117:
	v_mov_b32_e32 v6, 0
	v_mov_b32_e32 v10, v11
	v_lshlrev_b64 v[2:3], 2, v[5:6]
	v_add_co_u32 v2, vcc_lo, v0, v2
	v_add_co_ci_u32_e64 v3, null, v1, v3, vcc_lo
	flat_store_dword v[2:3], v13
	s_or_b32 exec_lo, exec_lo, s4
	s_mov_b32 s4, exec_lo
	v_cmpx_lt_i32_e64 v10, v4
	s_cbranch_execz .LBB10_89
.LBB10_118:
	v_add_nc_u32_e32 v2, s8, v10
	v_mov_b32_e32 v3, 0
	v_add_nc_u32_e32 v10, 0x100, v10
	v_lshlrev_b64 v[2:3], 2, v[2:3]
	v_add_co_u32 v2, vcc_lo, v0, v2
	v_add_co_ci_u32_e64 v3, null, v1, v3, vcc_lo
	flat_store_dword v[2:3], v17
	s_or_b32 exec_lo, exec_lo, s4
	s_mov_b32 s4, exec_lo
	v_cmpx_lt_i32_e64 v10, v4
	s_cbranch_execz .LBB10_90
.LBB10_119:
	v_add_nc_u32_e32 v2, s8, v10
	v_mov_b32_e32 v3, 0
	v_add_nc_u32_e32 v10, 0x100, v10
	v_lshlrev_b64 v[2:3], 2, v[2:3]
	v_add_co_u32 v2, vcc_lo, v0, v2
	v_add_co_ci_u32_e64 v3, null, v1, v3, vcc_lo
	flat_store_dword v[2:3], v16
	s_or_b32 exec_lo, exec_lo, s4
	s_mov_b32 s4, exec_lo
	v_cmpx_lt_i32_e64 v10, v4
	s_cbranch_execz .LBB10_91
.LBB10_120:
	v_add_nc_u32_e32 v2, s8, v10
	v_mov_b32_e32 v3, 0
	v_lshlrev_b64 v[2:3], 2, v[2:3]
	v_add_co_u32 v0, vcc_lo, v0, v2
	v_add_co_ci_u32_e64 v1, null, v1, v3, vcc_lo
	flat_store_dword v[0:1], v15
	s_or_b32 exec_lo, exec_lo, s4
	s_waitcnt vmcnt(0) lgkmcnt(0)
	s_setpc_b64 s[30:31]
.Lfunc_end10:
	.size	_ZN2at6native25elementwise_kernel_helperILb0EZZZNS0_19digamma_kernel_cudaERNS_18TensorIteratorBaseEENKUlvE_clEvENKUlvE0_clEvEUlfE_NS0_6memory8policies11unroll_baseILi256ESt5arrayIPcLm2EE23TrivialOffsetCalculatorILi1EjESE_NS7_15LoadWithoutCastENS7_16StoreWithoutCastELi4ELi1EEEEEvT0_T1_, .Lfunc_end10-_ZN2at6native25elementwise_kernel_helperILb0EZZZNS0_19digamma_kernel_cudaERNS_18TensorIteratorBaseEENKUlvE_clEvENKUlvE0_clEvEUlfE_NS0_6memory8policies11unroll_baseILi256ESt5arrayIPcLm2EE23TrivialOffsetCalculatorILi1EjESE_NS7_15LoadWithoutCastENS7_16StoreWithoutCastELi4ELi1EEEEEvT0_T1_
                                        ; -- End function
	.set .L_ZN2at6native25elementwise_kernel_helperILb0EZZZNS0_19digamma_kernel_cudaERNS_18TensorIteratorBaseEENKUlvE_clEvENKUlvE0_clEvEUlfE_NS0_6memory8policies11unroll_baseILi256ESt5arrayIPcLm2EE23TrivialOffsetCalculatorILi1EjESE_NS7_15LoadWithoutCastENS7_16StoreWithoutCastELi4ELi1EEEEEvT0_T1_.num_vgpr, 54
	.set .L_ZN2at6native25elementwise_kernel_helperILb0EZZZNS0_19digamma_kernel_cudaERNS_18TensorIteratorBaseEENKUlvE_clEvENKUlvE0_clEvEUlfE_NS0_6memory8policies11unroll_baseILi256ESt5arrayIPcLm2EE23TrivialOffsetCalculatorILi1EjESE_NS7_15LoadWithoutCastENS7_16StoreWithoutCastELi4ELi1EEEEEvT0_T1_.num_agpr, 0
	.set .L_ZN2at6native25elementwise_kernel_helperILb0EZZZNS0_19digamma_kernel_cudaERNS_18TensorIteratorBaseEENKUlvE_clEvENKUlvE0_clEvEUlfE_NS0_6memory8policies11unroll_baseILi256ESt5arrayIPcLm2EE23TrivialOffsetCalculatorILi1EjESE_NS7_15LoadWithoutCastENS7_16StoreWithoutCastELi4ELi1EEEEEvT0_T1_.numbered_sgpr, 32
	.set .L_ZN2at6native25elementwise_kernel_helperILb0EZZZNS0_19digamma_kernel_cudaERNS_18TensorIteratorBaseEENKUlvE_clEvENKUlvE0_clEvEUlfE_NS0_6memory8policies11unroll_baseILi256ESt5arrayIPcLm2EE23TrivialOffsetCalculatorILi1EjESE_NS7_15LoadWithoutCastENS7_16StoreWithoutCastELi4ELi1EEEEEvT0_T1_.num_named_barrier, 0
	.set .L_ZN2at6native25elementwise_kernel_helperILb0EZZZNS0_19digamma_kernel_cudaERNS_18TensorIteratorBaseEENKUlvE_clEvENKUlvE0_clEvEUlfE_NS0_6memory8policies11unroll_baseILi256ESt5arrayIPcLm2EE23TrivialOffsetCalculatorILi1EjESE_NS7_15LoadWithoutCastENS7_16StoreWithoutCastELi4ELi1EEEEEvT0_T1_.private_seg_size, 0
	.set .L_ZN2at6native25elementwise_kernel_helperILb0EZZZNS0_19digamma_kernel_cudaERNS_18TensorIteratorBaseEENKUlvE_clEvENKUlvE0_clEvEUlfE_NS0_6memory8policies11unroll_baseILi256ESt5arrayIPcLm2EE23TrivialOffsetCalculatorILi1EjESE_NS7_15LoadWithoutCastENS7_16StoreWithoutCastELi4ELi1EEEEEvT0_T1_.uses_vcc, 1
	.set .L_ZN2at6native25elementwise_kernel_helperILb0EZZZNS0_19digamma_kernel_cudaERNS_18TensorIteratorBaseEENKUlvE_clEvENKUlvE0_clEvEUlfE_NS0_6memory8policies11unroll_baseILi256ESt5arrayIPcLm2EE23TrivialOffsetCalculatorILi1EjESE_NS7_15LoadWithoutCastENS7_16StoreWithoutCastELi4ELi1EEEEEvT0_T1_.uses_flat_scratch, 0
	.set .L_ZN2at6native25elementwise_kernel_helperILb0EZZZNS0_19digamma_kernel_cudaERNS_18TensorIteratorBaseEENKUlvE_clEvENKUlvE0_clEvEUlfE_NS0_6memory8policies11unroll_baseILi256ESt5arrayIPcLm2EE23TrivialOffsetCalculatorILi1EjESE_NS7_15LoadWithoutCastENS7_16StoreWithoutCastELi4ELi1EEEEEvT0_T1_.has_dyn_sized_stack, 0
	.set .L_ZN2at6native25elementwise_kernel_helperILb0EZZZNS0_19digamma_kernel_cudaERNS_18TensorIteratorBaseEENKUlvE_clEvENKUlvE0_clEvEUlfE_NS0_6memory8policies11unroll_baseILi256ESt5arrayIPcLm2EE23TrivialOffsetCalculatorILi1EjESE_NS7_15LoadWithoutCastENS7_16StoreWithoutCastELi4ELi1EEEEEvT0_T1_.has_recursion, 0
	.set .L_ZN2at6native25elementwise_kernel_helperILb0EZZZNS0_19digamma_kernel_cudaERNS_18TensorIteratorBaseEENKUlvE_clEvENKUlvE0_clEvEUlfE_NS0_6memory8policies11unroll_baseILi256ESt5arrayIPcLm2EE23TrivialOffsetCalculatorILi1EjESE_NS7_15LoadWithoutCastENS7_16StoreWithoutCastELi4ELi1EEEEEvT0_T1_.has_indirect_call, 0
	.section	.AMDGPU.csdata,"",@progbits
; Function info:
; codeLenInByte = 10220
; TotalNumSgprs: 34
; NumVgprs: 54
; ScratchSize: 0
; MemoryBound: 0
	.text
	.p2align	2                               ; -- Begin function _ZN2at6native25elementwise_kernel_helperILb0EZZZNS0_19digamma_kernel_cudaERNS_18TensorIteratorBaseEENKUlvE_clEvENKUlvE0_clEvEUlfE_NS0_6memory8policies10vectorizedILi4ESt5arrayIPcLm2EELi4EEEEEvT0_T1_
	.type	_ZN2at6native25elementwise_kernel_helperILb0EZZZNS0_19digamma_kernel_cudaERNS_18TensorIteratorBaseEENKUlvE_clEvENKUlvE0_clEvEUlfE_NS0_6memory8policies10vectorizedILi4ESt5arrayIPcLm2EELi4EEEEEvT0_T1_,@function
_ZN2at6native25elementwise_kernel_helperILb0EZZZNS0_19digamma_kernel_cudaERNS_18TensorIteratorBaseEENKUlvE_clEvENKUlvE0_clEvEUlfE_NS0_6memory8policies10vectorizedILi4ESt5arrayIPcLm2EELi4EEEEEvT0_T1_: ; @_ZN2at6native25elementwise_kernel_helperILb0EZZZNS0_19digamma_kernel_cudaERNS_18TensorIteratorBaseEENKUlvE_clEvENKUlvE0_clEvEUlfE_NS0_6memory8policies10vectorizedILi4ESt5arrayIPcLm2EELi4EEEEEvT0_T1_
; %bb.0:
	s_waitcnt vmcnt(0) expcnt(0) lgkmcnt(0)
	s_lshl_b32 s4, s12, 10
	v_and_b32_e32 v4, 0x3ff, v31
	s_ashr_i32 s5, s4, 31
	v_mov_b32_e32 v7, 0
	s_lshl_b64 s[6:7], s[4:5], 2
                                        ; implicit-def: $vgpr6
	s_mov_b32 s4, exec_lo
	v_lshlrev_b32_e32 v13, 4, v4
	v_add_co_u32 v2, vcc_lo, v2, s6
	v_add_co_ci_u32_e64 v3, null, s7, v3, vcc_lo
	v_add_co_u32 v2, vcc_lo, v2, v13
	v_add_co_ci_u32_e64 v3, null, 0, v3, vcc_lo
	flat_load_dwordx4 v[2:5], v[2:3]
	s_waitcnt vmcnt(0) lgkmcnt(0)
	v_mov_b32_e32 v8, v2
	v_cmpx_neq_f32_e32 0, v2
	s_xor_b32 s8, exec_lo, s4
	s_cbranch_execz .LBB11_22
; %bb.1:
	s_mov_b32 s4, -1
	s_mov_b32 s9, exec_lo
	v_cmpx_gt_f32_e32 0, v2
	s_cbranch_execz .LBB11_9
; %bb.2:
	v_trunc_f32_e32 v6, v2
	v_mov_b32_e32 v7, 0
	s_mov_b32 s5, 0
	s_mov_b32 s10, exec_lo
                                        ; implicit-def: $vgpr8
	v_cmpx_neq_f32_e32 v2, v6
	s_cbranch_execz .LBB11_8
; %bb.3:
	v_cvt_f64_f32_e32 v[6:7], v2
	s_mov_b32 s5, 0xc00921fb
	s_mov_b32 s4, 0x54442d18
	s_mov_b32 s11, exec_lo
                                        ; implicit-def: $vgpr12
                                        ; implicit-def: $vgpr10_vgpr11
	v_trunc_f64_e32 v[8:9], v[6:7]
	v_cmp_neq_f64_e64 vcc_lo, 0x7ff00000, |v[6:7]|
	v_add_f64 v[8:9], v[6:7], -v[8:9]
	v_mul_f64 v[8:9], |v[8:9]|, s[4:5]
	v_cndmask_b32_e32 v7, 0x80000000, v9, vcc_lo
	v_cndmask_b32_e32 v6, 0, v8, vcc_lo
                                        ; implicit-def: $vgpr8_vgpr9
	v_cmpx_ngt_f64_e64 0x41d00000, |v[6:7]|
	s_xor_b32 s11, exec_lo, s11
	s_cbranch_execz .LBB11_5
; %bb.4:
	v_ldexp_f64 v[8:9], |v[6:7]|, 0xffffff80
	v_cmp_le_f64_e64 vcc_lo, 0x7b000000, |v[6:7]|
	v_trig_preop_f64 v[10:11], |v[6:7]|, 0
	v_and_b32_e32 v12, 0x7fffffff, v7
	v_trig_preop_f64 v[14:15], |v[6:7]|, 1
	v_trig_preop_f64 v[24:25], |v[6:7]|, 2
	v_mov_b32_e32 v32, 0
	s_mov_b32 s5, 0x3ff921fb
	s_mov_b32 s12, 0x33145c07
	;; [unrolled: 1-line block ×3, first 2 shown]
	v_cndmask_b32_e32 v9, v12, v9, vcc_lo
	v_cndmask_b32_e32 v8, v6, v8, vcc_lo
	v_mul_f64 v[16:17], v[10:11], v[8:9]
	v_mul_f64 v[18:19], v[14:15], v[8:9]
	;; [unrolled: 1-line block ×3, first 2 shown]
	v_fma_f64 v[10:11], v[10:11], v[8:9], -v[16:17]
	v_fma_f64 v[14:15], v[14:15], v[8:9], -v[18:19]
	;; [unrolled: 1-line block ×3, first 2 shown]
	v_add_f64 v[20:21], v[18:19], v[10:11]
	v_add_f64 v[22:23], v[20:21], -v[18:19]
	v_add_f64 v[28:29], v[16:17], v[20:21]
	v_add_f64 v[26:27], v[20:21], -v[22:23]
	v_add_f64 v[10:11], v[10:11], -v[22:23]
	v_ldexp_f64 v[22:23], v[28:29], -2
	v_add_f64 v[16:17], v[28:29], -v[16:17]
	v_add_f64 v[18:19], v[18:19], -v[26:27]
	v_add_f64 v[26:27], v[30:31], v[14:15]
	v_cmp_neq_f64_e64 vcc_lo, 0x7ff00000, |v[22:23]|
	v_add_f64 v[16:17], v[20:21], -v[16:17]
	v_add_f64 v[10:11], v[10:11], v[18:19]
	v_fract_f64_e32 v[18:19], v[22:23]
	v_add_f64 v[20:21], v[26:27], v[10:11]
	v_ldexp_f64 v[18:19], v[18:19], 2
	v_add_f64 v[22:23], v[16:17], v[20:21]
	v_cndmask_b32_e32 v19, 0, v19, vcc_lo
	v_cndmask_b32_e32 v18, 0, v18, vcc_lo
	v_add_f64 v[28:29], v[22:23], v[18:19]
	v_add_f64 v[16:17], v[22:23], -v[16:17]
	v_cmp_gt_f64_e32 vcc_lo, 0, v[28:29]
	v_add_f64 v[28:29], v[26:27], -v[30:31]
	v_add_f64 v[16:17], v[20:21], -v[16:17]
	v_cndmask_b32_e64 v33, 0, 0x40100000, vcc_lo
	v_add_f64 v[37:38], v[26:27], -v[28:29]
	v_add_f64 v[14:15], v[14:15], -v[28:29]
	v_add_f64 v[18:19], v[18:19], v[32:33]
	v_add_f64 v[33:34], v[20:21], -v[26:27]
	v_add_f64 v[28:29], v[30:31], -v[37:38]
	v_add_f64 v[35:36], v[22:23], v[18:19]
	;; [unrolled: 3-line block ×3, first 2 shown]
	v_cvt_i32_f64_e32 v12, v[35:36]
	v_add_f64 v[26:27], v[26:27], -v[48:49]
	v_cvt_f64_i32_e32 v[33:34], v12
	v_add_f64 v[10:11], v[10:11], v[26:27]
	v_add_f64 v[18:19], v[18:19], -v[33:34]
	v_add_f64 v[10:11], v[14:15], v[10:11]
	v_add_f64 v[14:15], v[22:23], v[18:19]
	;; [unrolled: 1-line block ×3, first 2 shown]
	v_add_f64 v[10:11], v[14:15], -v[18:19]
	v_cmp_le_f64_e32 vcc_lo, 0.5, v[14:15]
	v_add_f64 v[8:9], v[16:17], v[8:9]
	v_add_f64 v[10:11], v[22:23], -v[10:11]
	v_cndmask_b32_e64 v33, 0, 0x3ff00000, vcc_lo
	v_add_co_ci_u32_e64 v12, null, 0, v12, vcc_lo
	v_add_f64 v[8:9], v[8:9], v[10:11]
	v_add_f64 v[10:11], v[14:15], -v[32:33]
	v_add_f64 v[14:15], v[10:11], v[8:9]
	v_mul_f64 v[16:17], v[14:15], s[4:5]
	v_add_f64 v[10:11], v[14:15], -v[10:11]
	v_fma_f64 v[18:19], v[14:15], s[4:5], -v[16:17]
	v_add_f64 v[8:9], v[8:9], -v[10:11]
	v_fma_f64 v[10:11], v[14:15], s[12:13], v[18:19]
	v_fma_f64 v[10:11], v[8:9], s[4:5], v[10:11]
	v_add_f64 v[8:9], v[16:17], v[10:11]
	v_add_f64 v[14:15], v[8:9], -v[16:17]
	v_add_f64 v[10:11], v[10:11], -v[14:15]
.LBB11_5:
	s_andn2_saveexec_b32 s4, s11
	s_cbranch_execz .LBB11_7
; %bb.6:
	s_mov_b32 s12, 0x6dc9c883
	s_mov_b32 s13, 0x3fe45f30
	;; [unrolled: 1-line block ×3, first 2 shown]
	v_mul_f64 v[8:9], |v[6:7]|, s[12:13]
	s_mov_b32 s12, 0x54442d18
	s_mov_b32 s13, 0xbff921fb
	;; [unrolled: 1-line block ×3, first 2 shown]
	v_rndne_f64_e32 v[14:15], v[8:9]
	v_fma_f64 v[8:9], v[14:15], s[12:13], |v[6:7]|
	v_mul_f64 v[10:11], v[14:15], s[14:15]
	s_mov_b32 s12, 0x252049c0
	s_mov_b32 s13, 0xb97b839a
	v_cvt_i32_f64_e32 v12, v[14:15]
	v_fma_f64 v[18:19], v[14:15], s[14:15], v[8:9]
	v_add_f64 v[16:17], v[8:9], v[10:11]
	s_mov_b32 s15, 0x3c91a626
	v_add_f64 v[8:9], v[8:9], -v[16:17]
	v_add_f64 v[16:17], v[16:17], -v[18:19]
	v_add_f64 v[8:9], v[8:9], v[10:11]
	v_fma_f64 v[10:11], v[14:15], s[14:15], v[10:11]
	v_add_f64 v[8:9], v[16:17], v[8:9]
	v_add_f64 v[8:9], v[8:9], -v[10:11]
	v_fma_f64 v[10:11], v[14:15], s[12:13], v[8:9]
	v_add_f64 v[8:9], v[18:19], v[10:11]
	v_add_f64 v[16:17], v[8:9], -v[18:19]
	v_add_f64 v[10:11], v[10:11], -v[16:17]
.LBB11_7:
	s_or_b32 exec_lo, exec_lo, s4
	v_mul_f64 v[14:15], v[8:9], v[8:9]
	v_add_f64 v[16:17], v[10:11], v[10:11]
	s_mov_b32 s12, 0xa9a29f71
	s_mov_b32 s14, 0xc751c08c
	;; [unrolled: 1-line block ×4, first 2 shown]
	v_cmp_class_f64_e64 s4, v[6:7], 0x1f8
	v_and_b32_e32 v12, 1, v12
	v_and_b32_e32 v7, 0x80000000, v7
	s_mov_b32 s5, exec_lo
	v_cmp_eq_u32_e32 vcc_lo, 0, v12
	v_fma_f64 v[18:19], v[8:9], v[8:9], -v[14:15]
	v_fma_f64 v[16:17], v[8:9], v[16:17], v[18:19]
	v_add_f64 v[14:15], v[14:15], v[16:17]
	v_fma_f64 v[16:17], v[14:15], s[14:15], s[12:13]
	s_mov_b32 s12, 0x90a8aae0
	s_mov_b32 s13, 0x3f17746f
	v_fma_f64 v[16:17], v[14:15], v[16:17], s[12:13]
	s_mov_b32 s12, 0xa6fbf144
	s_mov_b32 s13, 0xbefbb44d
	;; [unrolled: 3-line block ×13, first 2 shown]
	v_mul_f64 v[14:15], v[14:15], v[16:17]
	v_mul_f64 v[16:17], v[8:9], v[14:15]
	v_add_f64 v[18:19], v[8:9], v[16:17]
	v_fma_f64 v[14:15], v[8:9], v[14:15], -v[16:17]
	v_add_f64 v[8:9], v[18:19], -v[8:9]
	v_add_f64 v[10:11], v[10:11], v[14:15]
	v_add_f64 v[8:9], v[16:17], -v[8:9]
	v_add_f64 v[8:9], v[10:11], v[8:9]
	v_add_f64 v[10:11], v[18:19], v[8:9]
	v_rcp_f64_e32 v[14:15], v[10:11]
	v_fma_f64 v[16:17], -v[10:11], v[14:15], 1.0
	v_fma_f64 v[14:15], v[16:17], v[14:15], v[14:15]
	v_fma_f64 v[16:17], -v[10:11], v[14:15], 1.0
	v_fma_f64 v[14:15], v[16:17], v[14:15], v[14:15]
	v_add_f64 v[16:17], v[10:11], -v[18:19]
	v_mul_f64 v[18:19], v[10:11], v[14:15]
	v_add_f64 v[8:9], v[8:9], -v[16:17]
	v_fma_f64 v[16:17], v[14:15], v[10:11], -v[18:19]
	v_fma_f64 v[8:9], v[14:15], v[8:9], v[16:17]
	v_add_f64 v[16:17], v[18:19], v[8:9]
	v_add_f64 v[20:21], -v[16:17], 1.0
	v_add_f64 v[18:19], v[16:17], -v[18:19]
	v_add_f64 v[22:23], -v[20:21], 1.0
	v_add_f64 v[8:9], v[18:19], -v[8:9]
	v_add_f64 v[16:17], v[22:23], -v[16:17]
	v_add_f64 v[8:9], v[8:9], v[16:17]
	v_add_f64 v[8:9], v[20:21], v[8:9]
	v_mul_f64 v[8:9], v[14:15], v[8:9]
	v_add_f64 v[8:9], v[14:15], v[8:9]
	v_xor_b32_e32 v6, 0x80000000, v9
	v_cndmask_b32_e32 v8, v8, v10, vcc_lo
	v_cndmask_b32_e32 v6, v6, v11, vcc_lo
	v_xor_b32_e32 v7, v6, v7
	v_cndmask_b32_e64 v6, 0, v8, s4
	v_cndmask_b32_e64 v7, 0x7ff80000, v7, s4
	v_div_scale_f64 v[8:9], null, v[6:7], v[6:7], s[12:13]
	v_rcp_f64_e32 v[10:11], v[8:9]
	v_fma_f64 v[14:15], -v[8:9], v[10:11], 1.0
	v_fma_f64 v[10:11], v[10:11], v[14:15], v[10:11]
	v_fma_f64 v[14:15], -v[8:9], v[10:11], 1.0
	v_fma_f64 v[10:11], v[10:11], v[14:15], v[10:11]
	v_div_scale_f64 v[14:15], vcc_lo, s[12:13], v[6:7], s[12:13]
	v_mul_f64 v[16:17], v[14:15], v[10:11]
	v_fma_f64 v[8:9], -v[8:9], v[16:17], v[14:15]
	v_div_fmas_f64 v[8:9], v[8:9], v[10:11], v[16:17]
	v_div_fixup_f64 v[6:7], v[8:9], v[6:7], s[12:13]
	v_sub_f32_e32 v8, 1.0, v2
	v_cvt_f32_f64_e32 v7, v[6:7]
.LBB11_8:
	s_or_b32 exec_lo, exec_lo, s10
	s_orn2_b32 s4, s5, exec_lo
.LBB11_9:
	s_or_b32 exec_lo, exec_lo, s9
	v_mov_b32_e32 v6, 0x7fc00000
	s_and_saveexec_b32 s9, s4
	s_cbranch_execz .LBB11_21
; %bb.10:
	s_mov_b32 s4, exec_lo
	v_cmpx_gt_f32_e32 0x41200000, v8
	s_cbranch_execz .LBB11_14
; %bb.11:
	s_mov_b32 s5, 0
	.p2align	6
.LBB11_12:                              ; =>This Inner Loop Header: Depth=1
	v_div_scale_f32 v6, null, v8, v8, 1.0
	v_div_scale_f32 v11, vcc_lo, 1.0, v8, 1.0
	v_rcp_f32_e32 v9, v6
	v_fma_f32 v10, -v6, v9, 1.0
	v_fmac_f32_e32 v9, v10, v9
	v_mul_f32_e32 v10, v11, v9
	v_fma_f32 v12, -v6, v10, v11
	v_fmac_f32_e32 v10, v12, v9
	v_fma_f32 v6, -v6, v10, v11
	v_div_fmas_f32 v6, v6, v9, v10
	v_div_fixup_f32 v6, v6, v8, 1.0
	v_add_f32_e32 v8, 1.0, v8
	v_sub_f32_e32 v7, v7, v6
	v_cmp_ngt_f32_e32 vcc_lo, 0x41200000, v8
	s_or_b32 s5, vcc_lo, s5
	s_andn2_b32 exec_lo, exec_lo, s5
	s_cbranch_execnz .LBB11_12
; %bb.13:
	s_or_b32 exec_lo, exec_lo, s5
.LBB11_14:
	s_or_b32 exec_lo, exec_lo, s4
                                        ; implicit-def: $vgpr6
	s_mov_b32 s4, exec_lo
	v_cmpx_neq_f32_e32 0x41200000, v8
	s_xor_b32 s10, exec_lo, s4
	s_cbranch_execz .LBB11_18
; %bb.15:
	v_cvt_f64_f32_e32 v[9:10], v8
	s_mov_b32 s4, 0x85d8a000
	s_mov_b32 s5, 0x43763457
	v_mov_b32_e32 v6, 0
	v_cmp_gt_f64_e32 vcc_lo, s[4:5], v[9:10]
	s_and_saveexec_b32 s4, vcc_lo
	s_cbranch_execz .LBB11_17
; %bb.16:
	v_mul_f32_e32 v6, v8, v8
	v_div_scale_f32 v9, null, v6, v6, 1.0
	v_rcp_f32_e32 v10, v9
	v_fma_f32 v11, -v9, v10, 1.0
	v_fmac_f32_e32 v10, v11, v10
	v_div_scale_f32 v11, vcc_lo, 1.0, v6, 1.0
	v_mul_f32_e32 v12, v11, v10
	v_fma_f32 v14, -v9, v12, v11
	v_fmac_f32_e32 v12, v14, v10
	v_fma_f32 v9, -v9, v12, v11
	v_div_fmas_f32 v9, v9, v10, v12
	v_div_fixup_f32 v6, v9, v6, 1.0
	v_fmaak_f32 v9, 0, v6, 0x3daaaaab
	v_fmaak_f32 v9, v6, v9, 0xbcaccacd
	;; [unrolled: 1-line block ×7, first 2 shown]
	v_mul_f32_e32 v6, v6, v9
.LBB11_17:
	s_or_b32 exec_lo, exec_lo, s4
	v_cmp_gt_f32_e32 vcc_lo, 0x800000, v8
	v_div_scale_f32 v9, null, v8, v8, -0.5
	v_div_scale_f32 v14, s4, -0.5, v8, -0.5
	v_cndmask_b32_e64 v10, 0, 32, vcc_lo
	v_rcp_f32_e32 v11, v9
	v_ldexp_f32 v10, v8, v10
	v_log_f32_e32 v10, v10
	v_fma_f32 v12, -v9, v11, 1.0
	v_fmac_f32_e32 v11, v12, v11
	v_mul_f32_e32 v12, 0x3f317217, v10
	v_mul_f32_e32 v15, v14, v11
	v_cmp_gt_f32_e64 s5, 0x7f800000, |v10|
	v_fma_f32 v12, 0x3f317217, v10, -v12
	v_fma_f32 v16, -v9, v15, v14
	v_fmamk_f32 v12, v10, 0x3377d1cf, v12
	v_fmac_f32_e32 v15, v16, v11
	v_fmac_f32_e32 v12, 0x3f317217, v10
	v_fma_f32 v9, -v9, v15, v14
	v_cndmask_b32_e64 v10, v10, v12, s5
	v_cndmask_b32_e64 v12, 0, 0x41b17218, vcc_lo
	s_mov_b32 vcc_lo, s4
	v_div_fmas_f32 v9, v9, v11, v15
	v_sub_f32_e32 v10, v10, v12
	v_div_fixup_f32 v8, v9, v8, -0.5
	v_add_f32_e32 v8, v10, v8
	v_sub_f32_e32 v6, v8, v6
	v_add_f32_e32 v6, v7, v6
                                        ; implicit-def: $vgpr7
.LBB11_18:
	s_andn2_saveexec_b32 s4, s10
; %bb.19:
	v_add_f32_e32 v6, 0x40101cb7, v7
; %bb.20:
	s_or_b32 exec_lo, exec_lo, s4
.LBB11_21:
	s_or_b32 exec_lo, exec_lo, s9
.LBB11_22:
	s_andn2_saveexec_b32 s4, s8
; %bb.23:
	v_xor_b32_e32 v2, 0x80000000, v2
	s_mov_b32 s5, 0x7f800000
	v_bfi_b32 v6, 0x7fffffff, s5, v2
; %bb.24:
	s_or_b32 exec_lo, exec_lo, s4
	s_mov_b32 s4, exec_lo
	v_cmpx_neq_f32_e32 0, v3
	s_xor_b32 s8, exec_lo, s4
	s_cbranch_execz .LBB11_46
; %bb.25:
	v_mov_b32_e32 v2, 0
	v_mov_b32_e32 v8, v3
	s_mov_b32 s4, -1
	s_mov_b32 s9, exec_lo
	v_cmpx_gt_f32_e32 0, v3
	s_cbranch_execz .LBB11_33
; %bb.26:
	v_trunc_f32_e32 v2, v3
	s_mov_b32 s5, 0
                                        ; implicit-def: $vgpr8
	v_cmp_neq_f32_e32 vcc_lo, v3, v2
	v_mov_b32_e32 v2, 0
	s_and_saveexec_b32 s10, vcc_lo
	s_cbranch_execz .LBB11_32
; %bb.27:
	v_cvt_f64_f32_e32 v[7:8], v3
	s_mov_b32 s5, 0xc00921fb
	s_mov_b32 s4, 0x54442d18
	s_mov_b32 s11, exec_lo
                                        ; implicit-def: $vgpr2
                                        ; implicit-def: $vgpr11_vgpr12
	v_trunc_f64_e32 v[9:10], v[7:8]
	v_cmp_neq_f64_e64 vcc_lo, 0x7ff00000, |v[7:8]|
	v_add_f64 v[9:10], v[7:8], -v[9:10]
	v_mul_f64 v[9:10], |v[9:10]|, s[4:5]
	v_cndmask_b32_e32 v8, 0x80000000, v10, vcc_lo
	v_cndmask_b32_e32 v7, 0, v9, vcc_lo
                                        ; implicit-def: $vgpr9_vgpr10
	v_cmpx_ngt_f64_e64 0x41d00000, |v[7:8]|
	s_xor_b32 s11, exec_lo, s11
	s_cbranch_execz .LBB11_29
; %bb.28:
	v_ldexp_f64 v[9:10], |v[7:8]|, 0xffffff80
	v_cmp_le_f64_e64 vcc_lo, 0x7b000000, |v[7:8]|
	v_trig_preop_f64 v[11:12], |v[7:8]|, 0
	v_and_b32_e32 v2, 0x7fffffff, v8
	v_trig_preop_f64 v[14:15], |v[7:8]|, 1
	v_trig_preop_f64 v[24:25], |v[7:8]|, 2
	v_mov_b32_e32 v32, 0
	s_mov_b32 s5, 0x3ff921fb
	s_mov_b32 s12, 0x33145c07
	s_mov_b32 s13, 0x3c91a626
	v_cndmask_b32_e32 v10, v2, v10, vcc_lo
	v_cndmask_b32_e32 v9, v7, v9, vcc_lo
	v_mul_f64 v[16:17], v[11:12], v[9:10]
	v_mul_f64 v[18:19], v[14:15], v[9:10]
	;; [unrolled: 1-line block ×3, first 2 shown]
	v_fma_f64 v[11:12], v[11:12], v[9:10], -v[16:17]
	v_fma_f64 v[14:15], v[14:15], v[9:10], -v[18:19]
	;; [unrolled: 1-line block ×3, first 2 shown]
	v_add_f64 v[20:21], v[18:19], v[11:12]
	v_add_f64 v[22:23], v[20:21], -v[18:19]
	v_add_f64 v[28:29], v[16:17], v[20:21]
	v_add_f64 v[26:27], v[20:21], -v[22:23]
	v_add_f64 v[11:12], v[11:12], -v[22:23]
	v_ldexp_f64 v[22:23], v[28:29], -2
	v_add_f64 v[16:17], v[28:29], -v[16:17]
	v_add_f64 v[18:19], v[18:19], -v[26:27]
	v_add_f64 v[26:27], v[30:31], v[14:15]
	v_cmp_neq_f64_e64 vcc_lo, 0x7ff00000, |v[22:23]|
	v_add_f64 v[16:17], v[20:21], -v[16:17]
	v_add_f64 v[11:12], v[11:12], v[18:19]
	v_fract_f64_e32 v[18:19], v[22:23]
	v_add_f64 v[20:21], v[26:27], v[11:12]
	v_ldexp_f64 v[18:19], v[18:19], 2
	v_add_f64 v[22:23], v[16:17], v[20:21]
	v_cndmask_b32_e32 v19, 0, v19, vcc_lo
	v_cndmask_b32_e32 v18, 0, v18, vcc_lo
	v_add_f64 v[28:29], v[22:23], v[18:19]
	v_add_f64 v[16:17], v[22:23], -v[16:17]
	v_cmp_gt_f64_e32 vcc_lo, 0, v[28:29]
	v_add_f64 v[28:29], v[26:27], -v[30:31]
	v_add_f64 v[16:17], v[20:21], -v[16:17]
	v_cndmask_b32_e64 v33, 0, 0x40100000, vcc_lo
	v_add_f64 v[37:38], v[26:27], -v[28:29]
	v_add_f64 v[14:15], v[14:15], -v[28:29]
	v_add_f64 v[18:19], v[18:19], v[32:33]
	v_add_f64 v[33:34], v[20:21], -v[26:27]
	v_add_f64 v[28:29], v[30:31], -v[37:38]
	v_add_f64 v[35:36], v[22:23], v[18:19]
	;; [unrolled: 3-line block ×3, first 2 shown]
	v_cvt_i32_f64_e32 v2, v[35:36]
	v_add_f64 v[26:27], v[26:27], -v[48:49]
	v_cvt_f64_i32_e32 v[33:34], v2
	v_add_f64 v[11:12], v[11:12], v[26:27]
	v_add_f64 v[18:19], v[18:19], -v[33:34]
	v_add_f64 v[11:12], v[14:15], v[11:12]
	v_add_f64 v[14:15], v[22:23], v[18:19]
	;; [unrolled: 1-line block ×3, first 2 shown]
	v_add_f64 v[11:12], v[14:15], -v[18:19]
	v_cmp_le_f64_e32 vcc_lo, 0.5, v[14:15]
	v_add_f64 v[9:10], v[16:17], v[9:10]
	v_add_f64 v[11:12], v[22:23], -v[11:12]
	v_cndmask_b32_e64 v33, 0, 0x3ff00000, vcc_lo
	v_add_co_ci_u32_e64 v2, null, 0, v2, vcc_lo
	v_add_f64 v[9:10], v[9:10], v[11:12]
	v_add_f64 v[11:12], v[14:15], -v[32:33]
	v_add_f64 v[14:15], v[11:12], v[9:10]
	v_mul_f64 v[16:17], v[14:15], s[4:5]
	v_add_f64 v[11:12], v[14:15], -v[11:12]
	v_fma_f64 v[18:19], v[14:15], s[4:5], -v[16:17]
	v_add_f64 v[9:10], v[9:10], -v[11:12]
	v_fma_f64 v[11:12], v[14:15], s[12:13], v[18:19]
	v_fma_f64 v[11:12], v[9:10], s[4:5], v[11:12]
	v_add_f64 v[9:10], v[16:17], v[11:12]
	v_add_f64 v[14:15], v[9:10], -v[16:17]
	v_add_f64 v[11:12], v[11:12], -v[14:15]
.LBB11_29:
	s_andn2_saveexec_b32 s4, s11
	s_cbranch_execz .LBB11_31
; %bb.30:
	s_mov_b32 s12, 0x6dc9c883
	s_mov_b32 s13, 0x3fe45f30
	;; [unrolled: 1-line block ×3, first 2 shown]
	v_mul_f64 v[9:10], |v[7:8]|, s[12:13]
	s_mov_b32 s12, 0x54442d18
	s_mov_b32 s13, 0xbff921fb
	;; [unrolled: 1-line block ×3, first 2 shown]
	v_rndne_f64_e32 v[14:15], v[9:10]
	v_fma_f64 v[9:10], v[14:15], s[12:13], |v[7:8]|
	v_mul_f64 v[11:12], v[14:15], s[14:15]
	s_mov_b32 s12, 0x252049c0
	s_mov_b32 s13, 0xb97b839a
	v_cvt_i32_f64_e32 v2, v[14:15]
	v_fma_f64 v[18:19], v[14:15], s[14:15], v[9:10]
	v_add_f64 v[16:17], v[9:10], v[11:12]
	s_mov_b32 s15, 0x3c91a626
	v_add_f64 v[9:10], v[9:10], -v[16:17]
	v_add_f64 v[16:17], v[16:17], -v[18:19]
	v_add_f64 v[9:10], v[9:10], v[11:12]
	v_fma_f64 v[11:12], v[14:15], s[14:15], v[11:12]
	v_add_f64 v[9:10], v[16:17], v[9:10]
	v_add_f64 v[9:10], v[9:10], -v[11:12]
	v_fma_f64 v[11:12], v[14:15], s[12:13], v[9:10]
	v_add_f64 v[9:10], v[18:19], v[11:12]
	v_add_f64 v[16:17], v[9:10], -v[18:19]
	v_add_f64 v[11:12], v[11:12], -v[16:17]
.LBB11_31:
	s_or_b32 exec_lo, exec_lo, s4
	v_mul_f64 v[14:15], v[9:10], v[9:10]
	v_add_f64 v[16:17], v[11:12], v[11:12]
	s_mov_b32 s12, 0xa9a29f71
	s_mov_b32 s14, 0xc751c08c
	;; [unrolled: 1-line block ×4, first 2 shown]
	v_cmp_class_f64_e64 s4, v[7:8], 0x1f8
	v_and_b32_e32 v2, 1, v2
	v_and_b32_e32 v8, 0x80000000, v8
	s_mov_b32 s5, exec_lo
	v_cmp_eq_u32_e32 vcc_lo, 0, v2
	v_fma_f64 v[18:19], v[9:10], v[9:10], -v[14:15]
	v_fma_f64 v[16:17], v[9:10], v[16:17], v[18:19]
	v_add_f64 v[14:15], v[14:15], v[16:17]
	v_fma_f64 v[16:17], v[14:15], s[14:15], s[12:13]
	s_mov_b32 s12, 0x90a8aae0
	s_mov_b32 s13, 0x3f17746f
	v_fma_f64 v[16:17], v[14:15], v[16:17], s[12:13]
	s_mov_b32 s12, 0xa6fbf144
	s_mov_b32 s13, 0xbefbb44d
	;; [unrolled: 3-line block ×13, first 2 shown]
	v_mul_f64 v[14:15], v[14:15], v[16:17]
	v_mul_f64 v[16:17], v[9:10], v[14:15]
	v_add_f64 v[18:19], v[9:10], v[16:17]
	v_fma_f64 v[14:15], v[9:10], v[14:15], -v[16:17]
	v_add_f64 v[9:10], v[18:19], -v[9:10]
	v_add_f64 v[11:12], v[11:12], v[14:15]
	v_add_f64 v[9:10], v[16:17], -v[9:10]
	v_add_f64 v[9:10], v[11:12], v[9:10]
	v_add_f64 v[11:12], v[18:19], v[9:10]
	v_rcp_f64_e32 v[14:15], v[11:12]
	v_fma_f64 v[16:17], -v[11:12], v[14:15], 1.0
	v_fma_f64 v[14:15], v[16:17], v[14:15], v[14:15]
	v_fma_f64 v[16:17], -v[11:12], v[14:15], 1.0
	v_fma_f64 v[14:15], v[16:17], v[14:15], v[14:15]
	v_add_f64 v[16:17], v[11:12], -v[18:19]
	v_mul_f64 v[18:19], v[11:12], v[14:15]
	v_add_f64 v[9:10], v[9:10], -v[16:17]
	v_fma_f64 v[16:17], v[14:15], v[11:12], -v[18:19]
	v_fma_f64 v[9:10], v[14:15], v[9:10], v[16:17]
	v_add_f64 v[16:17], v[18:19], v[9:10]
	v_add_f64 v[20:21], -v[16:17], 1.0
	v_add_f64 v[18:19], v[16:17], -v[18:19]
	v_add_f64 v[22:23], -v[20:21], 1.0
	v_add_f64 v[9:10], v[18:19], -v[9:10]
	v_add_f64 v[16:17], v[22:23], -v[16:17]
	v_add_f64 v[9:10], v[9:10], v[16:17]
	v_add_f64 v[9:10], v[20:21], v[9:10]
	v_mul_f64 v[9:10], v[14:15], v[9:10]
	v_add_f64 v[9:10], v[14:15], v[9:10]
	v_xor_b32_e32 v7, 0x80000000, v10
	v_cndmask_b32_e32 v2, v9, v11, vcc_lo
	v_cndmask_b32_e32 v7, v7, v12, vcc_lo
	v_xor_b32_e32 v8, v7, v8
	v_cndmask_b32_e64 v7, 0, v2, s4
	v_cndmask_b32_e64 v8, 0x7ff80000, v8, s4
	v_div_scale_f64 v[9:10], null, v[7:8], v[7:8], s[12:13]
	v_rcp_f64_e32 v[11:12], v[9:10]
	v_fma_f64 v[14:15], -v[9:10], v[11:12], 1.0
	v_fma_f64 v[11:12], v[11:12], v[14:15], v[11:12]
	v_fma_f64 v[14:15], -v[9:10], v[11:12], 1.0
	v_fma_f64 v[11:12], v[11:12], v[14:15], v[11:12]
	v_div_scale_f64 v[14:15], vcc_lo, s[12:13], v[7:8], s[12:13]
	v_mul_f64 v[16:17], v[14:15], v[11:12]
	v_fma_f64 v[9:10], -v[9:10], v[16:17], v[14:15]
	v_div_fmas_f64 v[9:10], v[9:10], v[11:12], v[16:17]
	v_div_fixup_f64 v[7:8], v[9:10], v[7:8], s[12:13]
	v_cvt_f32_f64_e32 v2, v[7:8]
	v_sub_f32_e32 v8, 1.0, v3
.LBB11_32:
	s_or_b32 exec_lo, exec_lo, s10
	s_orn2_b32 s4, s5, exec_lo
.LBB11_33:
	s_or_b32 exec_lo, exec_lo, s9
	v_mov_b32_e32 v7, 0x7fc00000
	s_and_saveexec_b32 s9, s4
	s_cbranch_execz .LBB11_45
; %bb.34:
	s_mov_b32 s4, exec_lo
	v_cmpx_gt_f32_e32 0x41200000, v8
	s_cbranch_execz .LBB11_38
; %bb.35:
	s_mov_b32 s5, 0
	.p2align	6
.LBB11_36:                              ; =>This Inner Loop Header: Depth=1
	v_div_scale_f32 v7, null, v8, v8, 1.0
	v_div_scale_f32 v11, vcc_lo, 1.0, v8, 1.0
	v_rcp_f32_e32 v9, v7
	v_fma_f32 v10, -v7, v9, 1.0
	v_fmac_f32_e32 v9, v10, v9
	v_mul_f32_e32 v10, v11, v9
	v_fma_f32 v12, -v7, v10, v11
	v_fmac_f32_e32 v10, v12, v9
	v_fma_f32 v7, -v7, v10, v11
	v_div_fmas_f32 v7, v7, v9, v10
	v_div_fixup_f32 v7, v7, v8, 1.0
	v_add_f32_e32 v8, 1.0, v8
	v_sub_f32_e32 v2, v2, v7
	v_cmp_ngt_f32_e32 vcc_lo, 0x41200000, v8
	s_or_b32 s5, vcc_lo, s5
	s_andn2_b32 exec_lo, exec_lo, s5
	s_cbranch_execnz .LBB11_36
; %bb.37:
	s_or_b32 exec_lo, exec_lo, s5
.LBB11_38:
	s_or_b32 exec_lo, exec_lo, s4
	s_mov_b32 s4, exec_lo
	v_cmpx_neq_f32_e32 0x41200000, v8
	s_xor_b32 s10, exec_lo, s4
	s_cbranch_execz .LBB11_42
; %bb.39:
	v_cvt_f64_f32_e32 v[9:10], v8
	s_mov_b32 s4, 0x85d8a000
	s_mov_b32 s5, 0x43763457
	v_mov_b32_e32 v7, 0
	v_cmp_gt_f64_e32 vcc_lo, s[4:5], v[9:10]
	s_and_saveexec_b32 s4, vcc_lo
	s_cbranch_execz .LBB11_41
; %bb.40:
	v_mul_f32_e32 v7, v8, v8
	v_div_scale_f32 v9, null, v7, v7, 1.0
	v_rcp_f32_e32 v10, v9
	v_fma_f32 v11, -v9, v10, 1.0
	v_fmac_f32_e32 v10, v11, v10
	v_div_scale_f32 v11, vcc_lo, 1.0, v7, 1.0
	v_mul_f32_e32 v12, v11, v10
	v_fma_f32 v14, -v9, v12, v11
	v_fmac_f32_e32 v12, v14, v10
	v_fma_f32 v9, -v9, v12, v11
	v_div_fmas_f32 v9, v9, v10, v12
	v_div_fixup_f32 v7, v9, v7, 1.0
	v_fmaak_f32 v9, 0, v7, 0x3daaaaab
	v_fmaak_f32 v9, v7, v9, 0xbcaccacd
	;; [unrolled: 1-line block ×7, first 2 shown]
	v_mul_f32_e32 v7, v7, v9
.LBB11_41:
	s_or_b32 exec_lo, exec_lo, s4
	v_cmp_gt_f32_e32 vcc_lo, 0x800000, v8
	v_div_scale_f32 v9, null, v8, v8, -0.5
	v_div_scale_f32 v14, s4, -0.5, v8, -0.5
	v_cndmask_b32_e64 v10, 0, 32, vcc_lo
	v_rcp_f32_e32 v11, v9
	v_ldexp_f32 v10, v8, v10
	v_log_f32_e32 v10, v10
	v_fma_f32 v12, -v9, v11, 1.0
	v_fmac_f32_e32 v11, v12, v11
	v_mul_f32_e32 v12, 0x3f317217, v10
	v_mul_f32_e32 v15, v14, v11
	v_cmp_gt_f32_e64 s5, 0x7f800000, |v10|
	v_fma_f32 v12, 0x3f317217, v10, -v12
	v_fma_f32 v16, -v9, v15, v14
	v_fmamk_f32 v12, v10, 0x3377d1cf, v12
	v_fmac_f32_e32 v15, v16, v11
	v_fmac_f32_e32 v12, 0x3f317217, v10
	v_fma_f32 v9, -v9, v15, v14
	v_cndmask_b32_e64 v10, v10, v12, s5
	v_cndmask_b32_e64 v12, 0, 0x41b17218, vcc_lo
	s_mov_b32 vcc_lo, s4
	v_div_fmas_f32 v9, v9, v11, v15
	v_sub_f32_e32 v10, v10, v12
	v_div_fixup_f32 v8, v9, v8, -0.5
	v_add_f32_e32 v8, v10, v8
	v_sub_f32_e32 v7, v8, v7
	v_add_f32_e32 v7, v2, v7
                                        ; implicit-def: $vgpr2
.LBB11_42:
	s_andn2_saveexec_b32 s4, s10
; %bb.43:
	v_add_f32_e32 v7, 0x40101cb7, v2
; %bb.44:
	s_or_b32 exec_lo, exec_lo, s4
.LBB11_45:
	s_or_b32 exec_lo, exec_lo, s9
.LBB11_46:
	s_andn2_saveexec_b32 s4, s8
; %bb.47:
	v_xor_b32_e32 v2, 0x80000000, v3
	s_mov_b32 s5, 0x7f800000
	v_bfi_b32 v7, 0x7fffffff, s5, v2
; %bb.48:
	s_or_b32 exec_lo, exec_lo, s4
	s_mov_b32 s4, exec_lo
	v_cmpx_neq_f32_e32 0, v4
	s_xor_b32 s8, exec_lo, s4
	s_cbranch_execz .LBB11_70
; %bb.49:
	v_mov_b32_e32 v2, 0
	v_mov_b32_e32 v3, v4
	s_mov_b32 s4, -1
	s_mov_b32 s9, exec_lo
	v_cmpx_gt_f32_e32 0, v4
	s_cbranch_execz .LBB11_57
; %bb.50:
	v_trunc_f32_e32 v2, v4
	s_mov_b32 s5, 0
                                        ; implicit-def: $vgpr3
	v_cmp_neq_f32_e32 vcc_lo, v4, v2
	v_mov_b32_e32 v2, 0
	s_and_saveexec_b32 s10, vcc_lo
	s_cbranch_execz .LBB11_56
; %bb.51:
	v_cvt_f64_f32_e32 v[2:3], v4
	s_mov_b32 s5, 0xc00921fb
	s_mov_b32 s4, 0x54442d18
	s_mov_b32 s11, exec_lo
                                        ; implicit-def: $vgpr12
                                        ; implicit-def: $vgpr10_vgpr11
	v_trunc_f64_e32 v[8:9], v[2:3]
	v_cmp_neq_f64_e64 vcc_lo, 0x7ff00000, |v[2:3]|
	v_add_f64 v[8:9], v[2:3], -v[8:9]
	v_mul_f64 v[8:9], |v[8:9]|, s[4:5]
	v_cndmask_b32_e32 v3, 0x80000000, v9, vcc_lo
	v_cndmask_b32_e32 v2, 0, v8, vcc_lo
                                        ; implicit-def: $vgpr8_vgpr9
	v_cmpx_ngt_f64_e64 0x41d00000, |v[2:3]|
	s_xor_b32 s11, exec_lo, s11
	s_cbranch_execz .LBB11_53
; %bb.52:
	v_ldexp_f64 v[8:9], |v[2:3]|, 0xffffff80
	v_cmp_le_f64_e64 vcc_lo, 0x7b000000, |v[2:3]|
	v_trig_preop_f64 v[10:11], |v[2:3]|, 0
	v_and_b32_e32 v12, 0x7fffffff, v3
	v_trig_preop_f64 v[14:15], |v[2:3]|, 1
	v_trig_preop_f64 v[24:25], |v[2:3]|, 2
	v_mov_b32_e32 v32, 0
	s_mov_b32 s5, 0x3ff921fb
	s_mov_b32 s12, 0x33145c07
	;; [unrolled: 1-line block ×3, first 2 shown]
	v_cndmask_b32_e32 v9, v12, v9, vcc_lo
	v_cndmask_b32_e32 v8, v2, v8, vcc_lo
	v_mul_f64 v[16:17], v[10:11], v[8:9]
	v_mul_f64 v[18:19], v[14:15], v[8:9]
	;; [unrolled: 1-line block ×3, first 2 shown]
	v_fma_f64 v[10:11], v[10:11], v[8:9], -v[16:17]
	v_fma_f64 v[14:15], v[14:15], v[8:9], -v[18:19]
	;; [unrolled: 1-line block ×3, first 2 shown]
	v_add_f64 v[20:21], v[18:19], v[10:11]
	v_add_f64 v[22:23], v[20:21], -v[18:19]
	v_add_f64 v[28:29], v[16:17], v[20:21]
	v_add_f64 v[26:27], v[20:21], -v[22:23]
	v_add_f64 v[10:11], v[10:11], -v[22:23]
	v_ldexp_f64 v[22:23], v[28:29], -2
	v_add_f64 v[16:17], v[28:29], -v[16:17]
	v_add_f64 v[18:19], v[18:19], -v[26:27]
	v_add_f64 v[26:27], v[30:31], v[14:15]
	v_cmp_neq_f64_e64 vcc_lo, 0x7ff00000, |v[22:23]|
	v_add_f64 v[16:17], v[20:21], -v[16:17]
	v_add_f64 v[10:11], v[10:11], v[18:19]
	v_fract_f64_e32 v[18:19], v[22:23]
	v_add_f64 v[20:21], v[26:27], v[10:11]
	v_ldexp_f64 v[18:19], v[18:19], 2
	v_add_f64 v[22:23], v[16:17], v[20:21]
	v_cndmask_b32_e32 v19, 0, v19, vcc_lo
	v_cndmask_b32_e32 v18, 0, v18, vcc_lo
	v_add_f64 v[28:29], v[22:23], v[18:19]
	v_add_f64 v[16:17], v[22:23], -v[16:17]
	v_cmp_gt_f64_e32 vcc_lo, 0, v[28:29]
	v_add_f64 v[28:29], v[26:27], -v[30:31]
	v_add_f64 v[16:17], v[20:21], -v[16:17]
	v_cndmask_b32_e64 v33, 0, 0x40100000, vcc_lo
	v_add_f64 v[37:38], v[26:27], -v[28:29]
	v_add_f64 v[14:15], v[14:15], -v[28:29]
	v_add_f64 v[18:19], v[18:19], v[32:33]
	v_add_f64 v[33:34], v[20:21], -v[26:27]
	v_add_f64 v[28:29], v[30:31], -v[37:38]
	v_add_f64 v[35:36], v[22:23], v[18:19]
	;; [unrolled: 3-line block ×3, first 2 shown]
	v_cvt_i32_f64_e32 v12, v[35:36]
	v_add_f64 v[26:27], v[26:27], -v[48:49]
	v_cvt_f64_i32_e32 v[33:34], v12
	v_add_f64 v[10:11], v[10:11], v[26:27]
	v_add_f64 v[18:19], v[18:19], -v[33:34]
	v_add_f64 v[10:11], v[14:15], v[10:11]
	v_add_f64 v[14:15], v[22:23], v[18:19]
	;; [unrolled: 1-line block ×3, first 2 shown]
	v_add_f64 v[10:11], v[14:15], -v[18:19]
	v_cmp_le_f64_e32 vcc_lo, 0.5, v[14:15]
	v_add_f64 v[8:9], v[16:17], v[8:9]
	v_add_f64 v[10:11], v[22:23], -v[10:11]
	v_cndmask_b32_e64 v33, 0, 0x3ff00000, vcc_lo
	v_add_co_ci_u32_e64 v12, null, 0, v12, vcc_lo
	v_add_f64 v[8:9], v[8:9], v[10:11]
	v_add_f64 v[10:11], v[14:15], -v[32:33]
	v_add_f64 v[14:15], v[10:11], v[8:9]
	v_mul_f64 v[16:17], v[14:15], s[4:5]
	v_add_f64 v[10:11], v[14:15], -v[10:11]
	v_fma_f64 v[18:19], v[14:15], s[4:5], -v[16:17]
	v_add_f64 v[8:9], v[8:9], -v[10:11]
	v_fma_f64 v[10:11], v[14:15], s[12:13], v[18:19]
	v_fma_f64 v[10:11], v[8:9], s[4:5], v[10:11]
	v_add_f64 v[8:9], v[16:17], v[10:11]
	v_add_f64 v[14:15], v[8:9], -v[16:17]
	v_add_f64 v[10:11], v[10:11], -v[14:15]
.LBB11_53:
	s_andn2_saveexec_b32 s4, s11
	s_cbranch_execz .LBB11_55
; %bb.54:
	s_mov_b32 s12, 0x6dc9c883
	s_mov_b32 s13, 0x3fe45f30
	;; [unrolled: 1-line block ×3, first 2 shown]
	v_mul_f64 v[8:9], |v[2:3]|, s[12:13]
	s_mov_b32 s12, 0x54442d18
	s_mov_b32 s13, 0xbff921fb
	;; [unrolled: 1-line block ×3, first 2 shown]
	v_rndne_f64_e32 v[14:15], v[8:9]
	v_fma_f64 v[8:9], v[14:15], s[12:13], |v[2:3]|
	v_mul_f64 v[10:11], v[14:15], s[14:15]
	s_mov_b32 s12, 0x252049c0
	s_mov_b32 s13, 0xb97b839a
	v_cvt_i32_f64_e32 v12, v[14:15]
	v_fma_f64 v[18:19], v[14:15], s[14:15], v[8:9]
	v_add_f64 v[16:17], v[8:9], v[10:11]
	s_mov_b32 s15, 0x3c91a626
	v_add_f64 v[8:9], v[8:9], -v[16:17]
	v_add_f64 v[16:17], v[16:17], -v[18:19]
	v_add_f64 v[8:9], v[8:9], v[10:11]
	v_fma_f64 v[10:11], v[14:15], s[14:15], v[10:11]
	v_add_f64 v[8:9], v[16:17], v[8:9]
	v_add_f64 v[8:9], v[8:9], -v[10:11]
	v_fma_f64 v[10:11], v[14:15], s[12:13], v[8:9]
	v_add_f64 v[8:9], v[18:19], v[10:11]
	v_add_f64 v[16:17], v[8:9], -v[18:19]
	v_add_f64 v[10:11], v[10:11], -v[16:17]
.LBB11_55:
	s_or_b32 exec_lo, exec_lo, s4
	v_mul_f64 v[14:15], v[8:9], v[8:9]
	v_add_f64 v[16:17], v[10:11], v[10:11]
	s_mov_b32 s12, 0xa9a29f71
	s_mov_b32 s14, 0xc751c08c
	;; [unrolled: 1-line block ×4, first 2 shown]
	v_cmp_class_f64_e64 s4, v[2:3], 0x1f8
	v_and_b32_e32 v12, 1, v12
	v_and_b32_e32 v3, 0x80000000, v3
	s_mov_b32 s5, exec_lo
	v_cmp_eq_u32_e32 vcc_lo, 0, v12
	v_fma_f64 v[18:19], v[8:9], v[8:9], -v[14:15]
	v_fma_f64 v[16:17], v[8:9], v[16:17], v[18:19]
	v_add_f64 v[14:15], v[14:15], v[16:17]
	v_fma_f64 v[16:17], v[14:15], s[14:15], s[12:13]
	s_mov_b32 s12, 0x90a8aae0
	s_mov_b32 s13, 0x3f17746f
	v_fma_f64 v[16:17], v[14:15], v[16:17], s[12:13]
	s_mov_b32 s12, 0xa6fbf144
	s_mov_b32 s13, 0xbefbb44d
	;; [unrolled: 3-line block ×13, first 2 shown]
	v_mul_f64 v[14:15], v[14:15], v[16:17]
	v_mul_f64 v[16:17], v[8:9], v[14:15]
	v_add_f64 v[18:19], v[8:9], v[16:17]
	v_fma_f64 v[14:15], v[8:9], v[14:15], -v[16:17]
	v_add_f64 v[8:9], v[18:19], -v[8:9]
	v_add_f64 v[10:11], v[10:11], v[14:15]
	v_add_f64 v[8:9], v[16:17], -v[8:9]
	v_add_f64 v[8:9], v[10:11], v[8:9]
	v_add_f64 v[10:11], v[18:19], v[8:9]
	v_rcp_f64_e32 v[14:15], v[10:11]
	v_fma_f64 v[16:17], -v[10:11], v[14:15], 1.0
	v_fma_f64 v[14:15], v[16:17], v[14:15], v[14:15]
	v_fma_f64 v[16:17], -v[10:11], v[14:15], 1.0
	v_fma_f64 v[14:15], v[16:17], v[14:15], v[14:15]
	v_add_f64 v[16:17], v[10:11], -v[18:19]
	v_mul_f64 v[18:19], v[10:11], v[14:15]
	v_add_f64 v[8:9], v[8:9], -v[16:17]
	v_fma_f64 v[16:17], v[14:15], v[10:11], -v[18:19]
	v_fma_f64 v[8:9], v[14:15], v[8:9], v[16:17]
	v_add_f64 v[16:17], v[18:19], v[8:9]
	v_add_f64 v[20:21], -v[16:17], 1.0
	v_add_f64 v[18:19], v[16:17], -v[18:19]
	v_add_f64 v[22:23], -v[20:21], 1.0
	v_add_f64 v[8:9], v[18:19], -v[8:9]
	v_add_f64 v[16:17], v[22:23], -v[16:17]
	v_add_f64 v[8:9], v[8:9], v[16:17]
	v_add_f64 v[8:9], v[20:21], v[8:9]
	v_mul_f64 v[8:9], v[14:15], v[8:9]
	v_add_f64 v[8:9], v[14:15], v[8:9]
	v_xor_b32_e32 v2, 0x80000000, v9
	v_cndmask_b32_e32 v8, v8, v10, vcc_lo
	v_cndmask_b32_e32 v2, v2, v11, vcc_lo
	v_xor_b32_e32 v3, v2, v3
	v_cndmask_b32_e64 v2, 0, v8, s4
	v_cndmask_b32_e64 v3, 0x7ff80000, v3, s4
	v_div_scale_f64 v[8:9], null, v[2:3], v[2:3], s[12:13]
	v_rcp_f64_e32 v[10:11], v[8:9]
	v_fma_f64 v[14:15], -v[8:9], v[10:11], 1.0
	v_fma_f64 v[10:11], v[10:11], v[14:15], v[10:11]
	v_fma_f64 v[14:15], -v[8:9], v[10:11], 1.0
	v_fma_f64 v[10:11], v[10:11], v[14:15], v[10:11]
	v_div_scale_f64 v[14:15], vcc_lo, s[12:13], v[2:3], s[12:13]
	v_mul_f64 v[16:17], v[14:15], v[10:11]
	v_fma_f64 v[8:9], -v[8:9], v[16:17], v[14:15]
	v_div_fmas_f64 v[8:9], v[8:9], v[10:11], v[16:17]
	v_div_fixup_f64 v[2:3], v[8:9], v[2:3], s[12:13]
	v_cvt_f32_f64_e32 v2, v[2:3]
	v_sub_f32_e32 v3, 1.0, v4
.LBB11_56:
	s_or_b32 exec_lo, exec_lo, s10
	s_orn2_b32 s4, s5, exec_lo
.LBB11_57:
	s_or_b32 exec_lo, exec_lo, s9
	v_mov_b32_e32 v8, 0x7fc00000
	s_and_saveexec_b32 s9, s4
	s_cbranch_execz .LBB11_69
; %bb.58:
	s_mov_b32 s4, exec_lo
	v_cmpx_gt_f32_e32 0x41200000, v3
	s_cbranch_execz .LBB11_62
; %bb.59:
	s_mov_b32 s5, 0
	.p2align	6
.LBB11_60:                              ; =>This Inner Loop Header: Depth=1
	v_div_scale_f32 v8, null, v3, v3, 1.0
	v_div_scale_f32 v11, vcc_lo, 1.0, v3, 1.0
	v_rcp_f32_e32 v9, v8
	v_fma_f32 v10, -v8, v9, 1.0
	v_fmac_f32_e32 v9, v10, v9
	v_mul_f32_e32 v10, v11, v9
	v_fma_f32 v12, -v8, v10, v11
	v_fmac_f32_e32 v10, v12, v9
	v_fma_f32 v8, -v8, v10, v11
	v_div_fmas_f32 v8, v8, v9, v10
	v_div_fixup_f32 v8, v8, v3, 1.0
	v_add_f32_e32 v3, 1.0, v3
	v_sub_f32_e32 v2, v2, v8
	v_cmp_ngt_f32_e32 vcc_lo, 0x41200000, v3
	s_or_b32 s5, vcc_lo, s5
	s_andn2_b32 exec_lo, exec_lo, s5
	s_cbranch_execnz .LBB11_60
; %bb.61:
	s_or_b32 exec_lo, exec_lo, s5
.LBB11_62:
	s_or_b32 exec_lo, exec_lo, s4
	s_mov_b32 s4, exec_lo
	v_cmpx_neq_f32_e32 0x41200000, v3
	s_xor_b32 s10, exec_lo, s4
	s_cbranch_execz .LBB11_66
; %bb.63:
	v_cvt_f64_f32_e32 v[8:9], v3
	s_mov_b32 s4, 0x85d8a000
	s_mov_b32 s5, 0x43763457
	v_cmp_gt_f64_e32 vcc_lo, s[4:5], v[8:9]
	v_mov_b32_e32 v8, 0
	s_and_saveexec_b32 s4, vcc_lo
	s_cbranch_execz .LBB11_65
; %bb.64:
	v_mul_f32_e32 v8, v3, v3
	v_div_scale_f32 v9, null, v8, v8, 1.0
	v_rcp_f32_e32 v10, v9
	v_fma_f32 v11, -v9, v10, 1.0
	v_fmac_f32_e32 v10, v11, v10
	v_div_scale_f32 v11, vcc_lo, 1.0, v8, 1.0
	v_mul_f32_e32 v12, v11, v10
	v_fma_f32 v14, -v9, v12, v11
	v_fmac_f32_e32 v12, v14, v10
	v_fma_f32 v9, -v9, v12, v11
	v_div_fmas_f32 v9, v9, v10, v12
	v_div_fixup_f32 v8, v9, v8, 1.0
	v_fmaak_f32 v9, 0, v8, 0x3daaaaab
	v_fmaak_f32 v9, v8, v9, 0xbcaccacd
	;; [unrolled: 1-line block ×7, first 2 shown]
	v_mul_f32_e32 v8, v8, v9
.LBB11_65:
	s_or_b32 exec_lo, exec_lo, s4
	v_cmp_gt_f32_e32 vcc_lo, 0x800000, v3
	v_div_scale_f32 v9, null, v3, v3, -0.5
	v_div_scale_f32 v14, s4, -0.5, v3, -0.5
	v_cndmask_b32_e64 v10, 0, 32, vcc_lo
	v_rcp_f32_e32 v11, v9
	v_ldexp_f32 v10, v3, v10
	v_log_f32_e32 v10, v10
	v_fma_f32 v12, -v9, v11, 1.0
	v_fmac_f32_e32 v11, v12, v11
	v_mul_f32_e32 v12, 0x3f317217, v10
	v_mul_f32_e32 v15, v14, v11
	v_cmp_gt_f32_e64 s5, 0x7f800000, |v10|
	v_fma_f32 v12, 0x3f317217, v10, -v12
	v_fma_f32 v16, -v9, v15, v14
	v_fmamk_f32 v12, v10, 0x3377d1cf, v12
	v_fmac_f32_e32 v15, v16, v11
	v_fmac_f32_e32 v12, 0x3f317217, v10
	v_fma_f32 v9, -v9, v15, v14
	v_cndmask_b32_e64 v10, v10, v12, s5
	v_cndmask_b32_e64 v12, 0, 0x41b17218, vcc_lo
	s_mov_b32 vcc_lo, s4
	v_div_fmas_f32 v9, v9, v11, v15
	v_sub_f32_e32 v10, v10, v12
	v_div_fixup_f32 v3, v9, v3, -0.5
	v_add_f32_e32 v3, v10, v3
	v_sub_f32_e32 v3, v3, v8
	v_add_f32_e32 v8, v2, v3
                                        ; implicit-def: $vgpr2
.LBB11_66:
	s_andn2_saveexec_b32 s4, s10
; %bb.67:
	v_add_f32_e32 v8, 0x40101cb7, v2
; %bb.68:
	s_or_b32 exec_lo, exec_lo, s4
.LBB11_69:
	s_or_b32 exec_lo, exec_lo, s9
.LBB11_70:
	s_andn2_saveexec_b32 s4, s8
; %bb.71:
	v_xor_b32_e32 v2, 0x80000000, v4
	s_mov_b32 s5, 0x7f800000
	v_bfi_b32 v8, 0x7fffffff, s5, v2
; %bb.72:
	s_or_b32 exec_lo, exec_lo, s4
	s_mov_b32 s4, exec_lo
	v_cmpx_neq_f32_e32 0, v5
	s_xor_b32 s8, exec_lo, s4
	s_cbranch_execz .LBB11_94
; %bb.73:
	v_mov_b32_e32 v2, 0
	s_mov_b32 s4, -1
	s_mov_b32 s9, exec_lo
	v_cmpx_gt_f32_e32 0, v5
	s_cbranch_execz .LBB11_81
; %bb.74:
	v_trunc_f32_e32 v2, v5
	s_mov_b32 s5, 0
	v_cmp_neq_f32_e32 vcc_lo, v5, v2
	v_mov_b32_e32 v2, 0
	s_and_saveexec_b32 s10, vcc_lo
	s_cbranch_execz .LBB11_80
; %bb.75:
	v_cvt_f64_f32_e32 v[2:3], v5
	s_mov_b32 s5, 0xc00921fb
	s_mov_b32 s4, 0x54442d18
	s_mov_b32 s11, exec_lo
                                        ; implicit-def: $vgpr4
                                        ; implicit-def: $vgpr11_vgpr12
	v_trunc_f64_e32 v[9:10], v[2:3]
	v_cmp_neq_f64_e64 vcc_lo, 0x7ff00000, |v[2:3]|
	v_add_f64 v[9:10], v[2:3], -v[9:10]
	v_mul_f64 v[9:10], |v[9:10]|, s[4:5]
	v_cndmask_b32_e32 v3, 0x80000000, v10, vcc_lo
	v_cndmask_b32_e32 v2, 0, v9, vcc_lo
                                        ; implicit-def: $vgpr9_vgpr10
	v_cmpx_ngt_f64_e64 0x41d00000, |v[2:3]|
	s_xor_b32 s11, exec_lo, s11
	s_cbranch_execz .LBB11_77
; %bb.76:
	v_ldexp_f64 v[9:10], |v[2:3]|, 0xffffff80
	v_cmp_le_f64_e64 vcc_lo, 0x7b000000, |v[2:3]|
	v_trig_preop_f64 v[11:12], |v[2:3]|, 0
	v_and_b32_e32 v4, 0x7fffffff, v3
	v_trig_preop_f64 v[14:15], |v[2:3]|, 1
	v_trig_preop_f64 v[24:25], |v[2:3]|, 2
	v_mov_b32_e32 v32, 0
	s_mov_b32 s5, 0x3ff921fb
	s_mov_b32 s12, 0x33145c07
	s_mov_b32 s13, 0x3c91a626
	v_cndmask_b32_e32 v10, v4, v10, vcc_lo
	v_cndmask_b32_e32 v9, v2, v9, vcc_lo
	v_mul_f64 v[16:17], v[11:12], v[9:10]
	v_mul_f64 v[18:19], v[14:15], v[9:10]
	;; [unrolled: 1-line block ×3, first 2 shown]
	v_fma_f64 v[11:12], v[11:12], v[9:10], -v[16:17]
	v_fma_f64 v[14:15], v[14:15], v[9:10], -v[18:19]
	;; [unrolled: 1-line block ×3, first 2 shown]
	v_add_f64 v[20:21], v[18:19], v[11:12]
	v_add_f64 v[22:23], v[20:21], -v[18:19]
	v_add_f64 v[28:29], v[16:17], v[20:21]
	v_add_f64 v[26:27], v[20:21], -v[22:23]
	v_add_f64 v[11:12], v[11:12], -v[22:23]
	v_ldexp_f64 v[22:23], v[28:29], -2
	v_add_f64 v[16:17], v[28:29], -v[16:17]
	v_add_f64 v[18:19], v[18:19], -v[26:27]
	v_add_f64 v[26:27], v[30:31], v[14:15]
	v_cmp_neq_f64_e64 vcc_lo, 0x7ff00000, |v[22:23]|
	v_add_f64 v[16:17], v[20:21], -v[16:17]
	v_add_f64 v[11:12], v[11:12], v[18:19]
	v_fract_f64_e32 v[18:19], v[22:23]
	v_add_f64 v[20:21], v[26:27], v[11:12]
	v_ldexp_f64 v[18:19], v[18:19], 2
	v_add_f64 v[22:23], v[16:17], v[20:21]
	v_cndmask_b32_e32 v19, 0, v19, vcc_lo
	v_cndmask_b32_e32 v18, 0, v18, vcc_lo
	v_add_f64 v[28:29], v[22:23], v[18:19]
	v_add_f64 v[16:17], v[22:23], -v[16:17]
	v_cmp_gt_f64_e32 vcc_lo, 0, v[28:29]
	v_add_f64 v[28:29], v[26:27], -v[30:31]
	v_add_f64 v[16:17], v[20:21], -v[16:17]
	v_cndmask_b32_e64 v33, 0, 0x40100000, vcc_lo
	v_add_f64 v[37:38], v[26:27], -v[28:29]
	v_add_f64 v[14:15], v[14:15], -v[28:29]
	v_add_f64 v[18:19], v[18:19], v[32:33]
	v_add_f64 v[33:34], v[20:21], -v[26:27]
	v_add_f64 v[28:29], v[30:31], -v[37:38]
	v_add_f64 v[35:36], v[22:23], v[18:19]
	;; [unrolled: 3-line block ×3, first 2 shown]
	v_cvt_i32_f64_e32 v4, v[35:36]
	v_add_f64 v[26:27], v[26:27], -v[48:49]
	v_cvt_f64_i32_e32 v[33:34], v4
	v_add_f64 v[11:12], v[11:12], v[26:27]
	v_add_f64 v[18:19], v[18:19], -v[33:34]
	v_add_f64 v[11:12], v[14:15], v[11:12]
	v_add_f64 v[14:15], v[22:23], v[18:19]
	;; [unrolled: 1-line block ×3, first 2 shown]
	v_add_f64 v[11:12], v[14:15], -v[18:19]
	v_cmp_le_f64_e32 vcc_lo, 0.5, v[14:15]
	v_add_f64 v[9:10], v[16:17], v[9:10]
	v_add_f64 v[11:12], v[22:23], -v[11:12]
	v_cndmask_b32_e64 v33, 0, 0x3ff00000, vcc_lo
	v_add_co_ci_u32_e64 v4, null, 0, v4, vcc_lo
	v_add_f64 v[9:10], v[9:10], v[11:12]
	v_add_f64 v[11:12], v[14:15], -v[32:33]
	v_add_f64 v[14:15], v[11:12], v[9:10]
	v_mul_f64 v[16:17], v[14:15], s[4:5]
	v_add_f64 v[11:12], v[14:15], -v[11:12]
	v_fma_f64 v[18:19], v[14:15], s[4:5], -v[16:17]
	v_add_f64 v[9:10], v[9:10], -v[11:12]
	v_fma_f64 v[11:12], v[14:15], s[12:13], v[18:19]
	v_fma_f64 v[11:12], v[9:10], s[4:5], v[11:12]
	v_add_f64 v[9:10], v[16:17], v[11:12]
	v_add_f64 v[14:15], v[9:10], -v[16:17]
	v_add_f64 v[11:12], v[11:12], -v[14:15]
.LBB11_77:
	s_andn2_saveexec_b32 s4, s11
	s_cbranch_execz .LBB11_79
; %bb.78:
	s_mov_b32 s12, 0x6dc9c883
	s_mov_b32 s13, 0x3fe45f30
	;; [unrolled: 1-line block ×3, first 2 shown]
	v_mul_f64 v[9:10], |v[2:3]|, s[12:13]
	s_mov_b32 s12, 0x54442d18
	s_mov_b32 s13, 0xbff921fb
	;; [unrolled: 1-line block ×3, first 2 shown]
	v_rndne_f64_e32 v[14:15], v[9:10]
	v_fma_f64 v[9:10], v[14:15], s[12:13], |v[2:3]|
	v_mul_f64 v[11:12], v[14:15], s[14:15]
	s_mov_b32 s12, 0x252049c0
	s_mov_b32 s13, 0xb97b839a
	v_cvt_i32_f64_e32 v4, v[14:15]
	v_fma_f64 v[18:19], v[14:15], s[14:15], v[9:10]
	v_add_f64 v[16:17], v[9:10], v[11:12]
	s_mov_b32 s15, 0x3c91a626
	v_add_f64 v[9:10], v[9:10], -v[16:17]
	v_add_f64 v[16:17], v[16:17], -v[18:19]
	v_add_f64 v[9:10], v[9:10], v[11:12]
	v_fma_f64 v[11:12], v[14:15], s[14:15], v[11:12]
	v_add_f64 v[9:10], v[16:17], v[9:10]
	v_add_f64 v[9:10], v[9:10], -v[11:12]
	v_fma_f64 v[11:12], v[14:15], s[12:13], v[9:10]
	v_add_f64 v[9:10], v[18:19], v[11:12]
	v_add_f64 v[16:17], v[9:10], -v[18:19]
	v_add_f64 v[11:12], v[11:12], -v[16:17]
.LBB11_79:
	s_or_b32 exec_lo, exec_lo, s4
	v_mul_f64 v[14:15], v[9:10], v[9:10]
	v_add_f64 v[16:17], v[11:12], v[11:12]
	s_mov_b32 s12, 0xa9a29f71
	s_mov_b32 s14, 0xc751c08c
	;; [unrolled: 1-line block ×4, first 2 shown]
	v_cmp_class_f64_e64 s4, v[2:3], 0x1f8
	v_and_b32_e32 v4, 1, v4
	v_and_b32_e32 v3, 0x80000000, v3
	v_sub_f32_e32 v5, 1.0, v5
	s_mov_b32 s5, exec_lo
	v_cmp_eq_u32_e32 vcc_lo, 0, v4
	v_fma_f64 v[18:19], v[9:10], v[9:10], -v[14:15]
	v_fma_f64 v[16:17], v[9:10], v[16:17], v[18:19]
	v_add_f64 v[14:15], v[14:15], v[16:17]
	v_fma_f64 v[16:17], v[14:15], s[14:15], s[12:13]
	s_mov_b32 s12, 0x90a8aae0
	s_mov_b32 s13, 0x3f17746f
	v_fma_f64 v[16:17], v[14:15], v[16:17], s[12:13]
	s_mov_b32 s12, 0xa6fbf144
	s_mov_b32 s13, 0xbefbb44d
	v_fma_f64 v[16:17], v[14:15], v[16:17], s[12:13]
	s_mov_b32 s12, 0xa7943acf
	s_mov_b32 s13, 0x3f21e634
	v_fma_f64 v[16:17], v[14:15], v[16:17], s[12:13]
	s_mov_b32 s12, 0xdeb68feb
	s_mov_b32 s13, 0x3f2d250f
	v_fma_f64 v[16:17], v[14:15], v[16:17], s[12:13]
	s_mov_b32 s12, 0xb58c4d95
	s_mov_b32 s13, 0x3f437fd9
	v_fma_f64 v[16:17], v[14:15], v[16:17], s[12:13]
	s_mov_b32 s12, 0x15120e2c
	s_mov_b32 s13, 0x3f57d5af
	v_fma_f64 v[16:17], v[14:15], v[16:17], s[12:13]
	s_mov_b32 s12, 0xe09491df
	s_mov_b32 s13, 0x3f6d6d93
	v_fma_f64 v[16:17], v[14:15], v[16:17], s[12:13]
	s_mov_b32 s12, 0x2033784d
	s_mov_b32 s13, 0x3f8226e1
	v_fma_f64 v[16:17], v[14:15], v[16:17], s[12:13]
	s_mov_b32 s12, 0x9ac36ae2
	s_mov_b32 s13, 0x3f9664f4
	v_fma_f64 v[16:17], v[14:15], v[16:17], s[12:13]
	s_mov_b32 s12, 0x1b451c21
	s_mov_b32 s13, 0x3faba1ba
	v_fma_f64 v[16:17], v[14:15], v[16:17], s[12:13]
	s_mov_b32 s12, 0x111185b7
	s_mov_b32 s13, 0x3fc11111
	v_fma_f64 v[16:17], v[14:15], v[16:17], s[12:13]
	s_mov_b32 s12, 0x555554ee
	s_mov_b32 s13, 0x3fd55555
	v_fma_f64 v[16:17], v[14:15], v[16:17], s[12:13]
	s_mov_b32 s12, 0x54442d18
	s_mov_b32 s13, 0xc00921fb
	v_mul_f64 v[14:15], v[14:15], v[16:17]
	v_mul_f64 v[16:17], v[9:10], v[14:15]
	v_add_f64 v[18:19], v[9:10], v[16:17]
	v_fma_f64 v[14:15], v[9:10], v[14:15], -v[16:17]
	v_add_f64 v[9:10], v[18:19], -v[9:10]
	v_add_f64 v[11:12], v[11:12], v[14:15]
	v_add_f64 v[9:10], v[16:17], -v[9:10]
	v_add_f64 v[9:10], v[11:12], v[9:10]
	v_add_f64 v[11:12], v[18:19], v[9:10]
	v_rcp_f64_e32 v[14:15], v[11:12]
	v_fma_f64 v[16:17], -v[11:12], v[14:15], 1.0
	v_fma_f64 v[14:15], v[16:17], v[14:15], v[14:15]
	v_fma_f64 v[16:17], -v[11:12], v[14:15], 1.0
	v_fma_f64 v[14:15], v[16:17], v[14:15], v[14:15]
	v_add_f64 v[16:17], v[11:12], -v[18:19]
	v_mul_f64 v[18:19], v[11:12], v[14:15]
	v_add_f64 v[9:10], v[9:10], -v[16:17]
	v_fma_f64 v[16:17], v[14:15], v[11:12], -v[18:19]
	v_fma_f64 v[9:10], v[14:15], v[9:10], v[16:17]
	v_add_f64 v[16:17], v[18:19], v[9:10]
	v_add_f64 v[20:21], -v[16:17], 1.0
	v_add_f64 v[18:19], v[16:17], -v[18:19]
	v_add_f64 v[22:23], -v[20:21], 1.0
	v_add_f64 v[9:10], v[18:19], -v[9:10]
	v_add_f64 v[16:17], v[22:23], -v[16:17]
	v_add_f64 v[9:10], v[9:10], v[16:17]
	v_add_f64 v[9:10], v[20:21], v[9:10]
	v_mul_f64 v[9:10], v[14:15], v[9:10]
	v_add_f64 v[9:10], v[14:15], v[9:10]
	v_xor_b32_e32 v2, 0x80000000, v10
	v_cndmask_b32_e32 v4, v9, v11, vcc_lo
	v_cndmask_b32_e32 v2, v2, v12, vcc_lo
	v_xor_b32_e32 v3, v2, v3
	v_cndmask_b32_e64 v2, 0, v4, s4
	v_cndmask_b32_e64 v3, 0x7ff80000, v3, s4
	v_div_scale_f64 v[9:10], null, v[2:3], v[2:3], s[12:13]
	v_rcp_f64_e32 v[11:12], v[9:10]
	v_fma_f64 v[14:15], -v[9:10], v[11:12], 1.0
	v_fma_f64 v[11:12], v[11:12], v[14:15], v[11:12]
	v_fma_f64 v[14:15], -v[9:10], v[11:12], 1.0
	v_fma_f64 v[11:12], v[11:12], v[14:15], v[11:12]
	v_div_scale_f64 v[14:15], vcc_lo, s[12:13], v[2:3], s[12:13]
	v_mul_f64 v[16:17], v[14:15], v[11:12]
	v_fma_f64 v[9:10], -v[9:10], v[16:17], v[14:15]
	v_div_fmas_f64 v[9:10], v[9:10], v[11:12], v[16:17]
	v_div_fixup_f64 v[2:3], v[9:10], v[2:3], s[12:13]
	v_cvt_f32_f64_e32 v2, v[2:3]
.LBB11_80:
	s_or_b32 exec_lo, exec_lo, s10
	s_orn2_b32 s4, s5, exec_lo
.LBB11_81:
	s_or_b32 exec_lo, exec_lo, s9
	v_mov_b32_e32 v9, 0x7fc00000
	s_and_saveexec_b32 s9, s4
	s_cbranch_execz .LBB11_93
; %bb.82:
	s_mov_b32 s4, exec_lo
	v_cmpx_gt_f32_e32 0x41200000, v5
	s_cbranch_execz .LBB11_86
; %bb.83:
	s_mov_b32 s5, 0
	.p2align	6
.LBB11_84:                              ; =>This Inner Loop Header: Depth=1
	v_div_scale_f32 v3, null, v5, v5, 1.0
	v_div_scale_f32 v10, vcc_lo, 1.0, v5, 1.0
	v_rcp_f32_e32 v4, v3
	v_fma_f32 v9, -v3, v4, 1.0
	v_fmac_f32_e32 v4, v9, v4
	v_mul_f32_e32 v9, v10, v4
	v_fma_f32 v11, -v3, v9, v10
	v_fmac_f32_e32 v9, v11, v4
	v_fma_f32 v3, -v3, v9, v10
	v_div_fmas_f32 v3, v3, v4, v9
	v_div_fixup_f32 v3, v3, v5, 1.0
	v_add_f32_e32 v5, 1.0, v5
	v_sub_f32_e32 v2, v2, v3
	v_cmp_ngt_f32_e32 vcc_lo, 0x41200000, v5
	s_or_b32 s5, vcc_lo, s5
	s_andn2_b32 exec_lo, exec_lo, s5
	s_cbranch_execnz .LBB11_84
; %bb.85:
	s_or_b32 exec_lo, exec_lo, s5
.LBB11_86:
	s_or_b32 exec_lo, exec_lo, s4
	s_mov_b32 s4, exec_lo
	v_cmpx_neq_f32_e32 0x41200000, v5
	s_xor_b32 s10, exec_lo, s4
	s_cbranch_execz .LBB11_90
; %bb.87:
	v_cvt_f64_f32_e32 v[3:4], v5
	s_mov_b32 s4, 0x85d8a000
	s_mov_b32 s5, 0x43763457
	v_cmp_gt_f64_e32 vcc_lo, s[4:5], v[3:4]
	v_mov_b32_e32 v3, 0
	s_and_saveexec_b32 s4, vcc_lo
	s_cbranch_execz .LBB11_89
; %bb.88:
	v_mul_f32_e32 v3, v5, v5
	v_div_scale_f32 v4, null, v3, v3, 1.0
	v_rcp_f32_e32 v9, v4
	v_fma_f32 v10, -v4, v9, 1.0
	v_fmac_f32_e32 v9, v10, v9
	v_div_scale_f32 v10, vcc_lo, 1.0, v3, 1.0
	v_mul_f32_e32 v11, v10, v9
	v_fma_f32 v12, -v4, v11, v10
	v_fmac_f32_e32 v11, v12, v9
	v_fma_f32 v4, -v4, v11, v10
	v_div_fmas_f32 v4, v4, v9, v11
	v_div_fixup_f32 v3, v4, v3, 1.0
	v_fmaak_f32 v4, 0, v3, 0x3daaaaab
	v_fmaak_f32 v4, v3, v4, 0xbcaccacd
	;; [unrolled: 1-line block ×7, first 2 shown]
	v_mul_f32_e32 v3, v3, v4
.LBB11_89:
	s_or_b32 exec_lo, exec_lo, s4
	v_cmp_gt_f32_e32 vcc_lo, 0x800000, v5
	v_div_scale_f32 v4, null, v5, v5, -0.5
	v_div_scale_f32 v12, s4, -0.5, v5, -0.5
	v_cndmask_b32_e64 v9, 0, 32, vcc_lo
	v_rcp_f32_e32 v10, v4
	v_ldexp_f32 v9, v5, v9
	v_log_f32_e32 v9, v9
	v_fma_f32 v11, -v4, v10, 1.0
	v_fmac_f32_e32 v10, v11, v10
	v_mul_f32_e32 v11, 0x3f317217, v9
	v_mul_f32_e32 v14, v12, v10
	v_cmp_gt_f32_e64 s5, 0x7f800000, |v9|
	v_fma_f32 v11, 0x3f317217, v9, -v11
	v_fma_f32 v15, -v4, v14, v12
	v_fmamk_f32 v11, v9, 0x3377d1cf, v11
	v_fmac_f32_e32 v14, v15, v10
	v_fmac_f32_e32 v11, 0x3f317217, v9
	v_fma_f32 v4, -v4, v14, v12
	v_cndmask_b32_e64 v9, v9, v11, s5
	v_cndmask_b32_e64 v11, 0, 0x41b17218, vcc_lo
	s_mov_b32 vcc_lo, s4
	v_div_fmas_f32 v4, v4, v10, v14
	v_sub_f32_e32 v9, v9, v11
	v_div_fixup_f32 v4, v4, v5, -0.5
	v_add_f32_e32 v4, v9, v4
	v_sub_f32_e32 v3, v4, v3
	v_add_f32_e32 v9, v2, v3
                                        ; implicit-def: $vgpr2
.LBB11_90:
	s_andn2_saveexec_b32 s4, s10
; %bb.91:
	v_add_f32_e32 v9, 0x40101cb7, v2
; %bb.92:
	s_or_b32 exec_lo, exec_lo, s4
.LBB11_93:
	s_or_b32 exec_lo, exec_lo, s9
                                        ; implicit-def: $vgpr2_vgpr3_vgpr4_vgpr5
.LBB11_94:
	s_andn2_saveexec_b32 s4, s8
; %bb.95:
	v_xor_b32_e32 v2, 0x80000000, v5
	s_mov_b32 s5, 0x7f800000
	v_bfi_b32 v9, 0x7fffffff, s5, v2
; %bb.96:
	s_or_b32 exec_lo, exec_lo, s4
	v_add_co_u32 v0, vcc_lo, v0, s6
	v_add_co_ci_u32_e64 v1, null, s7, v1, vcc_lo
	v_add_co_u32 v0, vcc_lo, v0, v13
	v_add_co_ci_u32_e64 v1, null, 0, v1, vcc_lo
	flat_store_dwordx4 v[0:1], v[6:9]
	s_waitcnt lgkmcnt(0)
	s_setpc_b64 s[30:31]
.Lfunc_end11:
	.size	_ZN2at6native25elementwise_kernel_helperILb0EZZZNS0_19digamma_kernel_cudaERNS_18TensorIteratorBaseEENKUlvE_clEvENKUlvE0_clEvEUlfE_NS0_6memory8policies10vectorizedILi4ESt5arrayIPcLm2EELi4EEEEEvT0_T1_, .Lfunc_end11-_ZN2at6native25elementwise_kernel_helperILb0EZZZNS0_19digamma_kernel_cudaERNS_18TensorIteratorBaseEENKUlvE_clEvENKUlvE0_clEvEUlfE_NS0_6memory8policies10vectorizedILi4ESt5arrayIPcLm2EELi4EEEEEvT0_T1_
                                        ; -- End function
	.set .L_ZN2at6native25elementwise_kernel_helperILb0EZZZNS0_19digamma_kernel_cudaERNS_18TensorIteratorBaseEENKUlvE_clEvENKUlvE0_clEvEUlfE_NS0_6memory8policies10vectorizedILi4ESt5arrayIPcLm2EELi4EEEEEvT0_T1_.num_vgpr, 50
	.set .L_ZN2at6native25elementwise_kernel_helperILb0EZZZNS0_19digamma_kernel_cudaERNS_18TensorIteratorBaseEENKUlvE_clEvENKUlvE0_clEvEUlfE_NS0_6memory8policies10vectorizedILi4ESt5arrayIPcLm2EELi4EEEEEvT0_T1_.num_agpr, 0
	.set .L_ZN2at6native25elementwise_kernel_helperILb0EZZZNS0_19digamma_kernel_cudaERNS_18TensorIteratorBaseEENKUlvE_clEvENKUlvE0_clEvEUlfE_NS0_6memory8policies10vectorizedILi4ESt5arrayIPcLm2EELi4EEEEEvT0_T1_.numbered_sgpr, 32
	.set .L_ZN2at6native25elementwise_kernel_helperILb0EZZZNS0_19digamma_kernel_cudaERNS_18TensorIteratorBaseEENKUlvE_clEvENKUlvE0_clEvEUlfE_NS0_6memory8policies10vectorizedILi4ESt5arrayIPcLm2EELi4EEEEEvT0_T1_.num_named_barrier, 0
	.set .L_ZN2at6native25elementwise_kernel_helperILb0EZZZNS0_19digamma_kernel_cudaERNS_18TensorIteratorBaseEENKUlvE_clEvENKUlvE0_clEvEUlfE_NS0_6memory8policies10vectorizedILi4ESt5arrayIPcLm2EELi4EEEEEvT0_T1_.private_seg_size, 0
	.set .L_ZN2at6native25elementwise_kernel_helperILb0EZZZNS0_19digamma_kernel_cudaERNS_18TensorIteratorBaseEENKUlvE_clEvENKUlvE0_clEvEUlfE_NS0_6memory8policies10vectorizedILi4ESt5arrayIPcLm2EELi4EEEEEvT0_T1_.uses_vcc, 1
	.set .L_ZN2at6native25elementwise_kernel_helperILb0EZZZNS0_19digamma_kernel_cudaERNS_18TensorIteratorBaseEENKUlvE_clEvENKUlvE0_clEvEUlfE_NS0_6memory8policies10vectorizedILi4ESt5arrayIPcLm2EELi4EEEEEvT0_T1_.uses_flat_scratch, 0
	.set .L_ZN2at6native25elementwise_kernel_helperILb0EZZZNS0_19digamma_kernel_cudaERNS_18TensorIteratorBaseEENKUlvE_clEvENKUlvE0_clEvEUlfE_NS0_6memory8policies10vectorizedILi4ESt5arrayIPcLm2EELi4EEEEEvT0_T1_.has_dyn_sized_stack, 0
	.set .L_ZN2at6native25elementwise_kernel_helperILb0EZZZNS0_19digamma_kernel_cudaERNS_18TensorIteratorBaseEENKUlvE_clEvENKUlvE0_clEvEUlfE_NS0_6memory8policies10vectorizedILi4ESt5arrayIPcLm2EELi4EEEEEvT0_T1_.has_recursion, 0
	.set .L_ZN2at6native25elementwise_kernel_helperILb0EZZZNS0_19digamma_kernel_cudaERNS_18TensorIteratorBaseEENKUlvE_clEvENKUlvE0_clEvEUlfE_NS0_6memory8policies10vectorizedILi4ESt5arrayIPcLm2EELi4EEEEEvT0_T1_.has_indirect_call, 0
	.section	.AMDGPU.csdata,"",@progbits
; Function info:
; codeLenInByte = 9556
; TotalNumSgprs: 34
; NumVgprs: 50
; ScratchSize: 0
; MemoryBound: 0
	.section	.text._ZN2at6native29vectorized_elementwise_kernelILi16EZZZNS0_19digamma_kernel_cudaERNS_18TensorIteratorBaseEENKUlvE_clEvENKUlvE0_clEvEUlfE_St5arrayIPcLm2EEEEviT0_T1_,"axG",@progbits,_ZN2at6native29vectorized_elementwise_kernelILi16EZZZNS0_19digamma_kernel_cudaERNS_18TensorIteratorBaseEENKUlvE_clEvENKUlvE0_clEvEUlfE_St5arrayIPcLm2EEEEviT0_T1_,comdat
	.globl	_ZN2at6native29vectorized_elementwise_kernelILi16EZZZNS0_19digamma_kernel_cudaERNS_18TensorIteratorBaseEENKUlvE_clEvENKUlvE0_clEvEUlfE_St5arrayIPcLm2EEEEviT0_T1_ ; -- Begin function _ZN2at6native29vectorized_elementwise_kernelILi16EZZZNS0_19digamma_kernel_cudaERNS_18TensorIteratorBaseEENKUlvE_clEvENKUlvE0_clEvEUlfE_St5arrayIPcLm2EEEEviT0_T1_
	.p2align	8
	.type	_ZN2at6native29vectorized_elementwise_kernelILi16EZZZNS0_19digamma_kernel_cudaERNS_18TensorIteratorBaseEENKUlvE_clEvENKUlvE0_clEvEUlfE_St5arrayIPcLm2EEEEviT0_T1_,@function
_ZN2at6native29vectorized_elementwise_kernelILi16EZZZNS0_19digamma_kernel_cudaERNS_18TensorIteratorBaseEENKUlvE_clEvENKUlvE0_clEvEUlfE_St5arrayIPcLm2EEEEviT0_T1_: ; @_ZN2at6native29vectorized_elementwise_kernelILi16EZZZNS0_19digamma_kernel_cudaERNS_18TensorIteratorBaseEENKUlvE_clEvENKUlvE0_clEvEUlfE_St5arrayIPcLm2EEEEviT0_T1_
; %bb.0:
	s_mov_b32 s16, s6
	s_clause 0x1
	s_load_dword s6, s[4:5], 0x0
	s_load_dwordx4 s[20:23], s[4:5], 0x8
	s_add_u32 s0, s0, s7
	s_addc_u32 s1, s1, 0
	s_lshl_b32 s4, s16, 10
	v_mov_b32_e32 v39, v0
	s_mov_b32 s32, 0
	s_waitcnt lgkmcnt(0)
	s_sub_i32 s17, s6, s4
	s_mov_b32 s4, -1
	s_cmpk_gt_i32 s17, 0x3ff
	s_cbranch_scc1 .LBB12_3
; %bb.1:
	s_andn2_b32 vcc_lo, exec_lo, s4
	s_cbranch_vccz .LBB12_4
.LBB12_2:
	s_endpgm
.LBB12_3:
	v_mov_b32_e32 v31, v39
	v_mov_b32_e32 v0, s20
	;; [unrolled: 1-line block ×5, first 2 shown]
	s_getpc_b64 s[4:5]
	s_add_u32 s4, s4, _ZN2at6native25elementwise_kernel_helperILb0EZZZNS0_19digamma_kernel_cudaERNS_18TensorIteratorBaseEENKUlvE_clEvENKUlvE0_clEvEUlfE_NS0_6memory8policies10vectorizedILi4ESt5arrayIPcLm2EELi4EEEEEvT0_T1_@rel32@lo+4
	s_addc_u32 s5, s5, _ZN2at6native25elementwise_kernel_helperILb0EZZZNS0_19digamma_kernel_cudaERNS_18TensorIteratorBaseEENKUlvE_clEvENKUlvE0_clEvEUlfE_NS0_6memory8policies10vectorizedILi4ESt5arrayIPcLm2EELi4EEEEEvT0_T1_@rel32@hi+12
	s_mov_b32 s12, s16
	s_swappc_b64 s[30:31], s[4:5]
	s_cbranch_execnz .LBB12_2
.LBB12_4:
	v_mov_b32_e32 v31, v39
	v_mov_b32_e32 v0, s20
	;; [unrolled: 1-line block ×6, first 2 shown]
	s_getpc_b64 s[4:5]
	s_add_u32 s4, s4, _ZN2at6native25elementwise_kernel_helperILb0EZZZNS0_19digamma_kernel_cudaERNS_18TensorIteratorBaseEENKUlvE_clEvENKUlvE0_clEvEUlfE_NS0_6memory8policies11unroll_baseILi256ESt5arrayIPcLm2EE23TrivialOffsetCalculatorILi1EjESE_NS7_15LoadWithoutCastENS7_16StoreWithoutCastELi4ELi1EEEEEvT0_T1_@rel32@lo+4
	s_addc_u32 s5, s5, _ZN2at6native25elementwise_kernel_helperILb0EZZZNS0_19digamma_kernel_cudaERNS_18TensorIteratorBaseEENKUlvE_clEvENKUlvE0_clEvEUlfE_NS0_6memory8policies11unroll_baseILi256ESt5arrayIPcLm2EE23TrivialOffsetCalculatorILi1EjESE_NS7_15LoadWithoutCastENS7_16StoreWithoutCastELi4ELi1EEEEEvT0_T1_@rel32@hi+12
	s_mov_b32 s12, s16
	s_swappc_b64 s[30:31], s[4:5]
	s_endpgm
	.section	.rodata,"a",@progbits
	.p2align	6, 0x0
	.amdhsa_kernel _ZN2at6native29vectorized_elementwise_kernelILi16EZZZNS0_19digamma_kernel_cudaERNS_18TensorIteratorBaseEENKUlvE_clEvENKUlvE0_clEvEUlfE_St5arrayIPcLm2EEEEviT0_T1_
		.amdhsa_group_segment_fixed_size 0
		.amdhsa_private_segment_fixed_size 0
		.amdhsa_kernarg_size 24
		.amdhsa_user_sgpr_count 6
		.amdhsa_user_sgpr_private_segment_buffer 1
		.amdhsa_user_sgpr_dispatch_ptr 0
		.amdhsa_user_sgpr_queue_ptr 0
		.amdhsa_user_sgpr_kernarg_segment_ptr 1
		.amdhsa_user_sgpr_dispatch_id 0
		.amdhsa_user_sgpr_flat_scratch_init 0
		.amdhsa_user_sgpr_private_segment_size 0
		.amdhsa_wavefront_size32 1
		.amdhsa_uses_dynamic_stack 0
		.amdhsa_system_sgpr_private_segment_wavefront_offset 0
		.amdhsa_system_sgpr_workgroup_id_x 1
		.amdhsa_system_sgpr_workgroup_id_y 0
		.amdhsa_system_sgpr_workgroup_id_z 0
		.amdhsa_system_sgpr_workgroup_info 0
		.amdhsa_system_vgpr_workitem_id 0
		.amdhsa_next_free_vgpr 54
		.amdhsa_next_free_sgpr 33
		.amdhsa_reserve_vcc 1
		.amdhsa_reserve_flat_scratch 0
		.amdhsa_float_round_mode_32 0
		.amdhsa_float_round_mode_16_64 0
		.amdhsa_float_denorm_mode_32 3
		.amdhsa_float_denorm_mode_16_64 3
		.amdhsa_dx10_clamp 1
		.amdhsa_ieee_mode 1
		.amdhsa_fp16_overflow 0
		.amdhsa_workgroup_processor_mode 1
		.amdhsa_memory_ordered 1
		.amdhsa_forward_progress 1
		.amdhsa_shared_vgpr_count 0
		.amdhsa_exception_fp_ieee_invalid_op 0
		.amdhsa_exception_fp_denorm_src 0
		.amdhsa_exception_fp_ieee_div_zero 0
		.amdhsa_exception_fp_ieee_overflow 0
		.amdhsa_exception_fp_ieee_underflow 0
		.amdhsa_exception_fp_ieee_inexact 0
		.amdhsa_exception_int_div_zero 0
	.end_amdhsa_kernel
	.section	.text._ZN2at6native29vectorized_elementwise_kernelILi16EZZZNS0_19digamma_kernel_cudaERNS_18TensorIteratorBaseEENKUlvE_clEvENKUlvE0_clEvEUlfE_St5arrayIPcLm2EEEEviT0_T1_,"axG",@progbits,_ZN2at6native29vectorized_elementwise_kernelILi16EZZZNS0_19digamma_kernel_cudaERNS_18TensorIteratorBaseEENKUlvE_clEvENKUlvE0_clEvEUlfE_St5arrayIPcLm2EEEEviT0_T1_,comdat
.Lfunc_end12:
	.size	_ZN2at6native29vectorized_elementwise_kernelILi16EZZZNS0_19digamma_kernel_cudaERNS_18TensorIteratorBaseEENKUlvE_clEvENKUlvE0_clEvEUlfE_St5arrayIPcLm2EEEEviT0_T1_, .Lfunc_end12-_ZN2at6native29vectorized_elementwise_kernelILi16EZZZNS0_19digamma_kernel_cudaERNS_18TensorIteratorBaseEENKUlvE_clEvENKUlvE0_clEvEUlfE_St5arrayIPcLm2EEEEviT0_T1_
                                        ; -- End function
	.set _ZN2at6native29vectorized_elementwise_kernelILi16EZZZNS0_19digamma_kernel_cudaERNS_18TensorIteratorBaseEENKUlvE_clEvENKUlvE0_clEvEUlfE_St5arrayIPcLm2EEEEviT0_T1_.num_vgpr, max(40, .L_ZN2at6native25elementwise_kernel_helperILb0EZZZNS0_19digamma_kernel_cudaERNS_18TensorIteratorBaseEENKUlvE_clEvENKUlvE0_clEvEUlfE_NS0_6memory8policies10vectorizedILi4ESt5arrayIPcLm2EELi4EEEEEvT0_T1_.num_vgpr, .L_ZN2at6native25elementwise_kernel_helperILb0EZZZNS0_19digamma_kernel_cudaERNS_18TensorIteratorBaseEENKUlvE_clEvENKUlvE0_clEvEUlfE_NS0_6memory8policies11unroll_baseILi256ESt5arrayIPcLm2EE23TrivialOffsetCalculatorILi1EjESE_NS7_15LoadWithoutCastENS7_16StoreWithoutCastELi4ELi1EEEEEvT0_T1_.num_vgpr)
	.set _ZN2at6native29vectorized_elementwise_kernelILi16EZZZNS0_19digamma_kernel_cudaERNS_18TensorIteratorBaseEENKUlvE_clEvENKUlvE0_clEvEUlfE_St5arrayIPcLm2EEEEviT0_T1_.num_agpr, max(0, .L_ZN2at6native25elementwise_kernel_helperILb0EZZZNS0_19digamma_kernel_cudaERNS_18TensorIteratorBaseEENKUlvE_clEvENKUlvE0_clEvEUlfE_NS0_6memory8policies10vectorizedILi4ESt5arrayIPcLm2EELi4EEEEEvT0_T1_.num_agpr, .L_ZN2at6native25elementwise_kernel_helperILb0EZZZNS0_19digamma_kernel_cudaERNS_18TensorIteratorBaseEENKUlvE_clEvENKUlvE0_clEvEUlfE_NS0_6memory8policies11unroll_baseILi256ESt5arrayIPcLm2EE23TrivialOffsetCalculatorILi1EjESE_NS7_15LoadWithoutCastENS7_16StoreWithoutCastELi4ELi1EEEEEvT0_T1_.num_agpr)
	.set _ZN2at6native29vectorized_elementwise_kernelILi16EZZZNS0_19digamma_kernel_cudaERNS_18TensorIteratorBaseEENKUlvE_clEvENKUlvE0_clEvEUlfE_St5arrayIPcLm2EEEEviT0_T1_.numbered_sgpr, max(33, .L_ZN2at6native25elementwise_kernel_helperILb0EZZZNS0_19digamma_kernel_cudaERNS_18TensorIteratorBaseEENKUlvE_clEvENKUlvE0_clEvEUlfE_NS0_6memory8policies10vectorizedILi4ESt5arrayIPcLm2EELi4EEEEEvT0_T1_.numbered_sgpr, .L_ZN2at6native25elementwise_kernel_helperILb0EZZZNS0_19digamma_kernel_cudaERNS_18TensorIteratorBaseEENKUlvE_clEvENKUlvE0_clEvEUlfE_NS0_6memory8policies11unroll_baseILi256ESt5arrayIPcLm2EE23TrivialOffsetCalculatorILi1EjESE_NS7_15LoadWithoutCastENS7_16StoreWithoutCastELi4ELi1EEEEEvT0_T1_.numbered_sgpr)
	.set _ZN2at6native29vectorized_elementwise_kernelILi16EZZZNS0_19digamma_kernel_cudaERNS_18TensorIteratorBaseEENKUlvE_clEvENKUlvE0_clEvEUlfE_St5arrayIPcLm2EEEEviT0_T1_.num_named_barrier, max(0, .L_ZN2at6native25elementwise_kernel_helperILb0EZZZNS0_19digamma_kernel_cudaERNS_18TensorIteratorBaseEENKUlvE_clEvENKUlvE0_clEvEUlfE_NS0_6memory8policies10vectorizedILi4ESt5arrayIPcLm2EELi4EEEEEvT0_T1_.num_named_barrier, .L_ZN2at6native25elementwise_kernel_helperILb0EZZZNS0_19digamma_kernel_cudaERNS_18TensorIteratorBaseEENKUlvE_clEvENKUlvE0_clEvEUlfE_NS0_6memory8policies11unroll_baseILi256ESt5arrayIPcLm2EE23TrivialOffsetCalculatorILi1EjESE_NS7_15LoadWithoutCastENS7_16StoreWithoutCastELi4ELi1EEEEEvT0_T1_.num_named_barrier)
	.set _ZN2at6native29vectorized_elementwise_kernelILi16EZZZNS0_19digamma_kernel_cudaERNS_18TensorIteratorBaseEENKUlvE_clEvENKUlvE0_clEvEUlfE_St5arrayIPcLm2EEEEviT0_T1_.private_seg_size, 0+max(.L_ZN2at6native25elementwise_kernel_helperILb0EZZZNS0_19digamma_kernel_cudaERNS_18TensorIteratorBaseEENKUlvE_clEvENKUlvE0_clEvEUlfE_NS0_6memory8policies10vectorizedILi4ESt5arrayIPcLm2EELi4EEEEEvT0_T1_.private_seg_size, .L_ZN2at6native25elementwise_kernel_helperILb0EZZZNS0_19digamma_kernel_cudaERNS_18TensorIteratorBaseEENKUlvE_clEvENKUlvE0_clEvEUlfE_NS0_6memory8policies11unroll_baseILi256ESt5arrayIPcLm2EE23TrivialOffsetCalculatorILi1EjESE_NS7_15LoadWithoutCastENS7_16StoreWithoutCastELi4ELi1EEEEEvT0_T1_.private_seg_size)
	.set _ZN2at6native29vectorized_elementwise_kernelILi16EZZZNS0_19digamma_kernel_cudaERNS_18TensorIteratorBaseEENKUlvE_clEvENKUlvE0_clEvEUlfE_St5arrayIPcLm2EEEEviT0_T1_.uses_vcc, or(1, .L_ZN2at6native25elementwise_kernel_helperILb0EZZZNS0_19digamma_kernel_cudaERNS_18TensorIteratorBaseEENKUlvE_clEvENKUlvE0_clEvEUlfE_NS0_6memory8policies10vectorizedILi4ESt5arrayIPcLm2EELi4EEEEEvT0_T1_.uses_vcc, .L_ZN2at6native25elementwise_kernel_helperILb0EZZZNS0_19digamma_kernel_cudaERNS_18TensorIteratorBaseEENKUlvE_clEvENKUlvE0_clEvEUlfE_NS0_6memory8policies11unroll_baseILi256ESt5arrayIPcLm2EE23TrivialOffsetCalculatorILi1EjESE_NS7_15LoadWithoutCastENS7_16StoreWithoutCastELi4ELi1EEEEEvT0_T1_.uses_vcc)
	.set _ZN2at6native29vectorized_elementwise_kernelILi16EZZZNS0_19digamma_kernel_cudaERNS_18TensorIteratorBaseEENKUlvE_clEvENKUlvE0_clEvEUlfE_St5arrayIPcLm2EEEEviT0_T1_.uses_flat_scratch, or(0, .L_ZN2at6native25elementwise_kernel_helperILb0EZZZNS0_19digamma_kernel_cudaERNS_18TensorIteratorBaseEENKUlvE_clEvENKUlvE0_clEvEUlfE_NS0_6memory8policies10vectorizedILi4ESt5arrayIPcLm2EELi4EEEEEvT0_T1_.uses_flat_scratch, .L_ZN2at6native25elementwise_kernel_helperILb0EZZZNS0_19digamma_kernel_cudaERNS_18TensorIteratorBaseEENKUlvE_clEvENKUlvE0_clEvEUlfE_NS0_6memory8policies11unroll_baseILi256ESt5arrayIPcLm2EE23TrivialOffsetCalculatorILi1EjESE_NS7_15LoadWithoutCastENS7_16StoreWithoutCastELi4ELi1EEEEEvT0_T1_.uses_flat_scratch)
	.set _ZN2at6native29vectorized_elementwise_kernelILi16EZZZNS0_19digamma_kernel_cudaERNS_18TensorIteratorBaseEENKUlvE_clEvENKUlvE0_clEvEUlfE_St5arrayIPcLm2EEEEviT0_T1_.has_dyn_sized_stack, or(0, .L_ZN2at6native25elementwise_kernel_helperILb0EZZZNS0_19digamma_kernel_cudaERNS_18TensorIteratorBaseEENKUlvE_clEvENKUlvE0_clEvEUlfE_NS0_6memory8policies10vectorizedILi4ESt5arrayIPcLm2EELi4EEEEEvT0_T1_.has_dyn_sized_stack, .L_ZN2at6native25elementwise_kernel_helperILb0EZZZNS0_19digamma_kernel_cudaERNS_18TensorIteratorBaseEENKUlvE_clEvENKUlvE0_clEvEUlfE_NS0_6memory8policies11unroll_baseILi256ESt5arrayIPcLm2EE23TrivialOffsetCalculatorILi1EjESE_NS7_15LoadWithoutCastENS7_16StoreWithoutCastELi4ELi1EEEEEvT0_T1_.has_dyn_sized_stack)
	.set _ZN2at6native29vectorized_elementwise_kernelILi16EZZZNS0_19digamma_kernel_cudaERNS_18TensorIteratorBaseEENKUlvE_clEvENKUlvE0_clEvEUlfE_St5arrayIPcLm2EEEEviT0_T1_.has_recursion, or(0, .L_ZN2at6native25elementwise_kernel_helperILb0EZZZNS0_19digamma_kernel_cudaERNS_18TensorIteratorBaseEENKUlvE_clEvENKUlvE0_clEvEUlfE_NS0_6memory8policies10vectorizedILi4ESt5arrayIPcLm2EELi4EEEEEvT0_T1_.has_recursion, .L_ZN2at6native25elementwise_kernel_helperILb0EZZZNS0_19digamma_kernel_cudaERNS_18TensorIteratorBaseEENKUlvE_clEvENKUlvE0_clEvEUlfE_NS0_6memory8policies11unroll_baseILi256ESt5arrayIPcLm2EE23TrivialOffsetCalculatorILi1EjESE_NS7_15LoadWithoutCastENS7_16StoreWithoutCastELi4ELi1EEEEEvT0_T1_.has_recursion)
	.set _ZN2at6native29vectorized_elementwise_kernelILi16EZZZNS0_19digamma_kernel_cudaERNS_18TensorIteratorBaseEENKUlvE_clEvENKUlvE0_clEvEUlfE_St5arrayIPcLm2EEEEviT0_T1_.has_indirect_call, or(0, .L_ZN2at6native25elementwise_kernel_helperILb0EZZZNS0_19digamma_kernel_cudaERNS_18TensorIteratorBaseEENKUlvE_clEvENKUlvE0_clEvEUlfE_NS0_6memory8policies10vectorizedILi4ESt5arrayIPcLm2EELi4EEEEEvT0_T1_.has_indirect_call, .L_ZN2at6native25elementwise_kernel_helperILb0EZZZNS0_19digamma_kernel_cudaERNS_18TensorIteratorBaseEENKUlvE_clEvENKUlvE0_clEvEUlfE_NS0_6memory8policies11unroll_baseILi256ESt5arrayIPcLm2EE23TrivialOffsetCalculatorILi1EjESE_NS7_15LoadWithoutCastENS7_16StoreWithoutCastELi4ELi1EEEEEvT0_T1_.has_indirect_call)
	.section	.AMDGPU.csdata,"",@progbits
; Kernel info:
; codeLenInByte = 184
; TotalNumSgprs: 35
; NumVgprs: 54
; ScratchSize: 0
; MemoryBound: 0
; FloatMode: 240
; IeeeMode: 1
; LDSByteSize: 0 bytes/workgroup (compile time only)
; SGPRBlocks: 0
; VGPRBlocks: 6
; NumSGPRsForWavesPerEU: 35
; NumVGPRsForWavesPerEU: 54
; Occupancy: 16
; WaveLimiterHint : 0
; COMPUTE_PGM_RSRC2:SCRATCH_EN: 0
; COMPUTE_PGM_RSRC2:USER_SGPR: 6
; COMPUTE_PGM_RSRC2:TRAP_HANDLER: 0
; COMPUTE_PGM_RSRC2:TGID_X_EN: 1
; COMPUTE_PGM_RSRC2:TGID_Y_EN: 0
; COMPUTE_PGM_RSRC2:TGID_Z_EN: 0
; COMPUTE_PGM_RSRC2:TIDIG_COMP_CNT: 0
	.section	.text._ZN2at6native29vectorized_elementwise_kernelILi8EZZZNS0_19digamma_kernel_cudaERNS_18TensorIteratorBaseEENKUlvE_clEvENKUlvE0_clEvEUlfE_St5arrayIPcLm2EEEEviT0_T1_,"axG",@progbits,_ZN2at6native29vectorized_elementwise_kernelILi8EZZZNS0_19digamma_kernel_cudaERNS_18TensorIteratorBaseEENKUlvE_clEvENKUlvE0_clEvEUlfE_St5arrayIPcLm2EEEEviT0_T1_,comdat
	.globl	_ZN2at6native29vectorized_elementwise_kernelILi8EZZZNS0_19digamma_kernel_cudaERNS_18TensorIteratorBaseEENKUlvE_clEvENKUlvE0_clEvEUlfE_St5arrayIPcLm2EEEEviT0_T1_ ; -- Begin function _ZN2at6native29vectorized_elementwise_kernelILi8EZZZNS0_19digamma_kernel_cudaERNS_18TensorIteratorBaseEENKUlvE_clEvENKUlvE0_clEvEUlfE_St5arrayIPcLm2EEEEviT0_T1_
	.p2align	8
	.type	_ZN2at6native29vectorized_elementwise_kernelILi8EZZZNS0_19digamma_kernel_cudaERNS_18TensorIteratorBaseEENKUlvE_clEvENKUlvE0_clEvEUlfE_St5arrayIPcLm2EEEEviT0_T1_,@function
_ZN2at6native29vectorized_elementwise_kernelILi8EZZZNS0_19digamma_kernel_cudaERNS_18TensorIteratorBaseEENKUlvE_clEvENKUlvE0_clEvEUlfE_St5arrayIPcLm2EEEEviT0_T1_: ; @_ZN2at6native29vectorized_elementwise_kernelILi8EZZZNS0_19digamma_kernel_cudaERNS_18TensorIteratorBaseEENKUlvE_clEvENKUlvE0_clEvEUlfE_St5arrayIPcLm2EEEEviT0_T1_
; %bb.0:
	s_mov_b32 s16, s6
	s_clause 0x1
	s_load_dword s6, s[4:5], 0x0
	s_load_dwordx4 s[20:23], s[4:5], 0x8
	s_add_u32 s0, s0, s7
	s_addc_u32 s1, s1, 0
	s_lshl_b32 s4, s16, 10
	v_mov_b32_e32 v39, v0
	s_mov_b32 s32, 0
	s_waitcnt lgkmcnt(0)
	s_sub_i32 s17, s6, s4
	s_mov_b32 s4, -1
	s_cmpk_gt_i32 s17, 0x3ff
	s_cbranch_scc1 .LBB13_3
; %bb.1:
	s_andn2_b32 vcc_lo, exec_lo, s4
	s_cbranch_vccz .LBB13_4
.LBB13_2:
	s_endpgm
.LBB13_3:
	v_mov_b32_e32 v31, v39
	v_mov_b32_e32 v0, s20
	;; [unrolled: 1-line block ×5, first 2 shown]
	s_getpc_b64 s[4:5]
	s_add_u32 s4, s4, _ZN2at6native25elementwise_kernel_helperILb0EZZZNS0_19digamma_kernel_cudaERNS_18TensorIteratorBaseEENKUlvE_clEvENKUlvE0_clEvEUlfE_NS0_6memory8policies10vectorizedILi4ESt5arrayIPcLm2EELi4EEEEEvT0_T1_@rel32@lo+4
	s_addc_u32 s5, s5, _ZN2at6native25elementwise_kernel_helperILb0EZZZNS0_19digamma_kernel_cudaERNS_18TensorIteratorBaseEENKUlvE_clEvENKUlvE0_clEvEUlfE_NS0_6memory8policies10vectorizedILi4ESt5arrayIPcLm2EELi4EEEEEvT0_T1_@rel32@hi+12
	s_mov_b32 s12, s16
	s_swappc_b64 s[30:31], s[4:5]
	s_cbranch_execnz .LBB13_2
.LBB13_4:
	v_mov_b32_e32 v31, v39
	v_mov_b32_e32 v0, s20
	;; [unrolled: 1-line block ×6, first 2 shown]
	s_getpc_b64 s[4:5]
	s_add_u32 s4, s4, _ZN2at6native25elementwise_kernel_helperILb0EZZZNS0_19digamma_kernel_cudaERNS_18TensorIteratorBaseEENKUlvE_clEvENKUlvE0_clEvEUlfE_NS0_6memory8policies11unroll_baseILi256ESt5arrayIPcLm2EE23TrivialOffsetCalculatorILi1EjESE_NS7_15LoadWithoutCastENS7_16StoreWithoutCastELi4ELi1EEEEEvT0_T1_@rel32@lo+4
	s_addc_u32 s5, s5, _ZN2at6native25elementwise_kernel_helperILb0EZZZNS0_19digamma_kernel_cudaERNS_18TensorIteratorBaseEENKUlvE_clEvENKUlvE0_clEvEUlfE_NS0_6memory8policies11unroll_baseILi256ESt5arrayIPcLm2EE23TrivialOffsetCalculatorILi1EjESE_NS7_15LoadWithoutCastENS7_16StoreWithoutCastELi4ELi1EEEEEvT0_T1_@rel32@hi+12
	s_mov_b32 s12, s16
	s_swappc_b64 s[30:31], s[4:5]
	s_endpgm
	.section	.rodata,"a",@progbits
	.p2align	6, 0x0
	.amdhsa_kernel _ZN2at6native29vectorized_elementwise_kernelILi8EZZZNS0_19digamma_kernel_cudaERNS_18TensorIteratorBaseEENKUlvE_clEvENKUlvE0_clEvEUlfE_St5arrayIPcLm2EEEEviT0_T1_
		.amdhsa_group_segment_fixed_size 0
		.amdhsa_private_segment_fixed_size 0
		.amdhsa_kernarg_size 24
		.amdhsa_user_sgpr_count 6
		.amdhsa_user_sgpr_private_segment_buffer 1
		.amdhsa_user_sgpr_dispatch_ptr 0
		.amdhsa_user_sgpr_queue_ptr 0
		.amdhsa_user_sgpr_kernarg_segment_ptr 1
		.amdhsa_user_sgpr_dispatch_id 0
		.amdhsa_user_sgpr_flat_scratch_init 0
		.amdhsa_user_sgpr_private_segment_size 0
		.amdhsa_wavefront_size32 1
		.amdhsa_uses_dynamic_stack 0
		.amdhsa_system_sgpr_private_segment_wavefront_offset 0
		.amdhsa_system_sgpr_workgroup_id_x 1
		.amdhsa_system_sgpr_workgroup_id_y 0
		.amdhsa_system_sgpr_workgroup_id_z 0
		.amdhsa_system_sgpr_workgroup_info 0
		.amdhsa_system_vgpr_workitem_id 0
		.amdhsa_next_free_vgpr 54
		.amdhsa_next_free_sgpr 33
		.amdhsa_reserve_vcc 1
		.amdhsa_reserve_flat_scratch 0
		.amdhsa_float_round_mode_32 0
		.amdhsa_float_round_mode_16_64 0
		.amdhsa_float_denorm_mode_32 3
		.amdhsa_float_denorm_mode_16_64 3
		.amdhsa_dx10_clamp 1
		.amdhsa_ieee_mode 1
		.amdhsa_fp16_overflow 0
		.amdhsa_workgroup_processor_mode 1
		.amdhsa_memory_ordered 1
		.amdhsa_forward_progress 1
		.amdhsa_shared_vgpr_count 0
		.amdhsa_exception_fp_ieee_invalid_op 0
		.amdhsa_exception_fp_denorm_src 0
		.amdhsa_exception_fp_ieee_div_zero 0
		.amdhsa_exception_fp_ieee_overflow 0
		.amdhsa_exception_fp_ieee_underflow 0
		.amdhsa_exception_fp_ieee_inexact 0
		.amdhsa_exception_int_div_zero 0
	.end_amdhsa_kernel
	.section	.text._ZN2at6native29vectorized_elementwise_kernelILi8EZZZNS0_19digamma_kernel_cudaERNS_18TensorIteratorBaseEENKUlvE_clEvENKUlvE0_clEvEUlfE_St5arrayIPcLm2EEEEviT0_T1_,"axG",@progbits,_ZN2at6native29vectorized_elementwise_kernelILi8EZZZNS0_19digamma_kernel_cudaERNS_18TensorIteratorBaseEENKUlvE_clEvENKUlvE0_clEvEUlfE_St5arrayIPcLm2EEEEviT0_T1_,comdat
.Lfunc_end13:
	.size	_ZN2at6native29vectorized_elementwise_kernelILi8EZZZNS0_19digamma_kernel_cudaERNS_18TensorIteratorBaseEENKUlvE_clEvENKUlvE0_clEvEUlfE_St5arrayIPcLm2EEEEviT0_T1_, .Lfunc_end13-_ZN2at6native29vectorized_elementwise_kernelILi8EZZZNS0_19digamma_kernel_cudaERNS_18TensorIteratorBaseEENKUlvE_clEvENKUlvE0_clEvEUlfE_St5arrayIPcLm2EEEEviT0_T1_
                                        ; -- End function
	.set _ZN2at6native29vectorized_elementwise_kernelILi8EZZZNS0_19digamma_kernel_cudaERNS_18TensorIteratorBaseEENKUlvE_clEvENKUlvE0_clEvEUlfE_St5arrayIPcLm2EEEEviT0_T1_.num_vgpr, max(40, .L_ZN2at6native25elementwise_kernel_helperILb0EZZZNS0_19digamma_kernel_cudaERNS_18TensorIteratorBaseEENKUlvE_clEvENKUlvE0_clEvEUlfE_NS0_6memory8policies10vectorizedILi4ESt5arrayIPcLm2EELi4EEEEEvT0_T1_.num_vgpr, .L_ZN2at6native25elementwise_kernel_helperILb0EZZZNS0_19digamma_kernel_cudaERNS_18TensorIteratorBaseEENKUlvE_clEvENKUlvE0_clEvEUlfE_NS0_6memory8policies11unroll_baseILi256ESt5arrayIPcLm2EE23TrivialOffsetCalculatorILi1EjESE_NS7_15LoadWithoutCastENS7_16StoreWithoutCastELi4ELi1EEEEEvT0_T1_.num_vgpr)
	.set _ZN2at6native29vectorized_elementwise_kernelILi8EZZZNS0_19digamma_kernel_cudaERNS_18TensorIteratorBaseEENKUlvE_clEvENKUlvE0_clEvEUlfE_St5arrayIPcLm2EEEEviT0_T1_.num_agpr, max(0, .L_ZN2at6native25elementwise_kernel_helperILb0EZZZNS0_19digamma_kernel_cudaERNS_18TensorIteratorBaseEENKUlvE_clEvENKUlvE0_clEvEUlfE_NS0_6memory8policies10vectorizedILi4ESt5arrayIPcLm2EELi4EEEEEvT0_T1_.num_agpr, .L_ZN2at6native25elementwise_kernel_helperILb0EZZZNS0_19digamma_kernel_cudaERNS_18TensorIteratorBaseEENKUlvE_clEvENKUlvE0_clEvEUlfE_NS0_6memory8policies11unroll_baseILi256ESt5arrayIPcLm2EE23TrivialOffsetCalculatorILi1EjESE_NS7_15LoadWithoutCastENS7_16StoreWithoutCastELi4ELi1EEEEEvT0_T1_.num_agpr)
	.set _ZN2at6native29vectorized_elementwise_kernelILi8EZZZNS0_19digamma_kernel_cudaERNS_18TensorIteratorBaseEENKUlvE_clEvENKUlvE0_clEvEUlfE_St5arrayIPcLm2EEEEviT0_T1_.numbered_sgpr, max(33, .L_ZN2at6native25elementwise_kernel_helperILb0EZZZNS0_19digamma_kernel_cudaERNS_18TensorIteratorBaseEENKUlvE_clEvENKUlvE0_clEvEUlfE_NS0_6memory8policies10vectorizedILi4ESt5arrayIPcLm2EELi4EEEEEvT0_T1_.numbered_sgpr, .L_ZN2at6native25elementwise_kernel_helperILb0EZZZNS0_19digamma_kernel_cudaERNS_18TensorIteratorBaseEENKUlvE_clEvENKUlvE0_clEvEUlfE_NS0_6memory8policies11unroll_baseILi256ESt5arrayIPcLm2EE23TrivialOffsetCalculatorILi1EjESE_NS7_15LoadWithoutCastENS7_16StoreWithoutCastELi4ELi1EEEEEvT0_T1_.numbered_sgpr)
	.set _ZN2at6native29vectorized_elementwise_kernelILi8EZZZNS0_19digamma_kernel_cudaERNS_18TensorIteratorBaseEENKUlvE_clEvENKUlvE0_clEvEUlfE_St5arrayIPcLm2EEEEviT0_T1_.num_named_barrier, max(0, .L_ZN2at6native25elementwise_kernel_helperILb0EZZZNS0_19digamma_kernel_cudaERNS_18TensorIteratorBaseEENKUlvE_clEvENKUlvE0_clEvEUlfE_NS0_6memory8policies10vectorizedILi4ESt5arrayIPcLm2EELi4EEEEEvT0_T1_.num_named_barrier, .L_ZN2at6native25elementwise_kernel_helperILb0EZZZNS0_19digamma_kernel_cudaERNS_18TensorIteratorBaseEENKUlvE_clEvENKUlvE0_clEvEUlfE_NS0_6memory8policies11unroll_baseILi256ESt5arrayIPcLm2EE23TrivialOffsetCalculatorILi1EjESE_NS7_15LoadWithoutCastENS7_16StoreWithoutCastELi4ELi1EEEEEvT0_T1_.num_named_barrier)
	.set _ZN2at6native29vectorized_elementwise_kernelILi8EZZZNS0_19digamma_kernel_cudaERNS_18TensorIteratorBaseEENKUlvE_clEvENKUlvE0_clEvEUlfE_St5arrayIPcLm2EEEEviT0_T1_.private_seg_size, 0+max(.L_ZN2at6native25elementwise_kernel_helperILb0EZZZNS0_19digamma_kernel_cudaERNS_18TensorIteratorBaseEENKUlvE_clEvENKUlvE0_clEvEUlfE_NS0_6memory8policies10vectorizedILi4ESt5arrayIPcLm2EELi4EEEEEvT0_T1_.private_seg_size, .L_ZN2at6native25elementwise_kernel_helperILb0EZZZNS0_19digamma_kernel_cudaERNS_18TensorIteratorBaseEENKUlvE_clEvENKUlvE0_clEvEUlfE_NS0_6memory8policies11unroll_baseILi256ESt5arrayIPcLm2EE23TrivialOffsetCalculatorILi1EjESE_NS7_15LoadWithoutCastENS7_16StoreWithoutCastELi4ELi1EEEEEvT0_T1_.private_seg_size)
	.set _ZN2at6native29vectorized_elementwise_kernelILi8EZZZNS0_19digamma_kernel_cudaERNS_18TensorIteratorBaseEENKUlvE_clEvENKUlvE0_clEvEUlfE_St5arrayIPcLm2EEEEviT0_T1_.uses_vcc, or(1, .L_ZN2at6native25elementwise_kernel_helperILb0EZZZNS0_19digamma_kernel_cudaERNS_18TensorIteratorBaseEENKUlvE_clEvENKUlvE0_clEvEUlfE_NS0_6memory8policies10vectorizedILi4ESt5arrayIPcLm2EELi4EEEEEvT0_T1_.uses_vcc, .L_ZN2at6native25elementwise_kernel_helperILb0EZZZNS0_19digamma_kernel_cudaERNS_18TensorIteratorBaseEENKUlvE_clEvENKUlvE0_clEvEUlfE_NS0_6memory8policies11unroll_baseILi256ESt5arrayIPcLm2EE23TrivialOffsetCalculatorILi1EjESE_NS7_15LoadWithoutCastENS7_16StoreWithoutCastELi4ELi1EEEEEvT0_T1_.uses_vcc)
	.set _ZN2at6native29vectorized_elementwise_kernelILi8EZZZNS0_19digamma_kernel_cudaERNS_18TensorIteratorBaseEENKUlvE_clEvENKUlvE0_clEvEUlfE_St5arrayIPcLm2EEEEviT0_T1_.uses_flat_scratch, or(0, .L_ZN2at6native25elementwise_kernel_helperILb0EZZZNS0_19digamma_kernel_cudaERNS_18TensorIteratorBaseEENKUlvE_clEvENKUlvE0_clEvEUlfE_NS0_6memory8policies10vectorizedILi4ESt5arrayIPcLm2EELi4EEEEEvT0_T1_.uses_flat_scratch, .L_ZN2at6native25elementwise_kernel_helperILb0EZZZNS0_19digamma_kernel_cudaERNS_18TensorIteratorBaseEENKUlvE_clEvENKUlvE0_clEvEUlfE_NS0_6memory8policies11unroll_baseILi256ESt5arrayIPcLm2EE23TrivialOffsetCalculatorILi1EjESE_NS7_15LoadWithoutCastENS7_16StoreWithoutCastELi4ELi1EEEEEvT0_T1_.uses_flat_scratch)
	.set _ZN2at6native29vectorized_elementwise_kernelILi8EZZZNS0_19digamma_kernel_cudaERNS_18TensorIteratorBaseEENKUlvE_clEvENKUlvE0_clEvEUlfE_St5arrayIPcLm2EEEEviT0_T1_.has_dyn_sized_stack, or(0, .L_ZN2at6native25elementwise_kernel_helperILb0EZZZNS0_19digamma_kernel_cudaERNS_18TensorIteratorBaseEENKUlvE_clEvENKUlvE0_clEvEUlfE_NS0_6memory8policies10vectorizedILi4ESt5arrayIPcLm2EELi4EEEEEvT0_T1_.has_dyn_sized_stack, .L_ZN2at6native25elementwise_kernel_helperILb0EZZZNS0_19digamma_kernel_cudaERNS_18TensorIteratorBaseEENKUlvE_clEvENKUlvE0_clEvEUlfE_NS0_6memory8policies11unroll_baseILi256ESt5arrayIPcLm2EE23TrivialOffsetCalculatorILi1EjESE_NS7_15LoadWithoutCastENS7_16StoreWithoutCastELi4ELi1EEEEEvT0_T1_.has_dyn_sized_stack)
	.set _ZN2at6native29vectorized_elementwise_kernelILi8EZZZNS0_19digamma_kernel_cudaERNS_18TensorIteratorBaseEENKUlvE_clEvENKUlvE0_clEvEUlfE_St5arrayIPcLm2EEEEviT0_T1_.has_recursion, or(0, .L_ZN2at6native25elementwise_kernel_helperILb0EZZZNS0_19digamma_kernel_cudaERNS_18TensorIteratorBaseEENKUlvE_clEvENKUlvE0_clEvEUlfE_NS0_6memory8policies10vectorizedILi4ESt5arrayIPcLm2EELi4EEEEEvT0_T1_.has_recursion, .L_ZN2at6native25elementwise_kernel_helperILb0EZZZNS0_19digamma_kernel_cudaERNS_18TensorIteratorBaseEENKUlvE_clEvENKUlvE0_clEvEUlfE_NS0_6memory8policies11unroll_baseILi256ESt5arrayIPcLm2EE23TrivialOffsetCalculatorILi1EjESE_NS7_15LoadWithoutCastENS7_16StoreWithoutCastELi4ELi1EEEEEvT0_T1_.has_recursion)
	.set _ZN2at6native29vectorized_elementwise_kernelILi8EZZZNS0_19digamma_kernel_cudaERNS_18TensorIteratorBaseEENKUlvE_clEvENKUlvE0_clEvEUlfE_St5arrayIPcLm2EEEEviT0_T1_.has_indirect_call, or(0, .L_ZN2at6native25elementwise_kernel_helperILb0EZZZNS0_19digamma_kernel_cudaERNS_18TensorIteratorBaseEENKUlvE_clEvENKUlvE0_clEvEUlfE_NS0_6memory8policies10vectorizedILi4ESt5arrayIPcLm2EELi4EEEEEvT0_T1_.has_indirect_call, .L_ZN2at6native25elementwise_kernel_helperILb0EZZZNS0_19digamma_kernel_cudaERNS_18TensorIteratorBaseEENKUlvE_clEvENKUlvE0_clEvEUlfE_NS0_6memory8policies11unroll_baseILi256ESt5arrayIPcLm2EE23TrivialOffsetCalculatorILi1EjESE_NS7_15LoadWithoutCastENS7_16StoreWithoutCastELi4ELi1EEEEEvT0_T1_.has_indirect_call)
	.section	.AMDGPU.csdata,"",@progbits
; Kernel info:
; codeLenInByte = 184
; TotalNumSgprs: 35
; NumVgprs: 54
; ScratchSize: 0
; MemoryBound: 0
; FloatMode: 240
; IeeeMode: 1
; LDSByteSize: 0 bytes/workgroup (compile time only)
; SGPRBlocks: 0
; VGPRBlocks: 6
; NumSGPRsForWavesPerEU: 35
; NumVGPRsForWavesPerEU: 54
; Occupancy: 16
; WaveLimiterHint : 0
; COMPUTE_PGM_RSRC2:SCRATCH_EN: 0
; COMPUTE_PGM_RSRC2:USER_SGPR: 6
; COMPUTE_PGM_RSRC2:TRAP_HANDLER: 0
; COMPUTE_PGM_RSRC2:TGID_X_EN: 1
; COMPUTE_PGM_RSRC2:TGID_Y_EN: 0
; COMPUTE_PGM_RSRC2:TGID_Z_EN: 0
; COMPUTE_PGM_RSRC2:TIDIG_COMP_CNT: 0
	.section	.text._ZN2at6native29vectorized_elementwise_kernelILi4EZZZNS0_19digamma_kernel_cudaERNS_18TensorIteratorBaseEENKUlvE_clEvENKUlvE0_clEvEUlfE_St5arrayIPcLm2EEEEviT0_T1_,"axG",@progbits,_ZN2at6native29vectorized_elementwise_kernelILi4EZZZNS0_19digamma_kernel_cudaERNS_18TensorIteratorBaseEENKUlvE_clEvENKUlvE0_clEvEUlfE_St5arrayIPcLm2EEEEviT0_T1_,comdat
	.globl	_ZN2at6native29vectorized_elementwise_kernelILi4EZZZNS0_19digamma_kernel_cudaERNS_18TensorIteratorBaseEENKUlvE_clEvENKUlvE0_clEvEUlfE_St5arrayIPcLm2EEEEviT0_T1_ ; -- Begin function _ZN2at6native29vectorized_elementwise_kernelILi4EZZZNS0_19digamma_kernel_cudaERNS_18TensorIteratorBaseEENKUlvE_clEvENKUlvE0_clEvEUlfE_St5arrayIPcLm2EEEEviT0_T1_
	.p2align	8
	.type	_ZN2at6native29vectorized_elementwise_kernelILi4EZZZNS0_19digamma_kernel_cudaERNS_18TensorIteratorBaseEENKUlvE_clEvENKUlvE0_clEvEUlfE_St5arrayIPcLm2EEEEviT0_T1_,@function
_ZN2at6native29vectorized_elementwise_kernelILi4EZZZNS0_19digamma_kernel_cudaERNS_18TensorIteratorBaseEENKUlvE_clEvENKUlvE0_clEvEUlfE_St5arrayIPcLm2EEEEviT0_T1_: ; @_ZN2at6native29vectorized_elementwise_kernelILi4EZZZNS0_19digamma_kernel_cudaERNS_18TensorIteratorBaseEENKUlvE_clEvENKUlvE0_clEvEUlfE_St5arrayIPcLm2EEEEviT0_T1_
; %bb.0:
	s_mov_b32 s16, s6
	s_clause 0x1
	s_load_dword s6, s[4:5], 0x0
	s_load_dwordx4 s[20:23], s[4:5], 0x8
	s_add_u32 s0, s0, s7
	s_addc_u32 s1, s1, 0
	s_lshl_b32 s4, s16, 10
	v_mov_b32_e32 v39, v0
	s_mov_b32 s32, 0
	s_waitcnt lgkmcnt(0)
	s_sub_i32 s17, s6, s4
	s_mov_b32 s4, -1
	s_cmpk_gt_i32 s17, 0x3ff
	s_cbranch_scc1 .LBB14_3
; %bb.1:
	s_andn2_b32 vcc_lo, exec_lo, s4
	s_cbranch_vccz .LBB14_4
.LBB14_2:
	s_endpgm
.LBB14_3:
	v_mov_b32_e32 v31, v39
	v_mov_b32_e32 v0, s20
	;; [unrolled: 1-line block ×5, first 2 shown]
	s_getpc_b64 s[4:5]
	s_add_u32 s4, s4, _ZN2at6native25elementwise_kernel_helperILb0EZZZNS0_19digamma_kernel_cudaERNS_18TensorIteratorBaseEENKUlvE_clEvENKUlvE0_clEvEUlfE_NS0_6memory8policies10vectorizedILi4ESt5arrayIPcLm2EELi4EEEEEvT0_T1_@rel32@lo+4
	s_addc_u32 s5, s5, _ZN2at6native25elementwise_kernel_helperILb0EZZZNS0_19digamma_kernel_cudaERNS_18TensorIteratorBaseEENKUlvE_clEvENKUlvE0_clEvEUlfE_NS0_6memory8policies10vectorizedILi4ESt5arrayIPcLm2EELi4EEEEEvT0_T1_@rel32@hi+12
	s_mov_b32 s12, s16
	s_swappc_b64 s[30:31], s[4:5]
	s_cbranch_execnz .LBB14_2
.LBB14_4:
	v_mov_b32_e32 v31, v39
	v_mov_b32_e32 v0, s20
	;; [unrolled: 1-line block ×6, first 2 shown]
	s_getpc_b64 s[4:5]
	s_add_u32 s4, s4, _ZN2at6native25elementwise_kernel_helperILb0EZZZNS0_19digamma_kernel_cudaERNS_18TensorIteratorBaseEENKUlvE_clEvENKUlvE0_clEvEUlfE_NS0_6memory8policies11unroll_baseILi256ESt5arrayIPcLm2EE23TrivialOffsetCalculatorILi1EjESE_NS7_15LoadWithoutCastENS7_16StoreWithoutCastELi4ELi1EEEEEvT0_T1_@rel32@lo+4
	s_addc_u32 s5, s5, _ZN2at6native25elementwise_kernel_helperILb0EZZZNS0_19digamma_kernel_cudaERNS_18TensorIteratorBaseEENKUlvE_clEvENKUlvE0_clEvEUlfE_NS0_6memory8policies11unroll_baseILi256ESt5arrayIPcLm2EE23TrivialOffsetCalculatorILi1EjESE_NS7_15LoadWithoutCastENS7_16StoreWithoutCastELi4ELi1EEEEEvT0_T1_@rel32@hi+12
	s_mov_b32 s12, s16
	s_swappc_b64 s[30:31], s[4:5]
	s_endpgm
	.section	.rodata,"a",@progbits
	.p2align	6, 0x0
	.amdhsa_kernel _ZN2at6native29vectorized_elementwise_kernelILi4EZZZNS0_19digamma_kernel_cudaERNS_18TensorIteratorBaseEENKUlvE_clEvENKUlvE0_clEvEUlfE_St5arrayIPcLm2EEEEviT0_T1_
		.amdhsa_group_segment_fixed_size 0
		.amdhsa_private_segment_fixed_size 0
		.amdhsa_kernarg_size 24
		.amdhsa_user_sgpr_count 6
		.amdhsa_user_sgpr_private_segment_buffer 1
		.amdhsa_user_sgpr_dispatch_ptr 0
		.amdhsa_user_sgpr_queue_ptr 0
		.amdhsa_user_sgpr_kernarg_segment_ptr 1
		.amdhsa_user_sgpr_dispatch_id 0
		.amdhsa_user_sgpr_flat_scratch_init 0
		.amdhsa_user_sgpr_private_segment_size 0
		.amdhsa_wavefront_size32 1
		.amdhsa_uses_dynamic_stack 0
		.amdhsa_system_sgpr_private_segment_wavefront_offset 0
		.amdhsa_system_sgpr_workgroup_id_x 1
		.amdhsa_system_sgpr_workgroup_id_y 0
		.amdhsa_system_sgpr_workgroup_id_z 0
		.amdhsa_system_sgpr_workgroup_info 0
		.amdhsa_system_vgpr_workitem_id 0
		.amdhsa_next_free_vgpr 54
		.amdhsa_next_free_sgpr 33
		.amdhsa_reserve_vcc 1
		.amdhsa_reserve_flat_scratch 0
		.amdhsa_float_round_mode_32 0
		.amdhsa_float_round_mode_16_64 0
		.amdhsa_float_denorm_mode_32 3
		.amdhsa_float_denorm_mode_16_64 3
		.amdhsa_dx10_clamp 1
		.amdhsa_ieee_mode 1
		.amdhsa_fp16_overflow 0
		.amdhsa_workgroup_processor_mode 1
		.amdhsa_memory_ordered 1
		.amdhsa_forward_progress 1
		.amdhsa_shared_vgpr_count 0
		.amdhsa_exception_fp_ieee_invalid_op 0
		.amdhsa_exception_fp_denorm_src 0
		.amdhsa_exception_fp_ieee_div_zero 0
		.amdhsa_exception_fp_ieee_overflow 0
		.amdhsa_exception_fp_ieee_underflow 0
		.amdhsa_exception_fp_ieee_inexact 0
		.amdhsa_exception_int_div_zero 0
	.end_amdhsa_kernel
	.section	.text._ZN2at6native29vectorized_elementwise_kernelILi4EZZZNS0_19digamma_kernel_cudaERNS_18TensorIteratorBaseEENKUlvE_clEvENKUlvE0_clEvEUlfE_St5arrayIPcLm2EEEEviT0_T1_,"axG",@progbits,_ZN2at6native29vectorized_elementwise_kernelILi4EZZZNS0_19digamma_kernel_cudaERNS_18TensorIteratorBaseEENKUlvE_clEvENKUlvE0_clEvEUlfE_St5arrayIPcLm2EEEEviT0_T1_,comdat
.Lfunc_end14:
	.size	_ZN2at6native29vectorized_elementwise_kernelILi4EZZZNS0_19digamma_kernel_cudaERNS_18TensorIteratorBaseEENKUlvE_clEvENKUlvE0_clEvEUlfE_St5arrayIPcLm2EEEEviT0_T1_, .Lfunc_end14-_ZN2at6native29vectorized_elementwise_kernelILi4EZZZNS0_19digamma_kernel_cudaERNS_18TensorIteratorBaseEENKUlvE_clEvENKUlvE0_clEvEUlfE_St5arrayIPcLm2EEEEviT0_T1_
                                        ; -- End function
	.set _ZN2at6native29vectorized_elementwise_kernelILi4EZZZNS0_19digamma_kernel_cudaERNS_18TensorIteratorBaseEENKUlvE_clEvENKUlvE0_clEvEUlfE_St5arrayIPcLm2EEEEviT0_T1_.num_vgpr, max(40, .L_ZN2at6native25elementwise_kernel_helperILb0EZZZNS0_19digamma_kernel_cudaERNS_18TensorIteratorBaseEENKUlvE_clEvENKUlvE0_clEvEUlfE_NS0_6memory8policies10vectorizedILi4ESt5arrayIPcLm2EELi4EEEEEvT0_T1_.num_vgpr, .L_ZN2at6native25elementwise_kernel_helperILb0EZZZNS0_19digamma_kernel_cudaERNS_18TensorIteratorBaseEENKUlvE_clEvENKUlvE0_clEvEUlfE_NS0_6memory8policies11unroll_baseILi256ESt5arrayIPcLm2EE23TrivialOffsetCalculatorILi1EjESE_NS7_15LoadWithoutCastENS7_16StoreWithoutCastELi4ELi1EEEEEvT0_T1_.num_vgpr)
	.set _ZN2at6native29vectorized_elementwise_kernelILi4EZZZNS0_19digamma_kernel_cudaERNS_18TensorIteratorBaseEENKUlvE_clEvENKUlvE0_clEvEUlfE_St5arrayIPcLm2EEEEviT0_T1_.num_agpr, max(0, .L_ZN2at6native25elementwise_kernel_helperILb0EZZZNS0_19digamma_kernel_cudaERNS_18TensorIteratorBaseEENKUlvE_clEvENKUlvE0_clEvEUlfE_NS0_6memory8policies10vectorizedILi4ESt5arrayIPcLm2EELi4EEEEEvT0_T1_.num_agpr, .L_ZN2at6native25elementwise_kernel_helperILb0EZZZNS0_19digamma_kernel_cudaERNS_18TensorIteratorBaseEENKUlvE_clEvENKUlvE0_clEvEUlfE_NS0_6memory8policies11unroll_baseILi256ESt5arrayIPcLm2EE23TrivialOffsetCalculatorILi1EjESE_NS7_15LoadWithoutCastENS7_16StoreWithoutCastELi4ELi1EEEEEvT0_T1_.num_agpr)
	.set _ZN2at6native29vectorized_elementwise_kernelILi4EZZZNS0_19digamma_kernel_cudaERNS_18TensorIteratorBaseEENKUlvE_clEvENKUlvE0_clEvEUlfE_St5arrayIPcLm2EEEEviT0_T1_.numbered_sgpr, max(33, .L_ZN2at6native25elementwise_kernel_helperILb0EZZZNS0_19digamma_kernel_cudaERNS_18TensorIteratorBaseEENKUlvE_clEvENKUlvE0_clEvEUlfE_NS0_6memory8policies10vectorizedILi4ESt5arrayIPcLm2EELi4EEEEEvT0_T1_.numbered_sgpr, .L_ZN2at6native25elementwise_kernel_helperILb0EZZZNS0_19digamma_kernel_cudaERNS_18TensorIteratorBaseEENKUlvE_clEvENKUlvE0_clEvEUlfE_NS0_6memory8policies11unroll_baseILi256ESt5arrayIPcLm2EE23TrivialOffsetCalculatorILi1EjESE_NS7_15LoadWithoutCastENS7_16StoreWithoutCastELi4ELi1EEEEEvT0_T1_.numbered_sgpr)
	.set _ZN2at6native29vectorized_elementwise_kernelILi4EZZZNS0_19digamma_kernel_cudaERNS_18TensorIteratorBaseEENKUlvE_clEvENKUlvE0_clEvEUlfE_St5arrayIPcLm2EEEEviT0_T1_.num_named_barrier, max(0, .L_ZN2at6native25elementwise_kernel_helperILb0EZZZNS0_19digamma_kernel_cudaERNS_18TensorIteratorBaseEENKUlvE_clEvENKUlvE0_clEvEUlfE_NS0_6memory8policies10vectorizedILi4ESt5arrayIPcLm2EELi4EEEEEvT0_T1_.num_named_barrier, .L_ZN2at6native25elementwise_kernel_helperILb0EZZZNS0_19digamma_kernel_cudaERNS_18TensorIteratorBaseEENKUlvE_clEvENKUlvE0_clEvEUlfE_NS0_6memory8policies11unroll_baseILi256ESt5arrayIPcLm2EE23TrivialOffsetCalculatorILi1EjESE_NS7_15LoadWithoutCastENS7_16StoreWithoutCastELi4ELi1EEEEEvT0_T1_.num_named_barrier)
	.set _ZN2at6native29vectorized_elementwise_kernelILi4EZZZNS0_19digamma_kernel_cudaERNS_18TensorIteratorBaseEENKUlvE_clEvENKUlvE0_clEvEUlfE_St5arrayIPcLm2EEEEviT0_T1_.private_seg_size, 0+max(.L_ZN2at6native25elementwise_kernel_helperILb0EZZZNS0_19digamma_kernel_cudaERNS_18TensorIteratorBaseEENKUlvE_clEvENKUlvE0_clEvEUlfE_NS0_6memory8policies10vectorizedILi4ESt5arrayIPcLm2EELi4EEEEEvT0_T1_.private_seg_size, .L_ZN2at6native25elementwise_kernel_helperILb0EZZZNS0_19digamma_kernel_cudaERNS_18TensorIteratorBaseEENKUlvE_clEvENKUlvE0_clEvEUlfE_NS0_6memory8policies11unroll_baseILi256ESt5arrayIPcLm2EE23TrivialOffsetCalculatorILi1EjESE_NS7_15LoadWithoutCastENS7_16StoreWithoutCastELi4ELi1EEEEEvT0_T1_.private_seg_size)
	.set _ZN2at6native29vectorized_elementwise_kernelILi4EZZZNS0_19digamma_kernel_cudaERNS_18TensorIteratorBaseEENKUlvE_clEvENKUlvE0_clEvEUlfE_St5arrayIPcLm2EEEEviT0_T1_.uses_vcc, or(1, .L_ZN2at6native25elementwise_kernel_helperILb0EZZZNS0_19digamma_kernel_cudaERNS_18TensorIteratorBaseEENKUlvE_clEvENKUlvE0_clEvEUlfE_NS0_6memory8policies10vectorizedILi4ESt5arrayIPcLm2EELi4EEEEEvT0_T1_.uses_vcc, .L_ZN2at6native25elementwise_kernel_helperILb0EZZZNS0_19digamma_kernel_cudaERNS_18TensorIteratorBaseEENKUlvE_clEvENKUlvE0_clEvEUlfE_NS0_6memory8policies11unroll_baseILi256ESt5arrayIPcLm2EE23TrivialOffsetCalculatorILi1EjESE_NS7_15LoadWithoutCastENS7_16StoreWithoutCastELi4ELi1EEEEEvT0_T1_.uses_vcc)
	.set _ZN2at6native29vectorized_elementwise_kernelILi4EZZZNS0_19digamma_kernel_cudaERNS_18TensorIteratorBaseEENKUlvE_clEvENKUlvE0_clEvEUlfE_St5arrayIPcLm2EEEEviT0_T1_.uses_flat_scratch, or(0, .L_ZN2at6native25elementwise_kernel_helperILb0EZZZNS0_19digamma_kernel_cudaERNS_18TensorIteratorBaseEENKUlvE_clEvENKUlvE0_clEvEUlfE_NS0_6memory8policies10vectorizedILi4ESt5arrayIPcLm2EELi4EEEEEvT0_T1_.uses_flat_scratch, .L_ZN2at6native25elementwise_kernel_helperILb0EZZZNS0_19digamma_kernel_cudaERNS_18TensorIteratorBaseEENKUlvE_clEvENKUlvE0_clEvEUlfE_NS0_6memory8policies11unroll_baseILi256ESt5arrayIPcLm2EE23TrivialOffsetCalculatorILi1EjESE_NS7_15LoadWithoutCastENS7_16StoreWithoutCastELi4ELi1EEEEEvT0_T1_.uses_flat_scratch)
	.set _ZN2at6native29vectorized_elementwise_kernelILi4EZZZNS0_19digamma_kernel_cudaERNS_18TensorIteratorBaseEENKUlvE_clEvENKUlvE0_clEvEUlfE_St5arrayIPcLm2EEEEviT0_T1_.has_dyn_sized_stack, or(0, .L_ZN2at6native25elementwise_kernel_helperILb0EZZZNS0_19digamma_kernel_cudaERNS_18TensorIteratorBaseEENKUlvE_clEvENKUlvE0_clEvEUlfE_NS0_6memory8policies10vectorizedILi4ESt5arrayIPcLm2EELi4EEEEEvT0_T1_.has_dyn_sized_stack, .L_ZN2at6native25elementwise_kernel_helperILb0EZZZNS0_19digamma_kernel_cudaERNS_18TensorIteratorBaseEENKUlvE_clEvENKUlvE0_clEvEUlfE_NS0_6memory8policies11unroll_baseILi256ESt5arrayIPcLm2EE23TrivialOffsetCalculatorILi1EjESE_NS7_15LoadWithoutCastENS7_16StoreWithoutCastELi4ELi1EEEEEvT0_T1_.has_dyn_sized_stack)
	.set _ZN2at6native29vectorized_elementwise_kernelILi4EZZZNS0_19digamma_kernel_cudaERNS_18TensorIteratorBaseEENKUlvE_clEvENKUlvE0_clEvEUlfE_St5arrayIPcLm2EEEEviT0_T1_.has_recursion, or(0, .L_ZN2at6native25elementwise_kernel_helperILb0EZZZNS0_19digamma_kernel_cudaERNS_18TensorIteratorBaseEENKUlvE_clEvENKUlvE0_clEvEUlfE_NS0_6memory8policies10vectorizedILi4ESt5arrayIPcLm2EELi4EEEEEvT0_T1_.has_recursion, .L_ZN2at6native25elementwise_kernel_helperILb0EZZZNS0_19digamma_kernel_cudaERNS_18TensorIteratorBaseEENKUlvE_clEvENKUlvE0_clEvEUlfE_NS0_6memory8policies11unroll_baseILi256ESt5arrayIPcLm2EE23TrivialOffsetCalculatorILi1EjESE_NS7_15LoadWithoutCastENS7_16StoreWithoutCastELi4ELi1EEEEEvT0_T1_.has_recursion)
	.set _ZN2at6native29vectorized_elementwise_kernelILi4EZZZNS0_19digamma_kernel_cudaERNS_18TensorIteratorBaseEENKUlvE_clEvENKUlvE0_clEvEUlfE_St5arrayIPcLm2EEEEviT0_T1_.has_indirect_call, or(0, .L_ZN2at6native25elementwise_kernel_helperILb0EZZZNS0_19digamma_kernel_cudaERNS_18TensorIteratorBaseEENKUlvE_clEvENKUlvE0_clEvEUlfE_NS0_6memory8policies10vectorizedILi4ESt5arrayIPcLm2EELi4EEEEEvT0_T1_.has_indirect_call, .L_ZN2at6native25elementwise_kernel_helperILb0EZZZNS0_19digamma_kernel_cudaERNS_18TensorIteratorBaseEENKUlvE_clEvENKUlvE0_clEvEUlfE_NS0_6memory8policies11unroll_baseILi256ESt5arrayIPcLm2EE23TrivialOffsetCalculatorILi1EjESE_NS7_15LoadWithoutCastENS7_16StoreWithoutCastELi4ELi1EEEEEvT0_T1_.has_indirect_call)
	.section	.AMDGPU.csdata,"",@progbits
; Kernel info:
; codeLenInByte = 184
; TotalNumSgprs: 35
; NumVgprs: 54
; ScratchSize: 0
; MemoryBound: 0
; FloatMode: 240
; IeeeMode: 1
; LDSByteSize: 0 bytes/workgroup (compile time only)
; SGPRBlocks: 0
; VGPRBlocks: 6
; NumSGPRsForWavesPerEU: 35
; NumVGPRsForWavesPerEU: 54
; Occupancy: 16
; WaveLimiterHint : 0
; COMPUTE_PGM_RSRC2:SCRATCH_EN: 0
; COMPUTE_PGM_RSRC2:USER_SGPR: 6
; COMPUTE_PGM_RSRC2:TRAP_HANDLER: 0
; COMPUTE_PGM_RSRC2:TGID_X_EN: 1
; COMPUTE_PGM_RSRC2:TGID_Y_EN: 0
; COMPUTE_PGM_RSRC2:TGID_Z_EN: 0
; COMPUTE_PGM_RSRC2:TIDIG_COMP_CNT: 0
	.section	.text._ZN2at6native29vectorized_elementwise_kernelILi2EZZZNS0_19digamma_kernel_cudaERNS_18TensorIteratorBaseEENKUlvE_clEvENKUlvE0_clEvEUlfE_St5arrayIPcLm2EEEEviT0_T1_,"axG",@progbits,_ZN2at6native29vectorized_elementwise_kernelILi2EZZZNS0_19digamma_kernel_cudaERNS_18TensorIteratorBaseEENKUlvE_clEvENKUlvE0_clEvEUlfE_St5arrayIPcLm2EEEEviT0_T1_,comdat
	.globl	_ZN2at6native29vectorized_elementwise_kernelILi2EZZZNS0_19digamma_kernel_cudaERNS_18TensorIteratorBaseEENKUlvE_clEvENKUlvE0_clEvEUlfE_St5arrayIPcLm2EEEEviT0_T1_ ; -- Begin function _ZN2at6native29vectorized_elementwise_kernelILi2EZZZNS0_19digamma_kernel_cudaERNS_18TensorIteratorBaseEENKUlvE_clEvENKUlvE0_clEvEUlfE_St5arrayIPcLm2EEEEviT0_T1_
	.p2align	8
	.type	_ZN2at6native29vectorized_elementwise_kernelILi2EZZZNS0_19digamma_kernel_cudaERNS_18TensorIteratorBaseEENKUlvE_clEvENKUlvE0_clEvEUlfE_St5arrayIPcLm2EEEEviT0_T1_,@function
_ZN2at6native29vectorized_elementwise_kernelILi2EZZZNS0_19digamma_kernel_cudaERNS_18TensorIteratorBaseEENKUlvE_clEvENKUlvE0_clEvEUlfE_St5arrayIPcLm2EEEEviT0_T1_: ; @_ZN2at6native29vectorized_elementwise_kernelILi2EZZZNS0_19digamma_kernel_cudaERNS_18TensorIteratorBaseEENKUlvE_clEvENKUlvE0_clEvEUlfE_St5arrayIPcLm2EEEEviT0_T1_
; %bb.0:
	s_add_u32 s0, s0, s7
	s_clause 0x1
	s_load_dword s7, s[4:5], 0x0
	s_load_dwordx4 s[8:11], s[4:5], 0x8
	s_addc_u32 s1, s1, 0
	s_lshl_b32 s4, s6, 10
	s_mov_b32 s5, -1
	s_mov_b32 s32, 0
	s_waitcnt lgkmcnt(0)
	s_sub_i32 s7, s7, s4
	s_cmpk_gt_i32 s7, 0x3ff
	s_cbranch_scc1 .LBB15_3
; %bb.1:
	s_and_b32 vcc_lo, exec_lo, s5
	s_cbranch_vccnz .LBB15_100
.LBB15_2:
	s_endpgm
.LBB15_3:
	s_ashr_i32 s5, s4, 31
	v_lshlrev_b32_e32 v12, 3, v0
	s_lshl_b64 s[12:13], s[4:5], 2
	v_mov_b32_e32 v4, 0
	s_add_u32 s4, s10, s12
	s_addc_u32 s5, s11, s13
	v_add_co_u32 v1, s14, s4, v12
	v_add_co_ci_u32_e64 v2, null, s5, 0, s14
                                        ; implicit-def: $vgpr3
	v_add_co_u32 v1, vcc_lo, 0x800, v1
	v_add_co_ci_u32_e64 v2, null, 0, v2, vcc_lo
	s_clause 0x1
	global_load_dwordx2 v[5:6], v12, s[4:5]
	global_load_dwordx2 v[1:2], v[1:2], off
	s_mov_b32 s4, exec_lo
	s_waitcnt vmcnt(1)
	v_cmpx_neq_f32_e32 0, v5
	s_xor_b32 s14, exec_lo, s4
	s_cbranch_execz .LBB15_25
; %bb.4:
	v_mov_b32_e32 v7, v5
	s_mov_b32 s4, -1
	s_mov_b32 s15, exec_lo
	v_cmpx_gt_f32_e32 0, v5
	s_cbranch_execz .LBB15_12
; %bb.5:
	v_trunc_f32_e32 v3, v5
	v_mov_b32_e32 v4, 0
	s_mov_b32 s5, 0
	s_mov_b32 s16, exec_lo
                                        ; implicit-def: $vgpr7
	v_cmpx_neq_f32_e32 v5, v3
	s_cbranch_execz .LBB15_11
; %bb.6:
	v_cvt_f64_f32_e32 v[3:4], v5
	s_mov_b32 s5, 0xc00921fb
	s_mov_b32 s4, 0x54442d18
	s_mov_b32 s17, exec_lo
                                        ; implicit-def: $vgpr11
                                        ; implicit-def: $vgpr9_vgpr10
	v_trunc_f64_e32 v[7:8], v[3:4]
	v_cmp_neq_f64_e64 vcc_lo, 0x7ff00000, |v[3:4]|
	v_add_f64 v[7:8], v[3:4], -v[7:8]
	v_mul_f64 v[7:8], |v[7:8]|, s[4:5]
	v_cndmask_b32_e32 v4, 0x80000000, v8, vcc_lo
	v_cndmask_b32_e32 v3, 0, v7, vcc_lo
                                        ; implicit-def: $vgpr7_vgpr8
	v_cmpx_ngt_f64_e64 0x41d00000, |v[3:4]|
	s_xor_b32 s17, exec_lo, s17
	s_cbranch_execz .LBB15_8
; %bb.7:
	v_ldexp_f64 v[7:8], |v[3:4]|, 0xffffff80
	v_cmp_le_f64_e64 vcc_lo, 0x7b000000, |v[3:4]|
	v_trig_preop_f64 v[9:10], |v[3:4]|, 0
	v_and_b32_e32 v11, 0x7fffffff, v4
	v_trig_preop_f64 v[13:14], |v[3:4]|, 1
	v_trig_preop_f64 v[23:24], |v[3:4]|, 2
	v_mov_b32_e32 v31, 0
	s_mov_b32 s5, 0x3ff921fb
	s_mov_b32 s18, 0x33145c07
	;; [unrolled: 1-line block ×3, first 2 shown]
	v_cndmask_b32_e32 v8, v11, v8, vcc_lo
	v_cndmask_b32_e32 v7, v3, v7, vcc_lo
	v_mul_f64 v[15:16], v[9:10], v[7:8]
	v_mul_f64 v[17:18], v[13:14], v[7:8]
	;; [unrolled: 1-line block ×3, first 2 shown]
	v_fma_f64 v[9:10], v[9:10], v[7:8], -v[15:16]
	v_fma_f64 v[13:14], v[13:14], v[7:8], -v[17:18]
	;; [unrolled: 1-line block ×3, first 2 shown]
	v_add_f64 v[19:20], v[17:18], v[9:10]
	v_add_f64 v[21:22], v[19:20], -v[17:18]
	v_add_f64 v[27:28], v[15:16], v[19:20]
	v_add_f64 v[25:26], v[19:20], -v[21:22]
	v_add_f64 v[9:10], v[9:10], -v[21:22]
	v_ldexp_f64 v[21:22], v[27:28], -2
	v_add_f64 v[15:16], v[27:28], -v[15:16]
	v_add_f64 v[17:18], v[17:18], -v[25:26]
	v_add_f64 v[25:26], v[29:30], v[13:14]
	v_cmp_neq_f64_e64 vcc_lo, 0x7ff00000, |v[21:22]|
	v_add_f64 v[15:16], v[19:20], -v[15:16]
	v_add_f64 v[9:10], v[9:10], v[17:18]
	v_fract_f64_e32 v[17:18], v[21:22]
	v_add_f64 v[19:20], v[25:26], v[9:10]
	v_ldexp_f64 v[17:18], v[17:18], 2
	v_add_f64 v[21:22], v[15:16], v[19:20]
	v_cndmask_b32_e32 v18, 0, v18, vcc_lo
	v_cndmask_b32_e32 v17, 0, v17, vcc_lo
	v_add_f64 v[27:28], v[21:22], v[17:18]
	v_add_f64 v[15:16], v[21:22], -v[15:16]
	v_cmp_gt_f64_e32 vcc_lo, 0, v[27:28]
	v_add_f64 v[27:28], v[25:26], -v[29:30]
	v_add_f64 v[15:16], v[19:20], -v[15:16]
	v_cndmask_b32_e64 v32, 0, 0x40100000, vcc_lo
	v_add_f64 v[36:37], v[25:26], -v[27:28]
	v_add_f64 v[13:14], v[13:14], -v[27:28]
	v_add_f64 v[17:18], v[17:18], v[31:32]
	v_add_f64 v[32:33], v[19:20], -v[25:26]
	v_add_f64 v[27:28], v[29:30], -v[36:37]
	v_add_f64 v[34:35], v[21:22], v[17:18]
	;; [unrolled: 3-line block ×3, first 2 shown]
	v_cvt_i32_f64_e32 v11, v[34:35]
	v_add_f64 v[25:26], v[25:26], -v[38:39]
	v_cvt_f64_i32_e32 v[32:33], v11
	v_add_f64 v[9:10], v[9:10], v[25:26]
	v_add_f64 v[17:18], v[17:18], -v[32:33]
	v_add_f64 v[9:10], v[13:14], v[9:10]
	v_add_f64 v[13:14], v[21:22], v[17:18]
	;; [unrolled: 1-line block ×3, first 2 shown]
	v_add_f64 v[9:10], v[13:14], -v[17:18]
	v_cmp_le_f64_e32 vcc_lo, 0.5, v[13:14]
	v_add_f64 v[7:8], v[15:16], v[7:8]
	v_add_f64 v[9:10], v[21:22], -v[9:10]
	v_cndmask_b32_e64 v32, 0, 0x3ff00000, vcc_lo
	v_add_co_ci_u32_e64 v11, null, 0, v11, vcc_lo
	v_add_f64 v[7:8], v[7:8], v[9:10]
	v_add_f64 v[9:10], v[13:14], -v[31:32]
	v_add_f64 v[13:14], v[9:10], v[7:8]
	v_mul_f64 v[15:16], v[13:14], s[4:5]
	v_add_f64 v[9:10], v[13:14], -v[9:10]
	v_fma_f64 v[17:18], v[13:14], s[4:5], -v[15:16]
	v_add_f64 v[7:8], v[7:8], -v[9:10]
	v_fma_f64 v[9:10], v[13:14], s[18:19], v[17:18]
	v_fma_f64 v[9:10], v[7:8], s[4:5], v[9:10]
	v_add_f64 v[7:8], v[15:16], v[9:10]
	v_add_f64 v[13:14], v[7:8], -v[15:16]
	v_add_f64 v[9:10], v[9:10], -v[13:14]
.LBB15_8:
	s_andn2_saveexec_b32 s4, s17
	s_cbranch_execz .LBB15_10
; %bb.9:
	s_mov_b32 s18, 0x6dc9c883
	s_mov_b32 s19, 0x3fe45f30
	;; [unrolled: 1-line block ×3, first 2 shown]
	v_mul_f64 v[7:8], |v[3:4]|, s[18:19]
	s_mov_b32 s18, 0x54442d18
	s_mov_b32 s19, 0xbff921fb
	;; [unrolled: 1-line block ×3, first 2 shown]
	v_rndne_f64_e32 v[13:14], v[7:8]
	v_fma_f64 v[7:8], v[13:14], s[18:19], |v[3:4]|
	v_mul_f64 v[9:10], v[13:14], s[20:21]
	s_mov_b32 s18, 0x252049c0
	s_mov_b32 s19, 0xb97b839a
	v_cvt_i32_f64_e32 v11, v[13:14]
	v_fma_f64 v[17:18], v[13:14], s[20:21], v[7:8]
	v_add_f64 v[15:16], v[7:8], v[9:10]
	s_mov_b32 s21, 0x3c91a626
	v_add_f64 v[7:8], v[7:8], -v[15:16]
	v_add_f64 v[15:16], v[15:16], -v[17:18]
	v_add_f64 v[7:8], v[7:8], v[9:10]
	v_fma_f64 v[9:10], v[13:14], s[20:21], v[9:10]
	v_add_f64 v[7:8], v[15:16], v[7:8]
	v_add_f64 v[7:8], v[7:8], -v[9:10]
	v_fma_f64 v[9:10], v[13:14], s[18:19], v[7:8]
	v_add_f64 v[7:8], v[17:18], v[9:10]
	v_add_f64 v[15:16], v[7:8], -v[17:18]
	v_add_f64 v[9:10], v[9:10], -v[15:16]
.LBB15_10:
	s_or_b32 exec_lo, exec_lo, s4
	v_mul_f64 v[13:14], v[7:8], v[7:8]
	v_add_f64 v[15:16], v[9:10], v[9:10]
	s_mov_b32 s18, 0xa9a29f71
	s_mov_b32 s20, 0xc751c08c
	;; [unrolled: 1-line block ×4, first 2 shown]
	v_cmp_class_f64_e64 s4, v[3:4], 0x1f8
	v_and_b32_e32 v11, 1, v11
	v_and_b32_e32 v4, 0x80000000, v4
	s_mov_b32 s5, exec_lo
	v_cmp_eq_u32_e32 vcc_lo, 0, v11
	v_fma_f64 v[17:18], v[7:8], v[7:8], -v[13:14]
	v_fma_f64 v[15:16], v[7:8], v[15:16], v[17:18]
	v_add_f64 v[13:14], v[13:14], v[15:16]
	v_fma_f64 v[15:16], v[13:14], s[20:21], s[18:19]
	s_mov_b32 s18, 0x90a8aae0
	s_mov_b32 s19, 0x3f17746f
	v_fma_f64 v[15:16], v[13:14], v[15:16], s[18:19]
	s_mov_b32 s18, 0xa6fbf144
	s_mov_b32 s19, 0xbefbb44d
	;; [unrolled: 3-line block ×13, first 2 shown]
	v_mul_f64 v[13:14], v[13:14], v[15:16]
	v_mul_f64 v[15:16], v[7:8], v[13:14]
	v_add_f64 v[17:18], v[7:8], v[15:16]
	v_fma_f64 v[13:14], v[7:8], v[13:14], -v[15:16]
	v_add_f64 v[7:8], v[17:18], -v[7:8]
	v_add_f64 v[9:10], v[9:10], v[13:14]
	v_add_f64 v[7:8], v[15:16], -v[7:8]
	v_add_f64 v[7:8], v[9:10], v[7:8]
	v_add_f64 v[9:10], v[17:18], v[7:8]
	v_rcp_f64_e32 v[13:14], v[9:10]
	v_fma_f64 v[15:16], -v[9:10], v[13:14], 1.0
	v_fma_f64 v[13:14], v[15:16], v[13:14], v[13:14]
	v_fma_f64 v[15:16], -v[9:10], v[13:14], 1.0
	v_fma_f64 v[13:14], v[15:16], v[13:14], v[13:14]
	v_add_f64 v[15:16], v[9:10], -v[17:18]
	v_mul_f64 v[17:18], v[9:10], v[13:14]
	v_add_f64 v[7:8], v[7:8], -v[15:16]
	v_fma_f64 v[15:16], v[13:14], v[9:10], -v[17:18]
	v_fma_f64 v[7:8], v[13:14], v[7:8], v[15:16]
	v_add_f64 v[15:16], v[17:18], v[7:8]
	v_add_f64 v[19:20], -v[15:16], 1.0
	v_add_f64 v[17:18], v[15:16], -v[17:18]
	v_add_f64 v[21:22], -v[19:20], 1.0
	v_add_f64 v[7:8], v[17:18], -v[7:8]
	v_add_f64 v[15:16], v[21:22], -v[15:16]
	v_add_f64 v[7:8], v[7:8], v[15:16]
	v_add_f64 v[7:8], v[19:20], v[7:8]
	v_mul_f64 v[7:8], v[13:14], v[7:8]
	v_add_f64 v[7:8], v[13:14], v[7:8]
	v_xor_b32_e32 v3, 0x80000000, v8
	v_cndmask_b32_e32 v7, v7, v9, vcc_lo
	v_cndmask_b32_e32 v3, v3, v10, vcc_lo
	v_xor_b32_e32 v4, v3, v4
	v_cndmask_b32_e64 v3, 0, v7, s4
	v_cndmask_b32_e64 v4, 0x7ff80000, v4, s4
	v_div_scale_f64 v[7:8], null, v[3:4], v[3:4], s[18:19]
	v_rcp_f64_e32 v[9:10], v[7:8]
	v_fma_f64 v[13:14], -v[7:8], v[9:10], 1.0
	v_fma_f64 v[9:10], v[9:10], v[13:14], v[9:10]
	v_fma_f64 v[13:14], -v[7:8], v[9:10], 1.0
	v_fma_f64 v[9:10], v[9:10], v[13:14], v[9:10]
	v_div_scale_f64 v[13:14], vcc_lo, s[18:19], v[3:4], s[18:19]
	v_mul_f64 v[15:16], v[13:14], v[9:10]
	v_fma_f64 v[7:8], -v[7:8], v[15:16], v[13:14]
	v_div_fmas_f64 v[7:8], v[7:8], v[9:10], v[15:16]
	v_div_fixup_f64 v[3:4], v[7:8], v[3:4], s[18:19]
	v_sub_f32_e32 v7, 1.0, v5
	v_cvt_f32_f64_e32 v4, v[3:4]
.LBB15_11:
	s_or_b32 exec_lo, exec_lo, s16
	s_orn2_b32 s4, s5, exec_lo
.LBB15_12:
	s_or_b32 exec_lo, exec_lo, s15
	v_mov_b32_e32 v3, 0x7fc00000
	s_and_saveexec_b32 s15, s4
	s_cbranch_execz .LBB15_24
; %bb.13:
	s_mov_b32 s4, exec_lo
	v_cmpx_gt_f32_e32 0x41200000, v7
	s_cbranch_execz .LBB15_17
; %bb.14:
	s_mov_b32 s5, 0
	.p2align	6
.LBB15_15:                              ; =>This Inner Loop Header: Depth=1
	v_div_scale_f32 v3, null, v7, v7, 1.0
	v_div_scale_f32 v10, vcc_lo, 1.0, v7, 1.0
	v_rcp_f32_e32 v8, v3
	v_fma_f32 v9, -v3, v8, 1.0
	v_fmac_f32_e32 v8, v9, v8
	v_mul_f32_e32 v9, v10, v8
	v_fma_f32 v11, -v3, v9, v10
	v_fmac_f32_e32 v9, v11, v8
	v_fma_f32 v3, -v3, v9, v10
	v_div_fmas_f32 v3, v3, v8, v9
	v_div_fixup_f32 v3, v3, v7, 1.0
	v_add_f32_e32 v7, 1.0, v7
	v_sub_f32_e32 v4, v4, v3
	v_cmp_ngt_f32_e32 vcc_lo, 0x41200000, v7
	s_or_b32 s5, vcc_lo, s5
	s_andn2_b32 exec_lo, exec_lo, s5
	s_cbranch_execnz .LBB15_15
; %bb.16:
	s_or_b32 exec_lo, exec_lo, s5
.LBB15_17:
	s_or_b32 exec_lo, exec_lo, s4
                                        ; implicit-def: $vgpr3
	s_mov_b32 s4, exec_lo
	v_cmpx_neq_f32_e32 0x41200000, v7
	s_xor_b32 s16, exec_lo, s4
	s_cbranch_execz .LBB15_21
; %bb.18:
	v_cvt_f64_f32_e32 v[8:9], v7
	s_mov_b32 s4, 0x85d8a000
	s_mov_b32 s5, 0x43763457
	v_mov_b32_e32 v3, 0
	v_cmp_gt_f64_e32 vcc_lo, s[4:5], v[8:9]
	s_and_saveexec_b32 s4, vcc_lo
	s_cbranch_execz .LBB15_20
; %bb.19:
	v_mul_f32_e32 v3, v7, v7
	v_div_scale_f32 v8, null, v3, v3, 1.0
	v_rcp_f32_e32 v9, v8
	v_fma_f32 v10, -v8, v9, 1.0
	v_fmac_f32_e32 v9, v10, v9
	v_div_scale_f32 v10, vcc_lo, 1.0, v3, 1.0
	v_mul_f32_e32 v11, v10, v9
	v_fma_f32 v13, -v8, v11, v10
	v_fmac_f32_e32 v11, v13, v9
	v_fma_f32 v8, -v8, v11, v10
	v_div_fmas_f32 v8, v8, v9, v11
	v_div_fixup_f32 v3, v8, v3, 1.0
	v_fmaak_f32 v8, 0, v3, 0x3daaaaab
	v_fmaak_f32 v8, v3, v8, 0xbcaccacd
	;; [unrolled: 1-line block ×7, first 2 shown]
	v_mul_f32_e32 v3, v3, v8
.LBB15_20:
	s_or_b32 exec_lo, exec_lo, s4
	v_cmp_gt_f32_e32 vcc_lo, 0x800000, v7
	v_div_scale_f32 v8, null, v7, v7, -0.5
	v_div_scale_f32 v13, s4, -0.5, v7, -0.5
	v_cndmask_b32_e64 v9, 0, 32, vcc_lo
	v_rcp_f32_e32 v10, v8
	v_ldexp_f32 v9, v7, v9
	v_log_f32_e32 v9, v9
	v_fma_f32 v11, -v8, v10, 1.0
	v_fmac_f32_e32 v10, v11, v10
	v_mul_f32_e32 v11, 0x3f317217, v9
	v_mul_f32_e32 v14, v13, v10
	v_cmp_gt_f32_e64 s5, 0x7f800000, |v9|
	v_fma_f32 v11, 0x3f317217, v9, -v11
	v_fma_f32 v15, -v8, v14, v13
	v_fmamk_f32 v11, v9, 0x3377d1cf, v11
	v_fmac_f32_e32 v14, v15, v10
	v_fmac_f32_e32 v11, 0x3f317217, v9
	v_fma_f32 v8, -v8, v14, v13
	v_cndmask_b32_e64 v9, v9, v11, s5
	v_cndmask_b32_e64 v11, 0, 0x41b17218, vcc_lo
	s_mov_b32 vcc_lo, s4
	v_div_fmas_f32 v8, v8, v10, v14
	v_sub_f32_e32 v9, v9, v11
	v_div_fixup_f32 v7, v8, v7, -0.5
	v_add_f32_e32 v7, v9, v7
	v_sub_f32_e32 v3, v7, v3
	v_add_f32_e32 v3, v4, v3
                                        ; implicit-def: $vgpr4
.LBB15_21:
	s_andn2_saveexec_b32 s4, s16
; %bb.22:
	v_add_f32_e32 v3, 0x40101cb7, v4
; %bb.23:
	s_or_b32 exec_lo, exec_lo, s4
.LBB15_24:
	s_or_b32 exec_lo, exec_lo, s15
.LBB15_25:
	s_andn2_saveexec_b32 s4, s14
; %bb.26:
	v_xor_b32_e32 v3, 0x80000000, v5
	s_mov_b32 s5, 0x7f800000
	v_bfi_b32 v3, 0x7fffffff, s5, v3
; %bb.27:
	s_or_b32 exec_lo, exec_lo, s4
	s_mov_b32 s4, exec_lo
	v_cmpx_neq_f32_e32 0, v6
	s_xor_b32 s14, exec_lo, s4
	s_cbranch_execz .LBB15_49
; %bb.28:
	v_mov_b32_e32 v5, 0
	s_mov_b32 s4, -1
	s_mov_b32 s15, exec_lo
	v_cmpx_gt_f32_e32 0, v6
	s_cbranch_execz .LBB15_36
; %bb.29:
	v_trunc_f32_e32 v4, v6
	v_mov_b32_e32 v5, 0
	s_mov_b32 s5, 0
	s_mov_b32 s16, exec_lo
	v_cmpx_neq_f32_e32 v6, v4
	s_cbranch_execz .LBB15_35
; %bb.30:
	v_cvt_f64_f32_e32 v[4:5], v6
	s_mov_b32 s5, 0xc00921fb
	s_mov_b32 s4, 0x54442d18
	s_mov_b32 s17, exec_lo
                                        ; implicit-def: $vgpr11
                                        ; implicit-def: $vgpr9_vgpr10
	v_trunc_f64_e32 v[7:8], v[4:5]
	v_cmp_neq_f64_e64 vcc_lo, 0x7ff00000, |v[4:5]|
	v_add_f64 v[7:8], v[4:5], -v[7:8]
	v_mul_f64 v[7:8], |v[7:8]|, s[4:5]
	v_cndmask_b32_e32 v5, 0x80000000, v8, vcc_lo
	v_cndmask_b32_e32 v4, 0, v7, vcc_lo
                                        ; implicit-def: $vgpr7_vgpr8
	v_cmpx_ngt_f64_e64 0x41d00000, |v[4:5]|
	s_xor_b32 s17, exec_lo, s17
	s_cbranch_execz .LBB15_32
; %bb.31:
	v_ldexp_f64 v[7:8], |v[4:5]|, 0xffffff80
	v_cmp_le_f64_e64 vcc_lo, 0x7b000000, |v[4:5]|
	v_trig_preop_f64 v[9:10], |v[4:5]|, 0
	v_and_b32_e32 v11, 0x7fffffff, v5
	v_trig_preop_f64 v[13:14], |v[4:5]|, 1
	v_trig_preop_f64 v[23:24], |v[4:5]|, 2
	v_mov_b32_e32 v31, 0
	s_mov_b32 s5, 0x3ff921fb
	s_mov_b32 s18, 0x33145c07
	;; [unrolled: 1-line block ×3, first 2 shown]
	v_cndmask_b32_e32 v8, v11, v8, vcc_lo
	v_cndmask_b32_e32 v7, v4, v7, vcc_lo
	v_mul_f64 v[15:16], v[9:10], v[7:8]
	v_mul_f64 v[17:18], v[13:14], v[7:8]
	;; [unrolled: 1-line block ×3, first 2 shown]
	v_fma_f64 v[9:10], v[9:10], v[7:8], -v[15:16]
	v_fma_f64 v[13:14], v[13:14], v[7:8], -v[17:18]
	;; [unrolled: 1-line block ×3, first 2 shown]
	v_add_f64 v[19:20], v[17:18], v[9:10]
	v_add_f64 v[21:22], v[19:20], -v[17:18]
	v_add_f64 v[27:28], v[15:16], v[19:20]
	v_add_f64 v[25:26], v[19:20], -v[21:22]
	v_add_f64 v[9:10], v[9:10], -v[21:22]
	v_ldexp_f64 v[21:22], v[27:28], -2
	v_add_f64 v[15:16], v[27:28], -v[15:16]
	v_add_f64 v[17:18], v[17:18], -v[25:26]
	v_add_f64 v[25:26], v[29:30], v[13:14]
	v_cmp_neq_f64_e64 vcc_lo, 0x7ff00000, |v[21:22]|
	v_add_f64 v[15:16], v[19:20], -v[15:16]
	v_add_f64 v[9:10], v[9:10], v[17:18]
	v_fract_f64_e32 v[17:18], v[21:22]
	v_add_f64 v[19:20], v[25:26], v[9:10]
	v_ldexp_f64 v[17:18], v[17:18], 2
	v_add_f64 v[21:22], v[15:16], v[19:20]
	v_cndmask_b32_e32 v18, 0, v18, vcc_lo
	v_cndmask_b32_e32 v17, 0, v17, vcc_lo
	v_add_f64 v[27:28], v[21:22], v[17:18]
	v_add_f64 v[15:16], v[21:22], -v[15:16]
	v_cmp_gt_f64_e32 vcc_lo, 0, v[27:28]
	v_add_f64 v[27:28], v[25:26], -v[29:30]
	v_add_f64 v[15:16], v[19:20], -v[15:16]
	v_cndmask_b32_e64 v32, 0, 0x40100000, vcc_lo
	v_add_f64 v[36:37], v[25:26], -v[27:28]
	v_add_f64 v[13:14], v[13:14], -v[27:28]
	v_add_f64 v[17:18], v[17:18], v[31:32]
	v_add_f64 v[32:33], v[19:20], -v[25:26]
	v_add_f64 v[27:28], v[29:30], -v[36:37]
	v_add_f64 v[34:35], v[21:22], v[17:18]
	v_add_f64 v[38:39], v[19:20], -v[32:33]
	v_add_f64 v[9:10], v[9:10], -v[32:33]
	v_add_f64 v[13:14], v[13:14], v[27:28]
	v_cvt_i32_f64_e32 v11, v[34:35]
	v_add_f64 v[25:26], v[25:26], -v[38:39]
	v_cvt_f64_i32_e32 v[32:33], v11
	v_add_f64 v[9:10], v[9:10], v[25:26]
	v_add_f64 v[17:18], v[17:18], -v[32:33]
	v_add_f64 v[9:10], v[13:14], v[9:10]
	v_add_f64 v[13:14], v[21:22], v[17:18]
	;; [unrolled: 1-line block ×3, first 2 shown]
	v_add_f64 v[9:10], v[13:14], -v[17:18]
	v_cmp_le_f64_e32 vcc_lo, 0.5, v[13:14]
	v_add_f64 v[7:8], v[15:16], v[7:8]
	v_add_f64 v[9:10], v[21:22], -v[9:10]
	v_cndmask_b32_e64 v32, 0, 0x3ff00000, vcc_lo
	v_add_co_ci_u32_e64 v11, null, 0, v11, vcc_lo
	v_add_f64 v[7:8], v[7:8], v[9:10]
	v_add_f64 v[9:10], v[13:14], -v[31:32]
	v_add_f64 v[13:14], v[9:10], v[7:8]
	v_mul_f64 v[15:16], v[13:14], s[4:5]
	v_add_f64 v[9:10], v[13:14], -v[9:10]
	v_fma_f64 v[17:18], v[13:14], s[4:5], -v[15:16]
	v_add_f64 v[7:8], v[7:8], -v[9:10]
	v_fma_f64 v[9:10], v[13:14], s[18:19], v[17:18]
	v_fma_f64 v[9:10], v[7:8], s[4:5], v[9:10]
	v_add_f64 v[7:8], v[15:16], v[9:10]
	v_add_f64 v[13:14], v[7:8], -v[15:16]
	v_add_f64 v[9:10], v[9:10], -v[13:14]
.LBB15_32:
	s_andn2_saveexec_b32 s4, s17
	s_cbranch_execz .LBB15_34
; %bb.33:
	s_mov_b32 s18, 0x6dc9c883
	s_mov_b32 s19, 0x3fe45f30
	;; [unrolled: 1-line block ×3, first 2 shown]
	v_mul_f64 v[7:8], |v[4:5]|, s[18:19]
	s_mov_b32 s18, 0x54442d18
	s_mov_b32 s19, 0xbff921fb
	;; [unrolled: 1-line block ×3, first 2 shown]
	v_rndne_f64_e32 v[13:14], v[7:8]
	v_fma_f64 v[7:8], v[13:14], s[18:19], |v[4:5]|
	v_mul_f64 v[9:10], v[13:14], s[20:21]
	s_mov_b32 s18, 0x252049c0
	s_mov_b32 s19, 0xb97b839a
	v_cvt_i32_f64_e32 v11, v[13:14]
	v_fma_f64 v[17:18], v[13:14], s[20:21], v[7:8]
	v_add_f64 v[15:16], v[7:8], v[9:10]
	s_mov_b32 s21, 0x3c91a626
	v_add_f64 v[7:8], v[7:8], -v[15:16]
	v_add_f64 v[15:16], v[15:16], -v[17:18]
	v_add_f64 v[7:8], v[7:8], v[9:10]
	v_fma_f64 v[9:10], v[13:14], s[20:21], v[9:10]
	v_add_f64 v[7:8], v[15:16], v[7:8]
	v_add_f64 v[7:8], v[7:8], -v[9:10]
	v_fma_f64 v[9:10], v[13:14], s[18:19], v[7:8]
	v_add_f64 v[7:8], v[17:18], v[9:10]
	v_add_f64 v[15:16], v[7:8], -v[17:18]
	v_add_f64 v[9:10], v[9:10], -v[15:16]
.LBB15_34:
	s_or_b32 exec_lo, exec_lo, s4
	v_mul_f64 v[13:14], v[7:8], v[7:8]
	v_add_f64 v[15:16], v[9:10], v[9:10]
	s_mov_b32 s18, 0xa9a29f71
	s_mov_b32 s20, 0xc751c08c
	;; [unrolled: 1-line block ×4, first 2 shown]
	v_cmp_class_f64_e64 s4, v[4:5], 0x1f8
	v_and_b32_e32 v11, 1, v11
	v_and_b32_e32 v5, 0x80000000, v5
	v_sub_f32_e32 v6, 1.0, v6
	s_mov_b32 s5, exec_lo
	v_cmp_eq_u32_e32 vcc_lo, 0, v11
	v_fma_f64 v[17:18], v[7:8], v[7:8], -v[13:14]
	v_fma_f64 v[15:16], v[7:8], v[15:16], v[17:18]
	v_add_f64 v[13:14], v[13:14], v[15:16]
	v_fma_f64 v[15:16], v[13:14], s[20:21], s[18:19]
	s_mov_b32 s18, 0x90a8aae0
	s_mov_b32 s19, 0x3f17746f
	v_fma_f64 v[15:16], v[13:14], v[15:16], s[18:19]
	s_mov_b32 s18, 0xa6fbf144
	s_mov_b32 s19, 0xbefbb44d
	;; [unrolled: 3-line block ×13, first 2 shown]
	v_mul_f64 v[13:14], v[13:14], v[15:16]
	v_mul_f64 v[15:16], v[7:8], v[13:14]
	v_add_f64 v[17:18], v[7:8], v[15:16]
	v_fma_f64 v[13:14], v[7:8], v[13:14], -v[15:16]
	v_add_f64 v[7:8], v[17:18], -v[7:8]
	v_add_f64 v[9:10], v[9:10], v[13:14]
	v_add_f64 v[7:8], v[15:16], -v[7:8]
	v_add_f64 v[7:8], v[9:10], v[7:8]
	v_add_f64 v[9:10], v[17:18], v[7:8]
	v_rcp_f64_e32 v[13:14], v[9:10]
	v_fma_f64 v[15:16], -v[9:10], v[13:14], 1.0
	v_fma_f64 v[13:14], v[15:16], v[13:14], v[13:14]
	v_fma_f64 v[15:16], -v[9:10], v[13:14], 1.0
	v_fma_f64 v[13:14], v[15:16], v[13:14], v[13:14]
	v_add_f64 v[15:16], v[9:10], -v[17:18]
	v_mul_f64 v[17:18], v[9:10], v[13:14]
	v_add_f64 v[7:8], v[7:8], -v[15:16]
	v_fma_f64 v[15:16], v[13:14], v[9:10], -v[17:18]
	v_fma_f64 v[7:8], v[13:14], v[7:8], v[15:16]
	v_add_f64 v[15:16], v[17:18], v[7:8]
	v_add_f64 v[19:20], -v[15:16], 1.0
	v_add_f64 v[17:18], v[15:16], -v[17:18]
	v_add_f64 v[21:22], -v[19:20], 1.0
	v_add_f64 v[7:8], v[17:18], -v[7:8]
	v_add_f64 v[15:16], v[21:22], -v[15:16]
	v_add_f64 v[7:8], v[7:8], v[15:16]
	v_add_f64 v[7:8], v[19:20], v[7:8]
	v_mul_f64 v[7:8], v[13:14], v[7:8]
	v_add_f64 v[7:8], v[13:14], v[7:8]
	v_xor_b32_e32 v4, 0x80000000, v8
	v_cndmask_b32_e32 v7, v7, v9, vcc_lo
	v_cndmask_b32_e32 v4, v4, v10, vcc_lo
	v_xor_b32_e32 v5, v4, v5
	v_cndmask_b32_e64 v4, 0, v7, s4
	v_cndmask_b32_e64 v5, 0x7ff80000, v5, s4
	v_div_scale_f64 v[7:8], null, v[4:5], v[4:5], s[18:19]
	v_rcp_f64_e32 v[9:10], v[7:8]
	v_fma_f64 v[13:14], -v[7:8], v[9:10], 1.0
	v_fma_f64 v[9:10], v[9:10], v[13:14], v[9:10]
	v_fma_f64 v[13:14], -v[7:8], v[9:10], 1.0
	v_fma_f64 v[9:10], v[9:10], v[13:14], v[9:10]
	v_div_scale_f64 v[13:14], vcc_lo, s[18:19], v[4:5], s[18:19]
	v_mul_f64 v[15:16], v[13:14], v[9:10]
	v_fma_f64 v[7:8], -v[7:8], v[15:16], v[13:14]
	v_div_fmas_f64 v[7:8], v[7:8], v[9:10], v[15:16]
	v_div_fixup_f64 v[4:5], v[7:8], v[4:5], s[18:19]
	v_cvt_f32_f64_e32 v5, v[4:5]
.LBB15_35:
	s_or_b32 exec_lo, exec_lo, s16
	s_orn2_b32 s4, s5, exec_lo
.LBB15_36:
	s_or_b32 exec_lo, exec_lo, s15
	v_mov_b32_e32 v4, 0x7fc00000
	s_and_saveexec_b32 s15, s4
	s_cbranch_execz .LBB15_48
; %bb.37:
	s_mov_b32 s4, exec_lo
	v_cmpx_gt_f32_e32 0x41200000, v6
	s_cbranch_execz .LBB15_41
; %bb.38:
	s_mov_b32 s5, 0
	.p2align	6
.LBB15_39:                              ; =>This Inner Loop Header: Depth=1
	v_div_scale_f32 v4, null, v6, v6, 1.0
	v_div_scale_f32 v9, vcc_lo, 1.0, v6, 1.0
	v_rcp_f32_e32 v7, v4
	v_fma_f32 v8, -v4, v7, 1.0
	v_fmac_f32_e32 v7, v8, v7
	v_mul_f32_e32 v8, v9, v7
	v_fma_f32 v10, -v4, v8, v9
	v_fmac_f32_e32 v8, v10, v7
	v_fma_f32 v4, -v4, v8, v9
	v_div_fmas_f32 v4, v4, v7, v8
	v_div_fixup_f32 v4, v4, v6, 1.0
	v_add_f32_e32 v6, 1.0, v6
	v_sub_f32_e32 v5, v5, v4
	v_cmp_ngt_f32_e32 vcc_lo, 0x41200000, v6
	s_or_b32 s5, vcc_lo, s5
	s_andn2_b32 exec_lo, exec_lo, s5
	s_cbranch_execnz .LBB15_39
; %bb.40:
	s_or_b32 exec_lo, exec_lo, s5
.LBB15_41:
	s_or_b32 exec_lo, exec_lo, s4
	s_mov_b32 s4, exec_lo
	v_cmpx_neq_f32_e32 0x41200000, v6
	s_xor_b32 s16, exec_lo, s4
	s_cbranch_execz .LBB15_45
; %bb.42:
	v_cvt_f64_f32_e32 v[7:8], v6
	s_mov_b32 s4, 0x85d8a000
	s_mov_b32 s5, 0x43763457
	v_mov_b32_e32 v4, 0
	v_cmp_gt_f64_e32 vcc_lo, s[4:5], v[7:8]
	s_and_saveexec_b32 s4, vcc_lo
	s_cbranch_execz .LBB15_44
; %bb.43:
	v_mul_f32_e32 v4, v6, v6
	v_div_scale_f32 v7, null, v4, v4, 1.0
	v_rcp_f32_e32 v8, v7
	v_fma_f32 v9, -v7, v8, 1.0
	v_fmac_f32_e32 v8, v9, v8
	v_div_scale_f32 v9, vcc_lo, 1.0, v4, 1.0
	v_mul_f32_e32 v10, v9, v8
	v_fma_f32 v11, -v7, v10, v9
	v_fmac_f32_e32 v10, v11, v8
	v_fma_f32 v7, -v7, v10, v9
	v_div_fmas_f32 v7, v7, v8, v10
	v_div_fixup_f32 v4, v7, v4, 1.0
	v_fmaak_f32 v7, 0, v4, 0x3daaaaab
	v_fmaak_f32 v7, v4, v7, 0xbcaccacd
	;; [unrolled: 1-line block ×7, first 2 shown]
	v_mul_f32_e32 v4, v4, v7
.LBB15_44:
	s_or_b32 exec_lo, exec_lo, s4
	v_cmp_gt_f32_e32 vcc_lo, 0x800000, v6
	v_div_scale_f32 v7, null, v6, v6, -0.5
	v_div_scale_f32 v11, s4, -0.5, v6, -0.5
	v_cndmask_b32_e64 v8, 0, 32, vcc_lo
	v_rcp_f32_e32 v9, v7
	v_ldexp_f32 v8, v6, v8
	v_log_f32_e32 v8, v8
	v_fma_f32 v10, -v7, v9, 1.0
	v_fmac_f32_e32 v9, v10, v9
	v_mul_f32_e32 v10, 0x3f317217, v8
	v_mul_f32_e32 v13, v11, v9
	v_cmp_gt_f32_e64 s5, 0x7f800000, |v8|
	v_fma_f32 v10, 0x3f317217, v8, -v10
	v_fma_f32 v14, -v7, v13, v11
	v_fmamk_f32 v10, v8, 0x3377d1cf, v10
	v_fmac_f32_e32 v13, v14, v9
	v_fmac_f32_e32 v10, 0x3f317217, v8
	v_fma_f32 v7, -v7, v13, v11
	v_cndmask_b32_e64 v8, v8, v10, s5
	v_cndmask_b32_e64 v10, 0, 0x41b17218, vcc_lo
	s_mov_b32 vcc_lo, s4
	v_div_fmas_f32 v7, v7, v9, v13
	v_sub_f32_e32 v8, v8, v10
	v_div_fixup_f32 v6, v7, v6, -0.5
	v_add_f32_e32 v6, v8, v6
	v_sub_f32_e32 v4, v6, v4
	v_add_f32_e32 v4, v5, v4
                                        ; implicit-def: $vgpr5
.LBB15_45:
	s_andn2_saveexec_b32 s4, s16
; %bb.46:
	v_add_f32_e32 v4, 0x40101cb7, v5
; %bb.47:
	s_or_b32 exec_lo, exec_lo, s4
.LBB15_48:
	s_or_b32 exec_lo, exec_lo, s15
                                        ; implicit-def: $vgpr5_vgpr6
.LBB15_49:
	s_andn2_saveexec_b32 s4, s14
; %bb.50:
	v_xor_b32_e32 v4, 0x80000000, v6
	s_mov_b32 s5, 0x7f800000
	v_bfi_b32 v4, 0x7fffffff, s5, v4
; %bb.51:
	s_or_b32 exec_lo, exec_lo, s4
                                        ; implicit-def: $vgpr5
	s_mov_b32 s4, exec_lo
	s_waitcnt vmcnt(0)
	v_cmpx_neq_f32_e32 0, v1
	s_xor_b32 s14, exec_lo, s4
	s_cbranch_execz .LBB15_73
; %bb.52:
	v_mov_b32_e32 v6, 0
	v_mov_b32_e32 v7, v1
	s_mov_b32 s4, -1
	s_mov_b32 s15, exec_lo
	v_cmpx_gt_f32_e32 0, v1
	s_cbranch_execz .LBB15_60
; %bb.53:
	v_trunc_f32_e32 v5, v1
	v_mov_b32_e32 v6, 0
	s_mov_b32 s5, 0
	s_mov_b32 s16, exec_lo
                                        ; implicit-def: $vgpr7
	v_cmpx_neq_f32_e32 v1, v5
	s_cbranch_execz .LBB15_59
; %bb.54:
	v_cvt_f64_f32_e32 v[5:6], v1
	s_mov_b32 s5, 0xc00921fb
	s_mov_b32 s4, 0x54442d18
	s_mov_b32 s17, exec_lo
                                        ; implicit-def: $vgpr11
                                        ; implicit-def: $vgpr9_vgpr10
	v_trunc_f64_e32 v[7:8], v[5:6]
	v_cmp_neq_f64_e64 vcc_lo, 0x7ff00000, |v[5:6]|
	v_add_f64 v[7:8], v[5:6], -v[7:8]
	v_mul_f64 v[7:8], |v[7:8]|, s[4:5]
	v_cndmask_b32_e32 v6, 0x80000000, v8, vcc_lo
	v_cndmask_b32_e32 v5, 0, v7, vcc_lo
                                        ; implicit-def: $vgpr7_vgpr8
	v_cmpx_ngt_f64_e64 0x41d00000, |v[5:6]|
	s_xor_b32 s17, exec_lo, s17
	s_cbranch_execz .LBB15_56
; %bb.55:
	v_ldexp_f64 v[7:8], |v[5:6]|, 0xffffff80
	v_cmp_le_f64_e64 vcc_lo, 0x7b000000, |v[5:6]|
	v_trig_preop_f64 v[9:10], |v[5:6]|, 0
	v_and_b32_e32 v11, 0x7fffffff, v6
	v_trig_preop_f64 v[13:14], |v[5:6]|, 1
	v_trig_preop_f64 v[23:24], |v[5:6]|, 2
	v_mov_b32_e32 v31, 0
	s_mov_b32 s5, 0x3ff921fb
	s_mov_b32 s18, 0x33145c07
	;; [unrolled: 1-line block ×3, first 2 shown]
	v_cndmask_b32_e32 v8, v11, v8, vcc_lo
	v_cndmask_b32_e32 v7, v5, v7, vcc_lo
	v_mul_f64 v[15:16], v[9:10], v[7:8]
	v_mul_f64 v[17:18], v[13:14], v[7:8]
	;; [unrolled: 1-line block ×3, first 2 shown]
	v_fma_f64 v[9:10], v[9:10], v[7:8], -v[15:16]
	v_fma_f64 v[13:14], v[13:14], v[7:8], -v[17:18]
	;; [unrolled: 1-line block ×3, first 2 shown]
	v_add_f64 v[19:20], v[17:18], v[9:10]
	v_add_f64 v[21:22], v[19:20], -v[17:18]
	v_add_f64 v[27:28], v[15:16], v[19:20]
	v_add_f64 v[25:26], v[19:20], -v[21:22]
	v_add_f64 v[9:10], v[9:10], -v[21:22]
	v_ldexp_f64 v[21:22], v[27:28], -2
	v_add_f64 v[15:16], v[27:28], -v[15:16]
	v_add_f64 v[17:18], v[17:18], -v[25:26]
	v_add_f64 v[25:26], v[29:30], v[13:14]
	v_cmp_neq_f64_e64 vcc_lo, 0x7ff00000, |v[21:22]|
	v_add_f64 v[15:16], v[19:20], -v[15:16]
	v_add_f64 v[9:10], v[9:10], v[17:18]
	v_fract_f64_e32 v[17:18], v[21:22]
	v_add_f64 v[19:20], v[25:26], v[9:10]
	v_ldexp_f64 v[17:18], v[17:18], 2
	v_add_f64 v[21:22], v[15:16], v[19:20]
	v_cndmask_b32_e32 v18, 0, v18, vcc_lo
	v_cndmask_b32_e32 v17, 0, v17, vcc_lo
	v_add_f64 v[27:28], v[21:22], v[17:18]
	v_add_f64 v[15:16], v[21:22], -v[15:16]
	v_cmp_gt_f64_e32 vcc_lo, 0, v[27:28]
	v_add_f64 v[27:28], v[25:26], -v[29:30]
	v_add_f64 v[15:16], v[19:20], -v[15:16]
	v_cndmask_b32_e64 v32, 0, 0x40100000, vcc_lo
	v_add_f64 v[36:37], v[25:26], -v[27:28]
	v_add_f64 v[13:14], v[13:14], -v[27:28]
	v_add_f64 v[17:18], v[17:18], v[31:32]
	v_add_f64 v[32:33], v[19:20], -v[25:26]
	v_add_f64 v[27:28], v[29:30], -v[36:37]
	v_add_f64 v[34:35], v[21:22], v[17:18]
	;; [unrolled: 3-line block ×3, first 2 shown]
	v_cvt_i32_f64_e32 v11, v[34:35]
	v_add_f64 v[25:26], v[25:26], -v[38:39]
	v_cvt_f64_i32_e32 v[32:33], v11
	v_add_f64 v[9:10], v[9:10], v[25:26]
	v_add_f64 v[17:18], v[17:18], -v[32:33]
	v_add_f64 v[9:10], v[13:14], v[9:10]
	v_add_f64 v[13:14], v[21:22], v[17:18]
	;; [unrolled: 1-line block ×3, first 2 shown]
	v_add_f64 v[9:10], v[13:14], -v[17:18]
	v_cmp_le_f64_e32 vcc_lo, 0.5, v[13:14]
	v_add_f64 v[7:8], v[15:16], v[7:8]
	v_add_f64 v[9:10], v[21:22], -v[9:10]
	v_cndmask_b32_e64 v32, 0, 0x3ff00000, vcc_lo
	v_add_co_ci_u32_e64 v11, null, 0, v11, vcc_lo
	v_add_f64 v[7:8], v[7:8], v[9:10]
	v_add_f64 v[9:10], v[13:14], -v[31:32]
	v_add_f64 v[13:14], v[9:10], v[7:8]
	v_mul_f64 v[15:16], v[13:14], s[4:5]
	v_add_f64 v[9:10], v[13:14], -v[9:10]
	v_fma_f64 v[17:18], v[13:14], s[4:5], -v[15:16]
	v_add_f64 v[7:8], v[7:8], -v[9:10]
	v_fma_f64 v[9:10], v[13:14], s[18:19], v[17:18]
	v_fma_f64 v[9:10], v[7:8], s[4:5], v[9:10]
	v_add_f64 v[7:8], v[15:16], v[9:10]
	v_add_f64 v[13:14], v[7:8], -v[15:16]
	v_add_f64 v[9:10], v[9:10], -v[13:14]
.LBB15_56:
	s_andn2_saveexec_b32 s4, s17
	s_cbranch_execz .LBB15_58
; %bb.57:
	s_mov_b32 s18, 0x6dc9c883
	s_mov_b32 s19, 0x3fe45f30
	;; [unrolled: 1-line block ×3, first 2 shown]
	v_mul_f64 v[7:8], |v[5:6]|, s[18:19]
	s_mov_b32 s18, 0x54442d18
	s_mov_b32 s19, 0xbff921fb
	;; [unrolled: 1-line block ×3, first 2 shown]
	v_rndne_f64_e32 v[13:14], v[7:8]
	v_fma_f64 v[7:8], v[13:14], s[18:19], |v[5:6]|
	v_mul_f64 v[9:10], v[13:14], s[20:21]
	s_mov_b32 s18, 0x252049c0
	s_mov_b32 s19, 0xb97b839a
	v_cvt_i32_f64_e32 v11, v[13:14]
	v_fma_f64 v[17:18], v[13:14], s[20:21], v[7:8]
	v_add_f64 v[15:16], v[7:8], v[9:10]
	s_mov_b32 s21, 0x3c91a626
	v_add_f64 v[7:8], v[7:8], -v[15:16]
	v_add_f64 v[15:16], v[15:16], -v[17:18]
	v_add_f64 v[7:8], v[7:8], v[9:10]
	v_fma_f64 v[9:10], v[13:14], s[20:21], v[9:10]
	v_add_f64 v[7:8], v[15:16], v[7:8]
	v_add_f64 v[7:8], v[7:8], -v[9:10]
	v_fma_f64 v[9:10], v[13:14], s[18:19], v[7:8]
	v_add_f64 v[7:8], v[17:18], v[9:10]
	v_add_f64 v[15:16], v[7:8], -v[17:18]
	v_add_f64 v[9:10], v[9:10], -v[15:16]
.LBB15_58:
	s_or_b32 exec_lo, exec_lo, s4
	v_mul_f64 v[13:14], v[7:8], v[7:8]
	v_add_f64 v[15:16], v[9:10], v[9:10]
	s_mov_b32 s18, 0xa9a29f71
	s_mov_b32 s20, 0xc751c08c
	;; [unrolled: 1-line block ×4, first 2 shown]
	v_cmp_class_f64_e64 s4, v[5:6], 0x1f8
	v_and_b32_e32 v11, 1, v11
	v_and_b32_e32 v6, 0x80000000, v6
	s_mov_b32 s5, exec_lo
	v_cmp_eq_u32_e32 vcc_lo, 0, v11
	v_fma_f64 v[17:18], v[7:8], v[7:8], -v[13:14]
	v_fma_f64 v[15:16], v[7:8], v[15:16], v[17:18]
	v_add_f64 v[13:14], v[13:14], v[15:16]
	v_fma_f64 v[15:16], v[13:14], s[20:21], s[18:19]
	s_mov_b32 s18, 0x90a8aae0
	s_mov_b32 s19, 0x3f17746f
	v_fma_f64 v[15:16], v[13:14], v[15:16], s[18:19]
	s_mov_b32 s18, 0xa6fbf144
	s_mov_b32 s19, 0xbefbb44d
	;; [unrolled: 3-line block ×13, first 2 shown]
	v_mul_f64 v[13:14], v[13:14], v[15:16]
	v_mul_f64 v[15:16], v[7:8], v[13:14]
	v_add_f64 v[17:18], v[7:8], v[15:16]
	v_fma_f64 v[13:14], v[7:8], v[13:14], -v[15:16]
	v_add_f64 v[7:8], v[17:18], -v[7:8]
	v_add_f64 v[9:10], v[9:10], v[13:14]
	v_add_f64 v[7:8], v[15:16], -v[7:8]
	v_add_f64 v[7:8], v[9:10], v[7:8]
	v_add_f64 v[9:10], v[17:18], v[7:8]
	v_rcp_f64_e32 v[13:14], v[9:10]
	v_fma_f64 v[15:16], -v[9:10], v[13:14], 1.0
	v_fma_f64 v[13:14], v[15:16], v[13:14], v[13:14]
	v_fma_f64 v[15:16], -v[9:10], v[13:14], 1.0
	v_fma_f64 v[13:14], v[15:16], v[13:14], v[13:14]
	v_add_f64 v[15:16], v[9:10], -v[17:18]
	v_mul_f64 v[17:18], v[9:10], v[13:14]
	v_add_f64 v[7:8], v[7:8], -v[15:16]
	v_fma_f64 v[15:16], v[13:14], v[9:10], -v[17:18]
	v_fma_f64 v[7:8], v[13:14], v[7:8], v[15:16]
	v_add_f64 v[15:16], v[17:18], v[7:8]
	v_add_f64 v[19:20], -v[15:16], 1.0
	v_add_f64 v[17:18], v[15:16], -v[17:18]
	v_add_f64 v[21:22], -v[19:20], 1.0
	v_add_f64 v[7:8], v[17:18], -v[7:8]
	v_add_f64 v[15:16], v[21:22], -v[15:16]
	v_add_f64 v[7:8], v[7:8], v[15:16]
	v_add_f64 v[7:8], v[19:20], v[7:8]
	v_mul_f64 v[7:8], v[13:14], v[7:8]
	v_add_f64 v[7:8], v[13:14], v[7:8]
	v_xor_b32_e32 v5, 0x80000000, v8
	v_cndmask_b32_e32 v7, v7, v9, vcc_lo
	v_cndmask_b32_e32 v5, v5, v10, vcc_lo
	v_xor_b32_e32 v6, v5, v6
	v_cndmask_b32_e64 v5, 0, v7, s4
	v_cndmask_b32_e64 v6, 0x7ff80000, v6, s4
	v_div_scale_f64 v[7:8], null, v[5:6], v[5:6], s[18:19]
	v_rcp_f64_e32 v[9:10], v[7:8]
	v_fma_f64 v[13:14], -v[7:8], v[9:10], 1.0
	v_fma_f64 v[9:10], v[9:10], v[13:14], v[9:10]
	v_fma_f64 v[13:14], -v[7:8], v[9:10], 1.0
	v_fma_f64 v[9:10], v[9:10], v[13:14], v[9:10]
	v_div_scale_f64 v[13:14], vcc_lo, s[18:19], v[5:6], s[18:19]
	v_mul_f64 v[15:16], v[13:14], v[9:10]
	v_fma_f64 v[7:8], -v[7:8], v[15:16], v[13:14]
	v_div_fmas_f64 v[7:8], v[7:8], v[9:10], v[15:16]
	v_div_fixup_f64 v[5:6], v[7:8], v[5:6], s[18:19]
	v_sub_f32_e32 v7, 1.0, v1
	v_cvt_f32_f64_e32 v6, v[5:6]
.LBB15_59:
	s_or_b32 exec_lo, exec_lo, s16
	s_orn2_b32 s4, s5, exec_lo
.LBB15_60:
	s_or_b32 exec_lo, exec_lo, s15
	v_mov_b32_e32 v5, 0x7fc00000
	s_and_saveexec_b32 s15, s4
	s_cbranch_execz .LBB15_72
; %bb.61:
	s_mov_b32 s4, exec_lo
	v_cmpx_gt_f32_e32 0x41200000, v7
	s_cbranch_execz .LBB15_65
; %bb.62:
	s_mov_b32 s5, 0
	.p2align	6
.LBB15_63:                              ; =>This Inner Loop Header: Depth=1
	v_div_scale_f32 v5, null, v7, v7, 1.0
	v_div_scale_f32 v10, vcc_lo, 1.0, v7, 1.0
	v_rcp_f32_e32 v8, v5
	v_fma_f32 v9, -v5, v8, 1.0
	v_fmac_f32_e32 v8, v9, v8
	v_mul_f32_e32 v9, v10, v8
	v_fma_f32 v11, -v5, v9, v10
	v_fmac_f32_e32 v9, v11, v8
	v_fma_f32 v5, -v5, v9, v10
	v_div_fmas_f32 v5, v5, v8, v9
	v_div_fixup_f32 v5, v5, v7, 1.0
	v_add_f32_e32 v7, 1.0, v7
	v_sub_f32_e32 v6, v6, v5
	v_cmp_ngt_f32_e32 vcc_lo, 0x41200000, v7
	s_or_b32 s5, vcc_lo, s5
	s_andn2_b32 exec_lo, exec_lo, s5
	s_cbranch_execnz .LBB15_63
; %bb.64:
	s_or_b32 exec_lo, exec_lo, s5
.LBB15_65:
	s_or_b32 exec_lo, exec_lo, s4
                                        ; implicit-def: $vgpr5
	s_mov_b32 s4, exec_lo
	v_cmpx_neq_f32_e32 0x41200000, v7
	s_xor_b32 s16, exec_lo, s4
	s_cbranch_execz .LBB15_69
; %bb.66:
	v_cvt_f64_f32_e32 v[8:9], v7
	s_mov_b32 s4, 0x85d8a000
	s_mov_b32 s5, 0x43763457
	v_mov_b32_e32 v5, 0
	v_cmp_gt_f64_e32 vcc_lo, s[4:5], v[8:9]
	s_and_saveexec_b32 s4, vcc_lo
	s_cbranch_execz .LBB15_68
; %bb.67:
	v_mul_f32_e32 v5, v7, v7
	v_div_scale_f32 v8, null, v5, v5, 1.0
	v_rcp_f32_e32 v9, v8
	v_fma_f32 v10, -v8, v9, 1.0
	v_fmac_f32_e32 v9, v10, v9
	v_div_scale_f32 v10, vcc_lo, 1.0, v5, 1.0
	v_mul_f32_e32 v11, v10, v9
	v_fma_f32 v13, -v8, v11, v10
	v_fmac_f32_e32 v11, v13, v9
	v_fma_f32 v8, -v8, v11, v10
	v_div_fmas_f32 v8, v8, v9, v11
	v_div_fixup_f32 v5, v8, v5, 1.0
	v_fmaak_f32 v8, 0, v5, 0x3daaaaab
	v_fmaak_f32 v8, v5, v8, 0xbcaccacd
	;; [unrolled: 1-line block ×7, first 2 shown]
	v_mul_f32_e32 v5, v5, v8
.LBB15_68:
	s_or_b32 exec_lo, exec_lo, s4
	v_cmp_gt_f32_e32 vcc_lo, 0x800000, v7
	v_div_scale_f32 v8, null, v7, v7, -0.5
	v_div_scale_f32 v13, s4, -0.5, v7, -0.5
	v_cndmask_b32_e64 v9, 0, 32, vcc_lo
	v_rcp_f32_e32 v10, v8
	v_ldexp_f32 v9, v7, v9
	v_log_f32_e32 v9, v9
	v_fma_f32 v11, -v8, v10, 1.0
	v_fmac_f32_e32 v10, v11, v10
	v_mul_f32_e32 v11, 0x3f317217, v9
	v_mul_f32_e32 v14, v13, v10
	v_cmp_gt_f32_e64 s5, 0x7f800000, |v9|
	v_fma_f32 v11, 0x3f317217, v9, -v11
	v_fma_f32 v15, -v8, v14, v13
	v_fmamk_f32 v11, v9, 0x3377d1cf, v11
	v_fmac_f32_e32 v14, v15, v10
	v_fmac_f32_e32 v11, 0x3f317217, v9
	v_fma_f32 v8, -v8, v14, v13
	v_cndmask_b32_e64 v9, v9, v11, s5
	v_cndmask_b32_e64 v11, 0, 0x41b17218, vcc_lo
	s_mov_b32 vcc_lo, s4
	v_div_fmas_f32 v8, v8, v10, v14
	v_sub_f32_e32 v9, v9, v11
	v_div_fixup_f32 v7, v8, v7, -0.5
	v_add_f32_e32 v7, v9, v7
	v_sub_f32_e32 v5, v7, v5
	v_add_f32_e32 v5, v6, v5
                                        ; implicit-def: $vgpr6
.LBB15_69:
	s_andn2_saveexec_b32 s4, s16
; %bb.70:
	v_add_f32_e32 v5, 0x40101cb7, v6
; %bb.71:
	s_or_b32 exec_lo, exec_lo, s4
.LBB15_72:
	s_or_b32 exec_lo, exec_lo, s15
.LBB15_73:
	s_andn2_saveexec_b32 s4, s14
; %bb.74:
	v_xor_b32_e32 v1, 0x80000000, v1
	s_mov_b32 s5, 0x7f800000
	v_bfi_b32 v5, 0x7fffffff, s5, v1
; %bb.75:
	s_or_b32 exec_lo, exec_lo, s4
	s_mov_b32 s4, exec_lo
	v_cmpx_neq_f32_e32 0, v2
	s_xor_b32 s14, exec_lo, s4
	s_cbranch_execz .LBB15_97
; %bb.76:
	v_mov_b32_e32 v1, 0
	s_mov_b32 s4, -1
	s_mov_b32 s15, exec_lo
	v_cmpx_gt_f32_e32 0, v2
	s_cbranch_execz .LBB15_84
; %bb.77:
	v_trunc_f32_e32 v1, v2
	s_mov_b32 s5, 0
	v_cmp_neq_f32_e32 vcc_lo, v2, v1
	v_mov_b32_e32 v1, 0
	s_and_saveexec_b32 s16, vcc_lo
	s_cbranch_execz .LBB15_83
; %bb.78:
	v_cvt_f64_f32_e32 v[6:7], v2
	s_mov_b32 s5, 0xc00921fb
	s_mov_b32 s4, 0x54442d18
	s_mov_b32 s17, exec_lo
                                        ; implicit-def: $vgpr1
                                        ; implicit-def: $vgpr10_vgpr11
	v_trunc_f64_e32 v[8:9], v[6:7]
	v_cmp_neq_f64_e64 vcc_lo, 0x7ff00000, |v[6:7]|
	v_add_f64 v[8:9], v[6:7], -v[8:9]
	v_mul_f64 v[8:9], |v[8:9]|, s[4:5]
	v_cndmask_b32_e32 v7, 0x80000000, v9, vcc_lo
	v_cndmask_b32_e32 v6, 0, v8, vcc_lo
                                        ; implicit-def: $vgpr8_vgpr9
	v_cmpx_ngt_f64_e64 0x41d00000, |v[6:7]|
	s_xor_b32 s17, exec_lo, s17
	s_cbranch_execz .LBB15_80
; %bb.79:
	v_ldexp_f64 v[8:9], |v[6:7]|, 0xffffff80
	v_cmp_le_f64_e64 vcc_lo, 0x7b000000, |v[6:7]|
	v_trig_preop_f64 v[10:11], |v[6:7]|, 0
	v_and_b32_e32 v1, 0x7fffffff, v7
	v_trig_preop_f64 v[13:14], |v[6:7]|, 1
	v_trig_preop_f64 v[23:24], |v[6:7]|, 2
	v_mov_b32_e32 v31, 0
	s_mov_b32 s5, 0x3ff921fb
	s_mov_b32 s18, 0x33145c07
	;; [unrolled: 1-line block ×3, first 2 shown]
	v_cndmask_b32_e32 v9, v1, v9, vcc_lo
	v_cndmask_b32_e32 v8, v6, v8, vcc_lo
	v_mul_f64 v[15:16], v[10:11], v[8:9]
	v_mul_f64 v[17:18], v[13:14], v[8:9]
	;; [unrolled: 1-line block ×3, first 2 shown]
	v_fma_f64 v[10:11], v[10:11], v[8:9], -v[15:16]
	v_fma_f64 v[13:14], v[13:14], v[8:9], -v[17:18]
	;; [unrolled: 1-line block ×3, first 2 shown]
	v_add_f64 v[19:20], v[17:18], v[10:11]
	v_add_f64 v[21:22], v[19:20], -v[17:18]
	v_add_f64 v[27:28], v[15:16], v[19:20]
	v_add_f64 v[25:26], v[19:20], -v[21:22]
	v_add_f64 v[10:11], v[10:11], -v[21:22]
	v_ldexp_f64 v[21:22], v[27:28], -2
	v_add_f64 v[15:16], v[27:28], -v[15:16]
	v_add_f64 v[17:18], v[17:18], -v[25:26]
	v_add_f64 v[25:26], v[29:30], v[13:14]
	v_cmp_neq_f64_e64 vcc_lo, 0x7ff00000, |v[21:22]|
	v_add_f64 v[15:16], v[19:20], -v[15:16]
	v_add_f64 v[10:11], v[10:11], v[17:18]
	v_fract_f64_e32 v[17:18], v[21:22]
	v_add_f64 v[19:20], v[25:26], v[10:11]
	v_ldexp_f64 v[17:18], v[17:18], 2
	v_add_f64 v[21:22], v[15:16], v[19:20]
	v_cndmask_b32_e32 v18, 0, v18, vcc_lo
	v_cndmask_b32_e32 v17, 0, v17, vcc_lo
	v_add_f64 v[27:28], v[21:22], v[17:18]
	v_add_f64 v[15:16], v[21:22], -v[15:16]
	v_cmp_gt_f64_e32 vcc_lo, 0, v[27:28]
	v_add_f64 v[27:28], v[25:26], -v[29:30]
	v_add_f64 v[15:16], v[19:20], -v[15:16]
	v_cndmask_b32_e64 v32, 0, 0x40100000, vcc_lo
	v_add_f64 v[36:37], v[25:26], -v[27:28]
	v_add_f64 v[13:14], v[13:14], -v[27:28]
	v_add_f64 v[17:18], v[17:18], v[31:32]
	v_add_f64 v[32:33], v[19:20], -v[25:26]
	v_add_f64 v[27:28], v[29:30], -v[36:37]
	v_add_f64 v[34:35], v[21:22], v[17:18]
	;; [unrolled: 3-line block ×3, first 2 shown]
	v_cvt_i32_f64_e32 v1, v[34:35]
	v_add_f64 v[25:26], v[25:26], -v[38:39]
	v_cvt_f64_i32_e32 v[32:33], v1
	v_add_f64 v[10:11], v[10:11], v[25:26]
	v_add_f64 v[17:18], v[17:18], -v[32:33]
	v_add_f64 v[10:11], v[13:14], v[10:11]
	v_add_f64 v[13:14], v[21:22], v[17:18]
	;; [unrolled: 1-line block ×3, first 2 shown]
	v_add_f64 v[10:11], v[13:14], -v[17:18]
	v_cmp_le_f64_e32 vcc_lo, 0.5, v[13:14]
	v_add_f64 v[8:9], v[15:16], v[8:9]
	v_add_f64 v[10:11], v[21:22], -v[10:11]
	v_cndmask_b32_e64 v32, 0, 0x3ff00000, vcc_lo
	v_add_co_ci_u32_e64 v1, null, 0, v1, vcc_lo
	v_add_f64 v[8:9], v[8:9], v[10:11]
	v_add_f64 v[10:11], v[13:14], -v[31:32]
	v_add_f64 v[13:14], v[10:11], v[8:9]
	v_mul_f64 v[15:16], v[13:14], s[4:5]
	v_add_f64 v[10:11], v[13:14], -v[10:11]
	v_fma_f64 v[17:18], v[13:14], s[4:5], -v[15:16]
	v_add_f64 v[8:9], v[8:9], -v[10:11]
	v_fma_f64 v[10:11], v[13:14], s[18:19], v[17:18]
	v_fma_f64 v[10:11], v[8:9], s[4:5], v[10:11]
	v_add_f64 v[8:9], v[15:16], v[10:11]
	v_add_f64 v[13:14], v[8:9], -v[15:16]
	v_add_f64 v[10:11], v[10:11], -v[13:14]
.LBB15_80:
	s_andn2_saveexec_b32 s4, s17
	s_cbranch_execz .LBB15_82
; %bb.81:
	s_mov_b32 s18, 0x6dc9c883
	s_mov_b32 s19, 0x3fe45f30
	;; [unrolled: 1-line block ×3, first 2 shown]
	v_mul_f64 v[8:9], |v[6:7]|, s[18:19]
	s_mov_b32 s18, 0x54442d18
	s_mov_b32 s19, 0xbff921fb
	;; [unrolled: 1-line block ×3, first 2 shown]
	v_rndne_f64_e32 v[13:14], v[8:9]
	v_fma_f64 v[8:9], v[13:14], s[18:19], |v[6:7]|
	v_mul_f64 v[10:11], v[13:14], s[20:21]
	s_mov_b32 s18, 0x252049c0
	s_mov_b32 s19, 0xb97b839a
	v_cvt_i32_f64_e32 v1, v[13:14]
	v_fma_f64 v[17:18], v[13:14], s[20:21], v[8:9]
	v_add_f64 v[15:16], v[8:9], v[10:11]
	s_mov_b32 s21, 0x3c91a626
	v_add_f64 v[8:9], v[8:9], -v[15:16]
	v_add_f64 v[15:16], v[15:16], -v[17:18]
	v_add_f64 v[8:9], v[8:9], v[10:11]
	v_fma_f64 v[10:11], v[13:14], s[20:21], v[10:11]
	v_add_f64 v[8:9], v[15:16], v[8:9]
	v_add_f64 v[8:9], v[8:9], -v[10:11]
	v_fma_f64 v[10:11], v[13:14], s[18:19], v[8:9]
	v_add_f64 v[8:9], v[17:18], v[10:11]
	v_add_f64 v[15:16], v[8:9], -v[17:18]
	v_add_f64 v[10:11], v[10:11], -v[15:16]
.LBB15_82:
	s_or_b32 exec_lo, exec_lo, s4
	v_mul_f64 v[13:14], v[8:9], v[8:9]
	v_add_f64 v[15:16], v[10:11], v[10:11]
	s_mov_b32 s18, 0xa9a29f71
	s_mov_b32 s20, 0xc751c08c
	s_mov_b32 s19, 0xbf078809
	s_mov_b32 s21, 0x3ef5e089
	v_cmp_class_f64_e64 s4, v[6:7], 0x1f8
	v_and_b32_e32 v1, 1, v1
	v_and_b32_e32 v7, 0x80000000, v7
	v_sub_f32_e32 v2, 1.0, v2
	s_mov_b32 s5, exec_lo
	v_cmp_eq_u32_e32 vcc_lo, 0, v1
	v_fma_f64 v[17:18], v[8:9], v[8:9], -v[13:14]
	v_fma_f64 v[15:16], v[8:9], v[15:16], v[17:18]
	v_add_f64 v[13:14], v[13:14], v[15:16]
	v_fma_f64 v[15:16], v[13:14], s[20:21], s[18:19]
	s_mov_b32 s18, 0x90a8aae0
	s_mov_b32 s19, 0x3f17746f
	v_fma_f64 v[15:16], v[13:14], v[15:16], s[18:19]
	s_mov_b32 s18, 0xa6fbf144
	s_mov_b32 s19, 0xbefbb44d
	;; [unrolled: 3-line block ×13, first 2 shown]
	v_mul_f64 v[13:14], v[13:14], v[15:16]
	v_mul_f64 v[15:16], v[8:9], v[13:14]
	v_add_f64 v[17:18], v[8:9], v[15:16]
	v_fma_f64 v[13:14], v[8:9], v[13:14], -v[15:16]
	v_add_f64 v[8:9], v[17:18], -v[8:9]
	v_add_f64 v[10:11], v[10:11], v[13:14]
	v_add_f64 v[8:9], v[15:16], -v[8:9]
	v_add_f64 v[8:9], v[10:11], v[8:9]
	v_add_f64 v[10:11], v[17:18], v[8:9]
	v_rcp_f64_e32 v[13:14], v[10:11]
	v_fma_f64 v[15:16], -v[10:11], v[13:14], 1.0
	v_fma_f64 v[13:14], v[15:16], v[13:14], v[13:14]
	v_fma_f64 v[15:16], -v[10:11], v[13:14], 1.0
	v_fma_f64 v[13:14], v[15:16], v[13:14], v[13:14]
	v_add_f64 v[15:16], v[10:11], -v[17:18]
	v_mul_f64 v[17:18], v[10:11], v[13:14]
	v_add_f64 v[8:9], v[8:9], -v[15:16]
	v_fma_f64 v[15:16], v[13:14], v[10:11], -v[17:18]
	v_fma_f64 v[8:9], v[13:14], v[8:9], v[15:16]
	v_add_f64 v[15:16], v[17:18], v[8:9]
	v_add_f64 v[19:20], -v[15:16], 1.0
	v_add_f64 v[17:18], v[15:16], -v[17:18]
	v_add_f64 v[21:22], -v[19:20], 1.0
	v_add_f64 v[8:9], v[17:18], -v[8:9]
	v_add_f64 v[15:16], v[21:22], -v[15:16]
	v_add_f64 v[8:9], v[8:9], v[15:16]
	v_add_f64 v[8:9], v[19:20], v[8:9]
	v_mul_f64 v[8:9], v[13:14], v[8:9]
	v_add_f64 v[8:9], v[13:14], v[8:9]
	v_xor_b32_e32 v6, 0x80000000, v9
	v_cndmask_b32_e32 v1, v8, v10, vcc_lo
	v_cndmask_b32_e32 v6, v6, v11, vcc_lo
	v_xor_b32_e32 v7, v6, v7
	v_cndmask_b32_e64 v6, 0, v1, s4
	v_cndmask_b32_e64 v7, 0x7ff80000, v7, s4
	v_div_scale_f64 v[8:9], null, v[6:7], v[6:7], s[18:19]
	v_rcp_f64_e32 v[10:11], v[8:9]
	v_fma_f64 v[13:14], -v[8:9], v[10:11], 1.0
	v_fma_f64 v[10:11], v[10:11], v[13:14], v[10:11]
	v_fma_f64 v[13:14], -v[8:9], v[10:11], 1.0
	v_fma_f64 v[10:11], v[10:11], v[13:14], v[10:11]
	v_div_scale_f64 v[13:14], vcc_lo, s[18:19], v[6:7], s[18:19]
	v_mul_f64 v[15:16], v[13:14], v[10:11]
	v_fma_f64 v[8:9], -v[8:9], v[15:16], v[13:14]
	v_div_fmas_f64 v[8:9], v[8:9], v[10:11], v[15:16]
	v_div_fixup_f64 v[6:7], v[8:9], v[6:7], s[18:19]
	v_cvt_f32_f64_e32 v1, v[6:7]
.LBB15_83:
	s_or_b32 exec_lo, exec_lo, s16
	s_orn2_b32 s4, s5, exec_lo
.LBB15_84:
	s_or_b32 exec_lo, exec_lo, s15
	v_mov_b32_e32 v6, 0x7fc00000
	s_and_saveexec_b32 s15, s4
	s_cbranch_execz .LBB15_96
; %bb.85:
	s_mov_b32 s4, exec_lo
	v_cmpx_gt_f32_e32 0x41200000, v2
	s_cbranch_execz .LBB15_89
; %bb.86:
	s_mov_b32 s5, 0
	.p2align	6
.LBB15_87:                              ; =>This Inner Loop Header: Depth=1
	v_div_scale_f32 v6, null, v2, v2, 1.0
	v_div_scale_f32 v9, vcc_lo, 1.0, v2, 1.0
	v_rcp_f32_e32 v7, v6
	v_fma_f32 v8, -v6, v7, 1.0
	v_fmac_f32_e32 v7, v8, v7
	v_mul_f32_e32 v8, v9, v7
	v_fma_f32 v10, -v6, v8, v9
	v_fmac_f32_e32 v8, v10, v7
	v_fma_f32 v6, -v6, v8, v9
	v_div_fmas_f32 v6, v6, v7, v8
	v_div_fixup_f32 v6, v6, v2, 1.0
	v_add_f32_e32 v2, 1.0, v2
	v_sub_f32_e32 v1, v1, v6
	v_cmp_ngt_f32_e32 vcc_lo, 0x41200000, v2
	s_or_b32 s5, vcc_lo, s5
	s_andn2_b32 exec_lo, exec_lo, s5
	s_cbranch_execnz .LBB15_87
; %bb.88:
	s_or_b32 exec_lo, exec_lo, s5
.LBB15_89:
	s_or_b32 exec_lo, exec_lo, s4
	s_mov_b32 s4, exec_lo
	v_cmpx_neq_f32_e32 0x41200000, v2
	s_xor_b32 s16, exec_lo, s4
	s_cbranch_execz .LBB15_93
; %bb.90:
	v_cvt_f64_f32_e32 v[6:7], v2
	s_mov_b32 s4, 0x85d8a000
	s_mov_b32 s5, 0x43763457
	v_cmp_gt_f64_e32 vcc_lo, s[4:5], v[6:7]
	v_mov_b32_e32 v6, 0
	s_and_saveexec_b32 s4, vcc_lo
	s_cbranch_execz .LBB15_92
; %bb.91:
	v_mul_f32_e32 v6, v2, v2
	v_div_scale_f32 v7, null, v6, v6, 1.0
	v_rcp_f32_e32 v8, v7
	v_fma_f32 v9, -v7, v8, 1.0
	v_fmac_f32_e32 v8, v9, v8
	v_div_scale_f32 v9, vcc_lo, 1.0, v6, 1.0
	v_mul_f32_e32 v10, v9, v8
	v_fma_f32 v11, -v7, v10, v9
	v_fmac_f32_e32 v10, v11, v8
	v_fma_f32 v7, -v7, v10, v9
	v_div_fmas_f32 v7, v7, v8, v10
	v_div_fixup_f32 v6, v7, v6, 1.0
	v_fmaak_f32 v7, 0, v6, 0x3daaaaab
	v_fmaak_f32 v7, v6, v7, 0xbcaccacd
	;; [unrolled: 1-line block ×7, first 2 shown]
	v_mul_f32_e32 v6, v6, v7
.LBB15_92:
	s_or_b32 exec_lo, exec_lo, s4
	v_cmp_gt_f32_e32 vcc_lo, 0x800000, v2
	v_div_scale_f32 v7, null, v2, v2, -0.5
	v_div_scale_f32 v11, s4, -0.5, v2, -0.5
	v_cndmask_b32_e64 v8, 0, 32, vcc_lo
	v_rcp_f32_e32 v9, v7
	v_ldexp_f32 v8, v2, v8
	v_log_f32_e32 v8, v8
	v_fma_f32 v10, -v7, v9, 1.0
	v_fmac_f32_e32 v9, v10, v9
	v_mul_f32_e32 v10, 0x3f317217, v8
	v_mul_f32_e32 v13, v11, v9
	v_cmp_gt_f32_e64 s5, 0x7f800000, |v8|
	v_fma_f32 v10, 0x3f317217, v8, -v10
	v_fma_f32 v14, -v7, v13, v11
	v_fmamk_f32 v10, v8, 0x3377d1cf, v10
	v_fmac_f32_e32 v13, v14, v9
	v_fmac_f32_e32 v10, 0x3f317217, v8
	v_fma_f32 v7, -v7, v13, v11
	v_cndmask_b32_e64 v8, v8, v10, s5
	v_cndmask_b32_e64 v10, 0, 0x41b17218, vcc_lo
	s_mov_b32 vcc_lo, s4
	v_div_fmas_f32 v7, v7, v9, v13
	v_sub_f32_e32 v8, v8, v10
	v_div_fixup_f32 v2, v7, v2, -0.5
	v_add_f32_e32 v2, v8, v2
	v_sub_f32_e32 v2, v2, v6
	v_add_f32_e32 v6, v1, v2
                                        ; implicit-def: $vgpr1
.LBB15_93:
	s_andn2_saveexec_b32 s4, s16
; %bb.94:
	v_add_f32_e32 v6, 0x40101cb7, v1
; %bb.95:
	s_or_b32 exec_lo, exec_lo, s4
.LBB15_96:
	s_or_b32 exec_lo, exec_lo, s15
                                        ; implicit-def: $vgpr1_vgpr2
.LBB15_97:
	s_andn2_saveexec_b32 s4, s14
; %bb.98:
	v_xor_b32_e32 v1, 0x80000000, v2
	s_mov_b32 s5, 0x7f800000
	v_bfi_b32 v6, 0x7fffffff, s5, v1
; %bb.99:
	s_or_b32 exec_lo, exec_lo, s4
	s_add_u32 s4, s8, s12
	s_addc_u32 s5, s9, s13
	v_add_co_u32 v1, s12, s4, v12
	v_add_co_ci_u32_e64 v2, null, s5, 0, s12
	global_store_dwordx2 v12, v[3:4], s[4:5]
	v_add_co_u32 v1, vcc_lo, 0x800, v1
	v_add_co_ci_u32_e64 v2, null, 0, v2, vcc_lo
	global_store_dwordx2 v[1:2], v[5:6], off
	s_branch .LBB15_2
.LBB15_100:
	v_mov_b32_e32 v31, v0
	v_mov_b32_e32 v0, s8
	;; [unrolled: 1-line block ×6, first 2 shown]
	s_getpc_b64 s[4:5]
	s_add_u32 s4, s4, _ZN2at6native25elementwise_kernel_helperILb0EZZZNS0_19digamma_kernel_cudaERNS_18TensorIteratorBaseEENKUlvE_clEvENKUlvE0_clEvEUlfE_NS0_6memory8policies11unroll_baseILi256ESt5arrayIPcLm2EE23TrivialOffsetCalculatorILi1EjESE_NS7_15LoadWithoutCastENS7_16StoreWithoutCastELi4ELi1EEEEEvT0_T1_@rel32@lo+4
	s_addc_u32 s5, s5, _ZN2at6native25elementwise_kernel_helperILb0EZZZNS0_19digamma_kernel_cudaERNS_18TensorIteratorBaseEENKUlvE_clEvENKUlvE0_clEvEUlfE_NS0_6memory8policies11unroll_baseILi256ESt5arrayIPcLm2EE23TrivialOffsetCalculatorILi1EjESE_NS7_15LoadWithoutCastENS7_16StoreWithoutCastELi4ELi1EEEEEvT0_T1_@rel32@hi+12
	s_mov_b32 s12, s6
	s_swappc_b64 s[30:31], s[4:5]
	s_endpgm
	.section	.rodata,"a",@progbits
	.p2align	6, 0x0
	.amdhsa_kernel _ZN2at6native29vectorized_elementwise_kernelILi2EZZZNS0_19digamma_kernel_cudaERNS_18TensorIteratorBaseEENKUlvE_clEvENKUlvE0_clEvEUlfE_St5arrayIPcLm2EEEEviT0_T1_
		.amdhsa_group_segment_fixed_size 0
		.amdhsa_private_segment_fixed_size 0
		.amdhsa_kernarg_size 24
		.amdhsa_user_sgpr_count 6
		.amdhsa_user_sgpr_private_segment_buffer 1
		.amdhsa_user_sgpr_dispatch_ptr 0
		.amdhsa_user_sgpr_queue_ptr 0
		.amdhsa_user_sgpr_kernarg_segment_ptr 1
		.amdhsa_user_sgpr_dispatch_id 0
		.amdhsa_user_sgpr_flat_scratch_init 0
		.amdhsa_user_sgpr_private_segment_size 0
		.amdhsa_wavefront_size32 1
		.amdhsa_uses_dynamic_stack 0
		.amdhsa_system_sgpr_private_segment_wavefront_offset 0
		.amdhsa_system_sgpr_workgroup_id_x 1
		.amdhsa_system_sgpr_workgroup_id_y 0
		.amdhsa_system_sgpr_workgroup_id_z 0
		.amdhsa_system_sgpr_workgroup_info 0
		.amdhsa_system_vgpr_workitem_id 0
		.amdhsa_next_free_vgpr 54
		.amdhsa_next_free_sgpr 33
		.amdhsa_reserve_vcc 1
		.amdhsa_reserve_flat_scratch 0
		.amdhsa_float_round_mode_32 0
		.amdhsa_float_round_mode_16_64 0
		.amdhsa_float_denorm_mode_32 3
		.amdhsa_float_denorm_mode_16_64 3
		.amdhsa_dx10_clamp 1
		.amdhsa_ieee_mode 1
		.amdhsa_fp16_overflow 0
		.amdhsa_workgroup_processor_mode 1
		.amdhsa_memory_ordered 1
		.amdhsa_forward_progress 1
		.amdhsa_shared_vgpr_count 0
		.amdhsa_exception_fp_ieee_invalid_op 0
		.amdhsa_exception_fp_denorm_src 0
		.amdhsa_exception_fp_ieee_div_zero 0
		.amdhsa_exception_fp_ieee_overflow 0
		.amdhsa_exception_fp_ieee_underflow 0
		.amdhsa_exception_fp_ieee_inexact 0
		.amdhsa_exception_int_div_zero 0
	.end_amdhsa_kernel
	.section	.text._ZN2at6native29vectorized_elementwise_kernelILi2EZZZNS0_19digamma_kernel_cudaERNS_18TensorIteratorBaseEENKUlvE_clEvENKUlvE0_clEvEUlfE_St5arrayIPcLm2EEEEviT0_T1_,"axG",@progbits,_ZN2at6native29vectorized_elementwise_kernelILi2EZZZNS0_19digamma_kernel_cudaERNS_18TensorIteratorBaseEENKUlvE_clEvENKUlvE0_clEvEUlfE_St5arrayIPcLm2EEEEviT0_T1_,comdat
.Lfunc_end15:
	.size	_ZN2at6native29vectorized_elementwise_kernelILi2EZZZNS0_19digamma_kernel_cudaERNS_18TensorIteratorBaseEENKUlvE_clEvENKUlvE0_clEvEUlfE_St5arrayIPcLm2EEEEviT0_T1_, .Lfunc_end15-_ZN2at6native29vectorized_elementwise_kernelILi2EZZZNS0_19digamma_kernel_cudaERNS_18TensorIteratorBaseEENKUlvE_clEvENKUlvE0_clEvEUlfE_St5arrayIPcLm2EEEEviT0_T1_
                                        ; -- End function
	.set _ZN2at6native29vectorized_elementwise_kernelILi2EZZZNS0_19digamma_kernel_cudaERNS_18TensorIteratorBaseEENKUlvE_clEvENKUlvE0_clEvEUlfE_St5arrayIPcLm2EEEEviT0_T1_.num_vgpr, max(40, .L_ZN2at6native25elementwise_kernel_helperILb0EZZZNS0_19digamma_kernel_cudaERNS_18TensorIteratorBaseEENKUlvE_clEvENKUlvE0_clEvEUlfE_NS0_6memory8policies11unroll_baseILi256ESt5arrayIPcLm2EE23TrivialOffsetCalculatorILi1EjESE_NS7_15LoadWithoutCastENS7_16StoreWithoutCastELi4ELi1EEEEEvT0_T1_.num_vgpr)
	.set _ZN2at6native29vectorized_elementwise_kernelILi2EZZZNS0_19digamma_kernel_cudaERNS_18TensorIteratorBaseEENKUlvE_clEvENKUlvE0_clEvEUlfE_St5arrayIPcLm2EEEEviT0_T1_.num_agpr, max(0, .L_ZN2at6native25elementwise_kernel_helperILb0EZZZNS0_19digamma_kernel_cudaERNS_18TensorIteratorBaseEENKUlvE_clEvENKUlvE0_clEvEUlfE_NS0_6memory8policies11unroll_baseILi256ESt5arrayIPcLm2EE23TrivialOffsetCalculatorILi1EjESE_NS7_15LoadWithoutCastENS7_16StoreWithoutCastELi4ELi1EEEEEvT0_T1_.num_agpr)
	.set _ZN2at6native29vectorized_elementwise_kernelILi2EZZZNS0_19digamma_kernel_cudaERNS_18TensorIteratorBaseEENKUlvE_clEvENKUlvE0_clEvEUlfE_St5arrayIPcLm2EEEEviT0_T1_.numbered_sgpr, max(33, .L_ZN2at6native25elementwise_kernel_helperILb0EZZZNS0_19digamma_kernel_cudaERNS_18TensorIteratorBaseEENKUlvE_clEvENKUlvE0_clEvEUlfE_NS0_6memory8policies11unroll_baseILi256ESt5arrayIPcLm2EE23TrivialOffsetCalculatorILi1EjESE_NS7_15LoadWithoutCastENS7_16StoreWithoutCastELi4ELi1EEEEEvT0_T1_.numbered_sgpr)
	.set _ZN2at6native29vectorized_elementwise_kernelILi2EZZZNS0_19digamma_kernel_cudaERNS_18TensorIteratorBaseEENKUlvE_clEvENKUlvE0_clEvEUlfE_St5arrayIPcLm2EEEEviT0_T1_.num_named_barrier, max(0, .L_ZN2at6native25elementwise_kernel_helperILb0EZZZNS0_19digamma_kernel_cudaERNS_18TensorIteratorBaseEENKUlvE_clEvENKUlvE0_clEvEUlfE_NS0_6memory8policies11unroll_baseILi256ESt5arrayIPcLm2EE23TrivialOffsetCalculatorILi1EjESE_NS7_15LoadWithoutCastENS7_16StoreWithoutCastELi4ELi1EEEEEvT0_T1_.num_named_barrier)
	.set _ZN2at6native29vectorized_elementwise_kernelILi2EZZZNS0_19digamma_kernel_cudaERNS_18TensorIteratorBaseEENKUlvE_clEvENKUlvE0_clEvEUlfE_St5arrayIPcLm2EEEEviT0_T1_.private_seg_size, 0+max(.L_ZN2at6native25elementwise_kernel_helperILb0EZZZNS0_19digamma_kernel_cudaERNS_18TensorIteratorBaseEENKUlvE_clEvENKUlvE0_clEvEUlfE_NS0_6memory8policies11unroll_baseILi256ESt5arrayIPcLm2EE23TrivialOffsetCalculatorILi1EjESE_NS7_15LoadWithoutCastENS7_16StoreWithoutCastELi4ELi1EEEEEvT0_T1_.private_seg_size)
	.set _ZN2at6native29vectorized_elementwise_kernelILi2EZZZNS0_19digamma_kernel_cudaERNS_18TensorIteratorBaseEENKUlvE_clEvENKUlvE0_clEvEUlfE_St5arrayIPcLm2EEEEviT0_T1_.uses_vcc, or(1, .L_ZN2at6native25elementwise_kernel_helperILb0EZZZNS0_19digamma_kernel_cudaERNS_18TensorIteratorBaseEENKUlvE_clEvENKUlvE0_clEvEUlfE_NS0_6memory8policies11unroll_baseILi256ESt5arrayIPcLm2EE23TrivialOffsetCalculatorILi1EjESE_NS7_15LoadWithoutCastENS7_16StoreWithoutCastELi4ELi1EEEEEvT0_T1_.uses_vcc)
	.set _ZN2at6native29vectorized_elementwise_kernelILi2EZZZNS0_19digamma_kernel_cudaERNS_18TensorIteratorBaseEENKUlvE_clEvENKUlvE0_clEvEUlfE_St5arrayIPcLm2EEEEviT0_T1_.uses_flat_scratch, or(0, .L_ZN2at6native25elementwise_kernel_helperILb0EZZZNS0_19digamma_kernel_cudaERNS_18TensorIteratorBaseEENKUlvE_clEvENKUlvE0_clEvEUlfE_NS0_6memory8policies11unroll_baseILi256ESt5arrayIPcLm2EE23TrivialOffsetCalculatorILi1EjESE_NS7_15LoadWithoutCastENS7_16StoreWithoutCastELi4ELi1EEEEEvT0_T1_.uses_flat_scratch)
	.set _ZN2at6native29vectorized_elementwise_kernelILi2EZZZNS0_19digamma_kernel_cudaERNS_18TensorIteratorBaseEENKUlvE_clEvENKUlvE0_clEvEUlfE_St5arrayIPcLm2EEEEviT0_T1_.has_dyn_sized_stack, or(0, .L_ZN2at6native25elementwise_kernel_helperILb0EZZZNS0_19digamma_kernel_cudaERNS_18TensorIteratorBaseEENKUlvE_clEvENKUlvE0_clEvEUlfE_NS0_6memory8policies11unroll_baseILi256ESt5arrayIPcLm2EE23TrivialOffsetCalculatorILi1EjESE_NS7_15LoadWithoutCastENS7_16StoreWithoutCastELi4ELi1EEEEEvT0_T1_.has_dyn_sized_stack)
	.set _ZN2at6native29vectorized_elementwise_kernelILi2EZZZNS0_19digamma_kernel_cudaERNS_18TensorIteratorBaseEENKUlvE_clEvENKUlvE0_clEvEUlfE_St5arrayIPcLm2EEEEviT0_T1_.has_recursion, or(0, .L_ZN2at6native25elementwise_kernel_helperILb0EZZZNS0_19digamma_kernel_cudaERNS_18TensorIteratorBaseEENKUlvE_clEvENKUlvE0_clEvEUlfE_NS0_6memory8policies11unroll_baseILi256ESt5arrayIPcLm2EE23TrivialOffsetCalculatorILi1EjESE_NS7_15LoadWithoutCastENS7_16StoreWithoutCastELi4ELi1EEEEEvT0_T1_.has_recursion)
	.set _ZN2at6native29vectorized_elementwise_kernelILi2EZZZNS0_19digamma_kernel_cudaERNS_18TensorIteratorBaseEENKUlvE_clEvENKUlvE0_clEvEUlfE_St5arrayIPcLm2EEEEviT0_T1_.has_indirect_call, or(0, .L_ZN2at6native25elementwise_kernel_helperILb0EZZZNS0_19digamma_kernel_cudaERNS_18TensorIteratorBaseEENKUlvE_clEvENKUlvE0_clEvEUlfE_NS0_6memory8policies11unroll_baseILi256ESt5arrayIPcLm2EE23TrivialOffsetCalculatorILi1EjESE_NS7_15LoadWithoutCastENS7_16StoreWithoutCastELi4ELi1EEEEEvT0_T1_.has_indirect_call)
	.section	.AMDGPU.csdata,"",@progbits
; Kernel info:
; codeLenInByte = 9756
; TotalNumSgprs: 35
; NumVgprs: 54
; ScratchSize: 0
; MemoryBound: 0
; FloatMode: 240
; IeeeMode: 1
; LDSByteSize: 0 bytes/workgroup (compile time only)
; SGPRBlocks: 0
; VGPRBlocks: 6
; NumSGPRsForWavesPerEU: 35
; NumVGPRsForWavesPerEU: 54
; Occupancy: 16
; WaveLimiterHint : 1
; COMPUTE_PGM_RSRC2:SCRATCH_EN: 0
; COMPUTE_PGM_RSRC2:USER_SGPR: 6
; COMPUTE_PGM_RSRC2:TRAP_HANDLER: 0
; COMPUTE_PGM_RSRC2:TGID_X_EN: 1
; COMPUTE_PGM_RSRC2:TGID_Y_EN: 0
; COMPUTE_PGM_RSRC2:TGID_Z_EN: 0
; COMPUTE_PGM_RSRC2:TIDIG_COMP_CNT: 0
	.section	.text._ZN2at6native27unrolled_elementwise_kernelIZZZNS0_19digamma_kernel_cudaERNS_18TensorIteratorBaseEENKUlvE_clEvENKUlvE0_clEvEUlfE_St5arrayIPcLm2EELi4E23TrivialOffsetCalculatorILi1EjESB_NS0_6memory15LoadWithoutCastENSC_16StoreWithoutCastEEEviT_T0_T2_T3_T4_T5_,"axG",@progbits,_ZN2at6native27unrolled_elementwise_kernelIZZZNS0_19digamma_kernel_cudaERNS_18TensorIteratorBaseEENKUlvE_clEvENKUlvE0_clEvEUlfE_St5arrayIPcLm2EELi4E23TrivialOffsetCalculatorILi1EjESB_NS0_6memory15LoadWithoutCastENSC_16StoreWithoutCastEEEviT_T0_T2_T3_T4_T5_,comdat
	.globl	_ZN2at6native27unrolled_elementwise_kernelIZZZNS0_19digamma_kernel_cudaERNS_18TensorIteratorBaseEENKUlvE_clEvENKUlvE0_clEvEUlfE_St5arrayIPcLm2EELi4E23TrivialOffsetCalculatorILi1EjESB_NS0_6memory15LoadWithoutCastENSC_16StoreWithoutCastEEEviT_T0_T2_T3_T4_T5_ ; -- Begin function _ZN2at6native27unrolled_elementwise_kernelIZZZNS0_19digamma_kernel_cudaERNS_18TensorIteratorBaseEENKUlvE_clEvENKUlvE0_clEvEUlfE_St5arrayIPcLm2EELi4E23TrivialOffsetCalculatorILi1EjESB_NS0_6memory15LoadWithoutCastENSC_16StoreWithoutCastEEEviT_T0_T2_T3_T4_T5_
	.p2align	8
	.type	_ZN2at6native27unrolled_elementwise_kernelIZZZNS0_19digamma_kernel_cudaERNS_18TensorIteratorBaseEENKUlvE_clEvENKUlvE0_clEvEUlfE_St5arrayIPcLm2EELi4E23TrivialOffsetCalculatorILi1EjESB_NS0_6memory15LoadWithoutCastENSC_16StoreWithoutCastEEEviT_T0_T2_T3_T4_T5_,@function
_ZN2at6native27unrolled_elementwise_kernelIZZZNS0_19digamma_kernel_cudaERNS_18TensorIteratorBaseEENKUlvE_clEvENKUlvE0_clEvEUlfE_St5arrayIPcLm2EELi4E23TrivialOffsetCalculatorILi1EjESB_NS0_6memory15LoadWithoutCastENSC_16StoreWithoutCastEEEviT_T0_T2_T3_T4_T5_: ; @_ZN2at6native27unrolled_elementwise_kernelIZZZNS0_19digamma_kernel_cudaERNS_18TensorIteratorBaseEENKUlvE_clEvENKUlvE0_clEvEUlfE_St5arrayIPcLm2EELi4E23TrivialOffsetCalculatorILi1EjESB_NS0_6memory15LoadWithoutCastENSC_16StoreWithoutCastEEEviT_T0_T2_T3_T4_T5_
; %bb.0:
	s_add_u32 s0, s0, s7
	s_clause 0x1
	s_load_dword s7, s[4:5], 0x0
	s_load_dwordx4 s[8:11], s[4:5], 0x8
	s_addc_u32 s1, s1, 0
	s_lshl_b32 s12, s6, 10
	s_getpc_b64 s[4:5]
	s_add_u32 s4, s4, _ZN2at6native25elementwise_kernel_helperILb0EZZZNS0_19digamma_kernel_cudaERNS_18TensorIteratorBaseEENKUlvE_clEvENKUlvE0_clEvEUlfE_NS0_6memory8policies11unroll_baseILi256ESt5arrayIPcLm2EE23TrivialOffsetCalculatorILi1EjESE_NS7_15LoadWithoutCastENS7_16StoreWithoutCastELi4ELi1EEEEEvT0_T1_@rel32@lo+4
	s_addc_u32 s5, s5, _ZN2at6native25elementwise_kernel_helperILb0EZZZNS0_19digamma_kernel_cudaERNS_18TensorIteratorBaseEENKUlvE_clEvENKUlvE0_clEvEUlfE_NS0_6memory8policies11unroll_baseILi256ESt5arrayIPcLm2EE23TrivialOffsetCalculatorILi1EjESE_NS7_15LoadWithoutCastENS7_16StoreWithoutCastELi4ELi1EEEEEvT0_T1_@rel32@hi+12
	v_mov_b32_e32 v31, v0
	s_mov_b32 s32, 0
	s_waitcnt lgkmcnt(0)
	s_sub_i32 s7, s7, s12
	v_mov_b32_e32 v0, s8
	v_mov_b32_e32 v1, s9
	;; [unrolled: 1-line block ×5, first 2 shown]
	s_mov_b32 s12, s6
	s_swappc_b64 s[30:31], s[4:5]
	s_endpgm
	.section	.rodata,"a",@progbits
	.p2align	6, 0x0
	.amdhsa_kernel _ZN2at6native27unrolled_elementwise_kernelIZZZNS0_19digamma_kernel_cudaERNS_18TensorIteratorBaseEENKUlvE_clEvENKUlvE0_clEvEUlfE_St5arrayIPcLm2EELi4E23TrivialOffsetCalculatorILi1EjESB_NS0_6memory15LoadWithoutCastENSC_16StoreWithoutCastEEEviT_T0_T2_T3_T4_T5_
		.amdhsa_group_segment_fixed_size 0
		.amdhsa_private_segment_fixed_size 0
		.amdhsa_kernarg_size 28
		.amdhsa_user_sgpr_count 6
		.amdhsa_user_sgpr_private_segment_buffer 1
		.amdhsa_user_sgpr_dispatch_ptr 0
		.amdhsa_user_sgpr_queue_ptr 0
		.amdhsa_user_sgpr_kernarg_segment_ptr 1
		.amdhsa_user_sgpr_dispatch_id 0
		.amdhsa_user_sgpr_flat_scratch_init 0
		.amdhsa_user_sgpr_private_segment_size 0
		.amdhsa_wavefront_size32 1
		.amdhsa_uses_dynamic_stack 0
		.amdhsa_system_sgpr_private_segment_wavefront_offset 0
		.amdhsa_system_sgpr_workgroup_id_x 1
		.amdhsa_system_sgpr_workgroup_id_y 0
		.amdhsa_system_sgpr_workgroup_id_z 0
		.amdhsa_system_sgpr_workgroup_info 0
		.amdhsa_system_vgpr_workitem_id 0
		.amdhsa_next_free_vgpr 54
		.amdhsa_next_free_sgpr 33
		.amdhsa_reserve_vcc 1
		.amdhsa_reserve_flat_scratch 0
		.amdhsa_float_round_mode_32 0
		.amdhsa_float_round_mode_16_64 0
		.amdhsa_float_denorm_mode_32 3
		.amdhsa_float_denorm_mode_16_64 3
		.amdhsa_dx10_clamp 1
		.amdhsa_ieee_mode 1
		.amdhsa_fp16_overflow 0
		.amdhsa_workgroup_processor_mode 1
		.amdhsa_memory_ordered 1
		.amdhsa_forward_progress 1
		.amdhsa_shared_vgpr_count 0
		.amdhsa_exception_fp_ieee_invalid_op 0
		.amdhsa_exception_fp_denorm_src 0
		.amdhsa_exception_fp_ieee_div_zero 0
		.amdhsa_exception_fp_ieee_overflow 0
		.amdhsa_exception_fp_ieee_underflow 0
		.amdhsa_exception_fp_ieee_inexact 0
		.amdhsa_exception_int_div_zero 0
	.end_amdhsa_kernel
	.section	.text._ZN2at6native27unrolled_elementwise_kernelIZZZNS0_19digamma_kernel_cudaERNS_18TensorIteratorBaseEENKUlvE_clEvENKUlvE0_clEvEUlfE_St5arrayIPcLm2EELi4E23TrivialOffsetCalculatorILi1EjESB_NS0_6memory15LoadWithoutCastENSC_16StoreWithoutCastEEEviT_T0_T2_T3_T4_T5_,"axG",@progbits,_ZN2at6native27unrolled_elementwise_kernelIZZZNS0_19digamma_kernel_cudaERNS_18TensorIteratorBaseEENKUlvE_clEvENKUlvE0_clEvEUlfE_St5arrayIPcLm2EELi4E23TrivialOffsetCalculatorILi1EjESB_NS0_6memory15LoadWithoutCastENSC_16StoreWithoutCastEEEviT_T0_T2_T3_T4_T5_,comdat
.Lfunc_end16:
	.size	_ZN2at6native27unrolled_elementwise_kernelIZZZNS0_19digamma_kernel_cudaERNS_18TensorIteratorBaseEENKUlvE_clEvENKUlvE0_clEvEUlfE_St5arrayIPcLm2EELi4E23TrivialOffsetCalculatorILi1EjESB_NS0_6memory15LoadWithoutCastENSC_16StoreWithoutCastEEEviT_T0_T2_T3_T4_T5_, .Lfunc_end16-_ZN2at6native27unrolled_elementwise_kernelIZZZNS0_19digamma_kernel_cudaERNS_18TensorIteratorBaseEENKUlvE_clEvENKUlvE0_clEvEUlfE_St5arrayIPcLm2EELi4E23TrivialOffsetCalculatorILi1EjESB_NS0_6memory15LoadWithoutCastENSC_16StoreWithoutCastEEEviT_T0_T2_T3_T4_T5_
                                        ; -- End function
	.set _ZN2at6native27unrolled_elementwise_kernelIZZZNS0_19digamma_kernel_cudaERNS_18TensorIteratorBaseEENKUlvE_clEvENKUlvE0_clEvEUlfE_St5arrayIPcLm2EELi4E23TrivialOffsetCalculatorILi1EjESB_NS0_6memory15LoadWithoutCastENSC_16StoreWithoutCastEEEviT_T0_T2_T3_T4_T5_.num_vgpr, max(32, .L_ZN2at6native25elementwise_kernel_helperILb0EZZZNS0_19digamma_kernel_cudaERNS_18TensorIteratorBaseEENKUlvE_clEvENKUlvE0_clEvEUlfE_NS0_6memory8policies11unroll_baseILi256ESt5arrayIPcLm2EE23TrivialOffsetCalculatorILi1EjESE_NS7_15LoadWithoutCastENS7_16StoreWithoutCastELi4ELi1EEEEEvT0_T1_.num_vgpr)
	.set _ZN2at6native27unrolled_elementwise_kernelIZZZNS0_19digamma_kernel_cudaERNS_18TensorIteratorBaseEENKUlvE_clEvENKUlvE0_clEvEUlfE_St5arrayIPcLm2EELi4E23TrivialOffsetCalculatorILi1EjESB_NS0_6memory15LoadWithoutCastENSC_16StoreWithoutCastEEEviT_T0_T2_T3_T4_T5_.num_agpr, max(0, .L_ZN2at6native25elementwise_kernel_helperILb0EZZZNS0_19digamma_kernel_cudaERNS_18TensorIteratorBaseEENKUlvE_clEvENKUlvE0_clEvEUlfE_NS0_6memory8policies11unroll_baseILi256ESt5arrayIPcLm2EE23TrivialOffsetCalculatorILi1EjESE_NS7_15LoadWithoutCastENS7_16StoreWithoutCastELi4ELi1EEEEEvT0_T1_.num_agpr)
	.set _ZN2at6native27unrolled_elementwise_kernelIZZZNS0_19digamma_kernel_cudaERNS_18TensorIteratorBaseEENKUlvE_clEvENKUlvE0_clEvEUlfE_St5arrayIPcLm2EELi4E23TrivialOffsetCalculatorILi1EjESB_NS0_6memory15LoadWithoutCastENSC_16StoreWithoutCastEEEviT_T0_T2_T3_T4_T5_.numbered_sgpr, max(33, .L_ZN2at6native25elementwise_kernel_helperILb0EZZZNS0_19digamma_kernel_cudaERNS_18TensorIteratorBaseEENKUlvE_clEvENKUlvE0_clEvEUlfE_NS0_6memory8policies11unroll_baseILi256ESt5arrayIPcLm2EE23TrivialOffsetCalculatorILi1EjESE_NS7_15LoadWithoutCastENS7_16StoreWithoutCastELi4ELi1EEEEEvT0_T1_.numbered_sgpr)
	.set _ZN2at6native27unrolled_elementwise_kernelIZZZNS0_19digamma_kernel_cudaERNS_18TensorIteratorBaseEENKUlvE_clEvENKUlvE0_clEvEUlfE_St5arrayIPcLm2EELi4E23TrivialOffsetCalculatorILi1EjESB_NS0_6memory15LoadWithoutCastENSC_16StoreWithoutCastEEEviT_T0_T2_T3_T4_T5_.num_named_barrier, max(0, .L_ZN2at6native25elementwise_kernel_helperILb0EZZZNS0_19digamma_kernel_cudaERNS_18TensorIteratorBaseEENKUlvE_clEvENKUlvE0_clEvEUlfE_NS0_6memory8policies11unroll_baseILi256ESt5arrayIPcLm2EE23TrivialOffsetCalculatorILi1EjESE_NS7_15LoadWithoutCastENS7_16StoreWithoutCastELi4ELi1EEEEEvT0_T1_.num_named_barrier)
	.set _ZN2at6native27unrolled_elementwise_kernelIZZZNS0_19digamma_kernel_cudaERNS_18TensorIteratorBaseEENKUlvE_clEvENKUlvE0_clEvEUlfE_St5arrayIPcLm2EELi4E23TrivialOffsetCalculatorILi1EjESB_NS0_6memory15LoadWithoutCastENSC_16StoreWithoutCastEEEviT_T0_T2_T3_T4_T5_.private_seg_size, 0+max(.L_ZN2at6native25elementwise_kernel_helperILb0EZZZNS0_19digamma_kernel_cudaERNS_18TensorIteratorBaseEENKUlvE_clEvENKUlvE0_clEvEUlfE_NS0_6memory8policies11unroll_baseILi256ESt5arrayIPcLm2EE23TrivialOffsetCalculatorILi1EjESE_NS7_15LoadWithoutCastENS7_16StoreWithoutCastELi4ELi1EEEEEvT0_T1_.private_seg_size)
	.set _ZN2at6native27unrolled_elementwise_kernelIZZZNS0_19digamma_kernel_cudaERNS_18TensorIteratorBaseEENKUlvE_clEvENKUlvE0_clEvEUlfE_St5arrayIPcLm2EELi4E23TrivialOffsetCalculatorILi1EjESB_NS0_6memory15LoadWithoutCastENSC_16StoreWithoutCastEEEviT_T0_T2_T3_T4_T5_.uses_vcc, or(1, .L_ZN2at6native25elementwise_kernel_helperILb0EZZZNS0_19digamma_kernel_cudaERNS_18TensorIteratorBaseEENKUlvE_clEvENKUlvE0_clEvEUlfE_NS0_6memory8policies11unroll_baseILi256ESt5arrayIPcLm2EE23TrivialOffsetCalculatorILi1EjESE_NS7_15LoadWithoutCastENS7_16StoreWithoutCastELi4ELi1EEEEEvT0_T1_.uses_vcc)
	.set _ZN2at6native27unrolled_elementwise_kernelIZZZNS0_19digamma_kernel_cudaERNS_18TensorIteratorBaseEENKUlvE_clEvENKUlvE0_clEvEUlfE_St5arrayIPcLm2EELi4E23TrivialOffsetCalculatorILi1EjESB_NS0_6memory15LoadWithoutCastENSC_16StoreWithoutCastEEEviT_T0_T2_T3_T4_T5_.uses_flat_scratch, or(0, .L_ZN2at6native25elementwise_kernel_helperILb0EZZZNS0_19digamma_kernel_cudaERNS_18TensorIteratorBaseEENKUlvE_clEvENKUlvE0_clEvEUlfE_NS0_6memory8policies11unroll_baseILi256ESt5arrayIPcLm2EE23TrivialOffsetCalculatorILi1EjESE_NS7_15LoadWithoutCastENS7_16StoreWithoutCastELi4ELi1EEEEEvT0_T1_.uses_flat_scratch)
	.set _ZN2at6native27unrolled_elementwise_kernelIZZZNS0_19digamma_kernel_cudaERNS_18TensorIteratorBaseEENKUlvE_clEvENKUlvE0_clEvEUlfE_St5arrayIPcLm2EELi4E23TrivialOffsetCalculatorILi1EjESB_NS0_6memory15LoadWithoutCastENSC_16StoreWithoutCastEEEviT_T0_T2_T3_T4_T5_.has_dyn_sized_stack, or(0, .L_ZN2at6native25elementwise_kernel_helperILb0EZZZNS0_19digamma_kernel_cudaERNS_18TensorIteratorBaseEENKUlvE_clEvENKUlvE0_clEvEUlfE_NS0_6memory8policies11unroll_baseILi256ESt5arrayIPcLm2EE23TrivialOffsetCalculatorILi1EjESE_NS7_15LoadWithoutCastENS7_16StoreWithoutCastELi4ELi1EEEEEvT0_T1_.has_dyn_sized_stack)
	.set _ZN2at6native27unrolled_elementwise_kernelIZZZNS0_19digamma_kernel_cudaERNS_18TensorIteratorBaseEENKUlvE_clEvENKUlvE0_clEvEUlfE_St5arrayIPcLm2EELi4E23TrivialOffsetCalculatorILi1EjESB_NS0_6memory15LoadWithoutCastENSC_16StoreWithoutCastEEEviT_T0_T2_T3_T4_T5_.has_recursion, or(0, .L_ZN2at6native25elementwise_kernel_helperILb0EZZZNS0_19digamma_kernel_cudaERNS_18TensorIteratorBaseEENKUlvE_clEvENKUlvE0_clEvEUlfE_NS0_6memory8policies11unroll_baseILi256ESt5arrayIPcLm2EE23TrivialOffsetCalculatorILi1EjESE_NS7_15LoadWithoutCastENS7_16StoreWithoutCastELi4ELi1EEEEEvT0_T1_.has_recursion)
	.set _ZN2at6native27unrolled_elementwise_kernelIZZZNS0_19digamma_kernel_cudaERNS_18TensorIteratorBaseEENKUlvE_clEvENKUlvE0_clEvEUlfE_St5arrayIPcLm2EELi4E23TrivialOffsetCalculatorILi1EjESB_NS0_6memory15LoadWithoutCastENSC_16StoreWithoutCastEEEviT_T0_T2_T3_T4_T5_.has_indirect_call, or(0, .L_ZN2at6native25elementwise_kernel_helperILb0EZZZNS0_19digamma_kernel_cudaERNS_18TensorIteratorBaseEENKUlvE_clEvENKUlvE0_clEvEUlfE_NS0_6memory8policies11unroll_baseILi256ESt5arrayIPcLm2EE23TrivialOffsetCalculatorILi1EjESE_NS7_15LoadWithoutCastENS7_16StoreWithoutCastELi4ELi1EEEEEvT0_T1_.has_indirect_call)
	.section	.AMDGPU.csdata,"",@progbits
; Kernel info:
; codeLenInByte = 100
; TotalNumSgprs: 35
; NumVgprs: 54
; ScratchSize: 0
; MemoryBound: 0
; FloatMode: 240
; IeeeMode: 1
; LDSByteSize: 0 bytes/workgroup (compile time only)
; SGPRBlocks: 0
; VGPRBlocks: 6
; NumSGPRsForWavesPerEU: 35
; NumVGPRsForWavesPerEU: 54
; Occupancy: 16
; WaveLimiterHint : 0
; COMPUTE_PGM_RSRC2:SCRATCH_EN: 0
; COMPUTE_PGM_RSRC2:USER_SGPR: 6
; COMPUTE_PGM_RSRC2:TRAP_HANDLER: 0
; COMPUTE_PGM_RSRC2:TGID_X_EN: 1
; COMPUTE_PGM_RSRC2:TGID_Y_EN: 0
; COMPUTE_PGM_RSRC2:TGID_Z_EN: 0
; COMPUTE_PGM_RSRC2:TIDIG_COMP_CNT: 0
	.section	.text._ZN2at6native32elementwise_kernel_manual_unrollILi128ELi4EZNS0_22gpu_kernel_impl_nocastIZZZNS0_19digamma_kernel_cudaERNS_18TensorIteratorBaseEENKUlvE_clEvENKUlvE0_clEvEUlfE_EEvS4_RKT_EUlibE_EEviT1_,"axG",@progbits,_ZN2at6native32elementwise_kernel_manual_unrollILi128ELi4EZNS0_22gpu_kernel_impl_nocastIZZZNS0_19digamma_kernel_cudaERNS_18TensorIteratorBaseEENKUlvE_clEvENKUlvE0_clEvEUlfE_EEvS4_RKT_EUlibE_EEviT1_,comdat
	.globl	_ZN2at6native32elementwise_kernel_manual_unrollILi128ELi4EZNS0_22gpu_kernel_impl_nocastIZZZNS0_19digamma_kernel_cudaERNS_18TensorIteratorBaseEENKUlvE_clEvENKUlvE0_clEvEUlfE_EEvS4_RKT_EUlibE_EEviT1_ ; -- Begin function _ZN2at6native32elementwise_kernel_manual_unrollILi128ELi4EZNS0_22gpu_kernel_impl_nocastIZZZNS0_19digamma_kernel_cudaERNS_18TensorIteratorBaseEENKUlvE_clEvENKUlvE0_clEvEUlfE_EEvS4_RKT_EUlibE_EEviT1_
	.p2align	8
	.type	_ZN2at6native32elementwise_kernel_manual_unrollILi128ELi4EZNS0_22gpu_kernel_impl_nocastIZZZNS0_19digamma_kernel_cudaERNS_18TensorIteratorBaseEENKUlvE_clEvENKUlvE0_clEvEUlfE_EEvS4_RKT_EUlibE_EEviT1_,@function
_ZN2at6native32elementwise_kernel_manual_unrollILi128ELi4EZNS0_22gpu_kernel_impl_nocastIZZZNS0_19digamma_kernel_cudaERNS_18TensorIteratorBaseEENKUlvE_clEvENKUlvE0_clEvEUlfE_EEvS4_RKT_EUlibE_EEviT1_: ; @_ZN2at6native32elementwise_kernel_manual_unrollILi128ELi4EZNS0_22gpu_kernel_impl_nocastIZZZNS0_19digamma_kernel_cudaERNS_18TensorIteratorBaseEENKUlvE_clEvENKUlvE0_clEvEUlfE_EEvS4_RKT_EUlibE_EEviT1_
; %bb.0:
	s_clause 0x1
	s_load_dword s22, s[4:5], 0x8
	s_load_dword s27, s[4:5], 0x0
	v_lshl_or_b32 v7, s6, 9, v0
	s_add_u32 s2, s4, 8
	s_addc_u32 s3, s5, 0
	s_mov_b32 s0, exec_lo
	v_or_b32_e32 v13, 0x180, v7
	s_waitcnt lgkmcnt(0)
	s_add_i32 s23, s22, -1
	s_cmp_gt_u32 s23, 1
	s_cselect_b32 s24, -1, 0
	v_cmpx_le_i32_e64 s27, v13
	s_xor_b32 s25, exec_lo, s0
	s_cbranch_execz .LBB17_7
; %bb.1:
	s_clause 0x3
	s_load_dwordx4 s[12:15], s[2:3], 0x4
	s_load_dwordx2 s[16:17], s[2:3], 0x14
	s_load_dwordx4 s[8:11], s[2:3], 0xc4
	s_load_dwordx4 s[4:7], s[2:3], 0x148
	s_cmp_lg_u32 s22, 0
	s_mov_b32 s30, exec_lo
	s_cselect_b32 s29, -1, 0
	s_add_u32 s18, s2, 0xc4
	s_addc_u32 s19, s3, 0
	s_min_u32 s28, s23, 15
	s_cmp_gt_u32 s22, 1
	s_cselect_b32 s26, -1, 0
	v_cmpx_gt_i32_e64 s27, v7
	s_cbranch_execz .LBB17_14
; %bb.2:
	s_andn2_b32 vcc_lo, exec_lo, s24
	s_cbranch_vccnz .LBB17_21
; %bb.3:
	s_andn2_b32 vcc_lo, exec_lo, s29
	s_cbranch_vccnz .LBB17_169
; %bb.4:
	s_add_i32 s33, s28, 1
	s_cmp_eq_u32 s23, 2
	s_cbranch_scc1 .LBB17_171
; %bb.5:
	v_mov_b32_e32 v2, 0
	v_mov_b32_e32 v0, 0
	;; [unrolled: 1-line block ×3, first 2 shown]
	s_and_b32 s31, s33, 28
	s_mov_b32 s34, 0
	s_mov_b64 s[0:1], s[2:3]
	s_mov_b64 s[20:21], s[18:19]
.LBB17_6:                               ; =>This Inner Loop Header: Depth=1
	s_clause 0x1
	s_load_dwordx8 s[36:43], s[0:1], 0x4
	s_load_dwordx4 s[52:55], s[0:1], 0x24
	s_load_dwordx8 s[44:51], s[20:21], 0x0
	s_add_u32 s0, s0, 48
	s_addc_u32 s1, s1, 0
	s_add_i32 s34, s34, 4
	s_add_u32 s20, s20, 32
	s_addc_u32 s21, s21, 0
	s_cmp_lg_u32 s31, s34
	s_waitcnt lgkmcnt(0)
	v_mul_hi_u32 v3, s37, v1
	v_add_nc_u32_e32 v3, v1, v3
	v_lshrrev_b32_e32 v3, s38, v3
	v_mul_hi_u32 v4, s40, v3
	v_mul_lo_u32 v6, v3, s36
	v_add_nc_u32_e32 v4, v3, v4
	v_sub_nc_u32_e32 v1, v1, v6
	v_lshrrev_b32_e32 v4, s41, v4
	v_mul_lo_u32 v6, v1, s44
	v_mul_lo_u32 v9, v1, s45
	v_mul_hi_u32 v5, s43, v4
	v_add_nc_u32_e32 v5, v4, v5
	v_lshrrev_b32_e32 v5, s52, v5
	v_mul_hi_u32 v8, s54, v5
	v_mul_lo_u32 v10, v5, s42
	v_add_nc_u32_e32 v1, v5, v8
	v_mul_lo_u32 v8, v4, s39
	v_sub_nc_u32_e32 v4, v4, v10
	v_lshrrev_b32_e32 v1, s55, v1
	v_mul_lo_u32 v10, v4, s48
	v_mul_lo_u32 v4, v4, s49
	v_sub_nc_u32_e32 v3, v3, v8
	v_mul_lo_u32 v11, v1, s53
	v_mul_lo_u32 v8, v3, s46
	;; [unrolled: 1-line block ×3, first 2 shown]
	v_sub_nc_u32_e32 v5, v5, v11
	v_add3_u32 v0, v6, v0, v8
	v_mul_lo_u32 v11, v5, s50
	v_mul_lo_u32 v5, v5, s51
	v_add3_u32 v2, v9, v2, v3
	v_add3_u32 v0, v10, v0, v11
	;; [unrolled: 1-line block ×3, first 2 shown]
	s_cbranch_scc1 .LBB17_6
	s_branch .LBB17_172
.LBB17_7:
	s_andn2_saveexec_b32 s0, s25
	s_cbranch_execz .LBB17_245
.LBB17_8:
	v_cndmask_b32_e64 v4, 0, 1, s24
	s_andn2_b32 vcc_lo, exec_lo, s24
	s_cbranch_vccnz .LBB17_20
; %bb.9:
	s_cmp_lg_u32 s22, 0
	s_waitcnt lgkmcnt(0)
	s_mov_b32 s6, 0
	s_cbranch_scc0 .LBB17_23
; %bb.10:
	s_min_u32 s8, s23, 15
	s_add_i32 s8, s8, 1
	s_cmp_eq_u32 s23, 2
	s_cbranch_scc1 .LBB17_24
; %bb.11:
	v_mov_b32_e32 v11, 0
	v_mov_b32_e32 v0, 0
	;; [unrolled: 1-line block ×3, first 2 shown]
	s_and_b32 s7, s8, 28
	s_add_u32 s0, s2, 0xc4
	s_addc_u32 s1, s3, 0
	s_mov_b32 s9, 0
	s_mov_b64 s[4:5], s[2:3]
.LBB17_12:                              ; =>This Inner Loop Header: Depth=1
	s_clause 0x1
	s_load_dwordx8 s[12:19], s[4:5], 0x4
	s_load_dwordx4 s[36:39], s[4:5], 0x24
	s_load_dwordx8 s[24:31], s[0:1], 0x0
	s_add_u32 s4, s4, 48
	s_addc_u32 s5, s5, 0
	s_add_i32 s9, s9, 4
	s_add_u32 s0, s0, 32
	s_addc_u32 s1, s1, 0
	s_cmp_lg_u32 s7, s9
	s_waitcnt lgkmcnt(0)
	v_mul_hi_u32 v2, s13, v1
	v_add_nc_u32_e32 v2, v1, v2
	v_lshrrev_b32_e32 v2, s14, v2
	v_mul_hi_u32 v3, s16, v2
	v_mul_lo_u32 v6, v2, s12
	v_add_nc_u32_e32 v3, v2, v3
	v_sub_nc_u32_e32 v1, v1, v6
	v_lshrrev_b32_e32 v3, s17, v3
	v_mul_lo_u32 v6, v1, s24
	v_mul_lo_u32 v9, v1, s25
	v_mul_hi_u32 v5, s19, v3
	v_add_nc_u32_e32 v5, v3, v5
	v_lshrrev_b32_e32 v5, s36, v5
	v_mul_hi_u32 v8, s38, v5
	v_mul_lo_u32 v10, v5, s18
	v_add_nc_u32_e32 v1, v5, v8
	v_mul_lo_u32 v8, v3, s15
	v_sub_nc_u32_e32 v3, v3, v10
	v_lshrrev_b32_e32 v1, s39, v1
	v_mul_lo_u32 v10, v3, s28
	v_mul_lo_u32 v3, v3, s29
	v_sub_nc_u32_e32 v2, v2, v8
	v_mul_lo_u32 v12, v1, s37
	v_mul_lo_u32 v8, v2, s26
	v_mul_lo_u32 v2, v2, s27
	v_sub_nc_u32_e32 v5, v5, v12
	v_add3_u32 v0, v6, v0, v8
	v_mul_lo_u32 v12, v5, s30
	v_mul_lo_u32 v5, v5, s31
	v_add3_u32 v2, v9, v11, v2
	v_add3_u32 v0, v10, v0, v12
	;; [unrolled: 1-line block ×3, first 2 shown]
	s_cbranch_scc1 .LBB17_12
; %bb.13:
	s_and_b32 s8, s8, 3
	s_cmp_eq_u32 s8, 0
	s_cbranch_scc0 .LBB17_25
	s_branch .LBB17_27
.LBB17_14:
	s_or_b32 exec_lo, exec_lo, s30
	s_mov_b32 s30, exec_lo
	v_cmpx_gt_i32_e64 s27, v7
	s_cbranch_execz .LBB17_203
.LBB17_15:
	s_andn2_b32 vcc_lo, exec_lo, s24
	s_cbranch_vccnz .LBB17_22
; %bb.16:
	s_andn2_b32 vcc_lo, exec_lo, s29
	s_cbranch_vccnz .LBB17_170
; %bb.17:
	s_add_i32 s33, s28, 1
	s_cmp_eq_u32 s23, 2
	s_cbranch_scc1 .LBB17_211
; %bb.18:
	v_mov_b32_e32 v2, 0
	v_mov_b32_e32 v0, 0
	;; [unrolled: 1-line block ×3, first 2 shown]
	s_and_b32 s31, s33, 28
	s_mov_b32 s34, 0
	s_mov_b64 s[0:1], s[2:3]
	s_mov_b64 s[20:21], s[18:19]
.LBB17_19:                              ; =>This Inner Loop Header: Depth=1
	s_clause 0x1
	s_load_dwordx8 s[36:43], s[0:1], 0x4
	s_load_dwordx4 s[52:55], s[0:1], 0x24
	s_load_dwordx8 s[44:51], s[20:21], 0x0
	s_add_u32 s0, s0, 48
	s_addc_u32 s1, s1, 0
	s_add_i32 s34, s34, 4
	s_add_u32 s20, s20, 32
	s_addc_u32 s21, s21, 0
	s_cmp_eq_u32 s31, s34
	s_waitcnt lgkmcnt(0)
	v_mul_hi_u32 v3, s37, v1
	v_add_nc_u32_e32 v3, v1, v3
	v_lshrrev_b32_e32 v3, s38, v3
	v_mul_hi_u32 v4, s40, v3
	v_mul_lo_u32 v6, v3, s36
	v_add_nc_u32_e32 v4, v3, v4
	v_sub_nc_u32_e32 v1, v1, v6
	v_lshrrev_b32_e32 v4, s41, v4
	v_mul_lo_u32 v6, v1, s44
	v_mul_lo_u32 v9, v1, s45
	v_mul_hi_u32 v5, s43, v4
	v_add_nc_u32_e32 v5, v4, v5
	v_lshrrev_b32_e32 v5, s52, v5
	v_mul_hi_u32 v8, s54, v5
	v_mul_lo_u32 v10, v5, s42
	v_add_nc_u32_e32 v1, v5, v8
	v_mul_lo_u32 v8, v4, s39
	v_sub_nc_u32_e32 v4, v4, v10
	v_lshrrev_b32_e32 v1, s55, v1
	v_mul_lo_u32 v10, v4, s48
	v_mul_lo_u32 v4, v4, s49
	v_sub_nc_u32_e32 v3, v3, v8
	v_mul_lo_u32 v11, v1, s53
	v_mul_lo_u32 v8, v3, s46
	;; [unrolled: 1-line block ×3, first 2 shown]
	v_sub_nc_u32_e32 v5, v5, v11
	v_add3_u32 v0, v6, v0, v8
	v_mul_lo_u32 v11, v5, s50
	v_mul_lo_u32 v5, v5, s51
	v_add3_u32 v2, v9, v2, v3
	v_add3_u32 v0, v10, v0, v11
	;; [unrolled: 1-line block ×3, first 2 shown]
	s_cbranch_scc0 .LBB17_19
	s_branch .LBB17_212
.LBB17_20:
	s_waitcnt lgkmcnt(0)
	s_mov_b32 s6, -1
                                        ; implicit-def: $vgpr0
                                        ; implicit-def: $vgpr11
	s_branch .LBB17_27
.LBB17_21:
                                        ; implicit-def: $vgpr0
                                        ; implicit-def: $vgpr2
	s_branch .LBB17_176
.LBB17_22:
                                        ; implicit-def: $vgpr0
                                        ; implicit-def: $vgpr2
	s_branch .LBB17_216
.LBB17_23:
	v_mov_b32_e32 v0, 0
	v_mov_b32_e32 v11, 0
	s_branch .LBB17_27
.LBB17_24:
	v_mov_b32_e32 v0, 0
	v_mov_b32_e32 v11, 0
	;; [unrolled: 1-line block ×3, first 2 shown]
	s_mov_b32 s7, 0
	s_and_b32 s8, s8, 3
	s_cmp_eq_u32 s8, 0
	s_cbranch_scc1 .LBB17_27
.LBB17_25:
	s_lshl_b32 s0, s7, 3
	s_mul_i32 s4, s7, 12
	s_add_u32 s0, s2, s0
	s_addc_u32 s1, s3, 0
	s_add_u32 s0, s0, 0xc4
	s_addc_u32 s1, s1, 0
	;; [unrolled: 2-line block ×3, first 2 shown]
	.p2align	6
.LBB17_26:                              ; =>This Inner Loop Header: Depth=1
	s_clause 0x1
	s_load_dwordx2 s[10:11], s[4:5], 0x4
	s_load_dword s7, s[4:5], 0xc
	s_load_dwordx2 s[12:13], s[0:1], 0x0
	s_add_u32 s4, s4, 12
	s_addc_u32 s5, s5, 0
	s_add_u32 s0, s0, 8
	s_addc_u32 s1, s1, 0
	s_add_i32 s8, s8, -1
	s_cmp_lg_u32 s8, 0
	s_waitcnt lgkmcnt(0)
	v_mul_hi_u32 v2, s11, v1
	v_add_nc_u32_e32 v2, v1, v2
	v_lshrrev_b32_e32 v2, s7, v2
	v_mul_lo_u32 v3, v2, s10
	v_sub_nc_u32_e32 v3, v1, v3
	v_mad_u64_u32 v[0:1], null, v3, s12, v[0:1]
	v_mad_u64_u32 v[11:12], null, v3, s13, v[11:12]
	v_mov_b32_e32 v1, v2
	s_cbranch_scc1 .LBB17_26
.LBB17_27:
	s_andn2_b32 vcc_lo, exec_lo, s6
	s_cbranch_vccnz .LBB17_30
; %bb.28:
	s_clause 0x1
	s_load_dwordx4 s[4:7], s[2:3], 0x4
	s_load_dwordx2 s[0:1], s[2:3], 0xc4
	s_cmp_lt_u32 s22, 2
	s_waitcnt lgkmcnt(0)
	v_mul_hi_u32 v0, s5, v7
	v_add_nc_u32_e32 v0, v7, v0
	v_lshrrev_b32_e32 v1, s6, v0
	v_mul_lo_u32 v0, v1, s4
	v_sub_nc_u32_e32 v2, v7, v0
	v_mul_lo_u32 v0, v2, s0
	v_mul_lo_u32 v11, v2, s1
	s_cbranch_scc1 .LBB17_30
; %bb.29:
	s_clause 0x1
	s_load_dwordx4 s[4:7], s[2:3], 0x10
	s_load_dwordx2 s[0:1], s[2:3], 0xcc
	s_waitcnt lgkmcnt(0)
	v_mul_hi_u32 v2, s5, v1
	v_add_nc_u32_e32 v2, v1, v2
	v_lshrrev_b32_e32 v2, s6, v2
	v_mul_lo_u32 v2, v2, s4
	v_sub_nc_u32_e32 v2, v1, v2
	v_mad_u64_u32 v[0:1], null, v2, s0, v[0:1]
	v_mad_u64_u32 v[11:12], null, v2, s1, v[11:12]
.LBB17_30:
	v_cmp_ne_u32_e32 vcc_lo, 1, v4
	v_add_nc_u32_e32 v3, 0x80, v7
	s_cbranch_vccnz .LBB17_36
; %bb.31:
	s_cmp_lg_u32 s22, 0
	s_mov_b32 s6, 0
	s_cbranch_scc0 .LBB17_37
; %bb.32:
	s_min_u32 s8, s23, 15
	s_add_i32 s8, s8, 1
	s_cmp_eq_u32 s23, 2
	s_cbranch_scc1 .LBB17_38
; %bb.33:
	v_mov_b32_e32 v9, 0
	v_mov_b32_e32 v1, 0
	;; [unrolled: 1-line block ×3, first 2 shown]
	s_and_b32 s7, s8, 28
	s_add_u32 s0, s2, 0xc4
	s_addc_u32 s1, s3, 0
	s_mov_b32 s9, 0
	s_mov_b64 s[4:5], s[2:3]
.LBB17_34:                              ; =>This Inner Loop Header: Depth=1
	s_clause 0x1
	s_load_dwordx8 s[12:19], s[4:5], 0x4
	s_load_dwordx4 s[36:39], s[4:5], 0x24
	s_load_dwordx8 s[24:31], s[0:1], 0x0
	s_add_u32 s4, s4, 48
	s_addc_u32 s5, s5, 0
	s_add_i32 s9, s9, 4
	s_add_u32 s0, s0, 32
	s_addc_u32 s1, s1, 0
	s_cmp_lg_u32 s7, s9
	s_waitcnt lgkmcnt(0)
	v_mul_hi_u32 v5, s13, v2
	v_add_nc_u32_e32 v5, v2, v5
	v_lshrrev_b32_e32 v5, s14, v5
	v_mul_hi_u32 v6, s16, v5
	v_mul_lo_u32 v10, v5, s12
	v_add_nc_u32_e32 v6, v5, v6
	v_sub_nc_u32_e32 v2, v2, v10
	v_lshrrev_b32_e32 v6, s17, v6
	v_mul_lo_u32 v10, v2, s24
	v_mul_lo_u32 v14, v2, s25
	v_mul_hi_u32 v8, s19, v6
	v_add_nc_u32_e32 v8, v6, v8
	v_lshrrev_b32_e32 v8, s36, v8
	v_mul_hi_u32 v12, s38, v8
	v_mul_lo_u32 v15, v8, s18
	v_add_nc_u32_e32 v2, v8, v12
	v_mul_lo_u32 v12, v6, s15
	v_sub_nc_u32_e32 v6, v6, v15
	v_lshrrev_b32_e32 v2, s39, v2
	v_mul_lo_u32 v15, v6, s28
	v_mul_lo_u32 v6, v6, s29
	v_sub_nc_u32_e32 v5, v5, v12
	v_mul_lo_u32 v16, v2, s37
	v_mul_lo_u32 v12, v5, s26
	;; [unrolled: 1-line block ×3, first 2 shown]
	v_sub_nc_u32_e32 v8, v8, v16
	v_add3_u32 v1, v10, v1, v12
	v_mul_lo_u32 v16, v8, s30
	v_mul_lo_u32 v8, v8, s31
	v_add3_u32 v5, v14, v9, v5
	v_add3_u32 v1, v15, v1, v16
	;; [unrolled: 1-line block ×3, first 2 shown]
	s_cbranch_scc1 .LBB17_34
; %bb.35:
	s_and_b32 s8, s8, 3
	s_cmp_eq_u32 s8, 0
	s_cbranch_scc0 .LBB17_39
	s_branch .LBB17_41
.LBB17_36:
	s_mov_b32 s6, -1
                                        ; implicit-def: $vgpr1
                                        ; implicit-def: $vgpr9
	s_branch .LBB17_41
.LBB17_37:
	v_mov_b32_e32 v1, 0
	v_mov_b32_e32 v9, 0
	s_branch .LBB17_41
.LBB17_38:
	v_mov_b32_e32 v1, 0
	v_mov_b32_e32 v9, 0
	;; [unrolled: 1-line block ×3, first 2 shown]
	s_mov_b32 s7, 0
	s_and_b32 s8, s8, 3
	s_cmp_eq_u32 s8, 0
	s_cbranch_scc1 .LBB17_41
.LBB17_39:
	s_lshl_b32 s0, s7, 3
	s_mul_i32 s4, s7, 12
	s_add_u32 s0, s2, s0
	s_addc_u32 s1, s3, 0
	s_add_u32 s0, s0, 0xc4
	s_addc_u32 s1, s1, 0
	;; [unrolled: 2-line block ×3, first 2 shown]
	.p2align	6
.LBB17_40:                              ; =>This Inner Loop Header: Depth=1
	s_clause 0x1
	s_load_dwordx2 s[10:11], s[4:5], 0x4
	s_load_dword s7, s[4:5], 0xc
	s_load_dwordx2 s[12:13], s[0:1], 0x0
	s_add_u32 s4, s4, 12
	s_addc_u32 s5, s5, 0
	s_add_u32 s0, s0, 8
	s_addc_u32 s1, s1, 0
	s_add_i32 s8, s8, -1
	s_cmp_lg_u32 s8, 0
	s_waitcnt lgkmcnt(0)
	v_mul_hi_u32 v5, s11, v2
	v_add_nc_u32_e32 v5, v2, v5
	v_lshrrev_b32_e32 v5, s7, v5
	v_mul_lo_u32 v6, v5, s10
	v_sub_nc_u32_e32 v6, v2, v6
	v_mad_u64_u32 v[1:2], null, v6, s12, v[1:2]
	v_mad_u64_u32 v[9:10], null, v6, s13, v[9:10]
	v_mov_b32_e32 v2, v5
	s_cbranch_scc1 .LBB17_40
.LBB17_41:
	s_andn2_b32 vcc_lo, exec_lo, s6
	s_cbranch_vccnz .LBB17_44
; %bb.42:
	s_clause 0x1
	s_load_dwordx4 s[4:7], s[2:3], 0x4
	s_load_dwordx2 s[0:1], s[2:3], 0xc4
	s_cmp_lt_u32 s22, 2
	s_waitcnt lgkmcnt(0)
	v_mul_hi_u32 v1, s5, v3
	v_add_nc_u32_e32 v1, v3, v1
	v_lshrrev_b32_e32 v2, s6, v1
	v_mul_lo_u32 v1, v2, s4
	v_sub_nc_u32_e32 v3, v3, v1
	v_mul_lo_u32 v1, v3, s0
	v_mul_lo_u32 v9, v3, s1
	s_cbranch_scc1 .LBB17_44
; %bb.43:
	s_clause 0x1
	s_load_dwordx4 s[4:7], s[2:3], 0x10
	s_load_dwordx2 s[0:1], s[2:3], 0xcc
	s_waitcnt lgkmcnt(0)
	v_mul_hi_u32 v3, s5, v2
	v_add_nc_u32_e32 v3, v2, v3
	v_lshrrev_b32_e32 v3, s6, v3
	v_mul_lo_u32 v3, v3, s4
	v_sub_nc_u32_e32 v3, v2, v3
	v_mad_u64_u32 v[1:2], null, v3, s0, v[1:2]
	v_mad_u64_u32 v[9:10], null, v3, s1, v[9:10]
.LBB17_44:
	v_cmp_ne_u32_e32 vcc_lo, 1, v4
	v_add_nc_u32_e32 v5, 0x100, v7
	s_cbranch_vccnz .LBB17_50
; %bb.45:
	s_cmp_lg_u32 s22, 0
	s_mov_b32 s6, 0
	s_cbranch_scc0 .LBB17_51
; %bb.46:
	s_min_u32 s8, s23, 15
	s_add_i32 s8, s8, 1
	s_cmp_eq_u32 s23, 2
	s_cbranch_scc1 .LBB17_52
; %bb.47:
	v_mov_b32_e32 v7, 0
	v_mov_b32_e32 v2, 0
	;; [unrolled: 1-line block ×3, first 2 shown]
	s_and_b32 s7, s8, 28
	s_add_u32 s0, s2, 0xc4
	s_addc_u32 s1, s3, 0
	s_mov_b32 s9, 0
	s_mov_b64 s[4:5], s[2:3]
.LBB17_48:                              ; =>This Inner Loop Header: Depth=1
	s_clause 0x1
	s_load_dwordx8 s[12:19], s[4:5], 0x4
	s_load_dwordx4 s[36:39], s[4:5], 0x24
	s_load_dwordx8 s[24:31], s[0:1], 0x0
	s_add_u32 s4, s4, 48
	s_addc_u32 s5, s5, 0
	s_add_i32 s9, s9, 4
	s_add_u32 s0, s0, 32
	s_addc_u32 s1, s1, 0
	s_cmp_lg_u32 s7, s9
	s_waitcnt lgkmcnt(0)
	v_mul_hi_u32 v6, s13, v3
	v_add_nc_u32_e32 v6, v3, v6
	v_lshrrev_b32_e32 v6, s14, v6
	v_mul_hi_u32 v8, s16, v6
	v_mul_lo_u32 v12, v6, s12
	v_add_nc_u32_e32 v8, v6, v8
	v_sub_nc_u32_e32 v3, v3, v12
	v_lshrrev_b32_e32 v8, s17, v8
	v_mul_lo_u32 v12, v3, s24
	v_mul_lo_u32 v15, v3, s25
	v_mul_hi_u32 v10, s19, v8
	v_add_nc_u32_e32 v10, v8, v10
	v_lshrrev_b32_e32 v10, s36, v10
	v_mul_hi_u32 v14, s38, v10
	v_mul_lo_u32 v16, v10, s18
	v_add_nc_u32_e32 v3, v10, v14
	v_mul_lo_u32 v14, v8, s15
	v_sub_nc_u32_e32 v8, v8, v16
	v_lshrrev_b32_e32 v3, s39, v3
	v_mul_lo_u32 v16, v8, s28
	v_mul_lo_u32 v8, v8, s29
	v_sub_nc_u32_e32 v6, v6, v14
	v_mul_lo_u32 v17, v3, s37
	v_mul_lo_u32 v14, v6, s26
	;; [unrolled: 1-line block ×3, first 2 shown]
	v_sub_nc_u32_e32 v10, v10, v17
	v_add3_u32 v2, v12, v2, v14
	v_mul_lo_u32 v17, v10, s30
	v_mul_lo_u32 v10, v10, s31
	v_add3_u32 v6, v15, v7, v6
	v_add3_u32 v2, v16, v2, v17
	;; [unrolled: 1-line block ×3, first 2 shown]
	s_cbranch_scc1 .LBB17_48
; %bb.49:
	s_and_b32 s8, s8, 3
	s_cmp_eq_u32 s8, 0
	s_cbranch_scc0 .LBB17_53
	s_branch .LBB17_55
.LBB17_50:
	s_mov_b32 s6, -1
                                        ; implicit-def: $vgpr2
                                        ; implicit-def: $vgpr7
	s_branch .LBB17_55
.LBB17_51:
	v_mov_b32_e32 v2, 0
	v_mov_b32_e32 v7, 0
	s_branch .LBB17_55
.LBB17_52:
	v_mov_b32_e32 v2, 0
	v_mov_b32_e32 v7, 0
	;; [unrolled: 1-line block ×3, first 2 shown]
	s_mov_b32 s7, 0
	s_and_b32 s8, s8, 3
	s_cmp_eq_u32 s8, 0
	s_cbranch_scc1 .LBB17_55
.LBB17_53:
	s_lshl_b32 s0, s7, 3
	s_mul_i32 s4, s7, 12
	s_add_u32 s0, s2, s0
	s_addc_u32 s1, s3, 0
	s_add_u32 s0, s0, 0xc4
	s_addc_u32 s1, s1, 0
	;; [unrolled: 2-line block ×3, first 2 shown]
	.p2align	6
.LBB17_54:                              ; =>This Inner Loop Header: Depth=1
	s_clause 0x1
	s_load_dwordx2 s[10:11], s[4:5], 0x4
	s_load_dword s7, s[4:5], 0xc
	s_load_dwordx2 s[12:13], s[0:1], 0x0
	s_add_u32 s4, s4, 12
	s_addc_u32 s5, s5, 0
	s_add_u32 s0, s0, 8
	s_addc_u32 s1, s1, 0
	s_add_i32 s8, s8, -1
	s_cmp_lg_u32 s8, 0
	s_waitcnt lgkmcnt(0)
	v_mul_hi_u32 v6, s11, v3
	v_add_nc_u32_e32 v6, v3, v6
	v_lshrrev_b32_e32 v6, s7, v6
	v_mul_lo_u32 v8, v6, s10
	v_sub_nc_u32_e32 v8, v3, v8
	v_mad_u64_u32 v[2:3], null, v8, s12, v[2:3]
	v_mad_u64_u32 v[7:8], null, v8, s13, v[7:8]
	v_mov_b32_e32 v3, v6
	s_cbranch_scc1 .LBB17_54
.LBB17_55:
	s_andn2_b32 vcc_lo, exec_lo, s6
	s_cbranch_vccnz .LBB17_58
; %bb.56:
	s_clause 0x1
	s_load_dwordx4 s[4:7], s[2:3], 0x4
	s_load_dwordx2 s[0:1], s[2:3], 0xc4
	s_cmp_lt_u32 s22, 2
	s_waitcnt lgkmcnt(0)
	v_mul_hi_u32 v2, s5, v5
	v_add_nc_u32_e32 v2, v5, v2
	v_lshrrev_b32_e32 v3, s6, v2
	v_mul_lo_u32 v2, v3, s4
	v_sub_nc_u32_e32 v5, v5, v2
	v_mul_lo_u32 v2, v5, s0
	v_mul_lo_u32 v7, v5, s1
	s_cbranch_scc1 .LBB17_58
; %bb.57:
	s_clause 0x1
	s_load_dwordx4 s[4:7], s[2:3], 0x10
	s_load_dwordx2 s[0:1], s[2:3], 0xcc
	s_waitcnt lgkmcnt(0)
	v_mul_hi_u32 v5, s5, v3
	v_add_nc_u32_e32 v5, v3, v5
	v_lshrrev_b32_e32 v5, s6, v5
	v_mul_lo_u32 v5, v5, s4
	v_sub_nc_u32_e32 v5, v3, v5
	v_mad_u64_u32 v[2:3], null, v5, s0, v[2:3]
	v_mad_u64_u32 v[7:8], null, v5, s1, v[7:8]
.LBB17_58:
	v_cmp_ne_u32_e32 vcc_lo, 1, v4
	s_cbranch_vccnz .LBB17_64
; %bb.59:
	s_cmp_lg_u32 s22, 0
	s_mov_b32 s6, 0
	s_cbranch_scc0 .LBB17_65
; %bb.60:
	s_min_u32 s8, s23, 15
	s_add_i32 s8, s8, 1
	s_cmp_eq_u32 s23, 2
	s_cbranch_scc1 .LBB17_66
; %bb.61:
	v_mov_b32_e32 v5, 0
	v_mov_b32_e32 v3, 0
	;; [unrolled: 1-line block ×3, first 2 shown]
	s_and_b32 s7, s8, 28
	s_add_u32 s0, s2, 0xc4
	s_addc_u32 s1, s3, 0
	s_mov_b32 s9, 0
	s_mov_b64 s[4:5], s[2:3]
.LBB17_62:                              ; =>This Inner Loop Header: Depth=1
	s_clause 0x1
	s_load_dwordx8 s[12:19], s[4:5], 0x4
	s_load_dwordx4 s[36:39], s[4:5], 0x24
	s_load_dwordx8 s[24:31], s[0:1], 0x0
	s_add_u32 s4, s4, 48
	s_addc_u32 s5, s5, 0
	s_add_i32 s9, s9, 4
	s_add_u32 s0, s0, 32
	s_addc_u32 s1, s1, 0
	s_cmp_lg_u32 s7, s9
	s_waitcnt lgkmcnt(0)
	v_mul_hi_u32 v6, s13, v4
	v_add_nc_u32_e32 v6, v4, v6
	v_lshrrev_b32_e32 v6, s14, v6
	v_mul_hi_u32 v8, s16, v6
	v_mul_lo_u32 v12, v6, s12
	v_add_nc_u32_e32 v8, v6, v8
	v_sub_nc_u32_e32 v4, v4, v12
	v_lshrrev_b32_e32 v8, s17, v8
	v_mul_lo_u32 v12, v4, s24
	v_mul_lo_u32 v15, v4, s25
	v_mul_hi_u32 v10, s19, v8
	v_add_nc_u32_e32 v10, v8, v10
	v_lshrrev_b32_e32 v10, s36, v10
	v_mul_hi_u32 v14, s38, v10
	v_mul_lo_u32 v16, v10, s18
	v_add_nc_u32_e32 v4, v10, v14
	v_mul_lo_u32 v14, v8, s15
	v_sub_nc_u32_e32 v8, v8, v16
	v_lshrrev_b32_e32 v4, s39, v4
	v_mul_lo_u32 v16, v8, s28
	v_mul_lo_u32 v8, v8, s29
	v_sub_nc_u32_e32 v6, v6, v14
	v_mul_lo_u32 v17, v4, s37
	v_mul_lo_u32 v14, v6, s26
	;; [unrolled: 1-line block ×3, first 2 shown]
	v_sub_nc_u32_e32 v10, v10, v17
	v_add3_u32 v3, v12, v3, v14
	v_mul_lo_u32 v17, v10, s30
	v_mul_lo_u32 v10, v10, s31
	v_add3_u32 v5, v15, v5, v6
	v_add3_u32 v3, v16, v3, v17
	v_add3_u32 v5, v8, v5, v10
	s_cbranch_scc1 .LBB17_62
; %bb.63:
	s_and_b32 s8, s8, 3
	s_cmp_eq_u32 s8, 0
	s_cbranch_scc0 .LBB17_67
	s_branch .LBB17_69
.LBB17_64:
	s_mov_b32 s6, -1
                                        ; implicit-def: $vgpr3
                                        ; implicit-def: $vgpr5
	s_branch .LBB17_69
.LBB17_65:
	v_mov_b32_e32 v3, 0
	v_mov_b32_e32 v5, 0
	s_branch .LBB17_69
.LBB17_66:
	v_mov_b32_e32 v3, 0
	v_mov_b32_e32 v5, 0
	;; [unrolled: 1-line block ×3, first 2 shown]
	s_mov_b32 s7, 0
	s_and_b32 s8, s8, 3
	s_cmp_eq_u32 s8, 0
	s_cbranch_scc1 .LBB17_69
.LBB17_67:
	s_lshl_b32 s0, s7, 3
	s_mul_i32 s4, s7, 12
	s_add_u32 s0, s2, s0
	s_addc_u32 s1, s3, 0
	s_add_u32 s0, s0, 0xc4
	s_addc_u32 s1, s1, 0
	;; [unrolled: 2-line block ×3, first 2 shown]
	.p2align	6
.LBB17_68:                              ; =>This Inner Loop Header: Depth=1
	s_clause 0x1
	s_load_dwordx2 s[10:11], s[4:5], 0x4
	s_load_dword s7, s[4:5], 0xc
	s_load_dwordx2 s[12:13], s[0:1], 0x0
	s_add_u32 s4, s4, 12
	s_addc_u32 s5, s5, 0
	s_add_u32 s0, s0, 8
	s_addc_u32 s1, s1, 0
	s_add_i32 s8, s8, -1
	s_cmp_lg_u32 s8, 0
	s_waitcnt lgkmcnt(0)
	v_mul_hi_u32 v6, s11, v4
	v_add_nc_u32_e32 v6, v4, v6
	v_lshrrev_b32_e32 v8, s7, v6
	v_mul_lo_u32 v6, v8, s10
	v_sub_nc_u32_e32 v6, v4, v6
	v_mad_u64_u32 v[3:4], null, v6, s12, v[3:4]
	v_mad_u64_u32 v[5:6], null, v6, s13, v[5:6]
	v_mov_b32_e32 v4, v8
	s_cbranch_scc1 .LBB17_68
.LBB17_69:
	s_andn2_b32 vcc_lo, exec_lo, s6
	s_cbranch_vccnz .LBB17_72
; %bb.70:
	s_clause 0x1
	s_load_dwordx4 s[4:7], s[2:3], 0x4
	s_load_dwordx2 s[0:1], s[2:3], 0xc4
	s_cmp_lt_u32 s22, 2
	s_waitcnt lgkmcnt(0)
	v_mul_hi_u32 v3, s5, v13
	v_add_nc_u32_e32 v3, v13, v3
	v_lshrrev_b32_e32 v4, s6, v3
	v_mul_lo_u32 v3, v4, s4
	v_sub_nc_u32_e32 v5, v13, v3
	v_mul_lo_u32 v3, v5, s0
	v_mul_lo_u32 v5, v5, s1
	s_cbranch_scc1 .LBB17_72
; %bb.71:
	s_clause 0x1
	s_load_dwordx4 s[4:7], s[2:3], 0x10
	s_load_dwordx2 s[0:1], s[2:3], 0xcc
	s_waitcnt lgkmcnt(0)
	v_mul_hi_u32 v6, s5, v4
	v_add_nc_u32_e32 v6, v4, v6
	v_lshrrev_b32_e32 v6, s6, v6
	v_mul_lo_u32 v6, v6, s4
	v_sub_nc_u32_e32 v6, v4, v6
	v_mad_u64_u32 v[3:4], null, v6, s0, v[3:4]
	v_mad_u64_u32 v[5:6], null, v6, s1, v[5:6]
.LBB17_72:
	s_load_dwordx4 s[4:7], s[2:3], 0x148
                                        ; implicit-def: $vgpr14
	s_mov_b32 s0, exec_lo
	s_waitcnt lgkmcnt(0)
	global_load_dword v4, v11, s[6:7]
	s_waitcnt vmcnt(0)
	v_cmpx_neq_f32_e32 0, v4
	s_xor_b32 s2, exec_lo, s0
	s_cbranch_execz .LBB17_94
; %bb.73:
	v_mov_b32_e32 v6, 0
	s_mov_b32 s0, -1
	s_mov_b32 s3, exec_lo
	v_cmpx_gt_f32_e32 0, v4
	s_cbranch_execz .LBB17_81
; %bb.74:
	v_trunc_f32_e32 v6, v4
	s_mov_b32 s1, 0
	v_cmp_neq_f32_e32 vcc_lo, v4, v6
	v_mov_b32_e32 v6, 0
	s_and_saveexec_b32 s8, vcc_lo
	s_cbranch_execz .LBB17_80
; %bb.75:
	v_cvt_f64_f32_e32 v[10:11], v4
	s_mov_b32 s1, 0xc00921fb
	s_mov_b32 s0, 0x54442d18
	s_mov_b32 s9, exec_lo
                                        ; implicit-def: $vgpr6
                                        ; implicit-def: $vgpr14_vgpr15
	v_trunc_f64_e32 v[12:13], v[10:11]
	v_cmp_neq_f64_e64 vcc_lo, 0x7ff00000, |v[10:11]|
	v_add_f64 v[12:13], v[10:11], -v[12:13]
	v_mul_f64 v[12:13], |v[12:13]|, s[0:1]
	v_cndmask_b32_e32 v11, 0x80000000, v13, vcc_lo
	v_cndmask_b32_e32 v10, 0, v12, vcc_lo
                                        ; implicit-def: $vgpr12_vgpr13
	v_cmpx_ngt_f64_e64 0x41d00000, |v[10:11]|
	s_xor_b32 s9, exec_lo, s9
	s_cbranch_execz .LBB17_77
; %bb.76:
	v_ldexp_f64 v[12:13], |v[10:11]|, 0xffffff80
	v_cmp_le_f64_e64 vcc_lo, 0x7b000000, |v[10:11]|
	v_trig_preop_f64 v[14:15], |v[10:11]|, 0
	v_and_b32_e32 v6, 0x7fffffff, v11
	v_trig_preop_f64 v[16:17], |v[10:11]|, 1
	v_trig_preop_f64 v[26:27], |v[10:11]|, 2
	v_mov_b32_e32 v34, 0
	s_mov_b32 s1, 0x3ff921fb
	s_mov_b32 s10, 0x33145c07
	;; [unrolled: 1-line block ×3, first 2 shown]
	v_cndmask_b32_e32 v13, v6, v13, vcc_lo
	v_cndmask_b32_e32 v12, v10, v12, vcc_lo
	v_mul_f64 v[18:19], v[14:15], v[12:13]
	v_mul_f64 v[20:21], v[16:17], v[12:13]
	;; [unrolled: 1-line block ×3, first 2 shown]
	v_fma_f64 v[14:15], v[14:15], v[12:13], -v[18:19]
	v_fma_f64 v[16:17], v[16:17], v[12:13], -v[20:21]
	;; [unrolled: 1-line block ×3, first 2 shown]
	v_add_f64 v[22:23], v[20:21], v[14:15]
	v_add_f64 v[24:25], v[22:23], -v[20:21]
	v_add_f64 v[30:31], v[18:19], v[22:23]
	v_add_f64 v[28:29], v[22:23], -v[24:25]
	v_add_f64 v[14:15], v[14:15], -v[24:25]
	v_ldexp_f64 v[24:25], v[30:31], -2
	v_add_f64 v[18:19], v[30:31], -v[18:19]
	v_add_f64 v[20:21], v[20:21], -v[28:29]
	v_add_f64 v[28:29], v[32:33], v[16:17]
	v_cmp_neq_f64_e64 vcc_lo, 0x7ff00000, |v[24:25]|
	v_add_f64 v[18:19], v[22:23], -v[18:19]
	v_add_f64 v[14:15], v[14:15], v[20:21]
	v_fract_f64_e32 v[20:21], v[24:25]
	v_add_f64 v[22:23], v[28:29], v[14:15]
	v_ldexp_f64 v[20:21], v[20:21], 2
	v_add_f64 v[24:25], v[18:19], v[22:23]
	v_cndmask_b32_e32 v21, 0, v21, vcc_lo
	v_cndmask_b32_e32 v20, 0, v20, vcc_lo
	v_add_f64 v[30:31], v[24:25], v[20:21]
	v_add_f64 v[18:19], v[24:25], -v[18:19]
	v_cmp_gt_f64_e32 vcc_lo, 0, v[30:31]
	v_add_f64 v[30:31], v[28:29], -v[32:33]
	v_add_f64 v[18:19], v[22:23], -v[18:19]
	v_cndmask_b32_e64 v35, 0, 0x40100000, vcc_lo
	v_add_f64 v[39:40], v[28:29], -v[30:31]
	v_add_f64 v[16:17], v[16:17], -v[30:31]
	v_add_f64 v[20:21], v[20:21], v[34:35]
	v_add_f64 v[35:36], v[22:23], -v[28:29]
	v_add_f64 v[30:31], v[32:33], -v[39:40]
	v_add_f64 v[37:38], v[24:25], v[20:21]
	;; [unrolled: 3-line block ×3, first 2 shown]
	v_cvt_i32_f64_e32 v6, v[37:38]
	v_add_f64 v[28:29], v[28:29], -v[41:42]
	v_cvt_f64_i32_e32 v[35:36], v6
	v_add_f64 v[14:15], v[14:15], v[28:29]
	v_add_f64 v[20:21], v[20:21], -v[35:36]
	v_add_f64 v[14:15], v[16:17], v[14:15]
	v_add_f64 v[16:17], v[24:25], v[20:21]
	;; [unrolled: 1-line block ×3, first 2 shown]
	v_add_f64 v[14:15], v[16:17], -v[20:21]
	v_cmp_le_f64_e32 vcc_lo, 0.5, v[16:17]
	v_add_f64 v[12:13], v[18:19], v[12:13]
	v_add_f64 v[14:15], v[24:25], -v[14:15]
	v_cndmask_b32_e64 v35, 0, 0x3ff00000, vcc_lo
	v_add_co_ci_u32_e64 v6, null, 0, v6, vcc_lo
	v_add_f64 v[12:13], v[12:13], v[14:15]
	v_add_f64 v[14:15], v[16:17], -v[34:35]
	v_add_f64 v[16:17], v[14:15], v[12:13]
	v_mul_f64 v[18:19], v[16:17], s[0:1]
	v_add_f64 v[14:15], v[16:17], -v[14:15]
	v_fma_f64 v[20:21], v[16:17], s[0:1], -v[18:19]
	v_add_f64 v[12:13], v[12:13], -v[14:15]
	v_fma_f64 v[14:15], v[16:17], s[10:11], v[20:21]
	v_fma_f64 v[14:15], v[12:13], s[0:1], v[14:15]
	v_add_f64 v[12:13], v[18:19], v[14:15]
	v_add_f64 v[16:17], v[12:13], -v[18:19]
	v_add_f64 v[14:15], v[14:15], -v[16:17]
.LBB17_77:
	s_andn2_saveexec_b32 s0, s9
	s_cbranch_execz .LBB17_79
; %bb.78:
	s_mov_b32 s10, 0x6dc9c883
	s_mov_b32 s11, 0x3fe45f30
	;; [unrolled: 1-line block ×3, first 2 shown]
	v_mul_f64 v[12:13], |v[10:11]|, s[10:11]
	s_mov_b32 s10, 0x54442d18
	s_mov_b32 s11, 0xbff921fb
	s_mov_b32 s12, 0x33145c00
	v_rndne_f64_e32 v[16:17], v[12:13]
	v_fma_f64 v[12:13], v[16:17], s[10:11], |v[10:11]|
	v_mul_f64 v[14:15], v[16:17], s[12:13]
	s_mov_b32 s10, 0x252049c0
	s_mov_b32 s11, 0xb97b839a
	v_cvt_i32_f64_e32 v6, v[16:17]
	v_fma_f64 v[20:21], v[16:17], s[12:13], v[12:13]
	v_add_f64 v[18:19], v[12:13], v[14:15]
	s_mov_b32 s13, 0x3c91a626
	v_add_f64 v[12:13], v[12:13], -v[18:19]
	v_add_f64 v[18:19], v[18:19], -v[20:21]
	v_add_f64 v[12:13], v[12:13], v[14:15]
	v_fma_f64 v[14:15], v[16:17], s[12:13], v[14:15]
	v_add_f64 v[12:13], v[18:19], v[12:13]
	v_add_f64 v[12:13], v[12:13], -v[14:15]
	v_fma_f64 v[14:15], v[16:17], s[10:11], v[12:13]
	v_add_f64 v[12:13], v[20:21], v[14:15]
	v_add_f64 v[18:19], v[12:13], -v[20:21]
	v_add_f64 v[14:15], v[14:15], -v[18:19]
.LBB17_79:
	s_or_b32 exec_lo, exec_lo, s0
	v_mul_f64 v[16:17], v[12:13], v[12:13]
	v_add_f64 v[18:19], v[14:15], v[14:15]
	s_mov_b32 s10, 0xa9a29f71
	s_mov_b32 s12, 0xc751c08c
	;; [unrolled: 1-line block ×4, first 2 shown]
	v_cmp_class_f64_e64 s0, v[10:11], 0x1f8
	v_and_b32_e32 v6, 1, v6
	v_and_b32_e32 v10, 0x80000000, v11
	v_sub_f32_e32 v4, 1.0, v4
	s_mov_b32 s1, exec_lo
	v_cmp_eq_u32_e32 vcc_lo, 0, v6
	v_fma_f64 v[20:21], v[12:13], v[12:13], -v[16:17]
	v_fma_f64 v[18:19], v[12:13], v[18:19], v[20:21]
	v_add_f64 v[16:17], v[16:17], v[18:19]
	v_fma_f64 v[18:19], v[16:17], s[12:13], s[10:11]
	s_mov_b32 s10, 0x90a8aae0
	s_mov_b32 s11, 0x3f17746f
	v_fma_f64 v[18:19], v[16:17], v[18:19], s[10:11]
	s_mov_b32 s10, 0xa6fbf144
	s_mov_b32 s11, 0xbefbb44d
	;; [unrolled: 3-line block ×13, first 2 shown]
	v_mul_f64 v[16:17], v[16:17], v[18:19]
	v_mul_f64 v[18:19], v[12:13], v[16:17]
	v_add_f64 v[20:21], v[12:13], v[18:19]
	v_fma_f64 v[16:17], v[12:13], v[16:17], -v[18:19]
	v_add_f64 v[12:13], v[20:21], -v[12:13]
	v_add_f64 v[14:15], v[14:15], v[16:17]
	v_add_f64 v[12:13], v[18:19], -v[12:13]
	v_add_f64 v[12:13], v[14:15], v[12:13]
	v_add_f64 v[14:15], v[20:21], v[12:13]
	v_rcp_f64_e32 v[16:17], v[14:15]
	v_fma_f64 v[18:19], -v[14:15], v[16:17], 1.0
	v_fma_f64 v[16:17], v[18:19], v[16:17], v[16:17]
	v_fma_f64 v[18:19], -v[14:15], v[16:17], 1.0
	v_fma_f64 v[16:17], v[18:19], v[16:17], v[16:17]
	v_add_f64 v[18:19], v[14:15], -v[20:21]
	v_mul_f64 v[20:21], v[14:15], v[16:17]
	v_add_f64 v[12:13], v[12:13], -v[18:19]
	v_fma_f64 v[18:19], v[16:17], v[14:15], -v[20:21]
	v_fma_f64 v[12:13], v[16:17], v[12:13], v[18:19]
	v_add_f64 v[18:19], v[20:21], v[12:13]
	v_add_f64 v[22:23], -v[18:19], 1.0
	v_add_f64 v[20:21], v[18:19], -v[20:21]
	v_add_f64 v[24:25], -v[22:23], 1.0
	v_add_f64 v[12:13], v[20:21], -v[12:13]
	v_add_f64 v[18:19], v[24:25], -v[18:19]
	v_add_f64 v[12:13], v[12:13], v[18:19]
	v_add_f64 v[12:13], v[22:23], v[12:13]
	v_mul_f64 v[12:13], v[16:17], v[12:13]
	v_add_f64 v[12:13], v[16:17], v[12:13]
	v_xor_b32_e32 v8, 0x80000000, v13
	v_cndmask_b32_e32 v6, v12, v14, vcc_lo
	v_cndmask_b32_e32 v8, v8, v15, vcc_lo
	v_xor_b32_e32 v8, v8, v10
	v_cndmask_b32_e64 v10, 0, v6, s0
	v_cndmask_b32_e64 v11, 0x7ff80000, v8, s0
	v_div_scale_f64 v[12:13], null, v[10:11], v[10:11], s[10:11]
	v_rcp_f64_e32 v[14:15], v[12:13]
	v_fma_f64 v[16:17], -v[12:13], v[14:15], 1.0
	v_fma_f64 v[14:15], v[14:15], v[16:17], v[14:15]
	v_fma_f64 v[16:17], -v[12:13], v[14:15], 1.0
	v_fma_f64 v[14:15], v[14:15], v[16:17], v[14:15]
	v_div_scale_f64 v[16:17], vcc_lo, s[10:11], v[10:11], s[10:11]
	v_mul_f64 v[18:19], v[16:17], v[14:15]
	v_fma_f64 v[12:13], -v[12:13], v[18:19], v[16:17]
	v_div_fmas_f64 v[12:13], v[12:13], v[14:15], v[18:19]
	v_div_fixup_f64 v[10:11], v[12:13], v[10:11], s[10:11]
	v_cvt_f32_f64_e32 v6, v[10:11]
.LBB17_80:
	s_or_b32 exec_lo, exec_lo, s8
	s_orn2_b32 s0, s1, exec_lo
.LBB17_81:
	s_or_b32 exec_lo, exec_lo, s3
	v_mov_b32_e32 v14, 0x7fc00000
	s_and_saveexec_b32 s3, s0
	s_cbranch_execz .LBB17_93
; %bb.82:
	s_mov_b32 s0, exec_lo
	v_cmpx_gt_f32_e32 0x41200000, v4
	s_cbranch_execz .LBB17_86
; %bb.83:
	s_mov_b32 s1, 0
	.p2align	6
.LBB17_84:                              ; =>This Inner Loop Header: Depth=1
	v_div_scale_f32 v8, null, v4, v4, 1.0
	v_div_scale_f32 v12, vcc_lo, 1.0, v4, 1.0
	v_rcp_f32_e32 v10, v8
	v_fma_f32 v11, -v8, v10, 1.0
	v_fmac_f32_e32 v10, v11, v10
	v_mul_f32_e32 v11, v12, v10
	v_fma_f32 v13, -v8, v11, v12
	v_fmac_f32_e32 v11, v13, v10
	v_fma_f32 v8, -v8, v11, v12
	v_div_fmas_f32 v8, v8, v10, v11
	v_div_fixup_f32 v8, v8, v4, 1.0
	v_add_f32_e32 v4, 1.0, v4
	v_sub_f32_e32 v6, v6, v8
	v_cmp_ngt_f32_e32 vcc_lo, 0x41200000, v4
	s_or_b32 s1, vcc_lo, s1
	s_andn2_b32 exec_lo, exec_lo, s1
	s_cbranch_execnz .LBB17_84
; %bb.85:
	s_or_b32 exec_lo, exec_lo, s1
.LBB17_86:
	s_or_b32 exec_lo, exec_lo, s0
                                        ; implicit-def: $vgpr14
	s_mov_b32 s0, exec_lo
	v_cmpx_neq_f32_e32 0x41200000, v4
	s_xor_b32 s8, exec_lo, s0
	s_cbranch_execz .LBB17_90
; %bb.87:
	v_cvt_f64_f32_e32 v[10:11], v4
	s_mov_b32 s0, 0x85d8a000
	s_mov_b32 s1, 0x43763457
	v_mov_b32_e32 v8, 0
	v_cmp_gt_f64_e32 vcc_lo, s[0:1], v[10:11]
	s_and_saveexec_b32 s0, vcc_lo
	s_cbranch_execz .LBB17_89
; %bb.88:
	v_mul_f32_e32 v8, v4, v4
	v_div_scale_f32 v10, null, v8, v8, 1.0
	v_rcp_f32_e32 v11, v10
	v_fma_f32 v12, -v10, v11, 1.0
	v_fmac_f32_e32 v11, v12, v11
	v_div_scale_f32 v12, vcc_lo, 1.0, v8, 1.0
	v_mul_f32_e32 v13, v12, v11
	v_fma_f32 v14, -v10, v13, v12
	v_fmac_f32_e32 v13, v14, v11
	v_fma_f32 v10, -v10, v13, v12
	v_div_fmas_f32 v10, v10, v11, v13
	v_div_fixup_f32 v8, v10, v8, 1.0
	v_fmaak_f32 v10, 0, v8, 0x3daaaaab
	v_fmaak_f32 v10, v8, v10, 0xbcaccacd
	;; [unrolled: 1-line block ×7, first 2 shown]
	v_mul_f32_e32 v8, v8, v10
.LBB17_89:
	s_or_b32 exec_lo, exec_lo, s0
	v_cmp_gt_f32_e32 vcc_lo, 0x800000, v4
	v_div_scale_f32 v10, null, v4, v4, -0.5
	v_div_scale_f32 v14, s0, -0.5, v4, -0.5
	v_cndmask_b32_e64 v11, 0, 32, vcc_lo
	v_rcp_f32_e32 v12, v10
	v_ldexp_f32 v11, v4, v11
	v_log_f32_e32 v11, v11
	v_fma_f32 v13, -v10, v12, 1.0
	v_fmac_f32_e32 v12, v13, v12
	v_mul_f32_e32 v13, 0x3f317217, v11
	v_mul_f32_e32 v15, v14, v12
	v_cmp_gt_f32_e64 s1, 0x7f800000, |v11|
	v_fma_f32 v13, 0x3f317217, v11, -v13
	v_fma_f32 v16, -v10, v15, v14
	v_fmamk_f32 v13, v11, 0x3377d1cf, v13
	v_fmac_f32_e32 v15, v16, v12
	v_fmac_f32_e32 v13, 0x3f317217, v11
	v_fma_f32 v10, -v10, v15, v14
	v_cndmask_b32_e64 v11, v11, v13, s1
	v_cndmask_b32_e64 v13, 0, 0x41b17218, vcc_lo
	s_mov_b32 vcc_lo, s0
	v_div_fmas_f32 v10, v10, v12, v15
	v_sub_f32_e32 v11, v11, v13
	v_div_fixup_f32 v4, v10, v4, -0.5
	v_add_f32_e32 v4, v11, v4
	v_sub_f32_e32 v4, v4, v8
	v_add_f32_e32 v14, v6, v4
                                        ; implicit-def: $vgpr6
.LBB17_90:
	s_andn2_saveexec_b32 s0, s8
; %bb.91:
	v_add_f32_e32 v14, 0x40101cb7, v6
; %bb.92:
	s_or_b32 exec_lo, exec_lo, s0
.LBB17_93:
	s_or_b32 exec_lo, exec_lo, s3
                                        ; implicit-def: $vgpr4
.LBB17_94:
	s_andn2_saveexec_b32 s0, s2
; %bb.95:
	v_xor_b32_e32 v4, 0x80000000, v4
	s_mov_b32 s1, 0x7f800000
	v_bfi_b32 v14, 0x7fffffff, s1, v4
; %bb.96:
	s_or_b32 exec_lo, exec_lo, s0
	global_load_dword v4, v9, s[6:7]
                                        ; implicit-def: $vgpr12
	s_mov_b32 s0, exec_lo
	s_waitcnt vmcnt(0)
	v_cmpx_neq_f32_e32 0, v4
	s_xor_b32 s2, exec_lo, s0
	s_cbranch_execz .LBB17_118
; %bb.97:
	v_mov_b32_e32 v6, 0
	s_mov_b32 s0, -1
	s_mov_b32 s3, exec_lo
	v_cmpx_gt_f32_e32 0, v4
	s_cbranch_execz .LBB17_105
; %bb.98:
	v_trunc_f32_e32 v6, v4
	s_mov_b32 s1, 0
	v_cmp_neq_f32_e32 vcc_lo, v4, v6
	v_mov_b32_e32 v6, 0
	s_and_saveexec_b32 s8, vcc_lo
	s_cbranch_execz .LBB17_104
; %bb.99:
	v_cvt_f64_f32_e32 v[8:9], v4
	s_mov_b32 s1, 0xc00921fb
	s_mov_b32 s0, 0x54442d18
	s_mov_b32 s9, exec_lo
                                        ; implicit-def: $vgpr6
                                        ; implicit-def: $vgpr12_vgpr13
	v_trunc_f64_e32 v[10:11], v[8:9]
	v_cmp_neq_f64_e64 vcc_lo, 0x7ff00000, |v[8:9]|
	v_add_f64 v[10:11], v[8:9], -v[10:11]
	v_mul_f64 v[10:11], |v[10:11]|, s[0:1]
	v_cndmask_b32_e32 v9, 0x80000000, v11, vcc_lo
	v_cndmask_b32_e32 v8, 0, v10, vcc_lo
                                        ; implicit-def: $vgpr10_vgpr11
	v_cmpx_ngt_f64_e64 0x41d00000, |v[8:9]|
	s_xor_b32 s9, exec_lo, s9
	s_cbranch_execz .LBB17_101
; %bb.100:
	v_ldexp_f64 v[10:11], |v[8:9]|, 0xffffff80
	v_cmp_le_f64_e64 vcc_lo, 0x7b000000, |v[8:9]|
	v_trig_preop_f64 v[12:13], |v[8:9]|, 0
	v_and_b32_e32 v6, 0x7fffffff, v9
	v_trig_preop_f64 v[15:16], |v[8:9]|, 1
	v_trig_preop_f64 v[25:26], |v[8:9]|, 2
	v_mov_b32_e32 v33, 0
	s_mov_b32 s1, 0x3ff921fb
	s_mov_b32 s10, 0x33145c07
	;; [unrolled: 1-line block ×3, first 2 shown]
	v_cndmask_b32_e32 v11, v6, v11, vcc_lo
	v_cndmask_b32_e32 v10, v8, v10, vcc_lo
	v_mul_f64 v[17:18], v[12:13], v[10:11]
	v_mul_f64 v[19:20], v[15:16], v[10:11]
	;; [unrolled: 1-line block ×3, first 2 shown]
	v_fma_f64 v[12:13], v[12:13], v[10:11], -v[17:18]
	v_fma_f64 v[15:16], v[15:16], v[10:11], -v[19:20]
	;; [unrolled: 1-line block ×3, first 2 shown]
	v_add_f64 v[21:22], v[19:20], v[12:13]
	v_add_f64 v[23:24], v[21:22], -v[19:20]
	v_add_f64 v[29:30], v[17:18], v[21:22]
	v_add_f64 v[27:28], v[21:22], -v[23:24]
	v_add_f64 v[12:13], v[12:13], -v[23:24]
	v_ldexp_f64 v[23:24], v[29:30], -2
	v_add_f64 v[17:18], v[29:30], -v[17:18]
	v_add_f64 v[19:20], v[19:20], -v[27:28]
	v_add_f64 v[27:28], v[31:32], v[15:16]
	v_cmp_neq_f64_e64 vcc_lo, 0x7ff00000, |v[23:24]|
	v_add_f64 v[17:18], v[21:22], -v[17:18]
	v_add_f64 v[12:13], v[12:13], v[19:20]
	v_fract_f64_e32 v[19:20], v[23:24]
	v_add_f64 v[21:22], v[27:28], v[12:13]
	v_ldexp_f64 v[19:20], v[19:20], 2
	v_add_f64 v[23:24], v[17:18], v[21:22]
	v_cndmask_b32_e32 v20, 0, v20, vcc_lo
	v_cndmask_b32_e32 v19, 0, v19, vcc_lo
	v_add_f64 v[29:30], v[23:24], v[19:20]
	v_add_f64 v[17:18], v[23:24], -v[17:18]
	v_cmp_gt_f64_e32 vcc_lo, 0, v[29:30]
	v_add_f64 v[29:30], v[27:28], -v[31:32]
	v_add_f64 v[17:18], v[21:22], -v[17:18]
	v_cndmask_b32_e64 v34, 0, 0x40100000, vcc_lo
	v_add_f64 v[38:39], v[27:28], -v[29:30]
	v_add_f64 v[15:16], v[15:16], -v[29:30]
	v_add_f64 v[19:20], v[19:20], v[33:34]
	v_add_f64 v[34:35], v[21:22], -v[27:28]
	v_add_f64 v[29:30], v[31:32], -v[38:39]
	v_add_f64 v[36:37], v[23:24], v[19:20]
	;; [unrolled: 3-line block ×3, first 2 shown]
	v_cvt_i32_f64_e32 v6, v[36:37]
	v_add_f64 v[27:28], v[27:28], -v[40:41]
	v_cvt_f64_i32_e32 v[34:35], v6
	v_add_f64 v[12:13], v[12:13], v[27:28]
	v_add_f64 v[19:20], v[19:20], -v[34:35]
	v_add_f64 v[12:13], v[15:16], v[12:13]
	v_add_f64 v[15:16], v[23:24], v[19:20]
	;; [unrolled: 1-line block ×3, first 2 shown]
	v_add_f64 v[12:13], v[15:16], -v[19:20]
	v_cmp_le_f64_e32 vcc_lo, 0.5, v[15:16]
	v_add_f64 v[10:11], v[17:18], v[10:11]
	v_add_f64 v[12:13], v[23:24], -v[12:13]
	v_cndmask_b32_e64 v34, 0, 0x3ff00000, vcc_lo
	v_add_co_ci_u32_e64 v6, null, 0, v6, vcc_lo
	v_add_f64 v[10:11], v[10:11], v[12:13]
	v_add_f64 v[12:13], v[15:16], -v[33:34]
	v_add_f64 v[15:16], v[12:13], v[10:11]
	v_mul_f64 v[17:18], v[15:16], s[0:1]
	v_add_f64 v[12:13], v[15:16], -v[12:13]
	v_fma_f64 v[19:20], v[15:16], s[0:1], -v[17:18]
	v_add_f64 v[10:11], v[10:11], -v[12:13]
	v_fma_f64 v[12:13], v[15:16], s[10:11], v[19:20]
	v_fma_f64 v[12:13], v[10:11], s[0:1], v[12:13]
	v_add_f64 v[10:11], v[17:18], v[12:13]
	v_add_f64 v[15:16], v[10:11], -v[17:18]
	v_add_f64 v[12:13], v[12:13], -v[15:16]
.LBB17_101:
	s_andn2_saveexec_b32 s0, s9
	s_cbranch_execz .LBB17_103
; %bb.102:
	s_mov_b32 s10, 0x6dc9c883
	s_mov_b32 s11, 0x3fe45f30
	;; [unrolled: 1-line block ×3, first 2 shown]
	v_mul_f64 v[10:11], |v[8:9]|, s[10:11]
	s_mov_b32 s10, 0x54442d18
	s_mov_b32 s11, 0xbff921fb
	;; [unrolled: 1-line block ×3, first 2 shown]
	v_rndne_f64_e32 v[15:16], v[10:11]
	v_fma_f64 v[10:11], v[15:16], s[10:11], |v[8:9]|
	v_mul_f64 v[12:13], v[15:16], s[12:13]
	s_mov_b32 s10, 0x252049c0
	s_mov_b32 s11, 0xb97b839a
	v_cvt_i32_f64_e32 v6, v[15:16]
	v_fma_f64 v[19:20], v[15:16], s[12:13], v[10:11]
	v_add_f64 v[17:18], v[10:11], v[12:13]
	s_mov_b32 s13, 0x3c91a626
	v_add_f64 v[10:11], v[10:11], -v[17:18]
	v_add_f64 v[17:18], v[17:18], -v[19:20]
	v_add_f64 v[10:11], v[10:11], v[12:13]
	v_fma_f64 v[12:13], v[15:16], s[12:13], v[12:13]
	v_add_f64 v[10:11], v[17:18], v[10:11]
	v_add_f64 v[10:11], v[10:11], -v[12:13]
	v_fma_f64 v[12:13], v[15:16], s[10:11], v[10:11]
	v_add_f64 v[10:11], v[19:20], v[12:13]
	v_add_f64 v[17:18], v[10:11], -v[19:20]
	v_add_f64 v[12:13], v[12:13], -v[17:18]
.LBB17_103:
	s_or_b32 exec_lo, exec_lo, s0
	v_mul_f64 v[15:16], v[10:11], v[10:11]
	v_add_f64 v[17:18], v[12:13], v[12:13]
	s_mov_b32 s10, 0xa9a29f71
	s_mov_b32 s12, 0xc751c08c
	;; [unrolled: 1-line block ×4, first 2 shown]
	v_cmp_class_f64_e64 s0, v[8:9], 0x1f8
	v_and_b32_e32 v6, 1, v6
	v_and_b32_e32 v9, 0x80000000, v9
	v_sub_f32_e32 v4, 1.0, v4
	s_mov_b32 s1, exec_lo
	v_cmp_eq_u32_e32 vcc_lo, 0, v6
	v_fma_f64 v[19:20], v[10:11], v[10:11], -v[15:16]
	v_fma_f64 v[17:18], v[10:11], v[17:18], v[19:20]
	v_add_f64 v[15:16], v[15:16], v[17:18]
	v_fma_f64 v[17:18], v[15:16], s[12:13], s[10:11]
	s_mov_b32 s10, 0x90a8aae0
	s_mov_b32 s11, 0x3f17746f
	v_fma_f64 v[17:18], v[15:16], v[17:18], s[10:11]
	s_mov_b32 s10, 0xa6fbf144
	s_mov_b32 s11, 0xbefbb44d
	;; [unrolled: 3-line block ×13, first 2 shown]
	v_mul_f64 v[15:16], v[15:16], v[17:18]
	v_mul_f64 v[17:18], v[10:11], v[15:16]
	v_add_f64 v[19:20], v[10:11], v[17:18]
	v_fma_f64 v[15:16], v[10:11], v[15:16], -v[17:18]
	v_add_f64 v[10:11], v[19:20], -v[10:11]
	v_add_f64 v[12:13], v[12:13], v[15:16]
	v_add_f64 v[10:11], v[17:18], -v[10:11]
	v_add_f64 v[10:11], v[12:13], v[10:11]
	v_add_f64 v[12:13], v[19:20], v[10:11]
	v_rcp_f64_e32 v[15:16], v[12:13]
	v_fma_f64 v[17:18], -v[12:13], v[15:16], 1.0
	v_fma_f64 v[15:16], v[17:18], v[15:16], v[15:16]
	v_fma_f64 v[17:18], -v[12:13], v[15:16], 1.0
	v_fma_f64 v[15:16], v[17:18], v[15:16], v[15:16]
	v_add_f64 v[17:18], v[12:13], -v[19:20]
	v_mul_f64 v[19:20], v[12:13], v[15:16]
	v_add_f64 v[10:11], v[10:11], -v[17:18]
	v_fma_f64 v[17:18], v[15:16], v[12:13], -v[19:20]
	v_fma_f64 v[10:11], v[15:16], v[10:11], v[17:18]
	v_add_f64 v[17:18], v[19:20], v[10:11]
	v_add_f64 v[21:22], -v[17:18], 1.0
	v_add_f64 v[19:20], v[17:18], -v[19:20]
	v_add_f64 v[23:24], -v[21:22], 1.0
	v_add_f64 v[10:11], v[19:20], -v[10:11]
	v_add_f64 v[17:18], v[23:24], -v[17:18]
	v_add_f64 v[10:11], v[10:11], v[17:18]
	v_add_f64 v[10:11], v[21:22], v[10:11]
	v_mul_f64 v[10:11], v[15:16], v[10:11]
	v_add_f64 v[10:11], v[15:16], v[10:11]
	v_xor_b32_e32 v8, 0x80000000, v11
	v_cndmask_b32_e32 v6, v10, v12, vcc_lo
	v_cndmask_b32_e32 v8, v8, v13, vcc_lo
	v_xor_b32_e32 v9, v8, v9
	v_cndmask_b32_e64 v8, 0, v6, s0
	v_cndmask_b32_e64 v9, 0x7ff80000, v9, s0
	v_div_scale_f64 v[10:11], null, v[8:9], v[8:9], s[10:11]
	v_rcp_f64_e32 v[12:13], v[10:11]
	v_fma_f64 v[15:16], -v[10:11], v[12:13], 1.0
	v_fma_f64 v[12:13], v[12:13], v[15:16], v[12:13]
	v_fma_f64 v[15:16], -v[10:11], v[12:13], 1.0
	v_fma_f64 v[12:13], v[12:13], v[15:16], v[12:13]
	v_div_scale_f64 v[15:16], vcc_lo, s[10:11], v[8:9], s[10:11]
	v_mul_f64 v[17:18], v[15:16], v[12:13]
	v_fma_f64 v[10:11], -v[10:11], v[17:18], v[15:16]
	v_div_fmas_f64 v[10:11], v[10:11], v[12:13], v[17:18]
	v_div_fixup_f64 v[8:9], v[10:11], v[8:9], s[10:11]
	v_cvt_f32_f64_e32 v6, v[8:9]
.LBB17_104:
	s_or_b32 exec_lo, exec_lo, s8
	s_orn2_b32 s0, s1, exec_lo
.LBB17_105:
	s_or_b32 exec_lo, exec_lo, s3
	v_mov_b32_e32 v12, 0x7fc00000
	s_and_saveexec_b32 s3, s0
	s_cbranch_execz .LBB17_117
; %bb.106:
	s_mov_b32 s0, exec_lo
	v_cmpx_gt_f32_e32 0x41200000, v4
	s_cbranch_execz .LBB17_110
; %bb.107:
	s_mov_b32 s1, 0
	.p2align	6
.LBB17_108:                             ; =>This Inner Loop Header: Depth=1
	v_div_scale_f32 v8, null, v4, v4, 1.0
	v_div_scale_f32 v11, vcc_lo, 1.0, v4, 1.0
	v_rcp_f32_e32 v9, v8
	v_fma_f32 v10, -v8, v9, 1.0
	v_fmac_f32_e32 v9, v10, v9
	v_mul_f32_e32 v10, v11, v9
	v_fma_f32 v12, -v8, v10, v11
	v_fmac_f32_e32 v10, v12, v9
	v_fma_f32 v8, -v8, v10, v11
	v_div_fmas_f32 v8, v8, v9, v10
	v_div_fixup_f32 v8, v8, v4, 1.0
	v_add_f32_e32 v4, 1.0, v4
	v_sub_f32_e32 v6, v6, v8
	v_cmp_ngt_f32_e32 vcc_lo, 0x41200000, v4
	s_or_b32 s1, vcc_lo, s1
	s_andn2_b32 exec_lo, exec_lo, s1
	s_cbranch_execnz .LBB17_108
; %bb.109:
	s_or_b32 exec_lo, exec_lo, s1
.LBB17_110:
	s_or_b32 exec_lo, exec_lo, s0
                                        ; implicit-def: $vgpr12
	s_mov_b32 s0, exec_lo
	v_cmpx_neq_f32_e32 0x41200000, v4
	s_xor_b32 s8, exec_lo, s0
	s_cbranch_execz .LBB17_114
; %bb.111:
	v_cvt_f64_f32_e32 v[8:9], v4
	s_mov_b32 s0, 0x85d8a000
	s_mov_b32 s1, 0x43763457
	v_cmp_gt_f64_e32 vcc_lo, s[0:1], v[8:9]
	v_mov_b32_e32 v8, 0
	s_and_saveexec_b32 s0, vcc_lo
	s_cbranch_execz .LBB17_113
; %bb.112:
	v_mul_f32_e32 v8, v4, v4
	v_div_scale_f32 v9, null, v8, v8, 1.0
	v_rcp_f32_e32 v10, v9
	v_fma_f32 v11, -v9, v10, 1.0
	v_fmac_f32_e32 v10, v11, v10
	v_div_scale_f32 v11, vcc_lo, 1.0, v8, 1.0
	v_mul_f32_e32 v12, v11, v10
	v_fma_f32 v13, -v9, v12, v11
	v_fmac_f32_e32 v12, v13, v10
	v_fma_f32 v9, -v9, v12, v11
	v_div_fmas_f32 v9, v9, v10, v12
	v_div_fixup_f32 v8, v9, v8, 1.0
	v_fmaak_f32 v9, 0, v8, 0x3daaaaab
	v_fmaak_f32 v9, v8, v9, 0xbcaccacd
	;; [unrolled: 1-line block ×7, first 2 shown]
	v_mul_f32_e32 v8, v8, v9
.LBB17_113:
	s_or_b32 exec_lo, exec_lo, s0
	v_cmp_gt_f32_e32 vcc_lo, 0x800000, v4
	v_div_scale_f32 v9, null, v4, v4, -0.5
	v_div_scale_f32 v13, s0, -0.5, v4, -0.5
	v_cndmask_b32_e64 v10, 0, 32, vcc_lo
	v_rcp_f32_e32 v11, v9
	v_ldexp_f32 v10, v4, v10
	v_log_f32_e32 v10, v10
	v_fma_f32 v12, -v9, v11, 1.0
	v_fmac_f32_e32 v11, v12, v11
	v_mul_f32_e32 v12, 0x3f317217, v10
	v_mul_f32_e32 v15, v13, v11
	v_cmp_gt_f32_e64 s1, 0x7f800000, |v10|
	v_fma_f32 v12, 0x3f317217, v10, -v12
	v_fma_f32 v16, -v9, v15, v13
	v_fmamk_f32 v12, v10, 0x3377d1cf, v12
	v_fmac_f32_e32 v15, v16, v11
	v_fmac_f32_e32 v12, 0x3f317217, v10
	v_fma_f32 v9, -v9, v15, v13
	v_cndmask_b32_e64 v10, v10, v12, s1
	v_cndmask_b32_e64 v12, 0, 0x41b17218, vcc_lo
	s_mov_b32 vcc_lo, s0
	v_div_fmas_f32 v9, v9, v11, v15
	v_sub_f32_e32 v10, v10, v12
	v_div_fixup_f32 v4, v9, v4, -0.5
	v_add_f32_e32 v4, v10, v4
	v_sub_f32_e32 v4, v4, v8
	v_add_f32_e32 v12, v6, v4
                                        ; implicit-def: $vgpr6
.LBB17_114:
	s_andn2_saveexec_b32 s0, s8
; %bb.115:
	v_add_f32_e32 v12, 0x40101cb7, v6
; %bb.116:
	s_or_b32 exec_lo, exec_lo, s0
.LBB17_117:
	s_or_b32 exec_lo, exec_lo, s3
                                        ; implicit-def: $vgpr4
.LBB17_118:
	s_andn2_saveexec_b32 s0, s2
; %bb.119:
	v_xor_b32_e32 v4, 0x80000000, v4
	s_mov_b32 s1, 0x7f800000
	v_bfi_b32 v12, 0x7fffffff, s1, v4
; %bb.120:
	s_or_b32 exec_lo, exec_lo, s0
	global_load_dword v4, v7, s[6:7]
                                        ; implicit-def: $vgpr10
	s_mov_b32 s0, exec_lo
	s_waitcnt vmcnt(0)
	v_cmpx_neq_f32_e32 0, v4
	s_xor_b32 s2, exec_lo, s0
	s_cbranch_execz .LBB17_142
; %bb.121:
	v_mov_b32_e32 v6, 0
	s_mov_b32 s0, -1
	s_mov_b32 s3, exec_lo
	v_cmpx_gt_f32_e32 0, v4
	s_cbranch_execz .LBB17_129
; %bb.122:
	v_trunc_f32_e32 v6, v4
	s_mov_b32 s1, 0
	v_cmp_neq_f32_e32 vcc_lo, v4, v6
	v_mov_b32_e32 v6, 0
	s_and_saveexec_b32 s8, vcc_lo
	s_cbranch_execz .LBB17_128
; %bb.123:
	v_cvt_f64_f32_e32 v[6:7], v4
	s_mov_b32 s1, 0xc00921fb
	s_mov_b32 s0, 0x54442d18
	s_mov_b32 s9, exec_lo
                                        ; implicit-def: $vgpr13
                                        ; implicit-def: $vgpr10_vgpr11
	v_trunc_f64_e32 v[8:9], v[6:7]
	v_cmp_neq_f64_e64 vcc_lo, 0x7ff00000, |v[6:7]|
	v_add_f64 v[8:9], v[6:7], -v[8:9]
	v_mul_f64 v[8:9], |v[8:9]|, s[0:1]
	v_cndmask_b32_e32 v7, 0x80000000, v9, vcc_lo
	v_cndmask_b32_e32 v6, 0, v8, vcc_lo
                                        ; implicit-def: $vgpr8_vgpr9
	v_cmpx_ngt_f64_e64 0x41d00000, |v[6:7]|
	s_xor_b32 s9, exec_lo, s9
	s_cbranch_execz .LBB17_125
; %bb.124:
	v_ldexp_f64 v[8:9], |v[6:7]|, 0xffffff80
	v_cmp_le_f64_e64 vcc_lo, 0x7b000000, |v[6:7]|
	v_trig_preop_f64 v[10:11], |v[6:7]|, 0
	v_and_b32_e32 v13, 0x7fffffff, v7
	v_trig_preop_f64 v[15:16], |v[6:7]|, 1
	v_trig_preop_f64 v[25:26], |v[6:7]|, 2
	v_mov_b32_e32 v33, 0
	s_mov_b32 s1, 0x3ff921fb
	s_mov_b32 s10, 0x33145c07
	;; [unrolled: 1-line block ×3, first 2 shown]
	v_cndmask_b32_e32 v9, v13, v9, vcc_lo
	v_cndmask_b32_e32 v8, v6, v8, vcc_lo
	v_mul_f64 v[17:18], v[10:11], v[8:9]
	v_mul_f64 v[19:20], v[15:16], v[8:9]
	;; [unrolled: 1-line block ×3, first 2 shown]
	v_fma_f64 v[10:11], v[10:11], v[8:9], -v[17:18]
	v_fma_f64 v[15:16], v[15:16], v[8:9], -v[19:20]
	v_fma_f64 v[8:9], v[25:26], v[8:9], -v[31:32]
	v_add_f64 v[21:22], v[19:20], v[10:11]
	v_add_f64 v[23:24], v[21:22], -v[19:20]
	v_add_f64 v[29:30], v[17:18], v[21:22]
	v_add_f64 v[27:28], v[21:22], -v[23:24]
	v_add_f64 v[10:11], v[10:11], -v[23:24]
	v_ldexp_f64 v[23:24], v[29:30], -2
	v_add_f64 v[17:18], v[29:30], -v[17:18]
	v_add_f64 v[19:20], v[19:20], -v[27:28]
	v_add_f64 v[27:28], v[31:32], v[15:16]
	v_cmp_neq_f64_e64 vcc_lo, 0x7ff00000, |v[23:24]|
	v_add_f64 v[17:18], v[21:22], -v[17:18]
	v_add_f64 v[10:11], v[10:11], v[19:20]
	v_fract_f64_e32 v[19:20], v[23:24]
	v_add_f64 v[21:22], v[27:28], v[10:11]
	v_ldexp_f64 v[19:20], v[19:20], 2
	v_add_f64 v[23:24], v[17:18], v[21:22]
	v_cndmask_b32_e32 v20, 0, v20, vcc_lo
	v_cndmask_b32_e32 v19, 0, v19, vcc_lo
	v_add_f64 v[29:30], v[23:24], v[19:20]
	v_add_f64 v[17:18], v[23:24], -v[17:18]
	v_cmp_gt_f64_e32 vcc_lo, 0, v[29:30]
	v_add_f64 v[29:30], v[27:28], -v[31:32]
	v_add_f64 v[17:18], v[21:22], -v[17:18]
	v_cndmask_b32_e64 v34, 0, 0x40100000, vcc_lo
	v_add_f64 v[38:39], v[27:28], -v[29:30]
	v_add_f64 v[15:16], v[15:16], -v[29:30]
	v_add_f64 v[19:20], v[19:20], v[33:34]
	v_add_f64 v[34:35], v[21:22], -v[27:28]
	v_add_f64 v[29:30], v[31:32], -v[38:39]
	v_add_f64 v[36:37], v[23:24], v[19:20]
	;; [unrolled: 3-line block ×3, first 2 shown]
	v_cvt_i32_f64_e32 v13, v[36:37]
	v_add_f64 v[27:28], v[27:28], -v[40:41]
	v_cvt_f64_i32_e32 v[34:35], v13
	v_add_f64 v[10:11], v[10:11], v[27:28]
	v_add_f64 v[19:20], v[19:20], -v[34:35]
	v_add_f64 v[10:11], v[15:16], v[10:11]
	v_add_f64 v[15:16], v[23:24], v[19:20]
	;; [unrolled: 1-line block ×3, first 2 shown]
	v_add_f64 v[10:11], v[15:16], -v[19:20]
	v_cmp_le_f64_e32 vcc_lo, 0.5, v[15:16]
	v_add_f64 v[8:9], v[17:18], v[8:9]
	v_add_f64 v[10:11], v[23:24], -v[10:11]
	v_cndmask_b32_e64 v34, 0, 0x3ff00000, vcc_lo
	v_add_co_ci_u32_e64 v13, null, 0, v13, vcc_lo
	v_add_f64 v[8:9], v[8:9], v[10:11]
	v_add_f64 v[10:11], v[15:16], -v[33:34]
	v_add_f64 v[15:16], v[10:11], v[8:9]
	v_mul_f64 v[17:18], v[15:16], s[0:1]
	v_add_f64 v[10:11], v[15:16], -v[10:11]
	v_fma_f64 v[19:20], v[15:16], s[0:1], -v[17:18]
	v_add_f64 v[8:9], v[8:9], -v[10:11]
	v_fma_f64 v[10:11], v[15:16], s[10:11], v[19:20]
	v_fma_f64 v[10:11], v[8:9], s[0:1], v[10:11]
	v_add_f64 v[8:9], v[17:18], v[10:11]
	v_add_f64 v[15:16], v[8:9], -v[17:18]
	v_add_f64 v[10:11], v[10:11], -v[15:16]
.LBB17_125:
	s_andn2_saveexec_b32 s0, s9
	s_cbranch_execz .LBB17_127
; %bb.126:
	s_mov_b32 s10, 0x6dc9c883
	s_mov_b32 s11, 0x3fe45f30
	;; [unrolled: 1-line block ×3, first 2 shown]
	v_mul_f64 v[8:9], |v[6:7]|, s[10:11]
	s_mov_b32 s10, 0x54442d18
	s_mov_b32 s11, 0xbff921fb
	;; [unrolled: 1-line block ×3, first 2 shown]
	v_rndne_f64_e32 v[15:16], v[8:9]
	v_fma_f64 v[8:9], v[15:16], s[10:11], |v[6:7]|
	v_mul_f64 v[10:11], v[15:16], s[12:13]
	s_mov_b32 s10, 0x252049c0
	s_mov_b32 s11, 0xb97b839a
	v_cvt_i32_f64_e32 v13, v[15:16]
	v_fma_f64 v[19:20], v[15:16], s[12:13], v[8:9]
	v_add_f64 v[17:18], v[8:9], v[10:11]
	s_mov_b32 s13, 0x3c91a626
	v_add_f64 v[8:9], v[8:9], -v[17:18]
	v_add_f64 v[17:18], v[17:18], -v[19:20]
	v_add_f64 v[8:9], v[8:9], v[10:11]
	v_fma_f64 v[10:11], v[15:16], s[12:13], v[10:11]
	v_add_f64 v[8:9], v[17:18], v[8:9]
	v_add_f64 v[8:9], v[8:9], -v[10:11]
	v_fma_f64 v[10:11], v[15:16], s[10:11], v[8:9]
	v_add_f64 v[8:9], v[19:20], v[10:11]
	v_add_f64 v[17:18], v[8:9], -v[19:20]
	v_add_f64 v[10:11], v[10:11], -v[17:18]
.LBB17_127:
	s_or_b32 exec_lo, exec_lo, s0
	v_mul_f64 v[15:16], v[8:9], v[8:9]
	v_add_f64 v[17:18], v[10:11], v[10:11]
	s_mov_b32 s10, 0xa9a29f71
	s_mov_b32 s12, 0xc751c08c
	;; [unrolled: 1-line block ×4, first 2 shown]
	v_cmp_class_f64_e64 s0, v[6:7], 0x1f8
	v_and_b32_e32 v13, 1, v13
	v_and_b32_e32 v7, 0x80000000, v7
	v_sub_f32_e32 v4, 1.0, v4
	s_mov_b32 s1, exec_lo
	v_cmp_eq_u32_e32 vcc_lo, 0, v13
	v_fma_f64 v[19:20], v[8:9], v[8:9], -v[15:16]
	v_fma_f64 v[17:18], v[8:9], v[17:18], v[19:20]
	v_add_f64 v[15:16], v[15:16], v[17:18]
	v_fma_f64 v[17:18], v[15:16], s[12:13], s[10:11]
	s_mov_b32 s10, 0x90a8aae0
	s_mov_b32 s11, 0x3f17746f
	v_fma_f64 v[17:18], v[15:16], v[17:18], s[10:11]
	s_mov_b32 s10, 0xa6fbf144
	s_mov_b32 s11, 0xbefbb44d
	;; [unrolled: 3-line block ×13, first 2 shown]
	v_mul_f64 v[15:16], v[15:16], v[17:18]
	v_mul_f64 v[17:18], v[8:9], v[15:16]
	v_add_f64 v[19:20], v[8:9], v[17:18]
	v_fma_f64 v[15:16], v[8:9], v[15:16], -v[17:18]
	v_add_f64 v[8:9], v[19:20], -v[8:9]
	v_add_f64 v[10:11], v[10:11], v[15:16]
	v_add_f64 v[8:9], v[17:18], -v[8:9]
	v_add_f64 v[8:9], v[10:11], v[8:9]
	v_add_f64 v[10:11], v[19:20], v[8:9]
	v_rcp_f64_e32 v[15:16], v[10:11]
	v_fma_f64 v[17:18], -v[10:11], v[15:16], 1.0
	v_fma_f64 v[15:16], v[17:18], v[15:16], v[15:16]
	v_fma_f64 v[17:18], -v[10:11], v[15:16], 1.0
	v_fma_f64 v[15:16], v[17:18], v[15:16], v[15:16]
	v_add_f64 v[17:18], v[10:11], -v[19:20]
	v_mul_f64 v[19:20], v[10:11], v[15:16]
	v_add_f64 v[8:9], v[8:9], -v[17:18]
	v_fma_f64 v[17:18], v[15:16], v[10:11], -v[19:20]
	v_fma_f64 v[8:9], v[15:16], v[8:9], v[17:18]
	v_add_f64 v[17:18], v[19:20], v[8:9]
	v_add_f64 v[21:22], -v[17:18], 1.0
	v_add_f64 v[19:20], v[17:18], -v[19:20]
	v_add_f64 v[23:24], -v[21:22], 1.0
	v_add_f64 v[8:9], v[19:20], -v[8:9]
	v_add_f64 v[17:18], v[23:24], -v[17:18]
	v_add_f64 v[8:9], v[8:9], v[17:18]
	v_add_f64 v[8:9], v[21:22], v[8:9]
	v_mul_f64 v[8:9], v[15:16], v[8:9]
	v_add_f64 v[8:9], v[15:16], v[8:9]
	v_xor_b32_e32 v6, 0x80000000, v9
	v_cndmask_b32_e32 v8, v8, v10, vcc_lo
	v_cndmask_b32_e32 v6, v6, v11, vcc_lo
	v_xor_b32_e32 v7, v6, v7
	v_cndmask_b32_e64 v6, 0, v8, s0
	v_cndmask_b32_e64 v7, 0x7ff80000, v7, s0
	v_div_scale_f64 v[8:9], null, v[6:7], v[6:7], s[10:11]
	v_rcp_f64_e32 v[10:11], v[8:9]
	v_fma_f64 v[15:16], -v[8:9], v[10:11], 1.0
	v_fma_f64 v[10:11], v[10:11], v[15:16], v[10:11]
	v_fma_f64 v[15:16], -v[8:9], v[10:11], 1.0
	v_fma_f64 v[10:11], v[10:11], v[15:16], v[10:11]
	v_div_scale_f64 v[15:16], vcc_lo, s[10:11], v[6:7], s[10:11]
	v_mul_f64 v[17:18], v[15:16], v[10:11]
	v_fma_f64 v[8:9], -v[8:9], v[17:18], v[15:16]
	v_div_fmas_f64 v[8:9], v[8:9], v[10:11], v[17:18]
	v_div_fixup_f64 v[6:7], v[8:9], v[6:7], s[10:11]
	v_cvt_f32_f64_e32 v6, v[6:7]
.LBB17_128:
	s_or_b32 exec_lo, exec_lo, s8
	s_orn2_b32 s0, s1, exec_lo
.LBB17_129:
	s_or_b32 exec_lo, exec_lo, s3
	v_mov_b32_e32 v10, 0x7fc00000
	s_and_saveexec_b32 s3, s0
	s_cbranch_execz .LBB17_141
; %bb.130:
	s_mov_b32 s0, exec_lo
	v_cmpx_gt_f32_e32 0x41200000, v4
	s_cbranch_execz .LBB17_134
; %bb.131:
	s_mov_b32 s1, 0
	.p2align	6
.LBB17_132:                             ; =>This Inner Loop Header: Depth=1
	v_div_scale_f32 v7, null, v4, v4, 1.0
	v_div_scale_f32 v10, vcc_lo, 1.0, v4, 1.0
	v_rcp_f32_e32 v8, v7
	v_fma_f32 v9, -v7, v8, 1.0
	v_fmac_f32_e32 v8, v9, v8
	v_mul_f32_e32 v9, v10, v8
	v_fma_f32 v11, -v7, v9, v10
	v_fmac_f32_e32 v9, v11, v8
	v_fma_f32 v7, -v7, v9, v10
	v_div_fmas_f32 v7, v7, v8, v9
	v_div_fixup_f32 v7, v7, v4, 1.0
	v_add_f32_e32 v4, 1.0, v4
	v_sub_f32_e32 v6, v6, v7
	v_cmp_ngt_f32_e32 vcc_lo, 0x41200000, v4
	s_or_b32 s1, vcc_lo, s1
	s_andn2_b32 exec_lo, exec_lo, s1
	s_cbranch_execnz .LBB17_132
; %bb.133:
	s_or_b32 exec_lo, exec_lo, s1
.LBB17_134:
	s_or_b32 exec_lo, exec_lo, s0
                                        ; implicit-def: $vgpr10
	s_mov_b32 s0, exec_lo
	v_cmpx_neq_f32_e32 0x41200000, v4
	s_xor_b32 s8, exec_lo, s0
	s_cbranch_execz .LBB17_138
; %bb.135:
	v_cvt_f64_f32_e32 v[7:8], v4
	s_mov_b32 s0, 0x85d8a000
	s_mov_b32 s1, 0x43763457
	v_cmp_gt_f64_e32 vcc_lo, s[0:1], v[7:8]
	v_mov_b32_e32 v7, 0
	s_and_saveexec_b32 s0, vcc_lo
	s_cbranch_execz .LBB17_137
; %bb.136:
	v_mul_f32_e32 v7, v4, v4
	v_div_scale_f32 v8, null, v7, v7, 1.0
	v_rcp_f32_e32 v9, v8
	v_fma_f32 v10, -v8, v9, 1.0
	v_fmac_f32_e32 v9, v10, v9
	v_div_scale_f32 v10, vcc_lo, 1.0, v7, 1.0
	v_mul_f32_e32 v11, v10, v9
	v_fma_f32 v13, -v8, v11, v10
	v_fmac_f32_e32 v11, v13, v9
	v_fma_f32 v8, -v8, v11, v10
	v_div_fmas_f32 v8, v8, v9, v11
	v_div_fixup_f32 v7, v8, v7, 1.0
	v_fmaak_f32 v8, 0, v7, 0x3daaaaab
	v_fmaak_f32 v8, v7, v8, 0xbcaccacd
	v_fmaak_f32 v8, v7, v8, 0x3bf83e10
	v_fmaak_f32 v8, v7, v8, 0xbb888889
	v_fmaak_f32 v8, v7, v8, 0x3b820821
	v_fmaak_f32 v8, v7, v8, 0xbc088889
	v_fmaak_f32 v8, v7, v8, 0x3daaaaab
	v_mul_f32_e32 v7, v7, v8
.LBB17_137:
	s_or_b32 exec_lo, exec_lo, s0
	v_cmp_gt_f32_e32 vcc_lo, 0x800000, v4
	v_div_scale_f32 v8, null, v4, v4, -0.5
	v_div_scale_f32 v13, s0, -0.5, v4, -0.5
	v_cndmask_b32_e64 v9, 0, 32, vcc_lo
	v_rcp_f32_e32 v10, v8
	v_ldexp_f32 v9, v4, v9
	v_log_f32_e32 v9, v9
	v_fma_f32 v11, -v8, v10, 1.0
	v_fmac_f32_e32 v10, v11, v10
	v_mul_f32_e32 v11, 0x3f317217, v9
	v_mul_f32_e32 v15, v13, v10
	v_cmp_gt_f32_e64 s1, 0x7f800000, |v9|
	v_fma_f32 v11, 0x3f317217, v9, -v11
	v_fma_f32 v16, -v8, v15, v13
	v_fmamk_f32 v11, v9, 0x3377d1cf, v11
	v_fmac_f32_e32 v15, v16, v10
	v_fmac_f32_e32 v11, 0x3f317217, v9
	v_fma_f32 v8, -v8, v15, v13
	v_cndmask_b32_e64 v9, v9, v11, s1
	v_cndmask_b32_e64 v11, 0, 0x41b17218, vcc_lo
	s_mov_b32 vcc_lo, s0
	v_div_fmas_f32 v8, v8, v10, v15
	v_sub_f32_e32 v9, v9, v11
	v_div_fixup_f32 v4, v8, v4, -0.5
	v_add_f32_e32 v4, v9, v4
	v_sub_f32_e32 v4, v4, v7
	v_add_f32_e32 v10, v6, v4
                                        ; implicit-def: $vgpr6
.LBB17_138:
	s_andn2_saveexec_b32 s0, s8
; %bb.139:
	v_add_f32_e32 v10, 0x40101cb7, v6
; %bb.140:
	s_or_b32 exec_lo, exec_lo, s0
.LBB17_141:
	s_or_b32 exec_lo, exec_lo, s3
                                        ; implicit-def: $vgpr4
.LBB17_142:
	s_andn2_saveexec_b32 s0, s2
; %bb.143:
	v_xor_b32_e32 v4, 0x80000000, v4
	s_mov_b32 s1, 0x7f800000
	v_bfi_b32 v10, 0x7fffffff, s1, v4
; %bb.144:
	s_or_b32 exec_lo, exec_lo, s0
	global_load_dword v11, v5, s[6:7]
                                        ; implicit-def: $vgpr5
	s_mov_b32 s0, exec_lo
	s_waitcnt vmcnt(0)
	v_cmpx_neq_f32_e32 0, v11
	s_xor_b32 s2, exec_lo, s0
	s_cbranch_execz .LBB17_166
; %bb.145:
	v_mov_b32_e32 v4, 0
	s_mov_b32 s0, -1
	s_mov_b32 s3, exec_lo
	v_cmpx_gt_f32_e32 0, v11
	s_cbranch_execz .LBB17_153
; %bb.146:
	v_trunc_f32_e32 v4, v11
	s_mov_b32 s1, 0
	v_cmp_neq_f32_e32 vcc_lo, v11, v4
	v_mov_b32_e32 v4, 0
	s_and_saveexec_b32 s6, vcc_lo
	s_cbranch_execz .LBB17_152
; %bb.147:
	v_cvt_f64_f32_e32 v[4:5], v11
	s_mov_b32 s1, 0xc00921fb
	s_mov_b32 s0, 0x54442d18
	s_mov_b32 s7, exec_lo
                                        ; implicit-def: $vgpr13
                                        ; implicit-def: $vgpr8_vgpr9
	v_trunc_f64_e32 v[6:7], v[4:5]
	v_cmp_neq_f64_e64 vcc_lo, 0x7ff00000, |v[4:5]|
	v_add_f64 v[6:7], v[4:5], -v[6:7]
	v_mul_f64 v[6:7], |v[6:7]|, s[0:1]
	v_cndmask_b32_e32 v5, 0x80000000, v7, vcc_lo
	v_cndmask_b32_e32 v4, 0, v6, vcc_lo
                                        ; implicit-def: $vgpr6_vgpr7
	v_cmpx_ngt_f64_e64 0x41d00000, |v[4:5]|
	s_xor_b32 s7, exec_lo, s7
	s_cbranch_execz .LBB17_149
; %bb.148:
	v_ldexp_f64 v[6:7], |v[4:5]|, 0xffffff80
	v_cmp_le_f64_e64 vcc_lo, 0x7b000000, |v[4:5]|
	v_trig_preop_f64 v[8:9], |v[4:5]|, 0
	v_and_b32_e32 v13, 0x7fffffff, v5
	v_trig_preop_f64 v[15:16], |v[4:5]|, 1
	v_trig_preop_f64 v[25:26], |v[4:5]|, 2
	v_mov_b32_e32 v33, 0
	s_mov_b32 s1, 0x3ff921fb
	s_mov_b32 s8, 0x33145c07
	;; [unrolled: 1-line block ×3, first 2 shown]
	v_cndmask_b32_e32 v7, v13, v7, vcc_lo
	v_cndmask_b32_e32 v6, v4, v6, vcc_lo
	v_mul_f64 v[17:18], v[8:9], v[6:7]
	v_mul_f64 v[19:20], v[15:16], v[6:7]
	;; [unrolled: 1-line block ×3, first 2 shown]
	v_fma_f64 v[8:9], v[8:9], v[6:7], -v[17:18]
	v_fma_f64 v[15:16], v[15:16], v[6:7], -v[19:20]
	v_fma_f64 v[6:7], v[25:26], v[6:7], -v[31:32]
	v_add_f64 v[21:22], v[19:20], v[8:9]
	v_add_f64 v[23:24], v[21:22], -v[19:20]
	v_add_f64 v[29:30], v[17:18], v[21:22]
	v_add_f64 v[27:28], v[21:22], -v[23:24]
	v_add_f64 v[8:9], v[8:9], -v[23:24]
	v_ldexp_f64 v[23:24], v[29:30], -2
	v_add_f64 v[17:18], v[29:30], -v[17:18]
	v_add_f64 v[19:20], v[19:20], -v[27:28]
	v_add_f64 v[27:28], v[31:32], v[15:16]
	v_cmp_neq_f64_e64 vcc_lo, 0x7ff00000, |v[23:24]|
	v_add_f64 v[17:18], v[21:22], -v[17:18]
	v_add_f64 v[8:9], v[8:9], v[19:20]
	v_fract_f64_e32 v[19:20], v[23:24]
	v_add_f64 v[21:22], v[27:28], v[8:9]
	v_ldexp_f64 v[19:20], v[19:20], 2
	v_add_f64 v[23:24], v[17:18], v[21:22]
	v_cndmask_b32_e32 v20, 0, v20, vcc_lo
	v_cndmask_b32_e32 v19, 0, v19, vcc_lo
	v_add_f64 v[29:30], v[23:24], v[19:20]
	v_add_f64 v[17:18], v[23:24], -v[17:18]
	v_cmp_gt_f64_e32 vcc_lo, 0, v[29:30]
	v_add_f64 v[29:30], v[27:28], -v[31:32]
	v_add_f64 v[17:18], v[21:22], -v[17:18]
	v_cndmask_b32_e64 v34, 0, 0x40100000, vcc_lo
	v_add_f64 v[38:39], v[27:28], -v[29:30]
	v_add_f64 v[15:16], v[15:16], -v[29:30]
	v_add_f64 v[19:20], v[19:20], v[33:34]
	v_add_f64 v[34:35], v[21:22], -v[27:28]
	v_add_f64 v[29:30], v[31:32], -v[38:39]
	v_add_f64 v[36:37], v[23:24], v[19:20]
	;; [unrolled: 3-line block ×3, first 2 shown]
	v_cvt_i32_f64_e32 v13, v[36:37]
	v_add_f64 v[27:28], v[27:28], -v[40:41]
	v_cvt_f64_i32_e32 v[34:35], v13
	v_add_f64 v[8:9], v[8:9], v[27:28]
	v_add_f64 v[19:20], v[19:20], -v[34:35]
	v_add_f64 v[8:9], v[15:16], v[8:9]
	v_add_f64 v[15:16], v[23:24], v[19:20]
	;; [unrolled: 1-line block ×3, first 2 shown]
	v_add_f64 v[8:9], v[15:16], -v[19:20]
	v_cmp_le_f64_e32 vcc_lo, 0.5, v[15:16]
	v_add_f64 v[6:7], v[17:18], v[6:7]
	v_add_f64 v[8:9], v[23:24], -v[8:9]
	v_cndmask_b32_e64 v34, 0, 0x3ff00000, vcc_lo
	v_add_co_ci_u32_e64 v13, null, 0, v13, vcc_lo
	v_add_f64 v[6:7], v[6:7], v[8:9]
	v_add_f64 v[8:9], v[15:16], -v[33:34]
	v_add_f64 v[15:16], v[8:9], v[6:7]
	v_mul_f64 v[17:18], v[15:16], s[0:1]
	v_add_f64 v[8:9], v[15:16], -v[8:9]
	v_fma_f64 v[19:20], v[15:16], s[0:1], -v[17:18]
	v_add_f64 v[6:7], v[6:7], -v[8:9]
	v_fma_f64 v[8:9], v[15:16], s[8:9], v[19:20]
	v_fma_f64 v[8:9], v[6:7], s[0:1], v[8:9]
	v_add_f64 v[6:7], v[17:18], v[8:9]
	v_add_f64 v[15:16], v[6:7], -v[17:18]
	v_add_f64 v[8:9], v[8:9], -v[15:16]
.LBB17_149:
	s_andn2_saveexec_b32 s0, s7
	s_cbranch_execz .LBB17_151
; %bb.150:
	s_mov_b32 s8, 0x6dc9c883
	s_mov_b32 s9, 0x3fe45f30
	s_mov_b32 s11, 0xbc91a626
	v_mul_f64 v[6:7], |v[4:5]|, s[8:9]
	s_mov_b32 s8, 0x54442d18
	s_mov_b32 s9, 0xbff921fb
	;; [unrolled: 1-line block ×3, first 2 shown]
	v_rndne_f64_e32 v[15:16], v[6:7]
	v_fma_f64 v[6:7], v[15:16], s[8:9], |v[4:5]|
	v_mul_f64 v[8:9], v[15:16], s[10:11]
	s_mov_b32 s8, 0x252049c0
	s_mov_b32 s9, 0xb97b839a
	v_cvt_i32_f64_e32 v13, v[15:16]
	v_fma_f64 v[19:20], v[15:16], s[10:11], v[6:7]
	v_add_f64 v[17:18], v[6:7], v[8:9]
	s_mov_b32 s11, 0x3c91a626
	v_add_f64 v[6:7], v[6:7], -v[17:18]
	v_add_f64 v[17:18], v[17:18], -v[19:20]
	v_add_f64 v[6:7], v[6:7], v[8:9]
	v_fma_f64 v[8:9], v[15:16], s[10:11], v[8:9]
	v_add_f64 v[6:7], v[17:18], v[6:7]
	v_add_f64 v[6:7], v[6:7], -v[8:9]
	v_fma_f64 v[8:9], v[15:16], s[8:9], v[6:7]
	v_add_f64 v[6:7], v[19:20], v[8:9]
	v_add_f64 v[17:18], v[6:7], -v[19:20]
	v_add_f64 v[8:9], v[8:9], -v[17:18]
.LBB17_151:
	s_or_b32 exec_lo, exec_lo, s0
	v_mul_f64 v[15:16], v[6:7], v[6:7]
	v_add_f64 v[17:18], v[8:9], v[8:9]
	s_mov_b32 s8, 0xa9a29f71
	s_mov_b32 s10, 0xc751c08c
	;; [unrolled: 1-line block ×4, first 2 shown]
	v_cmp_class_f64_e64 s0, v[4:5], 0x1f8
	v_and_b32_e32 v13, 1, v13
	v_and_b32_e32 v5, 0x80000000, v5
	v_sub_f32_e32 v11, 1.0, v11
	s_mov_b32 s1, exec_lo
	v_cmp_eq_u32_e32 vcc_lo, 0, v13
	v_fma_f64 v[19:20], v[6:7], v[6:7], -v[15:16]
	v_fma_f64 v[17:18], v[6:7], v[17:18], v[19:20]
	v_add_f64 v[15:16], v[15:16], v[17:18]
	v_fma_f64 v[17:18], v[15:16], s[10:11], s[8:9]
	s_mov_b32 s8, 0x90a8aae0
	s_mov_b32 s9, 0x3f17746f
	v_fma_f64 v[17:18], v[15:16], v[17:18], s[8:9]
	s_mov_b32 s8, 0xa6fbf144
	s_mov_b32 s9, 0xbefbb44d
	;; [unrolled: 3-line block ×13, first 2 shown]
	v_mul_f64 v[15:16], v[15:16], v[17:18]
	v_mul_f64 v[17:18], v[6:7], v[15:16]
	v_add_f64 v[19:20], v[6:7], v[17:18]
	v_fma_f64 v[15:16], v[6:7], v[15:16], -v[17:18]
	v_add_f64 v[6:7], v[19:20], -v[6:7]
	v_add_f64 v[8:9], v[8:9], v[15:16]
	v_add_f64 v[6:7], v[17:18], -v[6:7]
	v_add_f64 v[6:7], v[8:9], v[6:7]
	v_add_f64 v[8:9], v[19:20], v[6:7]
	v_rcp_f64_e32 v[15:16], v[8:9]
	v_fma_f64 v[17:18], -v[8:9], v[15:16], 1.0
	v_fma_f64 v[15:16], v[17:18], v[15:16], v[15:16]
	v_fma_f64 v[17:18], -v[8:9], v[15:16], 1.0
	v_fma_f64 v[15:16], v[17:18], v[15:16], v[15:16]
	v_add_f64 v[17:18], v[8:9], -v[19:20]
	v_mul_f64 v[19:20], v[8:9], v[15:16]
	v_add_f64 v[6:7], v[6:7], -v[17:18]
	v_fma_f64 v[17:18], v[15:16], v[8:9], -v[19:20]
	v_fma_f64 v[6:7], v[15:16], v[6:7], v[17:18]
	v_add_f64 v[17:18], v[19:20], v[6:7]
	v_add_f64 v[21:22], -v[17:18], 1.0
	v_add_f64 v[19:20], v[17:18], -v[19:20]
	v_add_f64 v[23:24], -v[21:22], 1.0
	v_add_f64 v[6:7], v[19:20], -v[6:7]
	v_add_f64 v[17:18], v[23:24], -v[17:18]
	v_add_f64 v[6:7], v[6:7], v[17:18]
	v_add_f64 v[6:7], v[21:22], v[6:7]
	v_mul_f64 v[6:7], v[15:16], v[6:7]
	v_add_f64 v[6:7], v[15:16], v[6:7]
	v_xor_b32_e32 v4, 0x80000000, v7
	v_cndmask_b32_e32 v6, v6, v8, vcc_lo
	v_cndmask_b32_e32 v4, v4, v9, vcc_lo
	v_xor_b32_e32 v5, v4, v5
	v_cndmask_b32_e64 v4, 0, v6, s0
	v_cndmask_b32_e64 v5, 0x7ff80000, v5, s0
	v_div_scale_f64 v[6:7], null, v[4:5], v[4:5], s[8:9]
	v_rcp_f64_e32 v[8:9], v[6:7]
	v_fma_f64 v[15:16], -v[6:7], v[8:9], 1.0
	v_fma_f64 v[8:9], v[8:9], v[15:16], v[8:9]
	v_fma_f64 v[15:16], -v[6:7], v[8:9], 1.0
	v_fma_f64 v[8:9], v[8:9], v[15:16], v[8:9]
	v_div_scale_f64 v[15:16], vcc_lo, s[8:9], v[4:5], s[8:9]
	v_mul_f64 v[17:18], v[15:16], v[8:9]
	v_fma_f64 v[6:7], -v[6:7], v[17:18], v[15:16]
	v_div_fmas_f64 v[6:7], v[6:7], v[8:9], v[17:18]
	v_div_fixup_f64 v[4:5], v[6:7], v[4:5], s[8:9]
	v_cvt_f32_f64_e32 v4, v[4:5]
.LBB17_152:
	s_or_b32 exec_lo, exec_lo, s6
	s_orn2_b32 s0, s1, exec_lo
.LBB17_153:
	s_or_b32 exec_lo, exec_lo, s3
	v_mov_b32_e32 v5, 0x7fc00000
	s_and_saveexec_b32 s3, s0
	s_cbranch_execz .LBB17_165
; %bb.154:
	s_mov_b32 s0, exec_lo
	v_cmpx_gt_f32_e32 0x41200000, v11
	s_cbranch_execz .LBB17_158
; %bb.155:
	s_mov_b32 s1, 0
	.p2align	6
.LBB17_156:                             ; =>This Inner Loop Header: Depth=1
	v_div_scale_f32 v5, null, v11, v11, 1.0
	v_div_scale_f32 v8, vcc_lo, 1.0, v11, 1.0
	v_rcp_f32_e32 v6, v5
	v_fma_f32 v7, -v5, v6, 1.0
	v_fmac_f32_e32 v6, v7, v6
	v_mul_f32_e32 v7, v8, v6
	v_fma_f32 v9, -v5, v7, v8
	v_fmac_f32_e32 v7, v9, v6
	v_fma_f32 v5, -v5, v7, v8
	v_div_fmas_f32 v5, v5, v6, v7
	v_div_fixup_f32 v5, v5, v11, 1.0
	v_add_f32_e32 v11, 1.0, v11
	v_sub_f32_e32 v4, v4, v5
	v_cmp_ngt_f32_e32 vcc_lo, 0x41200000, v11
	s_or_b32 s1, vcc_lo, s1
	s_andn2_b32 exec_lo, exec_lo, s1
	s_cbranch_execnz .LBB17_156
; %bb.157:
	s_or_b32 exec_lo, exec_lo, s1
.LBB17_158:
	s_or_b32 exec_lo, exec_lo, s0
                                        ; implicit-def: $vgpr5
	s_mov_b32 s0, exec_lo
	v_cmpx_neq_f32_e32 0x41200000, v11
	s_xor_b32 s6, exec_lo, s0
	s_cbranch_execz .LBB17_162
; %bb.159:
	v_cvt_f64_f32_e32 v[5:6], v11
	s_mov_b32 s0, 0x85d8a000
	s_mov_b32 s1, 0x43763457
	v_cmp_gt_f64_e32 vcc_lo, s[0:1], v[5:6]
	v_mov_b32_e32 v5, 0
	s_and_saveexec_b32 s0, vcc_lo
	s_cbranch_execz .LBB17_161
; %bb.160:
	v_mul_f32_e32 v5, v11, v11
	v_div_scale_f32 v6, null, v5, v5, 1.0
	v_rcp_f32_e32 v7, v6
	v_fma_f32 v8, -v6, v7, 1.0
	v_fmac_f32_e32 v7, v8, v7
	v_div_scale_f32 v8, vcc_lo, 1.0, v5, 1.0
	v_mul_f32_e32 v9, v8, v7
	v_fma_f32 v13, -v6, v9, v8
	v_fmac_f32_e32 v9, v13, v7
	v_fma_f32 v6, -v6, v9, v8
	v_div_fmas_f32 v6, v6, v7, v9
	v_div_fixup_f32 v5, v6, v5, 1.0
	v_fmaak_f32 v6, 0, v5, 0x3daaaaab
	v_fmaak_f32 v6, v5, v6, 0xbcaccacd
	;; [unrolled: 1-line block ×7, first 2 shown]
	v_mul_f32_e32 v5, v5, v6
.LBB17_161:
	s_or_b32 exec_lo, exec_lo, s0
	v_cmp_gt_f32_e32 vcc_lo, 0x800000, v11
	v_div_scale_f32 v6, null, v11, v11, -0.5
	v_div_scale_f32 v13, s0, -0.5, v11, -0.5
	v_cndmask_b32_e64 v7, 0, 32, vcc_lo
	v_rcp_f32_e32 v8, v6
	v_ldexp_f32 v7, v11, v7
	v_log_f32_e32 v7, v7
	v_fma_f32 v9, -v6, v8, 1.0
	v_fmac_f32_e32 v8, v9, v8
	v_mul_f32_e32 v9, 0x3f317217, v7
	v_mul_f32_e32 v15, v13, v8
	v_cmp_gt_f32_e64 s1, 0x7f800000, |v7|
	v_fma_f32 v9, 0x3f317217, v7, -v9
	v_fma_f32 v16, -v6, v15, v13
	v_fmamk_f32 v9, v7, 0x3377d1cf, v9
	v_fmac_f32_e32 v15, v16, v8
	v_fmac_f32_e32 v9, 0x3f317217, v7
	v_fma_f32 v6, -v6, v15, v13
	v_cndmask_b32_e64 v7, v7, v9, s1
	v_cndmask_b32_e64 v9, 0, 0x41b17218, vcc_lo
	s_mov_b32 vcc_lo, s0
	v_div_fmas_f32 v6, v6, v8, v15
	v_sub_f32_e32 v7, v7, v9
	v_div_fixup_f32 v6, v6, v11, -0.5
	v_add_f32_e32 v6, v7, v6
	v_sub_f32_e32 v5, v6, v5
	v_add_f32_e32 v5, v4, v5
                                        ; implicit-def: $vgpr4
.LBB17_162:
	s_andn2_saveexec_b32 s0, s6
; %bb.163:
	v_add_f32_e32 v5, 0x40101cb7, v4
; %bb.164:
	s_or_b32 exec_lo, exec_lo, s0
.LBB17_165:
	s_or_b32 exec_lo, exec_lo, s3
                                        ; implicit-def: $vgpr11
.LBB17_166:
	s_andn2_saveexec_b32 s0, s2
; %bb.167:
	v_xor_b32_e32 v4, 0x80000000, v11
	s_mov_b32 s1, 0x7f800000
	v_bfi_b32 v5, 0x7fffffff, s1, v4
; %bb.168:
	s_or_b32 exec_lo, exec_lo, s0
	global_store_dword v0, v14, s[4:5]
	global_store_dword v1, v12, s[4:5]
	;; [unrolled: 1-line block ×4, first 2 shown]
	s_endpgm
.LBB17_169:
	v_mov_b32_e32 v0, 0
	v_mov_b32_e32 v2, 0
	s_branch .LBB17_175
.LBB17_170:
	v_mov_b32_e32 v0, 0
	v_mov_b32_e32 v2, 0
	s_branch .LBB17_215
.LBB17_171:
	v_mov_b32_e32 v0, 0
	v_mov_b32_e32 v2, 0
	;; [unrolled: 1-line block ×3, first 2 shown]
	s_mov_b32 s31, 0
.LBB17_172:
	s_and_b32 s33, s33, 3
	s_cmp_eq_u32 s33, 0
	s_cbranch_scc1 .LBB17_175
; %bb.173:
	s_lshl_b32 s0, s31, 3
	s_mul_i32 s20, s31, 12
	s_add_u32 s0, s2, s0
	s_addc_u32 s1, s3, 0
	s_add_u32 s0, s0, 0xc4
	s_addc_u32 s1, s1, 0
	;; [unrolled: 2-line block ×3, first 2 shown]
	.p2align	6
.LBB17_174:                             ; =>This Inner Loop Header: Depth=1
	s_clause 0x1
	s_load_dwordx2 s[34:35], s[20:21], 0x4
	s_load_dword s31, s[20:21], 0xc
	s_load_dwordx2 s[36:37], s[0:1], 0x0
	s_add_u32 s20, s20, 12
	s_addc_u32 s21, s21, 0
	s_add_u32 s0, s0, 8
	s_addc_u32 s1, s1, 0
	s_add_i32 s33, s33, -1
	s_cmp_lg_u32 s33, 0
	s_waitcnt lgkmcnt(0)
	v_mul_hi_u32 v3, s35, v1
	v_add_nc_u32_e32 v3, v1, v3
	v_lshrrev_b32_e32 v4, s31, v3
	v_mul_lo_u32 v3, v4, s34
	v_sub_nc_u32_e32 v3, v1, v3
	v_mad_u64_u32 v[0:1], null, v3, s36, v[0:1]
	v_mad_u64_u32 v[2:3], null, v3, s37, v[2:3]
	v_mov_b32_e32 v1, v4
	s_cbranch_scc1 .LBB17_174
.LBB17_175:
	s_cbranch_execnz .LBB17_178
.LBB17_176:
	s_waitcnt lgkmcnt(0)
	v_mul_hi_u32 v0, s13, v7
	s_andn2_b32 vcc_lo, exec_lo, s26
	v_add_nc_u32_e32 v0, v7, v0
	v_lshrrev_b32_e32 v1, s14, v0
	v_mul_lo_u32 v0, v1, s12
	v_sub_nc_u32_e32 v2, v7, v0
	v_mul_lo_u32 v0, v2, s8
	v_mul_lo_u32 v2, v2, s9
	s_cbranch_vccnz .LBB17_178
; %bb.177:
	v_mul_hi_u32 v3, s16, v1
	v_add_nc_u32_e32 v3, v1, v3
	v_lshrrev_b32_e32 v3, s17, v3
	v_mul_lo_u32 v3, v3, s15
	v_sub_nc_u32_e32 v3, v1, v3
	v_mad_u64_u32 v[0:1], null, v3, s10, v[0:1]
	v_mad_u64_u32 v[2:3], null, v3, s11, v[2:3]
.LBB17_178:
	s_waitcnt lgkmcnt(0)
	global_load_dword v8, v2, s[6:7]
                                        ; implicit-def: $vgpr2
	s_mov_b32 s0, exec_lo
	s_waitcnt vmcnt(0)
	v_cmpx_neq_f32_e32 0, v8
	s_xor_b32 s20, exec_lo, s0
	s_cbranch_execz .LBB17_200
; %bb.179:
	v_mov_b32_e32 v1, 0
	s_mov_b32 s0, -1
	s_mov_b32 s21, exec_lo
	v_cmpx_gt_f32_e32 0, v8
	s_cbranch_execz .LBB17_187
; %bb.180:
	v_trunc_f32_e32 v1, v8
	s_mov_b32 s1, 0
	v_cmp_neq_f32_e32 vcc_lo, v8, v1
	v_mov_b32_e32 v1, 0
	s_and_saveexec_b32 s31, vcc_lo
	s_cbranch_execz .LBB17_186
; %bb.181:
	v_cvt_f64_f32_e32 v[1:2], v8
	s_mov_b32 s1, 0xc00921fb
	s_mov_b32 s0, 0x54442d18
	s_mov_b32 s33, exec_lo
                                        ; implicit-def: $vgpr9
                                        ; implicit-def: $vgpr5_vgpr6
	v_trunc_f64_e32 v[3:4], v[1:2]
	v_cmp_neq_f64_e64 vcc_lo, 0x7ff00000, |v[1:2]|
	v_add_f64 v[3:4], v[1:2], -v[3:4]
	v_mul_f64 v[3:4], |v[3:4]|, s[0:1]
	v_cndmask_b32_e32 v2, 0x80000000, v4, vcc_lo
	v_cndmask_b32_e32 v1, 0, v3, vcc_lo
                                        ; implicit-def: $vgpr3_vgpr4
	v_cmpx_ngt_f64_e64 0x41d00000, |v[1:2]|
	s_xor_b32 s33, exec_lo, s33
	s_cbranch_execz .LBB17_183
; %bb.182:
	v_ldexp_f64 v[3:4], |v[1:2]|, 0xffffff80
	v_cmp_le_f64_e64 vcc_lo, 0x7b000000, |v[1:2]|
	v_trig_preop_f64 v[5:6], |v[1:2]|, 0
	v_and_b32_e32 v9, 0x7fffffff, v2
	v_trig_preop_f64 v[19:20], |v[1:2]|, 2
	v_mov_b32_e32 v27, 0
	s_mov_b32 s1, 0x3ff921fb
	s_mov_b32 s34, 0x33145c07
	;; [unrolled: 1-line block ×3, first 2 shown]
	v_cndmask_b32_e32 v4, v9, v4, vcc_lo
	v_cndmask_b32_e32 v3, v1, v3, vcc_lo
	v_trig_preop_f64 v[9:10], |v[1:2]|, 1
	v_mul_f64 v[11:12], v[5:6], v[3:4]
	v_mul_f64 v[25:26], v[19:20], v[3:4]
	;; [unrolled: 1-line block ×3, first 2 shown]
	v_fma_f64 v[5:6], v[5:6], v[3:4], -v[11:12]
	v_fma_f64 v[9:10], v[9:10], v[3:4], -v[13:14]
	;; [unrolled: 1-line block ×3, first 2 shown]
	v_add_f64 v[15:16], v[13:14], v[5:6]
	v_add_f64 v[17:18], v[15:16], -v[13:14]
	v_add_f64 v[23:24], v[11:12], v[15:16]
	v_add_f64 v[21:22], v[15:16], -v[17:18]
	v_add_f64 v[5:6], v[5:6], -v[17:18]
	v_ldexp_f64 v[17:18], v[23:24], -2
	v_add_f64 v[11:12], v[23:24], -v[11:12]
	v_add_f64 v[13:14], v[13:14], -v[21:22]
	v_add_f64 v[21:22], v[25:26], v[9:10]
	v_cmp_neq_f64_e64 vcc_lo, 0x7ff00000, |v[17:18]|
	v_add_f64 v[11:12], v[15:16], -v[11:12]
	v_add_f64 v[5:6], v[5:6], v[13:14]
	v_fract_f64_e32 v[13:14], v[17:18]
	v_add_f64 v[15:16], v[21:22], v[5:6]
	v_ldexp_f64 v[13:14], v[13:14], 2
	v_add_f64 v[17:18], v[11:12], v[15:16]
	v_cndmask_b32_e32 v14, 0, v14, vcc_lo
	v_cndmask_b32_e32 v13, 0, v13, vcc_lo
	v_add_f64 v[23:24], v[17:18], v[13:14]
	v_add_f64 v[11:12], v[17:18], -v[11:12]
	v_cmp_gt_f64_e32 vcc_lo, 0, v[23:24]
	v_add_f64 v[23:24], v[21:22], -v[25:26]
	v_cndmask_b32_e64 v28, 0, 0x40100000, vcc_lo
	v_add_f64 v[32:33], v[21:22], -v[23:24]
	v_add_f64 v[9:10], v[9:10], -v[23:24]
	v_add_f64 v[13:14], v[13:14], v[27:28]
	v_add_f64 v[28:29], v[15:16], -v[21:22]
	v_add_f64 v[23:24], v[25:26], -v[32:33]
	v_add_f64 v[30:31], v[17:18], v[13:14]
	;; [unrolled: 3-line block ×3, first 2 shown]
	v_cvt_i32_f64_e32 v30, v[30:31]
	v_add_f64 v[21:22], v[21:22], -v[34:35]
	v_cvt_f64_i32_e32 v[28:29], v30
	v_add_f64 v[5:6], v[5:6], v[21:22]
	v_add_f64 v[13:14], v[13:14], -v[28:29]
	v_add_f64 v[5:6], v[9:10], v[5:6]
	v_add_f64 v[9:10], v[15:16], -v[11:12]
	v_add_f64 v[19:20], v[17:18], v[13:14]
	v_add_f64 v[3:4], v[3:4], v[5:6]
	v_add_f64 v[5:6], v[19:20], -v[13:14]
	v_cmp_le_f64_e32 vcc_lo, 0.5, v[19:20]
	v_add_f64 v[3:4], v[9:10], v[3:4]
	v_add_f64 v[5:6], v[17:18], -v[5:6]
	v_cndmask_b32_e64 v28, 0, 0x3ff00000, vcc_lo
	v_add_co_ci_u32_e64 v9, null, 0, v30, vcc_lo
	v_add_f64 v[3:4], v[3:4], v[5:6]
	v_add_f64 v[5:6], v[19:20], -v[27:28]
	v_add_f64 v[10:11], v[5:6], v[3:4]
	v_mul_f64 v[12:13], v[10:11], s[0:1]
	v_add_f64 v[5:6], v[10:11], -v[5:6]
	v_fma_f64 v[14:15], v[10:11], s[0:1], -v[12:13]
	v_add_f64 v[3:4], v[3:4], -v[5:6]
	v_fma_f64 v[5:6], v[10:11], s[34:35], v[14:15]
	v_fma_f64 v[5:6], v[3:4], s[0:1], v[5:6]
	v_add_f64 v[3:4], v[12:13], v[5:6]
	v_add_f64 v[10:11], v[3:4], -v[12:13]
	v_add_f64 v[5:6], v[5:6], -v[10:11]
.LBB17_183:
	s_andn2_saveexec_b32 s0, s33
	s_cbranch_execz .LBB17_185
; %bb.184:
	s_mov_b32 s34, 0x6dc9c883
	s_mov_b32 s35, 0x3fe45f30
	;; [unrolled: 1-line block ×3, first 2 shown]
	v_mul_f64 v[3:4], |v[1:2]|, s[34:35]
	s_mov_b32 s34, 0x54442d18
	s_mov_b32 s35, 0xbff921fb
	;; [unrolled: 1-line block ×3, first 2 shown]
	v_rndne_f64_e32 v[9:10], v[3:4]
	v_fma_f64 v[3:4], v[9:10], s[34:35], |v[1:2]|
	v_mul_f64 v[5:6], v[9:10], s[36:37]
	s_mov_b32 s34, 0x252049c0
	s_mov_b32 s35, 0xb97b839a
	v_fma_f64 v[13:14], v[9:10], s[36:37], v[3:4]
	v_add_f64 v[11:12], v[3:4], v[5:6]
	s_mov_b32 s37, 0x3c91a626
	v_add_f64 v[3:4], v[3:4], -v[11:12]
	v_add_f64 v[11:12], v[11:12], -v[13:14]
	v_add_f64 v[3:4], v[3:4], v[5:6]
	v_fma_f64 v[5:6], v[9:10], s[36:37], v[5:6]
	v_add_f64 v[3:4], v[11:12], v[3:4]
	v_add_f64 v[3:4], v[3:4], -v[5:6]
	v_fma_f64 v[5:6], v[9:10], s[34:35], v[3:4]
	v_cvt_i32_f64_e32 v9, v[9:10]
	v_add_f64 v[3:4], v[13:14], v[5:6]
	v_add_f64 v[11:12], v[3:4], -v[13:14]
	v_add_f64 v[5:6], v[5:6], -v[11:12]
.LBB17_185:
	s_or_b32 exec_lo, exec_lo, s0
	v_mul_f64 v[10:11], v[3:4], v[3:4]
	v_add_f64 v[12:13], v[5:6], v[5:6]
	s_mov_b32 s34, 0xa9a29f71
	s_mov_b32 s36, 0xc751c08c
	;; [unrolled: 1-line block ×4, first 2 shown]
	v_cmp_class_f64_e64 s0, v[1:2], 0x1f8
	v_and_b32_e32 v9, 1, v9
	v_and_b32_e32 v2, 0x80000000, v2
	v_sub_f32_e32 v8, 1.0, v8
	s_mov_b32 s1, exec_lo
	v_cmp_eq_u32_e32 vcc_lo, 0, v9
	v_fma_f64 v[14:15], v[3:4], v[3:4], -v[10:11]
	v_fma_f64 v[12:13], v[3:4], v[12:13], v[14:15]
	v_add_f64 v[10:11], v[10:11], v[12:13]
	v_fma_f64 v[12:13], v[10:11], s[36:37], s[34:35]
	s_mov_b32 s34, 0x90a8aae0
	s_mov_b32 s35, 0x3f17746f
	v_fma_f64 v[12:13], v[10:11], v[12:13], s[34:35]
	s_mov_b32 s34, 0xa6fbf144
	s_mov_b32 s35, 0xbefbb44d
	;; [unrolled: 3-line block ×13, first 2 shown]
	v_mul_f64 v[10:11], v[10:11], v[12:13]
	v_mul_f64 v[12:13], v[3:4], v[10:11]
	v_add_f64 v[14:15], v[3:4], v[12:13]
	v_fma_f64 v[10:11], v[3:4], v[10:11], -v[12:13]
	v_add_f64 v[3:4], v[14:15], -v[3:4]
	v_add_f64 v[5:6], v[5:6], v[10:11]
	v_add_f64 v[3:4], v[12:13], -v[3:4]
	v_add_f64 v[3:4], v[5:6], v[3:4]
	v_add_f64 v[5:6], v[14:15], v[3:4]
	v_rcp_f64_e32 v[10:11], v[5:6]
	v_fma_f64 v[12:13], -v[5:6], v[10:11], 1.0
	v_fma_f64 v[10:11], v[12:13], v[10:11], v[10:11]
	v_fma_f64 v[12:13], -v[5:6], v[10:11], 1.0
	v_fma_f64 v[10:11], v[12:13], v[10:11], v[10:11]
	v_add_f64 v[12:13], v[5:6], -v[14:15]
	v_mul_f64 v[14:15], v[5:6], v[10:11]
	v_add_f64 v[3:4], v[3:4], -v[12:13]
	v_fma_f64 v[12:13], v[10:11], v[5:6], -v[14:15]
	v_fma_f64 v[3:4], v[10:11], v[3:4], v[12:13]
	v_add_f64 v[12:13], v[14:15], v[3:4]
	v_add_f64 v[16:17], -v[12:13], 1.0
	v_add_f64 v[14:15], v[12:13], -v[14:15]
	v_add_f64 v[18:19], -v[16:17], 1.0
	v_add_f64 v[3:4], v[14:15], -v[3:4]
	v_add_f64 v[12:13], v[18:19], -v[12:13]
	v_add_f64 v[3:4], v[3:4], v[12:13]
	v_add_f64 v[3:4], v[16:17], v[3:4]
	v_mul_f64 v[3:4], v[10:11], v[3:4]
	v_add_f64 v[3:4], v[10:11], v[3:4]
	v_xor_b32_e32 v1, 0x80000000, v4
	v_cndmask_b32_e32 v3, v3, v5, vcc_lo
	v_cndmask_b32_e32 v1, v1, v6, vcc_lo
	v_xor_b32_e32 v2, v1, v2
	v_cndmask_b32_e64 v1, 0, v3, s0
	v_cndmask_b32_e64 v2, 0x7ff80000, v2, s0
	v_div_scale_f64 v[3:4], null, v[1:2], v[1:2], s[34:35]
	v_rcp_f64_e32 v[5:6], v[3:4]
	v_fma_f64 v[9:10], -v[3:4], v[5:6], 1.0
	v_fma_f64 v[5:6], v[5:6], v[9:10], v[5:6]
	v_fma_f64 v[9:10], -v[3:4], v[5:6], 1.0
	v_fma_f64 v[5:6], v[5:6], v[9:10], v[5:6]
	v_div_scale_f64 v[9:10], vcc_lo, s[34:35], v[1:2], s[34:35]
	v_mul_f64 v[11:12], v[9:10], v[5:6]
	v_fma_f64 v[3:4], -v[3:4], v[11:12], v[9:10]
	v_div_fmas_f64 v[3:4], v[3:4], v[5:6], v[11:12]
	v_div_fixup_f64 v[1:2], v[3:4], v[1:2], s[34:35]
	v_cvt_f32_f64_e32 v1, v[1:2]
.LBB17_186:
	s_or_b32 exec_lo, exec_lo, s31
	s_orn2_b32 s0, s1, exec_lo
.LBB17_187:
	s_or_b32 exec_lo, exec_lo, s21
	v_mov_b32_e32 v2, 0x7fc00000
	s_and_saveexec_b32 s21, s0
	s_cbranch_execz .LBB17_199
; %bb.188:
	s_mov_b32 s0, exec_lo
	v_cmpx_gt_f32_e32 0x41200000, v8
	s_cbranch_execz .LBB17_192
; %bb.189:
	s_mov_b32 s1, 0
	.p2align	6
.LBB17_190:                             ; =>This Inner Loop Header: Depth=1
	v_div_scale_f32 v2, null, v8, v8, 1.0
	v_div_scale_f32 v5, vcc_lo, 1.0, v8, 1.0
	v_rcp_f32_e32 v3, v2
	v_fma_f32 v4, -v2, v3, 1.0
	v_fmac_f32_e32 v3, v4, v3
	v_mul_f32_e32 v4, v5, v3
	v_fma_f32 v6, -v2, v4, v5
	v_fmac_f32_e32 v4, v6, v3
	v_fma_f32 v2, -v2, v4, v5
	v_div_fmas_f32 v2, v2, v3, v4
	v_div_fixup_f32 v2, v2, v8, 1.0
	v_add_f32_e32 v8, 1.0, v8
	v_sub_f32_e32 v1, v1, v2
	v_cmp_ngt_f32_e32 vcc_lo, 0x41200000, v8
	s_or_b32 s1, vcc_lo, s1
	s_andn2_b32 exec_lo, exec_lo, s1
	s_cbranch_execnz .LBB17_190
; %bb.191:
	s_or_b32 exec_lo, exec_lo, s1
.LBB17_192:
	s_or_b32 exec_lo, exec_lo, s0
                                        ; implicit-def: $vgpr2
	s_mov_b32 s0, exec_lo
	v_cmpx_neq_f32_e32 0x41200000, v8
	s_xor_b32 s31, exec_lo, s0
	s_cbranch_execz .LBB17_196
; %bb.193:
	v_cvt_f64_f32_e32 v[2:3], v8
	s_mov_b32 s0, 0x85d8a000
	s_mov_b32 s1, 0x43763457
	v_cmp_gt_f64_e32 vcc_lo, s[0:1], v[2:3]
	v_mov_b32_e32 v2, 0
	s_and_saveexec_b32 s0, vcc_lo
	s_cbranch_execz .LBB17_195
; %bb.194:
	v_mul_f32_e32 v2, v8, v8
	v_div_scale_f32 v3, null, v2, v2, 1.0
	v_rcp_f32_e32 v4, v3
	v_fma_f32 v5, -v3, v4, 1.0
	v_fmac_f32_e32 v4, v5, v4
	v_div_scale_f32 v5, vcc_lo, 1.0, v2, 1.0
	v_mul_f32_e32 v6, v5, v4
	v_fma_f32 v9, -v3, v6, v5
	v_fmac_f32_e32 v6, v9, v4
	v_fma_f32 v3, -v3, v6, v5
	v_div_fmas_f32 v3, v3, v4, v6
	v_div_fixup_f32 v2, v3, v2, 1.0
	v_fmaak_f32 v3, 0, v2, 0x3daaaaab
	v_fmaak_f32 v3, v2, v3, 0xbcaccacd
	;; [unrolled: 1-line block ×7, first 2 shown]
	v_mul_f32_e32 v2, v2, v3
.LBB17_195:
	s_or_b32 exec_lo, exec_lo, s0
	v_cmp_gt_f32_e32 vcc_lo, 0x800000, v8
	v_div_scale_f32 v3, null, v8, v8, -0.5
	v_div_scale_f32 v9, s0, -0.5, v8, -0.5
	v_cndmask_b32_e64 v4, 0, 32, vcc_lo
	v_rcp_f32_e32 v5, v3
	v_ldexp_f32 v4, v8, v4
	v_log_f32_e32 v4, v4
	v_fma_f32 v6, -v3, v5, 1.0
	v_fmac_f32_e32 v5, v6, v5
	v_mul_f32_e32 v6, 0x3f317217, v4
	v_mul_f32_e32 v10, v9, v5
	v_cmp_gt_f32_e64 s1, 0x7f800000, |v4|
	v_fma_f32 v6, 0x3f317217, v4, -v6
	v_fma_f32 v11, -v3, v10, v9
	v_fmamk_f32 v6, v4, 0x3377d1cf, v6
	v_fmac_f32_e32 v10, v11, v5
	v_fmac_f32_e32 v6, 0x3f317217, v4
	v_fma_f32 v3, -v3, v10, v9
	v_cndmask_b32_e64 v4, v4, v6, s1
	v_cndmask_b32_e64 v6, 0, 0x41b17218, vcc_lo
	s_mov_b32 vcc_lo, s0
	v_div_fmas_f32 v3, v3, v5, v10
	v_sub_f32_e32 v4, v4, v6
	v_div_fixup_f32 v3, v3, v8, -0.5
	v_add_f32_e32 v3, v4, v3
	v_sub_f32_e32 v2, v3, v2
	v_add_f32_e32 v2, v1, v2
                                        ; implicit-def: $vgpr1
.LBB17_196:
	s_andn2_saveexec_b32 s0, s31
; %bb.197:
	v_add_f32_e32 v2, 0x40101cb7, v1
; %bb.198:
	s_or_b32 exec_lo, exec_lo, s0
.LBB17_199:
	s_or_b32 exec_lo, exec_lo, s21
                                        ; implicit-def: $vgpr8
.LBB17_200:
	s_andn2_saveexec_b32 s0, s20
; %bb.201:
	v_xor_b32_e32 v1, 0x80000000, v8
	s_mov_b32 s1, 0x7f800000
	v_bfi_b32 v2, 0x7fffffff, s1, v1
; %bb.202:
	s_or_b32 exec_lo, exec_lo, s0
	v_add_nc_u32_e32 v7, 0x80, v7
	global_store_dword v0, v2, s[4:5]
	s_or_b32 exec_lo, exec_lo, s30
	s_mov_b32 s30, exec_lo
	v_cmpx_gt_i32_e64 s27, v7
	s_cbranch_execnz .LBB17_15
.LBB17_203:
	s_or_b32 exec_lo, exec_lo, s30
	s_mov_b32 s30, exec_lo
	v_cmpx_gt_i32_e64 s27, v7
	s_cbranch_execz .LBB17_243
.LBB17_204:
	s_andn2_b32 vcc_lo, exec_lo, s24
	s_cbranch_vccnz .LBB17_209
; %bb.205:
	s_andn2_b32 vcc_lo, exec_lo, s29
	s_cbranch_vccnz .LBB17_210
; %bb.206:
	s_add_i32 s33, s28, 1
	s_cmp_eq_u32 s23, 2
	s_cbranch_scc1 .LBB17_246
; %bb.207:
	v_mov_b32_e32 v2, 0
	v_mov_b32_e32 v0, 0
	;; [unrolled: 1-line block ×3, first 2 shown]
	s_and_b32 s31, s33, 28
	s_mov_b32 s34, 0
	s_mov_b64 s[0:1], s[2:3]
	s_mov_b64 s[20:21], s[18:19]
.LBB17_208:                             ; =>This Inner Loop Header: Depth=1
	s_clause 0x1
	s_load_dwordx8 s[36:43], s[0:1], 0x4
	s_load_dwordx4 s[52:55], s[0:1], 0x24
	s_load_dwordx8 s[44:51], s[20:21], 0x0
	s_add_u32 s0, s0, 48
	s_addc_u32 s1, s1, 0
	s_add_i32 s34, s34, 4
	s_add_u32 s20, s20, 32
	s_addc_u32 s21, s21, 0
	s_cmp_eq_u32 s31, s34
	s_waitcnt lgkmcnt(0)
	v_mul_hi_u32 v3, s37, v1
	v_add_nc_u32_e32 v3, v1, v3
	v_lshrrev_b32_e32 v3, s38, v3
	v_mul_hi_u32 v4, s40, v3
	v_mul_lo_u32 v6, v3, s36
	v_add_nc_u32_e32 v4, v3, v4
	v_sub_nc_u32_e32 v1, v1, v6
	v_lshrrev_b32_e32 v4, s41, v4
	v_mul_lo_u32 v6, v1, s44
	v_mul_lo_u32 v9, v1, s45
	v_mul_hi_u32 v5, s43, v4
	v_add_nc_u32_e32 v5, v4, v5
	v_lshrrev_b32_e32 v5, s52, v5
	v_mul_hi_u32 v8, s54, v5
	v_mul_lo_u32 v10, v5, s42
	v_add_nc_u32_e32 v1, v5, v8
	v_mul_lo_u32 v8, v4, s39
	v_sub_nc_u32_e32 v4, v4, v10
	v_lshrrev_b32_e32 v1, s55, v1
	v_mul_lo_u32 v10, v4, s48
	v_mul_lo_u32 v4, v4, s49
	v_sub_nc_u32_e32 v3, v3, v8
	v_mul_lo_u32 v11, v1, s53
	v_mul_lo_u32 v8, v3, s46
	;; [unrolled: 1-line block ×3, first 2 shown]
	v_sub_nc_u32_e32 v5, v5, v11
	v_add3_u32 v0, v6, v0, v8
	v_mul_lo_u32 v11, v5, s50
	v_mul_lo_u32 v5, v5, s51
	v_add3_u32 v2, v9, v2, v3
	v_add3_u32 v0, v10, v0, v11
	;; [unrolled: 1-line block ×3, first 2 shown]
	s_cbranch_scc0 .LBB17_208
	s_branch .LBB17_247
.LBB17_209:
                                        ; implicit-def: $vgpr0
                                        ; implicit-def: $vgpr2
	s_branch .LBB17_251
.LBB17_210:
	v_mov_b32_e32 v0, 0
	v_mov_b32_e32 v2, 0
	s_branch .LBB17_250
.LBB17_211:
	v_mov_b32_e32 v0, 0
	v_mov_b32_e32 v2, 0
	;; [unrolled: 1-line block ×3, first 2 shown]
	s_mov_b32 s31, 0
.LBB17_212:
	s_and_b32 s33, s33, 3
	s_cmp_eq_u32 s33, 0
	s_cbranch_scc1 .LBB17_215
; %bb.213:
	s_lshl_b32 s0, s31, 3
	s_mul_i32 s20, s31, 12
	s_add_u32 s0, s2, s0
	s_addc_u32 s1, s3, 0
	s_add_u32 s0, s0, 0xc4
	s_addc_u32 s1, s1, 0
	;; [unrolled: 2-line block ×3, first 2 shown]
	.p2align	6
.LBB17_214:                             ; =>This Inner Loop Header: Depth=1
	s_clause 0x1
	s_load_dwordx2 s[34:35], s[20:21], 0x4
	s_load_dword s31, s[20:21], 0xc
	s_load_dwordx2 s[36:37], s[0:1], 0x0
	s_add_u32 s20, s20, 12
	s_addc_u32 s21, s21, 0
	s_add_u32 s0, s0, 8
	s_addc_u32 s1, s1, 0
	s_add_i32 s33, s33, -1
	s_cmp_lg_u32 s33, 0
	s_waitcnt lgkmcnt(0)
	v_mul_hi_u32 v3, s35, v1
	v_add_nc_u32_e32 v3, v1, v3
	v_lshrrev_b32_e32 v4, s31, v3
	v_mul_lo_u32 v3, v4, s34
	v_sub_nc_u32_e32 v3, v1, v3
	v_mad_u64_u32 v[0:1], null, v3, s36, v[0:1]
	v_mad_u64_u32 v[2:3], null, v3, s37, v[2:3]
	v_mov_b32_e32 v1, v4
	s_cbranch_scc1 .LBB17_214
.LBB17_215:
	s_cbranch_execnz .LBB17_218
.LBB17_216:
	s_waitcnt lgkmcnt(0)
	v_mul_hi_u32 v0, s13, v7
	s_andn2_b32 vcc_lo, exec_lo, s26
	v_add_nc_u32_e32 v0, v7, v0
	v_lshrrev_b32_e32 v1, s14, v0
	v_mul_lo_u32 v0, v1, s12
	v_sub_nc_u32_e32 v2, v7, v0
	v_mul_lo_u32 v0, v2, s8
	v_mul_lo_u32 v2, v2, s9
	s_cbranch_vccnz .LBB17_218
; %bb.217:
	v_mul_hi_u32 v3, s16, v1
	v_add_nc_u32_e32 v3, v1, v3
	v_lshrrev_b32_e32 v3, s17, v3
	v_mul_lo_u32 v3, v3, s15
	v_sub_nc_u32_e32 v3, v1, v3
	v_mad_u64_u32 v[0:1], null, v3, s10, v[0:1]
	v_mad_u64_u32 v[2:3], null, v3, s11, v[2:3]
.LBB17_218:
	s_waitcnt lgkmcnt(0)
	global_load_dword v8, v2, s[6:7]
                                        ; implicit-def: $vgpr2
	s_mov_b32 s0, exec_lo
	s_waitcnt vmcnt(0)
	v_cmpx_neq_f32_e32 0, v8
	s_xor_b32 s20, exec_lo, s0
	s_cbranch_execz .LBB17_240
; %bb.219:
	v_mov_b32_e32 v1, 0
	s_mov_b32 s0, -1
	s_mov_b32 s21, exec_lo
	v_cmpx_gt_f32_e32 0, v8
	s_cbranch_execz .LBB17_227
; %bb.220:
	v_trunc_f32_e32 v1, v8
	s_mov_b32 s1, 0
	v_cmp_neq_f32_e32 vcc_lo, v8, v1
	v_mov_b32_e32 v1, 0
	s_and_saveexec_b32 s31, vcc_lo
	s_cbranch_execz .LBB17_226
; %bb.221:
	v_cvt_f64_f32_e32 v[1:2], v8
	s_mov_b32 s1, 0xc00921fb
	s_mov_b32 s0, 0x54442d18
	s_mov_b32 s33, exec_lo
                                        ; implicit-def: $vgpr9
                                        ; implicit-def: $vgpr5_vgpr6
	v_trunc_f64_e32 v[3:4], v[1:2]
	v_cmp_neq_f64_e64 vcc_lo, 0x7ff00000, |v[1:2]|
	v_add_f64 v[3:4], v[1:2], -v[3:4]
	v_mul_f64 v[3:4], |v[3:4]|, s[0:1]
	v_cndmask_b32_e32 v2, 0x80000000, v4, vcc_lo
	v_cndmask_b32_e32 v1, 0, v3, vcc_lo
                                        ; implicit-def: $vgpr3_vgpr4
	v_cmpx_ngt_f64_e64 0x41d00000, |v[1:2]|
	s_xor_b32 s33, exec_lo, s33
	s_cbranch_execz .LBB17_223
; %bb.222:
	v_ldexp_f64 v[3:4], |v[1:2]|, 0xffffff80
	v_cmp_le_f64_e64 vcc_lo, 0x7b000000, |v[1:2]|
	v_trig_preop_f64 v[5:6], |v[1:2]|, 0
	v_and_b32_e32 v9, 0x7fffffff, v2
	v_trig_preop_f64 v[19:20], |v[1:2]|, 2
	v_mov_b32_e32 v27, 0
	s_mov_b32 s1, 0x3ff921fb
	s_mov_b32 s34, 0x33145c07
	s_mov_b32 s35, 0x3c91a626
	v_cndmask_b32_e32 v4, v9, v4, vcc_lo
	v_cndmask_b32_e32 v3, v1, v3, vcc_lo
	v_trig_preop_f64 v[9:10], |v[1:2]|, 1
	v_mul_f64 v[11:12], v[5:6], v[3:4]
	v_mul_f64 v[25:26], v[19:20], v[3:4]
	;; [unrolled: 1-line block ×3, first 2 shown]
	v_fma_f64 v[5:6], v[5:6], v[3:4], -v[11:12]
	v_fma_f64 v[9:10], v[9:10], v[3:4], -v[13:14]
	;; [unrolled: 1-line block ×3, first 2 shown]
	v_add_f64 v[15:16], v[13:14], v[5:6]
	v_add_f64 v[17:18], v[15:16], -v[13:14]
	v_add_f64 v[23:24], v[11:12], v[15:16]
	v_add_f64 v[21:22], v[15:16], -v[17:18]
	v_add_f64 v[5:6], v[5:6], -v[17:18]
	v_ldexp_f64 v[17:18], v[23:24], -2
	v_add_f64 v[11:12], v[23:24], -v[11:12]
	v_add_f64 v[13:14], v[13:14], -v[21:22]
	v_add_f64 v[21:22], v[25:26], v[9:10]
	v_cmp_neq_f64_e64 vcc_lo, 0x7ff00000, |v[17:18]|
	v_add_f64 v[11:12], v[15:16], -v[11:12]
	v_add_f64 v[5:6], v[5:6], v[13:14]
	v_fract_f64_e32 v[13:14], v[17:18]
	v_add_f64 v[15:16], v[21:22], v[5:6]
	v_ldexp_f64 v[13:14], v[13:14], 2
	v_add_f64 v[17:18], v[11:12], v[15:16]
	v_cndmask_b32_e32 v14, 0, v14, vcc_lo
	v_cndmask_b32_e32 v13, 0, v13, vcc_lo
	v_add_f64 v[23:24], v[17:18], v[13:14]
	v_add_f64 v[11:12], v[17:18], -v[11:12]
	v_cmp_gt_f64_e32 vcc_lo, 0, v[23:24]
	v_add_f64 v[23:24], v[21:22], -v[25:26]
	v_cndmask_b32_e64 v28, 0, 0x40100000, vcc_lo
	v_add_f64 v[32:33], v[21:22], -v[23:24]
	v_add_f64 v[9:10], v[9:10], -v[23:24]
	v_add_f64 v[13:14], v[13:14], v[27:28]
	v_add_f64 v[28:29], v[15:16], -v[21:22]
	v_add_f64 v[23:24], v[25:26], -v[32:33]
	v_add_f64 v[30:31], v[17:18], v[13:14]
	v_add_f64 v[34:35], v[15:16], -v[28:29]
	v_add_f64 v[5:6], v[5:6], -v[28:29]
	v_add_f64 v[9:10], v[9:10], v[23:24]
	v_cvt_i32_f64_e32 v30, v[30:31]
	v_add_f64 v[21:22], v[21:22], -v[34:35]
	v_cvt_f64_i32_e32 v[28:29], v30
	v_add_f64 v[5:6], v[5:6], v[21:22]
	v_add_f64 v[13:14], v[13:14], -v[28:29]
	v_add_f64 v[5:6], v[9:10], v[5:6]
	v_add_f64 v[9:10], v[15:16], -v[11:12]
	v_add_f64 v[19:20], v[17:18], v[13:14]
	v_add_f64 v[3:4], v[3:4], v[5:6]
	v_add_f64 v[5:6], v[19:20], -v[13:14]
	v_cmp_le_f64_e32 vcc_lo, 0.5, v[19:20]
	v_add_f64 v[3:4], v[9:10], v[3:4]
	v_add_f64 v[5:6], v[17:18], -v[5:6]
	v_cndmask_b32_e64 v28, 0, 0x3ff00000, vcc_lo
	v_add_co_ci_u32_e64 v9, null, 0, v30, vcc_lo
	v_add_f64 v[3:4], v[3:4], v[5:6]
	v_add_f64 v[5:6], v[19:20], -v[27:28]
	v_add_f64 v[10:11], v[5:6], v[3:4]
	v_mul_f64 v[12:13], v[10:11], s[0:1]
	v_add_f64 v[5:6], v[10:11], -v[5:6]
	v_fma_f64 v[14:15], v[10:11], s[0:1], -v[12:13]
	v_add_f64 v[3:4], v[3:4], -v[5:6]
	v_fma_f64 v[5:6], v[10:11], s[34:35], v[14:15]
	v_fma_f64 v[5:6], v[3:4], s[0:1], v[5:6]
	v_add_f64 v[3:4], v[12:13], v[5:6]
	v_add_f64 v[10:11], v[3:4], -v[12:13]
	v_add_f64 v[5:6], v[5:6], -v[10:11]
.LBB17_223:
	s_andn2_saveexec_b32 s0, s33
	s_cbranch_execz .LBB17_225
; %bb.224:
	s_mov_b32 s34, 0x6dc9c883
	s_mov_b32 s35, 0x3fe45f30
	;; [unrolled: 1-line block ×3, first 2 shown]
	v_mul_f64 v[3:4], |v[1:2]|, s[34:35]
	s_mov_b32 s34, 0x54442d18
	s_mov_b32 s35, 0xbff921fb
	;; [unrolled: 1-line block ×3, first 2 shown]
	v_rndne_f64_e32 v[9:10], v[3:4]
	v_fma_f64 v[3:4], v[9:10], s[34:35], |v[1:2]|
	v_mul_f64 v[5:6], v[9:10], s[36:37]
	s_mov_b32 s34, 0x252049c0
	s_mov_b32 s35, 0xb97b839a
	v_fma_f64 v[13:14], v[9:10], s[36:37], v[3:4]
	v_add_f64 v[11:12], v[3:4], v[5:6]
	s_mov_b32 s37, 0x3c91a626
	v_add_f64 v[3:4], v[3:4], -v[11:12]
	v_add_f64 v[11:12], v[11:12], -v[13:14]
	v_add_f64 v[3:4], v[3:4], v[5:6]
	v_fma_f64 v[5:6], v[9:10], s[36:37], v[5:6]
	v_add_f64 v[3:4], v[11:12], v[3:4]
	v_add_f64 v[3:4], v[3:4], -v[5:6]
	v_fma_f64 v[5:6], v[9:10], s[34:35], v[3:4]
	v_cvt_i32_f64_e32 v9, v[9:10]
	v_add_f64 v[3:4], v[13:14], v[5:6]
	v_add_f64 v[11:12], v[3:4], -v[13:14]
	v_add_f64 v[5:6], v[5:6], -v[11:12]
.LBB17_225:
	s_or_b32 exec_lo, exec_lo, s0
	v_mul_f64 v[10:11], v[3:4], v[3:4]
	v_add_f64 v[12:13], v[5:6], v[5:6]
	s_mov_b32 s34, 0xa9a29f71
	s_mov_b32 s36, 0xc751c08c
	;; [unrolled: 1-line block ×4, first 2 shown]
	v_cmp_class_f64_e64 s0, v[1:2], 0x1f8
	v_and_b32_e32 v9, 1, v9
	v_and_b32_e32 v2, 0x80000000, v2
	v_sub_f32_e32 v8, 1.0, v8
	s_mov_b32 s1, exec_lo
	v_cmp_eq_u32_e32 vcc_lo, 0, v9
	v_fma_f64 v[14:15], v[3:4], v[3:4], -v[10:11]
	v_fma_f64 v[12:13], v[3:4], v[12:13], v[14:15]
	v_add_f64 v[10:11], v[10:11], v[12:13]
	v_fma_f64 v[12:13], v[10:11], s[36:37], s[34:35]
	s_mov_b32 s34, 0x90a8aae0
	s_mov_b32 s35, 0x3f17746f
	v_fma_f64 v[12:13], v[10:11], v[12:13], s[34:35]
	s_mov_b32 s34, 0xa6fbf144
	s_mov_b32 s35, 0xbefbb44d
	;; [unrolled: 3-line block ×13, first 2 shown]
	v_mul_f64 v[10:11], v[10:11], v[12:13]
	v_mul_f64 v[12:13], v[3:4], v[10:11]
	v_add_f64 v[14:15], v[3:4], v[12:13]
	v_fma_f64 v[10:11], v[3:4], v[10:11], -v[12:13]
	v_add_f64 v[3:4], v[14:15], -v[3:4]
	v_add_f64 v[5:6], v[5:6], v[10:11]
	v_add_f64 v[3:4], v[12:13], -v[3:4]
	v_add_f64 v[3:4], v[5:6], v[3:4]
	v_add_f64 v[5:6], v[14:15], v[3:4]
	v_rcp_f64_e32 v[10:11], v[5:6]
	v_fma_f64 v[12:13], -v[5:6], v[10:11], 1.0
	v_fma_f64 v[10:11], v[12:13], v[10:11], v[10:11]
	v_fma_f64 v[12:13], -v[5:6], v[10:11], 1.0
	v_fma_f64 v[10:11], v[12:13], v[10:11], v[10:11]
	v_add_f64 v[12:13], v[5:6], -v[14:15]
	v_mul_f64 v[14:15], v[5:6], v[10:11]
	v_add_f64 v[3:4], v[3:4], -v[12:13]
	v_fma_f64 v[12:13], v[10:11], v[5:6], -v[14:15]
	v_fma_f64 v[3:4], v[10:11], v[3:4], v[12:13]
	v_add_f64 v[12:13], v[14:15], v[3:4]
	v_add_f64 v[16:17], -v[12:13], 1.0
	v_add_f64 v[14:15], v[12:13], -v[14:15]
	v_add_f64 v[18:19], -v[16:17], 1.0
	v_add_f64 v[3:4], v[14:15], -v[3:4]
	v_add_f64 v[12:13], v[18:19], -v[12:13]
	v_add_f64 v[3:4], v[3:4], v[12:13]
	v_add_f64 v[3:4], v[16:17], v[3:4]
	v_mul_f64 v[3:4], v[10:11], v[3:4]
	v_add_f64 v[3:4], v[10:11], v[3:4]
	v_xor_b32_e32 v1, 0x80000000, v4
	v_cndmask_b32_e32 v3, v3, v5, vcc_lo
	v_cndmask_b32_e32 v1, v1, v6, vcc_lo
	v_xor_b32_e32 v2, v1, v2
	v_cndmask_b32_e64 v1, 0, v3, s0
	v_cndmask_b32_e64 v2, 0x7ff80000, v2, s0
	v_div_scale_f64 v[3:4], null, v[1:2], v[1:2], s[34:35]
	v_rcp_f64_e32 v[5:6], v[3:4]
	v_fma_f64 v[9:10], -v[3:4], v[5:6], 1.0
	v_fma_f64 v[5:6], v[5:6], v[9:10], v[5:6]
	v_fma_f64 v[9:10], -v[3:4], v[5:6], 1.0
	v_fma_f64 v[5:6], v[5:6], v[9:10], v[5:6]
	v_div_scale_f64 v[9:10], vcc_lo, s[34:35], v[1:2], s[34:35]
	v_mul_f64 v[11:12], v[9:10], v[5:6]
	v_fma_f64 v[3:4], -v[3:4], v[11:12], v[9:10]
	v_div_fmas_f64 v[3:4], v[3:4], v[5:6], v[11:12]
	v_div_fixup_f64 v[1:2], v[3:4], v[1:2], s[34:35]
	v_cvt_f32_f64_e32 v1, v[1:2]
.LBB17_226:
	s_or_b32 exec_lo, exec_lo, s31
	s_orn2_b32 s0, s1, exec_lo
.LBB17_227:
	s_or_b32 exec_lo, exec_lo, s21
	v_mov_b32_e32 v2, 0x7fc00000
	s_and_saveexec_b32 s21, s0
	s_cbranch_execz .LBB17_239
; %bb.228:
	s_mov_b32 s0, exec_lo
	v_cmpx_gt_f32_e32 0x41200000, v8
	s_cbranch_execz .LBB17_232
; %bb.229:
	s_mov_b32 s1, 0
	.p2align	6
.LBB17_230:                             ; =>This Inner Loop Header: Depth=1
	v_div_scale_f32 v2, null, v8, v8, 1.0
	v_div_scale_f32 v5, vcc_lo, 1.0, v8, 1.0
	v_rcp_f32_e32 v3, v2
	v_fma_f32 v4, -v2, v3, 1.0
	v_fmac_f32_e32 v3, v4, v3
	v_mul_f32_e32 v4, v5, v3
	v_fma_f32 v6, -v2, v4, v5
	v_fmac_f32_e32 v4, v6, v3
	v_fma_f32 v2, -v2, v4, v5
	v_div_fmas_f32 v2, v2, v3, v4
	v_div_fixup_f32 v2, v2, v8, 1.0
	v_add_f32_e32 v8, 1.0, v8
	v_sub_f32_e32 v1, v1, v2
	v_cmp_ngt_f32_e32 vcc_lo, 0x41200000, v8
	s_or_b32 s1, vcc_lo, s1
	s_andn2_b32 exec_lo, exec_lo, s1
	s_cbranch_execnz .LBB17_230
; %bb.231:
	s_or_b32 exec_lo, exec_lo, s1
.LBB17_232:
	s_or_b32 exec_lo, exec_lo, s0
                                        ; implicit-def: $vgpr2
	s_mov_b32 s0, exec_lo
	v_cmpx_neq_f32_e32 0x41200000, v8
	s_xor_b32 s31, exec_lo, s0
	s_cbranch_execz .LBB17_236
; %bb.233:
	v_cvt_f64_f32_e32 v[2:3], v8
	s_mov_b32 s0, 0x85d8a000
	s_mov_b32 s1, 0x43763457
	v_cmp_gt_f64_e32 vcc_lo, s[0:1], v[2:3]
	v_mov_b32_e32 v2, 0
	s_and_saveexec_b32 s0, vcc_lo
	s_cbranch_execz .LBB17_235
; %bb.234:
	v_mul_f32_e32 v2, v8, v8
	v_div_scale_f32 v3, null, v2, v2, 1.0
	v_rcp_f32_e32 v4, v3
	v_fma_f32 v5, -v3, v4, 1.0
	v_fmac_f32_e32 v4, v5, v4
	v_div_scale_f32 v5, vcc_lo, 1.0, v2, 1.0
	v_mul_f32_e32 v6, v5, v4
	v_fma_f32 v9, -v3, v6, v5
	v_fmac_f32_e32 v6, v9, v4
	v_fma_f32 v3, -v3, v6, v5
	v_div_fmas_f32 v3, v3, v4, v6
	v_div_fixup_f32 v2, v3, v2, 1.0
	v_fmaak_f32 v3, 0, v2, 0x3daaaaab
	v_fmaak_f32 v3, v2, v3, 0xbcaccacd
	;; [unrolled: 1-line block ×7, first 2 shown]
	v_mul_f32_e32 v2, v2, v3
.LBB17_235:
	s_or_b32 exec_lo, exec_lo, s0
	v_cmp_gt_f32_e32 vcc_lo, 0x800000, v8
	v_div_scale_f32 v3, null, v8, v8, -0.5
	v_div_scale_f32 v9, s0, -0.5, v8, -0.5
	v_cndmask_b32_e64 v4, 0, 32, vcc_lo
	v_rcp_f32_e32 v5, v3
	v_ldexp_f32 v4, v8, v4
	v_log_f32_e32 v4, v4
	v_fma_f32 v6, -v3, v5, 1.0
	v_fmac_f32_e32 v5, v6, v5
	v_mul_f32_e32 v6, 0x3f317217, v4
	v_mul_f32_e32 v10, v9, v5
	v_cmp_gt_f32_e64 s1, 0x7f800000, |v4|
	v_fma_f32 v6, 0x3f317217, v4, -v6
	v_fma_f32 v11, -v3, v10, v9
	v_fmamk_f32 v6, v4, 0x3377d1cf, v6
	v_fmac_f32_e32 v10, v11, v5
	v_fmac_f32_e32 v6, 0x3f317217, v4
	v_fma_f32 v3, -v3, v10, v9
	v_cndmask_b32_e64 v4, v4, v6, s1
	v_cndmask_b32_e64 v6, 0, 0x41b17218, vcc_lo
	s_mov_b32 vcc_lo, s0
	v_div_fmas_f32 v3, v3, v5, v10
	v_sub_f32_e32 v4, v4, v6
	v_div_fixup_f32 v3, v3, v8, -0.5
	v_add_f32_e32 v3, v4, v3
	v_sub_f32_e32 v2, v3, v2
	v_add_f32_e32 v2, v1, v2
                                        ; implicit-def: $vgpr1
.LBB17_236:
	s_andn2_saveexec_b32 s0, s31
; %bb.237:
	v_add_f32_e32 v2, 0x40101cb7, v1
; %bb.238:
	s_or_b32 exec_lo, exec_lo, s0
.LBB17_239:
	s_or_b32 exec_lo, exec_lo, s21
                                        ; implicit-def: $vgpr8
.LBB17_240:
	s_andn2_saveexec_b32 s0, s20
; %bb.241:
	v_xor_b32_e32 v1, 0x80000000, v8
	s_mov_b32 s1, 0x7f800000
	v_bfi_b32 v2, 0x7fffffff, s1, v1
; %bb.242:
	s_or_b32 exec_lo, exec_lo, s0
	v_add_nc_u32_e32 v7, 0x80, v7
	global_store_dword v0, v2, s[4:5]
	s_or_b32 exec_lo, exec_lo, s30
	s_mov_b32 s30, exec_lo
	v_cmpx_gt_i32_e64 s27, v7
	s_cbranch_execnz .LBB17_204
.LBB17_243:
	s_or_b32 exec_lo, exec_lo, s30
	s_mov_b32 s20, exec_lo
	v_cmpx_gt_i32_e64 s27, v7
	s_cbranch_execnz .LBB17_278
.LBB17_244:
	s_or_b32 exec_lo, exec_lo, s20
                                        ; implicit-def: $vgpr13
                                        ; implicit-def: $vgpr7
	s_andn2_saveexec_b32 s0, s25
	s_cbranch_execnz .LBB17_8
.LBB17_245:
	s_endpgm
.LBB17_246:
	v_mov_b32_e32 v0, 0
	v_mov_b32_e32 v2, 0
	;; [unrolled: 1-line block ×3, first 2 shown]
	s_mov_b32 s31, 0
.LBB17_247:
	s_and_b32 s33, s33, 3
	s_cmp_eq_u32 s33, 0
	s_cbranch_scc1 .LBB17_250
; %bb.248:
	s_lshl_b32 s0, s31, 3
	s_mul_i32 s20, s31, 12
	s_add_u32 s0, s2, s0
	s_addc_u32 s1, s3, 0
	s_add_u32 s0, s0, 0xc4
	s_addc_u32 s1, s1, 0
	;; [unrolled: 2-line block ×3, first 2 shown]
	.p2align	6
.LBB17_249:                             ; =>This Inner Loop Header: Depth=1
	s_clause 0x1
	s_load_dwordx2 s[34:35], s[20:21], 0x4
	s_load_dword s31, s[20:21], 0xc
	s_load_dwordx2 s[36:37], s[0:1], 0x0
	s_add_u32 s20, s20, 12
	s_addc_u32 s21, s21, 0
	s_add_u32 s0, s0, 8
	s_addc_u32 s1, s1, 0
	s_add_i32 s33, s33, -1
	s_cmp_lg_u32 s33, 0
	s_waitcnt lgkmcnt(0)
	v_mul_hi_u32 v3, s35, v1
	v_add_nc_u32_e32 v3, v1, v3
	v_lshrrev_b32_e32 v4, s31, v3
	v_mul_lo_u32 v3, v4, s34
	v_sub_nc_u32_e32 v3, v1, v3
	v_mad_u64_u32 v[0:1], null, v3, s36, v[0:1]
	v_mad_u64_u32 v[2:3], null, v3, s37, v[2:3]
	v_mov_b32_e32 v1, v4
	s_cbranch_scc1 .LBB17_249
.LBB17_250:
	s_cbranch_execnz .LBB17_253
.LBB17_251:
	s_waitcnt lgkmcnt(0)
	v_mul_hi_u32 v0, s13, v7
	s_andn2_b32 vcc_lo, exec_lo, s26
	v_add_nc_u32_e32 v0, v7, v0
	v_lshrrev_b32_e32 v1, s14, v0
	v_mul_lo_u32 v0, v1, s12
	v_sub_nc_u32_e32 v2, v7, v0
	v_mul_lo_u32 v0, v2, s8
	v_mul_lo_u32 v2, v2, s9
	s_cbranch_vccnz .LBB17_253
; %bb.252:
	v_mul_hi_u32 v3, s16, v1
	v_add_nc_u32_e32 v3, v1, v3
	v_lshrrev_b32_e32 v3, s17, v3
	v_mul_lo_u32 v3, v3, s15
	v_sub_nc_u32_e32 v3, v1, v3
	v_mad_u64_u32 v[0:1], null, v3, s10, v[0:1]
	v_mad_u64_u32 v[2:3], null, v3, s11, v[2:3]
.LBB17_253:
	s_waitcnt lgkmcnt(0)
	global_load_dword v8, v2, s[6:7]
                                        ; implicit-def: $vgpr2
	s_mov_b32 s0, exec_lo
	s_waitcnt vmcnt(0)
	v_cmpx_neq_f32_e32 0, v8
	s_xor_b32 s20, exec_lo, s0
	s_cbranch_execz .LBB17_275
; %bb.254:
	v_mov_b32_e32 v1, 0
	s_mov_b32 s0, -1
	s_mov_b32 s21, exec_lo
	v_cmpx_gt_f32_e32 0, v8
	s_cbranch_execz .LBB17_262
; %bb.255:
	v_trunc_f32_e32 v1, v8
	s_mov_b32 s1, 0
	v_cmp_neq_f32_e32 vcc_lo, v8, v1
	v_mov_b32_e32 v1, 0
	s_and_saveexec_b32 s31, vcc_lo
	s_cbranch_execz .LBB17_261
; %bb.256:
	v_cvt_f64_f32_e32 v[1:2], v8
	s_mov_b32 s1, 0xc00921fb
	s_mov_b32 s0, 0x54442d18
	s_mov_b32 s33, exec_lo
                                        ; implicit-def: $vgpr9
                                        ; implicit-def: $vgpr5_vgpr6
	v_trunc_f64_e32 v[3:4], v[1:2]
	v_cmp_neq_f64_e64 vcc_lo, 0x7ff00000, |v[1:2]|
	v_add_f64 v[3:4], v[1:2], -v[3:4]
	v_mul_f64 v[3:4], |v[3:4]|, s[0:1]
	v_cndmask_b32_e32 v2, 0x80000000, v4, vcc_lo
	v_cndmask_b32_e32 v1, 0, v3, vcc_lo
                                        ; implicit-def: $vgpr3_vgpr4
	v_cmpx_ngt_f64_e64 0x41d00000, |v[1:2]|
	s_xor_b32 s33, exec_lo, s33
	s_cbranch_execz .LBB17_258
; %bb.257:
	v_ldexp_f64 v[3:4], |v[1:2]|, 0xffffff80
	v_cmp_le_f64_e64 vcc_lo, 0x7b000000, |v[1:2]|
	v_trig_preop_f64 v[5:6], |v[1:2]|, 0
	v_and_b32_e32 v9, 0x7fffffff, v2
	v_trig_preop_f64 v[19:20], |v[1:2]|, 2
	v_mov_b32_e32 v27, 0
	s_mov_b32 s1, 0x3ff921fb
	s_mov_b32 s34, 0x33145c07
	;; [unrolled: 1-line block ×3, first 2 shown]
	v_cndmask_b32_e32 v4, v9, v4, vcc_lo
	v_cndmask_b32_e32 v3, v1, v3, vcc_lo
	v_trig_preop_f64 v[9:10], |v[1:2]|, 1
	v_mul_f64 v[11:12], v[5:6], v[3:4]
	v_mul_f64 v[25:26], v[19:20], v[3:4]
	;; [unrolled: 1-line block ×3, first 2 shown]
	v_fma_f64 v[5:6], v[5:6], v[3:4], -v[11:12]
	v_fma_f64 v[9:10], v[9:10], v[3:4], -v[13:14]
	v_fma_f64 v[3:4], v[19:20], v[3:4], -v[25:26]
	v_add_f64 v[15:16], v[13:14], v[5:6]
	v_add_f64 v[17:18], v[15:16], -v[13:14]
	v_add_f64 v[23:24], v[11:12], v[15:16]
	v_add_f64 v[21:22], v[15:16], -v[17:18]
	v_add_f64 v[5:6], v[5:6], -v[17:18]
	v_ldexp_f64 v[17:18], v[23:24], -2
	v_add_f64 v[11:12], v[23:24], -v[11:12]
	v_add_f64 v[13:14], v[13:14], -v[21:22]
	v_add_f64 v[21:22], v[25:26], v[9:10]
	v_cmp_neq_f64_e64 vcc_lo, 0x7ff00000, |v[17:18]|
	v_add_f64 v[11:12], v[15:16], -v[11:12]
	v_add_f64 v[5:6], v[5:6], v[13:14]
	v_fract_f64_e32 v[13:14], v[17:18]
	v_add_f64 v[15:16], v[21:22], v[5:6]
	v_ldexp_f64 v[13:14], v[13:14], 2
	v_add_f64 v[17:18], v[11:12], v[15:16]
	v_cndmask_b32_e32 v14, 0, v14, vcc_lo
	v_cndmask_b32_e32 v13, 0, v13, vcc_lo
	v_add_f64 v[23:24], v[17:18], v[13:14]
	v_add_f64 v[11:12], v[17:18], -v[11:12]
	v_cmp_gt_f64_e32 vcc_lo, 0, v[23:24]
	v_add_f64 v[23:24], v[21:22], -v[25:26]
	v_cndmask_b32_e64 v28, 0, 0x40100000, vcc_lo
	v_add_f64 v[32:33], v[21:22], -v[23:24]
	v_add_f64 v[9:10], v[9:10], -v[23:24]
	v_add_f64 v[13:14], v[13:14], v[27:28]
	v_add_f64 v[28:29], v[15:16], -v[21:22]
	v_add_f64 v[23:24], v[25:26], -v[32:33]
	v_add_f64 v[30:31], v[17:18], v[13:14]
	;; [unrolled: 3-line block ×3, first 2 shown]
	v_cvt_i32_f64_e32 v30, v[30:31]
	v_add_f64 v[21:22], v[21:22], -v[34:35]
	v_cvt_f64_i32_e32 v[28:29], v30
	v_add_f64 v[5:6], v[5:6], v[21:22]
	v_add_f64 v[13:14], v[13:14], -v[28:29]
	v_add_f64 v[5:6], v[9:10], v[5:6]
	v_add_f64 v[9:10], v[15:16], -v[11:12]
	v_add_f64 v[19:20], v[17:18], v[13:14]
	v_add_f64 v[3:4], v[3:4], v[5:6]
	v_add_f64 v[5:6], v[19:20], -v[13:14]
	v_cmp_le_f64_e32 vcc_lo, 0.5, v[19:20]
	v_add_f64 v[3:4], v[9:10], v[3:4]
	v_add_f64 v[5:6], v[17:18], -v[5:6]
	v_cndmask_b32_e64 v28, 0, 0x3ff00000, vcc_lo
	v_add_co_ci_u32_e64 v9, null, 0, v30, vcc_lo
	v_add_f64 v[3:4], v[3:4], v[5:6]
	v_add_f64 v[5:6], v[19:20], -v[27:28]
	v_add_f64 v[10:11], v[5:6], v[3:4]
	v_mul_f64 v[12:13], v[10:11], s[0:1]
	v_add_f64 v[5:6], v[10:11], -v[5:6]
	v_fma_f64 v[14:15], v[10:11], s[0:1], -v[12:13]
	v_add_f64 v[3:4], v[3:4], -v[5:6]
	v_fma_f64 v[5:6], v[10:11], s[34:35], v[14:15]
	v_fma_f64 v[5:6], v[3:4], s[0:1], v[5:6]
	v_add_f64 v[3:4], v[12:13], v[5:6]
	v_add_f64 v[10:11], v[3:4], -v[12:13]
	v_add_f64 v[5:6], v[5:6], -v[10:11]
.LBB17_258:
	s_andn2_saveexec_b32 s0, s33
	s_cbranch_execz .LBB17_260
; %bb.259:
	s_mov_b32 s34, 0x6dc9c883
	s_mov_b32 s35, 0x3fe45f30
	;; [unrolled: 1-line block ×3, first 2 shown]
	v_mul_f64 v[3:4], |v[1:2]|, s[34:35]
	s_mov_b32 s34, 0x54442d18
	s_mov_b32 s35, 0xbff921fb
	;; [unrolled: 1-line block ×3, first 2 shown]
	v_rndne_f64_e32 v[9:10], v[3:4]
	v_fma_f64 v[3:4], v[9:10], s[34:35], |v[1:2]|
	v_mul_f64 v[5:6], v[9:10], s[36:37]
	s_mov_b32 s34, 0x252049c0
	s_mov_b32 s35, 0xb97b839a
	v_fma_f64 v[13:14], v[9:10], s[36:37], v[3:4]
	v_add_f64 v[11:12], v[3:4], v[5:6]
	s_mov_b32 s37, 0x3c91a626
	v_add_f64 v[3:4], v[3:4], -v[11:12]
	v_add_f64 v[11:12], v[11:12], -v[13:14]
	v_add_f64 v[3:4], v[3:4], v[5:6]
	v_fma_f64 v[5:6], v[9:10], s[36:37], v[5:6]
	v_add_f64 v[3:4], v[11:12], v[3:4]
	v_add_f64 v[3:4], v[3:4], -v[5:6]
	v_fma_f64 v[5:6], v[9:10], s[34:35], v[3:4]
	v_cvt_i32_f64_e32 v9, v[9:10]
	v_add_f64 v[3:4], v[13:14], v[5:6]
	v_add_f64 v[11:12], v[3:4], -v[13:14]
	v_add_f64 v[5:6], v[5:6], -v[11:12]
.LBB17_260:
	s_or_b32 exec_lo, exec_lo, s0
	v_mul_f64 v[10:11], v[3:4], v[3:4]
	v_add_f64 v[12:13], v[5:6], v[5:6]
	s_mov_b32 s34, 0xa9a29f71
	s_mov_b32 s36, 0xc751c08c
	;; [unrolled: 1-line block ×4, first 2 shown]
	v_cmp_class_f64_e64 s0, v[1:2], 0x1f8
	v_and_b32_e32 v9, 1, v9
	v_and_b32_e32 v2, 0x80000000, v2
	v_sub_f32_e32 v8, 1.0, v8
	s_mov_b32 s1, exec_lo
	v_cmp_eq_u32_e32 vcc_lo, 0, v9
	v_fma_f64 v[14:15], v[3:4], v[3:4], -v[10:11]
	v_fma_f64 v[12:13], v[3:4], v[12:13], v[14:15]
	v_add_f64 v[10:11], v[10:11], v[12:13]
	v_fma_f64 v[12:13], v[10:11], s[36:37], s[34:35]
	s_mov_b32 s34, 0x90a8aae0
	s_mov_b32 s35, 0x3f17746f
	v_fma_f64 v[12:13], v[10:11], v[12:13], s[34:35]
	s_mov_b32 s34, 0xa6fbf144
	s_mov_b32 s35, 0xbefbb44d
	;; [unrolled: 3-line block ×13, first 2 shown]
	v_mul_f64 v[10:11], v[10:11], v[12:13]
	v_mul_f64 v[12:13], v[3:4], v[10:11]
	v_add_f64 v[14:15], v[3:4], v[12:13]
	v_fma_f64 v[10:11], v[3:4], v[10:11], -v[12:13]
	v_add_f64 v[3:4], v[14:15], -v[3:4]
	v_add_f64 v[5:6], v[5:6], v[10:11]
	v_add_f64 v[3:4], v[12:13], -v[3:4]
	v_add_f64 v[3:4], v[5:6], v[3:4]
	v_add_f64 v[5:6], v[14:15], v[3:4]
	v_rcp_f64_e32 v[10:11], v[5:6]
	v_fma_f64 v[12:13], -v[5:6], v[10:11], 1.0
	v_fma_f64 v[10:11], v[12:13], v[10:11], v[10:11]
	v_fma_f64 v[12:13], -v[5:6], v[10:11], 1.0
	v_fma_f64 v[10:11], v[12:13], v[10:11], v[10:11]
	v_add_f64 v[12:13], v[5:6], -v[14:15]
	v_mul_f64 v[14:15], v[5:6], v[10:11]
	v_add_f64 v[3:4], v[3:4], -v[12:13]
	v_fma_f64 v[12:13], v[10:11], v[5:6], -v[14:15]
	v_fma_f64 v[3:4], v[10:11], v[3:4], v[12:13]
	v_add_f64 v[12:13], v[14:15], v[3:4]
	v_add_f64 v[16:17], -v[12:13], 1.0
	v_add_f64 v[14:15], v[12:13], -v[14:15]
	v_add_f64 v[18:19], -v[16:17], 1.0
	v_add_f64 v[3:4], v[14:15], -v[3:4]
	v_add_f64 v[12:13], v[18:19], -v[12:13]
	v_add_f64 v[3:4], v[3:4], v[12:13]
	v_add_f64 v[3:4], v[16:17], v[3:4]
	v_mul_f64 v[3:4], v[10:11], v[3:4]
	v_add_f64 v[3:4], v[10:11], v[3:4]
	v_xor_b32_e32 v1, 0x80000000, v4
	v_cndmask_b32_e32 v3, v3, v5, vcc_lo
	v_cndmask_b32_e32 v1, v1, v6, vcc_lo
	v_xor_b32_e32 v2, v1, v2
	v_cndmask_b32_e64 v1, 0, v3, s0
	v_cndmask_b32_e64 v2, 0x7ff80000, v2, s0
	v_div_scale_f64 v[3:4], null, v[1:2], v[1:2], s[34:35]
	v_rcp_f64_e32 v[5:6], v[3:4]
	v_fma_f64 v[9:10], -v[3:4], v[5:6], 1.0
	v_fma_f64 v[5:6], v[5:6], v[9:10], v[5:6]
	v_fma_f64 v[9:10], -v[3:4], v[5:6], 1.0
	v_fma_f64 v[5:6], v[5:6], v[9:10], v[5:6]
	v_div_scale_f64 v[9:10], vcc_lo, s[34:35], v[1:2], s[34:35]
	v_mul_f64 v[11:12], v[9:10], v[5:6]
	v_fma_f64 v[3:4], -v[3:4], v[11:12], v[9:10]
	v_div_fmas_f64 v[3:4], v[3:4], v[5:6], v[11:12]
	v_div_fixup_f64 v[1:2], v[3:4], v[1:2], s[34:35]
	v_cvt_f32_f64_e32 v1, v[1:2]
.LBB17_261:
	s_or_b32 exec_lo, exec_lo, s31
	s_orn2_b32 s0, s1, exec_lo
.LBB17_262:
	s_or_b32 exec_lo, exec_lo, s21
	v_mov_b32_e32 v2, 0x7fc00000
	s_and_saveexec_b32 s21, s0
	s_cbranch_execz .LBB17_274
; %bb.263:
	s_mov_b32 s0, exec_lo
	v_cmpx_gt_f32_e32 0x41200000, v8
	s_cbranch_execz .LBB17_267
; %bb.264:
	s_mov_b32 s1, 0
	.p2align	6
.LBB17_265:                             ; =>This Inner Loop Header: Depth=1
	v_div_scale_f32 v2, null, v8, v8, 1.0
	v_div_scale_f32 v5, vcc_lo, 1.0, v8, 1.0
	v_rcp_f32_e32 v3, v2
	v_fma_f32 v4, -v2, v3, 1.0
	v_fmac_f32_e32 v3, v4, v3
	v_mul_f32_e32 v4, v5, v3
	v_fma_f32 v6, -v2, v4, v5
	v_fmac_f32_e32 v4, v6, v3
	v_fma_f32 v2, -v2, v4, v5
	v_div_fmas_f32 v2, v2, v3, v4
	v_div_fixup_f32 v2, v2, v8, 1.0
	v_add_f32_e32 v8, 1.0, v8
	v_sub_f32_e32 v1, v1, v2
	v_cmp_ngt_f32_e32 vcc_lo, 0x41200000, v8
	s_or_b32 s1, vcc_lo, s1
	s_andn2_b32 exec_lo, exec_lo, s1
	s_cbranch_execnz .LBB17_265
; %bb.266:
	s_or_b32 exec_lo, exec_lo, s1
.LBB17_267:
	s_or_b32 exec_lo, exec_lo, s0
                                        ; implicit-def: $vgpr2
	s_mov_b32 s0, exec_lo
	v_cmpx_neq_f32_e32 0x41200000, v8
	s_xor_b32 s31, exec_lo, s0
	s_cbranch_execz .LBB17_271
; %bb.268:
	v_cvt_f64_f32_e32 v[2:3], v8
	s_mov_b32 s0, 0x85d8a000
	s_mov_b32 s1, 0x43763457
	v_cmp_gt_f64_e32 vcc_lo, s[0:1], v[2:3]
	v_mov_b32_e32 v2, 0
	s_and_saveexec_b32 s0, vcc_lo
	s_cbranch_execz .LBB17_270
; %bb.269:
	v_mul_f32_e32 v2, v8, v8
	v_div_scale_f32 v3, null, v2, v2, 1.0
	v_rcp_f32_e32 v4, v3
	v_fma_f32 v5, -v3, v4, 1.0
	v_fmac_f32_e32 v4, v5, v4
	v_div_scale_f32 v5, vcc_lo, 1.0, v2, 1.0
	v_mul_f32_e32 v6, v5, v4
	v_fma_f32 v9, -v3, v6, v5
	v_fmac_f32_e32 v6, v9, v4
	v_fma_f32 v3, -v3, v6, v5
	v_div_fmas_f32 v3, v3, v4, v6
	v_div_fixup_f32 v2, v3, v2, 1.0
	v_fmaak_f32 v3, 0, v2, 0x3daaaaab
	v_fmaak_f32 v3, v2, v3, 0xbcaccacd
	;; [unrolled: 1-line block ×7, first 2 shown]
	v_mul_f32_e32 v2, v2, v3
.LBB17_270:
	s_or_b32 exec_lo, exec_lo, s0
	v_cmp_gt_f32_e32 vcc_lo, 0x800000, v8
	v_div_scale_f32 v3, null, v8, v8, -0.5
	v_div_scale_f32 v9, s0, -0.5, v8, -0.5
	v_cndmask_b32_e64 v4, 0, 32, vcc_lo
	v_rcp_f32_e32 v5, v3
	v_ldexp_f32 v4, v8, v4
	v_log_f32_e32 v4, v4
	v_fma_f32 v6, -v3, v5, 1.0
	v_fmac_f32_e32 v5, v6, v5
	v_mul_f32_e32 v6, 0x3f317217, v4
	v_mul_f32_e32 v10, v9, v5
	v_cmp_gt_f32_e64 s1, 0x7f800000, |v4|
	v_fma_f32 v6, 0x3f317217, v4, -v6
	v_fma_f32 v11, -v3, v10, v9
	v_fmamk_f32 v6, v4, 0x3377d1cf, v6
	v_fmac_f32_e32 v10, v11, v5
	v_fmac_f32_e32 v6, 0x3f317217, v4
	v_fma_f32 v3, -v3, v10, v9
	v_cndmask_b32_e64 v4, v4, v6, s1
	v_cndmask_b32_e64 v6, 0, 0x41b17218, vcc_lo
	s_mov_b32 vcc_lo, s0
	v_div_fmas_f32 v3, v3, v5, v10
	v_sub_f32_e32 v4, v4, v6
	v_div_fixup_f32 v3, v3, v8, -0.5
	v_add_f32_e32 v3, v4, v3
	v_sub_f32_e32 v2, v3, v2
	v_add_f32_e32 v2, v1, v2
                                        ; implicit-def: $vgpr1
.LBB17_271:
	s_andn2_saveexec_b32 s0, s31
; %bb.272:
	v_add_f32_e32 v2, 0x40101cb7, v1
; %bb.273:
	s_or_b32 exec_lo, exec_lo, s0
.LBB17_274:
	s_or_b32 exec_lo, exec_lo, s21
                                        ; implicit-def: $vgpr8
.LBB17_275:
	s_andn2_saveexec_b32 s0, s20
; %bb.276:
	v_xor_b32_e32 v1, 0x80000000, v8
	s_mov_b32 s1, 0x7f800000
	v_bfi_b32 v2, 0x7fffffff, s1, v1
; %bb.277:
	s_or_b32 exec_lo, exec_lo, s0
	v_add_nc_u32_e32 v7, 0x80, v7
	global_store_dword v0, v2, s[4:5]
	s_or_b32 exec_lo, exec_lo, s30
	s_mov_b32 s20, exec_lo
	v_cmpx_gt_i32_e64 s27, v7
	s_cbranch_execz .LBB17_244
.LBB17_278:
	s_andn2_b32 vcc_lo, exec_lo, s24
	s_cbranch_vccnz .LBB17_283
; %bb.279:
	s_andn2_b32 vcc_lo, exec_lo, s29
	s_cbranch_vccnz .LBB17_284
; %bb.280:
	s_add_i32 s28, s28, 1
	s_cmp_eq_u32 s23, 2
	s_cbranch_scc1 .LBB17_285
; %bb.281:
	v_mov_b32_e32 v2, 0
	v_mov_b32_e32 v0, 0
	;; [unrolled: 1-line block ×3, first 2 shown]
	s_and_b32 s21, s28, 28
	s_mov_b32 s27, 0
	s_mov_b64 s[0:1], s[2:3]
.LBB17_282:                             ; =>This Inner Loop Header: Depth=1
	s_clause 0x1
	s_load_dwordx8 s[36:43], s[0:1], 0x4
	s_load_dwordx4 s[52:55], s[0:1], 0x24
	s_load_dwordx8 s[44:51], s[18:19], 0x0
	s_add_u32 s0, s0, 48
	s_addc_u32 s1, s1, 0
	s_add_i32 s27, s27, 4
	s_add_u32 s18, s18, 32
	s_addc_u32 s19, s19, 0
	s_cmp_eq_u32 s21, s27
	s_waitcnt lgkmcnt(0)
	v_mul_hi_u32 v3, s37, v1
	v_add_nc_u32_e32 v3, v1, v3
	v_lshrrev_b32_e32 v3, s38, v3
	v_mul_hi_u32 v4, s40, v3
	v_mul_lo_u32 v6, v3, s36
	v_add_nc_u32_e32 v4, v3, v4
	v_sub_nc_u32_e32 v1, v1, v6
	v_lshrrev_b32_e32 v4, s41, v4
	v_mul_lo_u32 v6, v1, s44
	v_mul_lo_u32 v9, v1, s45
	v_mul_hi_u32 v5, s43, v4
	v_add_nc_u32_e32 v5, v4, v5
	v_lshrrev_b32_e32 v5, s52, v5
	v_mul_hi_u32 v8, s54, v5
	v_mul_lo_u32 v10, v5, s42
	v_add_nc_u32_e32 v1, v5, v8
	v_mul_lo_u32 v8, v4, s39
	v_sub_nc_u32_e32 v4, v4, v10
	v_lshrrev_b32_e32 v1, s55, v1
	v_mul_lo_u32 v10, v4, s48
	v_mul_lo_u32 v4, v4, s49
	v_sub_nc_u32_e32 v3, v3, v8
	v_mul_lo_u32 v11, v1, s53
	v_mul_lo_u32 v8, v3, s46
	;; [unrolled: 1-line block ×3, first 2 shown]
	v_sub_nc_u32_e32 v5, v5, v11
	v_add3_u32 v0, v6, v0, v8
	v_mul_lo_u32 v11, v5, s50
	v_mul_lo_u32 v5, v5, s51
	v_add3_u32 v2, v9, v2, v3
	v_add3_u32 v0, v10, v0, v11
	;; [unrolled: 1-line block ×3, first 2 shown]
	s_cbranch_scc0 .LBB17_282
	s_branch .LBB17_286
.LBB17_283:
                                        ; implicit-def: $vgpr0
                                        ; implicit-def: $vgpr2
	s_branch .LBB17_290
.LBB17_284:
	v_mov_b32_e32 v0, 0
	v_mov_b32_e32 v2, 0
	s_branch .LBB17_289
.LBB17_285:
	v_mov_b32_e32 v0, 0
	v_mov_b32_e32 v2, 0
	;; [unrolled: 1-line block ×3, first 2 shown]
	s_mov_b32 s21, 0
.LBB17_286:
	s_and_b32 s27, s28, 3
	s_cmp_eq_u32 s27, 0
	s_cbranch_scc1 .LBB17_289
; %bb.287:
	s_lshl_b32 s0, s21, 3
	s_mul_i32 s18, s21, 12
	s_add_u32 s0, s2, s0
	s_addc_u32 s1, s3, 0
	s_add_u32 s0, s0, 0xc4
	s_addc_u32 s1, s1, 0
	;; [unrolled: 2-line block ×3, first 2 shown]
	.p2align	6
.LBB17_288:                             ; =>This Inner Loop Header: Depth=1
	s_clause 0x1
	s_load_dwordx2 s[28:29], s[18:19], 0x4
	s_load_dword s21, s[18:19], 0xc
	s_load_dwordx2 s[30:31], s[0:1], 0x0
	s_add_u32 s18, s18, 12
	s_addc_u32 s19, s19, 0
	s_add_u32 s0, s0, 8
	s_addc_u32 s1, s1, 0
	s_add_i32 s27, s27, -1
	s_cmp_lg_u32 s27, 0
	s_waitcnt lgkmcnt(0)
	v_mul_hi_u32 v3, s29, v1
	v_add_nc_u32_e32 v3, v1, v3
	v_lshrrev_b32_e32 v4, s21, v3
	v_mul_lo_u32 v3, v4, s28
	v_sub_nc_u32_e32 v3, v1, v3
	v_mad_u64_u32 v[0:1], null, v3, s30, v[0:1]
	v_mad_u64_u32 v[2:3], null, v3, s31, v[2:3]
	v_mov_b32_e32 v1, v4
	s_cbranch_scc1 .LBB17_288
.LBB17_289:
	s_cbranch_execnz .LBB17_292
.LBB17_290:
	s_waitcnt lgkmcnt(0)
	v_mul_hi_u32 v0, s13, v7
	s_andn2_b32 vcc_lo, exec_lo, s26
	v_add_nc_u32_e32 v0, v7, v0
	v_lshrrev_b32_e32 v1, s14, v0
	v_mul_lo_u32 v0, v1, s12
	v_sub_nc_u32_e32 v2, v7, v0
	v_mul_lo_u32 v0, v2, s8
	v_mul_lo_u32 v2, v2, s9
	s_cbranch_vccnz .LBB17_292
; %bb.291:
	v_mul_hi_u32 v3, s16, v1
	v_add_nc_u32_e32 v3, v1, v3
	v_lshrrev_b32_e32 v3, s17, v3
	v_mul_lo_u32 v3, v3, s15
	v_sub_nc_u32_e32 v3, v1, v3
	v_mad_u64_u32 v[0:1], null, v3, s10, v[0:1]
	v_mad_u64_u32 v[2:3], null, v3, s11, v[2:3]
.LBB17_292:
	s_waitcnt lgkmcnt(0)
	global_load_dword v7, v2, s[6:7]
                                        ; implicit-def: $vgpr2
	s_mov_b32 s0, exec_lo
	s_waitcnt vmcnt(0)
	v_cmpx_neq_f32_e32 0, v7
	s_xor_b32 s6, exec_lo, s0
	s_cbranch_execz .LBB17_314
; %bb.293:
	v_mov_b32_e32 v1, 0
	s_mov_b32 s0, -1
	s_mov_b32 s7, exec_lo
	v_cmpx_gt_f32_e32 0, v7
	s_cbranch_execz .LBB17_301
; %bb.294:
	v_trunc_f32_e32 v1, v7
	s_mov_b32 s1, 0
	v_cmp_neq_f32_e32 vcc_lo, v7, v1
	v_mov_b32_e32 v1, 0
	s_and_saveexec_b32 s8, vcc_lo
	s_cbranch_execz .LBB17_300
; %bb.295:
	v_cvt_f64_f32_e32 v[1:2], v7
	s_mov_b32 s1, 0xc00921fb
	s_mov_b32 s0, 0x54442d18
	s_mov_b32 s9, exec_lo
                                        ; implicit-def: $vgpr8
                                        ; implicit-def: $vgpr5_vgpr6
	v_trunc_f64_e32 v[3:4], v[1:2]
	v_cmp_neq_f64_e64 vcc_lo, 0x7ff00000, |v[1:2]|
	v_add_f64 v[3:4], v[1:2], -v[3:4]
	v_mul_f64 v[3:4], |v[3:4]|, s[0:1]
	v_cndmask_b32_e32 v2, 0x80000000, v4, vcc_lo
	v_cndmask_b32_e32 v1, 0, v3, vcc_lo
                                        ; implicit-def: $vgpr3_vgpr4
	v_cmpx_ngt_f64_e64 0x41d00000, |v[1:2]|
	s_xor_b32 s9, exec_lo, s9
	s_cbranch_execz .LBB17_297
; %bb.296:
	v_ldexp_f64 v[3:4], |v[1:2]|, 0xffffff80
	v_cmp_le_f64_e64 vcc_lo, 0x7b000000, |v[1:2]|
	v_trig_preop_f64 v[5:6], |v[1:2]|, 0
	v_and_b32_e32 v8, 0x7fffffff, v2
	v_trig_preop_f64 v[18:19], |v[1:2]|, 2
	v_mov_b32_e32 v26, 0
	s_mov_b32 s1, 0x3ff921fb
	s_mov_b32 s10, 0x33145c07
	;; [unrolled: 1-line block ×3, first 2 shown]
	v_cndmask_b32_e32 v4, v8, v4, vcc_lo
	v_cndmask_b32_e32 v3, v1, v3, vcc_lo
	v_trig_preop_f64 v[8:9], |v[1:2]|, 1
	v_mul_f64 v[10:11], v[5:6], v[3:4]
	v_mul_f64 v[24:25], v[18:19], v[3:4]
	;; [unrolled: 1-line block ×3, first 2 shown]
	v_fma_f64 v[5:6], v[5:6], v[3:4], -v[10:11]
	v_fma_f64 v[8:9], v[8:9], v[3:4], -v[12:13]
	;; [unrolled: 1-line block ×3, first 2 shown]
	v_add_f64 v[14:15], v[12:13], v[5:6]
	v_add_f64 v[16:17], v[14:15], -v[12:13]
	v_add_f64 v[22:23], v[10:11], v[14:15]
	v_add_f64 v[20:21], v[14:15], -v[16:17]
	v_add_f64 v[5:6], v[5:6], -v[16:17]
	v_ldexp_f64 v[16:17], v[22:23], -2
	v_add_f64 v[10:11], v[22:23], -v[10:11]
	v_add_f64 v[12:13], v[12:13], -v[20:21]
	v_add_f64 v[20:21], v[24:25], v[8:9]
	v_cmp_neq_f64_e64 vcc_lo, 0x7ff00000, |v[16:17]|
	v_add_f64 v[10:11], v[14:15], -v[10:11]
	v_add_f64 v[5:6], v[5:6], v[12:13]
	v_fract_f64_e32 v[12:13], v[16:17]
	v_add_f64 v[14:15], v[20:21], v[5:6]
	v_ldexp_f64 v[12:13], v[12:13], 2
	v_add_f64 v[16:17], v[10:11], v[14:15]
	v_cndmask_b32_e32 v13, 0, v13, vcc_lo
	v_cndmask_b32_e32 v12, 0, v12, vcc_lo
	v_add_f64 v[22:23], v[16:17], v[12:13]
	v_add_f64 v[10:11], v[16:17], -v[10:11]
	v_cmp_gt_f64_e32 vcc_lo, 0, v[22:23]
	v_add_f64 v[22:23], v[20:21], -v[24:25]
	v_cndmask_b32_e64 v27, 0, 0x40100000, vcc_lo
	v_add_f64 v[31:32], v[20:21], -v[22:23]
	v_add_f64 v[8:9], v[8:9], -v[22:23]
	v_add_f64 v[12:13], v[12:13], v[26:27]
	v_add_f64 v[27:28], v[14:15], -v[20:21]
	v_add_f64 v[22:23], v[24:25], -v[31:32]
	v_add_f64 v[29:30], v[16:17], v[12:13]
	;; [unrolled: 3-line block ×3, first 2 shown]
	v_cvt_i32_f64_e32 v29, v[29:30]
	v_add_f64 v[20:21], v[20:21], -v[33:34]
	v_cvt_f64_i32_e32 v[27:28], v29
	v_add_f64 v[5:6], v[5:6], v[20:21]
	v_add_f64 v[12:13], v[12:13], -v[27:28]
	v_add_f64 v[5:6], v[8:9], v[5:6]
	v_add_f64 v[8:9], v[14:15], -v[10:11]
	v_add_f64 v[18:19], v[16:17], v[12:13]
	v_add_f64 v[3:4], v[3:4], v[5:6]
	v_add_f64 v[5:6], v[18:19], -v[12:13]
	v_cmp_le_f64_e32 vcc_lo, 0.5, v[18:19]
	v_add_f64 v[3:4], v[8:9], v[3:4]
	v_add_f64 v[5:6], v[16:17], -v[5:6]
	v_cndmask_b32_e64 v27, 0, 0x3ff00000, vcc_lo
	v_add_co_ci_u32_e64 v8, null, 0, v29, vcc_lo
	v_add_f64 v[3:4], v[3:4], v[5:6]
	v_add_f64 v[5:6], v[18:19], -v[26:27]
	v_add_f64 v[9:10], v[5:6], v[3:4]
	v_mul_f64 v[11:12], v[9:10], s[0:1]
	v_add_f64 v[5:6], v[9:10], -v[5:6]
	v_fma_f64 v[13:14], v[9:10], s[0:1], -v[11:12]
	v_add_f64 v[3:4], v[3:4], -v[5:6]
	v_fma_f64 v[5:6], v[9:10], s[10:11], v[13:14]
	v_fma_f64 v[5:6], v[3:4], s[0:1], v[5:6]
	v_add_f64 v[3:4], v[11:12], v[5:6]
	v_add_f64 v[9:10], v[3:4], -v[11:12]
	v_add_f64 v[5:6], v[5:6], -v[9:10]
.LBB17_297:
	s_andn2_saveexec_b32 s0, s9
	s_cbranch_execz .LBB17_299
; %bb.298:
	s_mov_b32 s10, 0x6dc9c883
	s_mov_b32 s11, 0x3fe45f30
	;; [unrolled: 1-line block ×3, first 2 shown]
	v_mul_f64 v[3:4], |v[1:2]|, s[10:11]
	s_mov_b32 s10, 0x54442d18
	s_mov_b32 s11, 0xbff921fb
	;; [unrolled: 1-line block ×3, first 2 shown]
	v_rndne_f64_e32 v[8:9], v[3:4]
	v_fma_f64 v[3:4], v[8:9], s[10:11], |v[1:2]|
	v_mul_f64 v[5:6], v[8:9], s[12:13]
	s_mov_b32 s10, 0x252049c0
	s_mov_b32 s11, 0xb97b839a
	v_fma_f64 v[12:13], v[8:9], s[12:13], v[3:4]
	v_add_f64 v[10:11], v[3:4], v[5:6]
	s_mov_b32 s13, 0x3c91a626
	v_add_f64 v[3:4], v[3:4], -v[10:11]
	v_add_f64 v[10:11], v[10:11], -v[12:13]
	v_add_f64 v[3:4], v[3:4], v[5:6]
	v_fma_f64 v[5:6], v[8:9], s[12:13], v[5:6]
	v_add_f64 v[3:4], v[10:11], v[3:4]
	v_add_f64 v[3:4], v[3:4], -v[5:6]
	v_fma_f64 v[5:6], v[8:9], s[10:11], v[3:4]
	v_cvt_i32_f64_e32 v8, v[8:9]
	v_add_f64 v[3:4], v[12:13], v[5:6]
	v_add_f64 v[10:11], v[3:4], -v[12:13]
	v_add_f64 v[5:6], v[5:6], -v[10:11]
.LBB17_299:
	s_or_b32 exec_lo, exec_lo, s0
	v_mul_f64 v[9:10], v[3:4], v[3:4]
	v_add_f64 v[11:12], v[5:6], v[5:6]
	s_mov_b32 s10, 0xa9a29f71
	s_mov_b32 s12, 0xc751c08c
	s_mov_b32 s11, 0xbf078809
	s_mov_b32 s13, 0x3ef5e089
	v_cmp_class_f64_e64 s0, v[1:2], 0x1f8
	v_and_b32_e32 v8, 1, v8
	v_and_b32_e32 v2, 0x80000000, v2
	v_sub_f32_e32 v7, 1.0, v7
	s_mov_b32 s1, exec_lo
	v_cmp_eq_u32_e32 vcc_lo, 0, v8
	v_fma_f64 v[13:14], v[3:4], v[3:4], -v[9:10]
	v_fma_f64 v[11:12], v[3:4], v[11:12], v[13:14]
	v_add_f64 v[9:10], v[9:10], v[11:12]
	v_fma_f64 v[11:12], v[9:10], s[12:13], s[10:11]
	s_mov_b32 s10, 0x90a8aae0
	s_mov_b32 s11, 0x3f17746f
	v_fma_f64 v[11:12], v[9:10], v[11:12], s[10:11]
	s_mov_b32 s10, 0xa6fbf144
	s_mov_b32 s11, 0xbefbb44d
	;; [unrolled: 3-line block ×13, first 2 shown]
	v_mul_f64 v[9:10], v[9:10], v[11:12]
	v_mul_f64 v[11:12], v[3:4], v[9:10]
	v_add_f64 v[13:14], v[3:4], v[11:12]
	v_fma_f64 v[9:10], v[3:4], v[9:10], -v[11:12]
	v_add_f64 v[3:4], v[13:14], -v[3:4]
	v_add_f64 v[5:6], v[5:6], v[9:10]
	v_add_f64 v[3:4], v[11:12], -v[3:4]
	v_add_f64 v[3:4], v[5:6], v[3:4]
	v_add_f64 v[5:6], v[13:14], v[3:4]
	v_rcp_f64_e32 v[9:10], v[5:6]
	v_fma_f64 v[11:12], -v[5:6], v[9:10], 1.0
	v_fma_f64 v[9:10], v[11:12], v[9:10], v[9:10]
	v_fma_f64 v[11:12], -v[5:6], v[9:10], 1.0
	v_fma_f64 v[9:10], v[11:12], v[9:10], v[9:10]
	v_add_f64 v[11:12], v[5:6], -v[13:14]
	v_mul_f64 v[13:14], v[5:6], v[9:10]
	v_add_f64 v[3:4], v[3:4], -v[11:12]
	v_fma_f64 v[11:12], v[9:10], v[5:6], -v[13:14]
	v_fma_f64 v[3:4], v[9:10], v[3:4], v[11:12]
	v_add_f64 v[11:12], v[13:14], v[3:4]
	v_add_f64 v[15:16], -v[11:12], 1.0
	v_add_f64 v[13:14], v[11:12], -v[13:14]
	v_add_f64 v[17:18], -v[15:16], 1.0
	v_add_f64 v[3:4], v[13:14], -v[3:4]
	v_add_f64 v[11:12], v[17:18], -v[11:12]
	v_add_f64 v[3:4], v[3:4], v[11:12]
	v_add_f64 v[3:4], v[15:16], v[3:4]
	v_mul_f64 v[3:4], v[9:10], v[3:4]
	v_add_f64 v[3:4], v[9:10], v[3:4]
	v_xor_b32_e32 v1, 0x80000000, v4
	v_cndmask_b32_e32 v3, v3, v5, vcc_lo
	v_cndmask_b32_e32 v1, v1, v6, vcc_lo
	v_xor_b32_e32 v2, v1, v2
	v_cndmask_b32_e64 v1, 0, v3, s0
	v_cndmask_b32_e64 v2, 0x7ff80000, v2, s0
	v_div_scale_f64 v[3:4], null, v[1:2], v[1:2], s[10:11]
	v_rcp_f64_e32 v[5:6], v[3:4]
	v_fma_f64 v[8:9], -v[3:4], v[5:6], 1.0
	v_fma_f64 v[5:6], v[5:6], v[8:9], v[5:6]
	v_fma_f64 v[8:9], -v[3:4], v[5:6], 1.0
	v_fma_f64 v[5:6], v[5:6], v[8:9], v[5:6]
	v_div_scale_f64 v[8:9], vcc_lo, s[10:11], v[1:2], s[10:11]
	v_mul_f64 v[10:11], v[8:9], v[5:6]
	v_fma_f64 v[3:4], -v[3:4], v[10:11], v[8:9]
	v_div_fmas_f64 v[3:4], v[3:4], v[5:6], v[10:11]
	v_div_fixup_f64 v[1:2], v[3:4], v[1:2], s[10:11]
	v_cvt_f32_f64_e32 v1, v[1:2]
.LBB17_300:
	s_or_b32 exec_lo, exec_lo, s8
	s_orn2_b32 s0, s1, exec_lo
.LBB17_301:
	s_or_b32 exec_lo, exec_lo, s7
	v_mov_b32_e32 v2, 0x7fc00000
	s_and_saveexec_b32 s7, s0
	s_cbranch_execz .LBB17_313
; %bb.302:
	s_mov_b32 s0, exec_lo
	v_cmpx_gt_f32_e32 0x41200000, v7
	s_cbranch_execz .LBB17_306
; %bb.303:
	s_mov_b32 s1, 0
	.p2align	6
.LBB17_304:                             ; =>This Inner Loop Header: Depth=1
	v_div_scale_f32 v2, null, v7, v7, 1.0
	v_div_scale_f32 v5, vcc_lo, 1.0, v7, 1.0
	v_rcp_f32_e32 v3, v2
	v_fma_f32 v4, -v2, v3, 1.0
	v_fmac_f32_e32 v3, v4, v3
	v_mul_f32_e32 v4, v5, v3
	v_fma_f32 v6, -v2, v4, v5
	v_fmac_f32_e32 v4, v6, v3
	v_fma_f32 v2, -v2, v4, v5
	v_div_fmas_f32 v2, v2, v3, v4
	v_div_fixup_f32 v2, v2, v7, 1.0
	v_add_f32_e32 v7, 1.0, v7
	v_sub_f32_e32 v1, v1, v2
	v_cmp_ngt_f32_e32 vcc_lo, 0x41200000, v7
	s_or_b32 s1, vcc_lo, s1
	s_andn2_b32 exec_lo, exec_lo, s1
	s_cbranch_execnz .LBB17_304
; %bb.305:
	s_or_b32 exec_lo, exec_lo, s1
.LBB17_306:
	s_or_b32 exec_lo, exec_lo, s0
                                        ; implicit-def: $vgpr2
	s_mov_b32 s0, exec_lo
	v_cmpx_neq_f32_e32 0x41200000, v7
	s_xor_b32 s8, exec_lo, s0
	s_cbranch_execz .LBB17_310
; %bb.307:
	v_cvt_f64_f32_e32 v[2:3], v7
	s_mov_b32 s0, 0x85d8a000
	s_mov_b32 s1, 0x43763457
	v_cmp_gt_f64_e32 vcc_lo, s[0:1], v[2:3]
	v_mov_b32_e32 v2, 0
	s_and_saveexec_b32 s0, vcc_lo
	s_cbranch_execz .LBB17_309
; %bb.308:
	v_mul_f32_e32 v2, v7, v7
	v_div_scale_f32 v3, null, v2, v2, 1.0
	v_rcp_f32_e32 v4, v3
	v_fma_f32 v5, -v3, v4, 1.0
	v_fmac_f32_e32 v4, v5, v4
	v_div_scale_f32 v5, vcc_lo, 1.0, v2, 1.0
	v_mul_f32_e32 v6, v5, v4
	v_fma_f32 v8, -v3, v6, v5
	v_fmac_f32_e32 v6, v8, v4
	v_fma_f32 v3, -v3, v6, v5
	v_div_fmas_f32 v3, v3, v4, v6
	v_div_fixup_f32 v2, v3, v2, 1.0
	v_fmaak_f32 v3, 0, v2, 0x3daaaaab
	v_fmaak_f32 v3, v2, v3, 0xbcaccacd
	;; [unrolled: 1-line block ×7, first 2 shown]
	v_mul_f32_e32 v2, v2, v3
.LBB17_309:
	s_or_b32 exec_lo, exec_lo, s0
	v_cmp_gt_f32_e32 vcc_lo, 0x800000, v7
	v_div_scale_f32 v3, null, v7, v7, -0.5
	v_div_scale_f32 v8, s0, -0.5, v7, -0.5
	v_cndmask_b32_e64 v4, 0, 32, vcc_lo
	v_rcp_f32_e32 v5, v3
	v_ldexp_f32 v4, v7, v4
	v_log_f32_e32 v4, v4
	v_fma_f32 v6, -v3, v5, 1.0
	v_fmac_f32_e32 v5, v6, v5
	v_mul_f32_e32 v6, 0x3f317217, v4
	v_mul_f32_e32 v9, v8, v5
	v_cmp_gt_f32_e64 s1, 0x7f800000, |v4|
	v_fma_f32 v6, 0x3f317217, v4, -v6
	v_fma_f32 v10, -v3, v9, v8
	v_fmamk_f32 v6, v4, 0x3377d1cf, v6
	v_fmac_f32_e32 v9, v10, v5
	v_fmac_f32_e32 v6, 0x3f317217, v4
	v_fma_f32 v3, -v3, v9, v8
	v_cndmask_b32_e64 v4, v4, v6, s1
	v_cndmask_b32_e64 v6, 0, 0x41b17218, vcc_lo
	s_mov_b32 vcc_lo, s0
	v_div_fmas_f32 v3, v3, v5, v9
	v_sub_f32_e32 v4, v4, v6
	v_div_fixup_f32 v3, v3, v7, -0.5
	v_add_f32_e32 v3, v4, v3
	v_sub_f32_e32 v2, v3, v2
	v_add_f32_e32 v2, v1, v2
                                        ; implicit-def: $vgpr1
.LBB17_310:
	s_andn2_saveexec_b32 s0, s8
; %bb.311:
	v_add_f32_e32 v2, 0x40101cb7, v1
; %bb.312:
	s_or_b32 exec_lo, exec_lo, s0
.LBB17_313:
	s_or_b32 exec_lo, exec_lo, s7
                                        ; implicit-def: $vgpr7
.LBB17_314:
	s_andn2_saveexec_b32 s0, s6
; %bb.315:
	v_xor_b32_e32 v1, 0x80000000, v7
	s_mov_b32 s1, 0x7f800000
	v_bfi_b32 v2, 0x7fffffff, s1, v1
; %bb.316:
	s_or_b32 exec_lo, exec_lo, s0
	global_store_dword v0, v2, s[4:5]
	s_or_b32 exec_lo, exec_lo, s20
                                        ; implicit-def: $vgpr13
                                        ; implicit-def: $vgpr7
	s_andn2_saveexec_b32 s0, s25
	s_cbranch_execz .LBB17_245
	s_branch .LBB17_8
	.section	.rodata,"a",@progbits
	.p2align	6, 0x0
	.amdhsa_kernel _ZN2at6native32elementwise_kernel_manual_unrollILi128ELi4EZNS0_22gpu_kernel_impl_nocastIZZZNS0_19digamma_kernel_cudaERNS_18TensorIteratorBaseEENKUlvE_clEvENKUlvE0_clEvEUlfE_EEvS4_RKT_EUlibE_EEviT1_
		.amdhsa_group_segment_fixed_size 0
		.amdhsa_private_segment_fixed_size 0
		.amdhsa_kernarg_size 360
		.amdhsa_user_sgpr_count 6
		.amdhsa_user_sgpr_private_segment_buffer 1
		.amdhsa_user_sgpr_dispatch_ptr 0
		.amdhsa_user_sgpr_queue_ptr 0
		.amdhsa_user_sgpr_kernarg_segment_ptr 1
		.amdhsa_user_sgpr_dispatch_id 0
		.amdhsa_user_sgpr_flat_scratch_init 0
		.amdhsa_user_sgpr_private_segment_size 0
		.amdhsa_wavefront_size32 1
		.amdhsa_uses_dynamic_stack 0
		.amdhsa_system_sgpr_private_segment_wavefront_offset 0
		.amdhsa_system_sgpr_workgroup_id_x 1
		.amdhsa_system_sgpr_workgroup_id_y 0
		.amdhsa_system_sgpr_workgroup_id_z 0
		.amdhsa_system_sgpr_workgroup_info 0
		.amdhsa_system_vgpr_workitem_id 0
		.amdhsa_next_free_vgpr 43
		.amdhsa_next_free_sgpr 56
		.amdhsa_reserve_vcc 1
		.amdhsa_reserve_flat_scratch 0
		.amdhsa_float_round_mode_32 0
		.amdhsa_float_round_mode_16_64 0
		.amdhsa_float_denorm_mode_32 3
		.amdhsa_float_denorm_mode_16_64 3
		.amdhsa_dx10_clamp 1
		.amdhsa_ieee_mode 1
		.amdhsa_fp16_overflow 0
		.amdhsa_workgroup_processor_mode 1
		.amdhsa_memory_ordered 1
		.amdhsa_forward_progress 1
		.amdhsa_shared_vgpr_count 0
		.amdhsa_exception_fp_ieee_invalid_op 0
		.amdhsa_exception_fp_denorm_src 0
		.amdhsa_exception_fp_ieee_div_zero 0
		.amdhsa_exception_fp_ieee_overflow 0
		.amdhsa_exception_fp_ieee_underflow 0
		.amdhsa_exception_fp_ieee_inexact 0
		.amdhsa_exception_int_div_zero 0
	.end_amdhsa_kernel
	.section	.text._ZN2at6native32elementwise_kernel_manual_unrollILi128ELi4EZNS0_22gpu_kernel_impl_nocastIZZZNS0_19digamma_kernel_cudaERNS_18TensorIteratorBaseEENKUlvE_clEvENKUlvE0_clEvEUlfE_EEvS4_RKT_EUlibE_EEviT1_,"axG",@progbits,_ZN2at6native32elementwise_kernel_manual_unrollILi128ELi4EZNS0_22gpu_kernel_impl_nocastIZZZNS0_19digamma_kernel_cudaERNS_18TensorIteratorBaseEENKUlvE_clEvENKUlvE0_clEvEUlfE_EEvS4_RKT_EUlibE_EEviT1_,comdat
.Lfunc_end17:
	.size	_ZN2at6native32elementwise_kernel_manual_unrollILi128ELi4EZNS0_22gpu_kernel_impl_nocastIZZZNS0_19digamma_kernel_cudaERNS_18TensorIteratorBaseEENKUlvE_clEvENKUlvE0_clEvEUlfE_EEvS4_RKT_EUlibE_EEviT1_, .Lfunc_end17-_ZN2at6native32elementwise_kernel_manual_unrollILi128ELi4EZNS0_22gpu_kernel_impl_nocastIZZZNS0_19digamma_kernel_cudaERNS_18TensorIteratorBaseEENKUlvE_clEvENKUlvE0_clEvEUlfE_EEvS4_RKT_EUlibE_EEviT1_
                                        ; -- End function
	.set _ZN2at6native32elementwise_kernel_manual_unrollILi128ELi4EZNS0_22gpu_kernel_impl_nocastIZZZNS0_19digamma_kernel_cudaERNS_18TensorIteratorBaseEENKUlvE_clEvENKUlvE0_clEvEUlfE_EEvS4_RKT_EUlibE_EEviT1_.num_vgpr, 43
	.set _ZN2at6native32elementwise_kernel_manual_unrollILi128ELi4EZNS0_22gpu_kernel_impl_nocastIZZZNS0_19digamma_kernel_cudaERNS_18TensorIteratorBaseEENKUlvE_clEvENKUlvE0_clEvEUlfE_EEvS4_RKT_EUlibE_EEviT1_.num_agpr, 0
	.set _ZN2at6native32elementwise_kernel_manual_unrollILi128ELi4EZNS0_22gpu_kernel_impl_nocastIZZZNS0_19digamma_kernel_cudaERNS_18TensorIteratorBaseEENKUlvE_clEvENKUlvE0_clEvEUlfE_EEvS4_RKT_EUlibE_EEviT1_.numbered_sgpr, 56
	.set _ZN2at6native32elementwise_kernel_manual_unrollILi128ELi4EZNS0_22gpu_kernel_impl_nocastIZZZNS0_19digamma_kernel_cudaERNS_18TensorIteratorBaseEENKUlvE_clEvENKUlvE0_clEvEUlfE_EEvS4_RKT_EUlibE_EEviT1_.num_named_barrier, 0
	.set _ZN2at6native32elementwise_kernel_manual_unrollILi128ELi4EZNS0_22gpu_kernel_impl_nocastIZZZNS0_19digamma_kernel_cudaERNS_18TensorIteratorBaseEENKUlvE_clEvENKUlvE0_clEvEUlfE_EEvS4_RKT_EUlibE_EEviT1_.private_seg_size, 0
	.set _ZN2at6native32elementwise_kernel_manual_unrollILi128ELi4EZNS0_22gpu_kernel_impl_nocastIZZZNS0_19digamma_kernel_cudaERNS_18TensorIteratorBaseEENKUlvE_clEvENKUlvE0_clEvEUlfE_EEvS4_RKT_EUlibE_EEviT1_.uses_vcc, 1
	.set _ZN2at6native32elementwise_kernel_manual_unrollILi128ELi4EZNS0_22gpu_kernel_impl_nocastIZZZNS0_19digamma_kernel_cudaERNS_18TensorIteratorBaseEENKUlvE_clEvENKUlvE0_clEvEUlfE_EEvS4_RKT_EUlibE_EEviT1_.uses_flat_scratch, 0
	.set _ZN2at6native32elementwise_kernel_manual_unrollILi128ELi4EZNS0_22gpu_kernel_impl_nocastIZZZNS0_19digamma_kernel_cudaERNS_18TensorIteratorBaseEENKUlvE_clEvENKUlvE0_clEvEUlfE_EEvS4_RKT_EUlibE_EEviT1_.has_dyn_sized_stack, 0
	.set _ZN2at6native32elementwise_kernel_manual_unrollILi128ELi4EZNS0_22gpu_kernel_impl_nocastIZZZNS0_19digamma_kernel_cudaERNS_18TensorIteratorBaseEENKUlvE_clEvENKUlvE0_clEvEUlfE_EEvS4_RKT_EUlibE_EEviT1_.has_recursion, 0
	.set _ZN2at6native32elementwise_kernel_manual_unrollILi128ELi4EZNS0_22gpu_kernel_impl_nocastIZZZNS0_19digamma_kernel_cudaERNS_18TensorIteratorBaseEENKUlvE_clEvENKUlvE0_clEvEUlfE_EEvS4_RKT_EUlibE_EEviT1_.has_indirect_call, 0
	.section	.AMDGPU.csdata,"",@progbits
; Kernel info:
; codeLenInByte = 25020
; TotalNumSgprs: 58
; NumVgprs: 43
; ScratchSize: 0
; MemoryBound: 0
; FloatMode: 240
; IeeeMode: 1
; LDSByteSize: 0 bytes/workgroup (compile time only)
; SGPRBlocks: 0
; VGPRBlocks: 5
; NumSGPRsForWavesPerEU: 58
; NumVGPRsForWavesPerEU: 43
; Occupancy: 16
; WaveLimiterHint : 1
; COMPUTE_PGM_RSRC2:SCRATCH_EN: 0
; COMPUTE_PGM_RSRC2:USER_SGPR: 6
; COMPUTE_PGM_RSRC2:TRAP_HANDLER: 0
; COMPUTE_PGM_RSRC2:TGID_X_EN: 1
; COMPUTE_PGM_RSRC2:TGID_Y_EN: 0
; COMPUTE_PGM_RSRC2:TGID_Z_EN: 0
; COMPUTE_PGM_RSRC2:TIDIG_COMP_CNT: 0
	.section	.text._ZN2at6native32elementwise_kernel_manual_unrollILi128ELi4EZNS0_15gpu_kernel_implIZZZNS0_19digamma_kernel_cudaERNS_18TensorIteratorBaseEENKUlvE_clEvENKUlvE0_clEvEUlfE_EEvS4_RKT_EUlibE_EEviT1_,"axG",@progbits,_ZN2at6native32elementwise_kernel_manual_unrollILi128ELi4EZNS0_15gpu_kernel_implIZZZNS0_19digamma_kernel_cudaERNS_18TensorIteratorBaseEENKUlvE_clEvENKUlvE0_clEvEUlfE_EEvS4_RKT_EUlibE_EEviT1_,comdat
	.globl	_ZN2at6native32elementwise_kernel_manual_unrollILi128ELi4EZNS0_15gpu_kernel_implIZZZNS0_19digamma_kernel_cudaERNS_18TensorIteratorBaseEENKUlvE_clEvENKUlvE0_clEvEUlfE_EEvS4_RKT_EUlibE_EEviT1_ ; -- Begin function _ZN2at6native32elementwise_kernel_manual_unrollILi128ELi4EZNS0_15gpu_kernel_implIZZZNS0_19digamma_kernel_cudaERNS_18TensorIteratorBaseEENKUlvE_clEvENKUlvE0_clEvEUlfE_EEvS4_RKT_EUlibE_EEviT1_
	.p2align	8
	.type	_ZN2at6native32elementwise_kernel_manual_unrollILi128ELi4EZNS0_15gpu_kernel_implIZZZNS0_19digamma_kernel_cudaERNS_18TensorIteratorBaseEENKUlvE_clEvENKUlvE0_clEvEUlfE_EEvS4_RKT_EUlibE_EEviT1_,@function
_ZN2at6native32elementwise_kernel_manual_unrollILi128ELi4EZNS0_15gpu_kernel_implIZZZNS0_19digamma_kernel_cudaERNS_18TensorIteratorBaseEENKUlvE_clEvENKUlvE0_clEvEUlfE_EEvS4_RKT_EUlibE_EEviT1_: ; @_ZN2at6native32elementwise_kernel_manual_unrollILi128ELi4EZNS0_15gpu_kernel_implIZZZNS0_19digamma_kernel_cudaERNS_18TensorIteratorBaseEENKUlvE_clEvENKUlvE0_clEvEUlfE_EEvS4_RKT_EUlibE_EEviT1_
; %bb.0:
	v_mov_b32_e32 v1, 0
	s_clause 0x2
	s_load_dword s13, s[4:5], 0x0
	s_load_dwordx2 s[2:3], s[4:5], 0x18
	s_load_dwordx4 s[8:11], s[4:5], 0x8
	v_lshl_or_b32 v11, s6, 9, v0
	s_mov_b32 s12, 0
	global_load_ushort v1, v1, s[4:5] offset:33
	s_mov_b32 s5, 0
	v_or_b32_e32 v0, 0x180, v11
	s_waitcnt vmcnt(0)
	v_readfirstlane_b32 s4, v1
	s_and_b32 s0, 0xffff, s4
	s_lshr_b32 s6, s0, 8
	s_mov_b32 s0, exec_lo
	s_waitcnt lgkmcnt(0)
	v_cmpx_le_i32_e64 s13, v0
	s_xor_b32 s7, exec_lo, s0
	s_cbranch_execz .LBB18_1127
; %bb.1:
	s_mov_b32 s1, -1
	s_mov_b32 s16, 0
	s_mov_b32 s14, 0
	s_mov_b32 s15, exec_lo
	v_cmpx_gt_i32_e64 s13, v11
	s_cbranch_execz .LBB18_276
; %bb.2:
	v_mul_lo_u32 v0, v11, s3
	s_and_b32 s0, 0xffff, s6
	s_cmp_lt_i32 s0, 11
	v_ashrrev_i32_e32 v1, 31, v0
	v_add_co_u32 v0, vcc_lo, s10, v0
	v_add_co_ci_u32_e64 v1, null, s11, v1, vcc_lo
	s_cbranch_scc1 .LBB18_9
; %bb.3:
	s_cmp_gt_i32 s0, 25
	s_cbranch_scc0 .LBB18_42
; %bb.4:
	s_cmp_gt_i32 s0, 28
	s_cbranch_scc0 .LBB18_45
	;; [unrolled: 3-line block ×4, first 2 shown]
; %bb.7:
	s_cmp_eq_u32 s0, 46
	s_cbranch_scc0 .LBB18_51
; %bb.8:
	global_load_dword v2, v[0:1], off
	s_waitcnt vmcnt(0)
	v_lshlrev_b32_e32 v6, 16, v2
	s_branch .LBB18_53
.LBB18_9:
	s_mov_b32 s1, 0
                                        ; implicit-def: $vgpr6
	s_cbranch_execnz .LBB18_226
.LBB18_10:
	s_andn2_b32 vcc_lo, exec_lo, s1
	s_cbranch_vccnz .LBB18_273
.LBB18_11:
                                        ; implicit-def: $vgpr0
	s_mov_b32 s0, exec_lo
	s_waitcnt vmcnt(0)
	v_cmpx_neq_f32_e32 0, v6
	s_xor_b32 s12, exec_lo, s0
	s_cbranch_execz .LBB18_33
; %bb.12:
	v_mov_b32_e32 v1, 0
	s_mov_b32 s0, -1
	s_mov_b32 s17, exec_lo
	v_cmpx_gt_f32_e32 0, v6
	s_cbranch_execz .LBB18_20
; %bb.13:
	v_trunc_f32_e32 v0, v6
	v_mov_b32_e32 v1, 0
	s_mov_b32 s1, 0
	s_mov_b32 s18, exec_lo
	v_cmpx_neq_f32_e32 v6, v0
	s_cbranch_execz .LBB18_19
; %bb.14:
	v_cvt_f64_f32_e32 v[0:1], v6
	s_mov_b32 s1, 0xc00921fb
	s_mov_b32 s0, 0x54442d18
	s_mov_b32 s19, exec_lo
                                        ; implicit-def: $vgpr7
                                        ; implicit-def: $vgpr4_vgpr5
	v_trunc_f64_e32 v[2:3], v[0:1]
	v_cmp_neq_f64_e64 vcc_lo, 0x7ff00000, |v[0:1]|
	v_add_f64 v[2:3], v[0:1], -v[2:3]
	v_mul_f64 v[2:3], |v[2:3]|, s[0:1]
	v_cndmask_b32_e32 v1, 0x80000000, v3, vcc_lo
	v_cndmask_b32_e32 v0, 0, v2, vcc_lo
                                        ; implicit-def: $vgpr2_vgpr3
	v_cmpx_ngt_f64_e64 0x41d00000, |v[0:1]|
	s_xor_b32 s19, exec_lo, s19
	s_cbranch_execz .LBB18_16
; %bb.15:
	v_ldexp_f64 v[2:3], |v[0:1]|, 0xffffff80
	v_cmp_le_f64_e64 vcc_lo, 0x7b000000, |v[0:1]|
	v_trig_preop_f64 v[4:5], |v[0:1]|, 0
	v_and_b32_e32 v7, 0x7fffffff, v1
	v_trig_preop_f64 v[18:19], |v[0:1]|, 2
	v_mov_b32_e32 v26, 0
	s_mov_b32 s1, 0x3ff921fb
	s_mov_b32 s20, 0x33145c07
	;; [unrolled: 1-line block ×3, first 2 shown]
	v_cndmask_b32_e32 v3, v7, v3, vcc_lo
	v_cndmask_b32_e32 v2, v0, v2, vcc_lo
	v_trig_preop_f64 v[7:8], |v[0:1]|, 1
	v_mul_f64 v[9:10], v[4:5], v[2:3]
	v_mul_f64 v[24:25], v[18:19], v[2:3]
	;; [unrolled: 1-line block ×3, first 2 shown]
	v_fma_f64 v[4:5], v[4:5], v[2:3], -v[9:10]
	v_fma_f64 v[7:8], v[7:8], v[2:3], -v[12:13]
	;; [unrolled: 1-line block ×3, first 2 shown]
	v_add_f64 v[14:15], v[12:13], v[4:5]
	v_add_f64 v[16:17], v[14:15], -v[12:13]
	v_add_f64 v[22:23], v[9:10], v[14:15]
	v_add_f64 v[20:21], v[14:15], -v[16:17]
	v_add_f64 v[4:5], v[4:5], -v[16:17]
	v_ldexp_f64 v[16:17], v[22:23], -2
	v_add_f64 v[9:10], v[22:23], -v[9:10]
	v_add_f64 v[12:13], v[12:13], -v[20:21]
	v_add_f64 v[20:21], v[24:25], v[7:8]
	v_cmp_neq_f64_e64 vcc_lo, 0x7ff00000, |v[16:17]|
	v_add_f64 v[9:10], v[14:15], -v[9:10]
	v_add_f64 v[4:5], v[4:5], v[12:13]
	v_fract_f64_e32 v[12:13], v[16:17]
	v_add_f64 v[14:15], v[20:21], v[4:5]
	v_ldexp_f64 v[12:13], v[12:13], 2
	v_add_f64 v[16:17], v[9:10], v[14:15]
	v_cndmask_b32_e32 v13, 0, v13, vcc_lo
	v_cndmask_b32_e32 v12, 0, v12, vcc_lo
	v_add_f64 v[22:23], v[16:17], v[12:13]
	v_add_f64 v[9:10], v[16:17], -v[9:10]
	v_cmp_gt_f64_e32 vcc_lo, 0, v[22:23]
	v_add_f64 v[22:23], v[20:21], -v[24:25]
	v_cndmask_b32_e64 v27, 0, 0x40100000, vcc_lo
	v_add_f64 v[31:32], v[20:21], -v[22:23]
	v_add_f64 v[7:8], v[7:8], -v[22:23]
	v_add_f64 v[12:13], v[12:13], v[26:27]
	v_add_f64 v[27:28], v[14:15], -v[20:21]
	v_add_f64 v[22:23], v[24:25], -v[31:32]
	v_add_f64 v[29:30], v[16:17], v[12:13]
	;; [unrolled: 3-line block ×3, first 2 shown]
	v_cvt_i32_f64_e32 v29, v[29:30]
	v_add_f64 v[20:21], v[20:21], -v[33:34]
	v_cvt_f64_i32_e32 v[27:28], v29
	v_add_f64 v[4:5], v[4:5], v[20:21]
	v_add_f64 v[12:13], v[12:13], -v[27:28]
	v_add_f64 v[4:5], v[7:8], v[4:5]
	v_add_f64 v[7:8], v[14:15], -v[9:10]
	v_add_f64 v[18:19], v[16:17], v[12:13]
	v_add_f64 v[2:3], v[2:3], v[4:5]
	v_add_f64 v[4:5], v[18:19], -v[12:13]
	v_cmp_le_f64_e32 vcc_lo, 0.5, v[18:19]
	v_add_f64 v[2:3], v[7:8], v[2:3]
	v_add_f64 v[4:5], v[16:17], -v[4:5]
	v_cndmask_b32_e64 v27, 0, 0x3ff00000, vcc_lo
	v_add_co_ci_u32_e64 v7, null, 0, v29, vcc_lo
	v_add_f64 v[2:3], v[2:3], v[4:5]
	v_add_f64 v[4:5], v[18:19], -v[26:27]
	v_add_f64 v[8:9], v[4:5], v[2:3]
	v_mul_f64 v[12:13], v[8:9], s[0:1]
	v_add_f64 v[4:5], v[8:9], -v[4:5]
	v_fma_f64 v[14:15], v[8:9], s[0:1], -v[12:13]
	v_add_f64 v[2:3], v[2:3], -v[4:5]
	v_fma_f64 v[4:5], v[8:9], s[20:21], v[14:15]
	v_fma_f64 v[4:5], v[2:3], s[0:1], v[4:5]
	v_add_f64 v[2:3], v[12:13], v[4:5]
	v_add_f64 v[8:9], v[2:3], -v[12:13]
	v_add_f64 v[4:5], v[4:5], -v[8:9]
.LBB18_16:
	s_andn2_saveexec_b32 s0, s19
	s_cbranch_execz .LBB18_18
; %bb.17:
	s_mov_b32 s20, 0x6dc9c883
	s_mov_b32 s21, 0x3fe45f30
	;; [unrolled: 1-line block ×3, first 2 shown]
	v_mul_f64 v[2:3], |v[0:1]|, s[20:21]
	s_mov_b32 s20, 0x54442d18
	s_mov_b32 s21, 0xbff921fb
	;; [unrolled: 1-line block ×3, first 2 shown]
	v_rndne_f64_e32 v[7:8], v[2:3]
	v_fma_f64 v[2:3], v[7:8], s[20:21], |v[0:1]|
	v_mul_f64 v[4:5], v[7:8], s[22:23]
	s_mov_b32 s20, 0x252049c0
	s_mov_b32 s21, 0xb97b839a
	v_fma_f64 v[12:13], v[7:8], s[22:23], v[2:3]
	v_add_f64 v[9:10], v[2:3], v[4:5]
	s_mov_b32 s23, 0x3c91a626
	v_add_f64 v[2:3], v[2:3], -v[9:10]
	v_add_f64 v[9:10], v[9:10], -v[12:13]
	v_add_f64 v[2:3], v[2:3], v[4:5]
	v_fma_f64 v[4:5], v[7:8], s[22:23], v[4:5]
	v_add_f64 v[2:3], v[9:10], v[2:3]
	v_add_f64 v[2:3], v[2:3], -v[4:5]
	v_fma_f64 v[4:5], v[7:8], s[20:21], v[2:3]
	v_cvt_i32_f64_e32 v7, v[7:8]
	v_add_f64 v[2:3], v[12:13], v[4:5]
	v_add_f64 v[9:10], v[2:3], -v[12:13]
	v_add_f64 v[4:5], v[4:5], -v[9:10]
.LBB18_18:
	s_or_b32 exec_lo, exec_lo, s0
	v_mul_f64 v[8:9], v[2:3], v[2:3]
	v_add_f64 v[12:13], v[4:5], v[4:5]
	s_mov_b32 s20, 0xa9a29f71
	s_mov_b32 s22, 0xc751c08c
	;; [unrolled: 1-line block ×4, first 2 shown]
	v_cmp_class_f64_e64 s0, v[0:1], 0x1f8
	v_and_b32_e32 v7, 1, v7
	v_and_b32_e32 v1, 0x80000000, v1
	v_sub_f32_e32 v6, 1.0, v6
	s_mov_b32 s1, exec_lo
	v_cmp_eq_u32_e32 vcc_lo, 0, v7
	v_fma_f64 v[14:15], v[2:3], v[2:3], -v[8:9]
	v_fma_f64 v[12:13], v[2:3], v[12:13], v[14:15]
	v_add_f64 v[8:9], v[8:9], v[12:13]
	v_fma_f64 v[12:13], v[8:9], s[22:23], s[20:21]
	s_mov_b32 s20, 0x90a8aae0
	s_mov_b32 s21, 0x3f17746f
	v_fma_f64 v[12:13], v[8:9], v[12:13], s[20:21]
	s_mov_b32 s20, 0xa6fbf144
	s_mov_b32 s21, 0xbefbb44d
	;; [unrolled: 3-line block ×13, first 2 shown]
	v_mul_f64 v[8:9], v[8:9], v[12:13]
	v_mul_f64 v[12:13], v[2:3], v[8:9]
	v_add_f64 v[14:15], v[2:3], v[12:13]
	v_fma_f64 v[8:9], v[2:3], v[8:9], -v[12:13]
	v_add_f64 v[2:3], v[14:15], -v[2:3]
	v_add_f64 v[4:5], v[4:5], v[8:9]
	v_add_f64 v[2:3], v[12:13], -v[2:3]
	v_add_f64 v[2:3], v[4:5], v[2:3]
	v_add_f64 v[4:5], v[14:15], v[2:3]
	v_rcp_f64_e32 v[8:9], v[4:5]
	v_fma_f64 v[12:13], -v[4:5], v[8:9], 1.0
	v_fma_f64 v[8:9], v[12:13], v[8:9], v[8:9]
	v_fma_f64 v[12:13], -v[4:5], v[8:9], 1.0
	v_fma_f64 v[8:9], v[12:13], v[8:9], v[8:9]
	v_add_f64 v[12:13], v[4:5], -v[14:15]
	v_mul_f64 v[14:15], v[4:5], v[8:9]
	v_add_f64 v[2:3], v[2:3], -v[12:13]
	v_fma_f64 v[12:13], v[8:9], v[4:5], -v[14:15]
	v_fma_f64 v[2:3], v[8:9], v[2:3], v[12:13]
	v_add_f64 v[12:13], v[14:15], v[2:3]
	v_add_f64 v[16:17], -v[12:13], 1.0
	v_add_f64 v[14:15], v[12:13], -v[14:15]
	v_add_f64 v[18:19], -v[16:17], 1.0
	v_add_f64 v[2:3], v[14:15], -v[2:3]
	v_add_f64 v[12:13], v[18:19], -v[12:13]
	v_add_f64 v[2:3], v[2:3], v[12:13]
	v_add_f64 v[2:3], v[16:17], v[2:3]
	v_mul_f64 v[2:3], v[8:9], v[2:3]
	v_add_f64 v[2:3], v[8:9], v[2:3]
	v_xor_b32_e32 v0, 0x80000000, v3
	v_cndmask_b32_e32 v2, v2, v4, vcc_lo
	v_cndmask_b32_e32 v0, v0, v5, vcc_lo
	v_xor_b32_e32 v1, v0, v1
	v_cndmask_b32_e64 v0, 0, v2, s0
	v_cndmask_b32_e64 v1, 0x7ff80000, v1, s0
	v_div_scale_f64 v[2:3], null, v[0:1], v[0:1], s[20:21]
	v_rcp_f64_e32 v[4:5], v[2:3]
	v_fma_f64 v[7:8], -v[2:3], v[4:5], 1.0
	v_fma_f64 v[4:5], v[4:5], v[7:8], v[4:5]
	v_fma_f64 v[7:8], -v[2:3], v[4:5], 1.0
	v_fma_f64 v[4:5], v[4:5], v[7:8], v[4:5]
	v_div_scale_f64 v[7:8], vcc_lo, s[20:21], v[0:1], s[20:21]
	v_mul_f64 v[9:10], v[7:8], v[4:5]
	v_fma_f64 v[2:3], -v[2:3], v[9:10], v[7:8]
	v_div_fmas_f64 v[2:3], v[2:3], v[4:5], v[9:10]
	v_div_fixup_f64 v[0:1], v[2:3], v[0:1], s[20:21]
	v_cvt_f32_f64_e32 v1, v[0:1]
.LBB18_19:
	s_or_b32 exec_lo, exec_lo, s18
	s_orn2_b32 s0, s1, exec_lo
.LBB18_20:
	s_or_b32 exec_lo, exec_lo, s17
	v_mov_b32_e32 v0, 0x7fc00000
	s_and_saveexec_b32 s17, s0
	s_cbranch_execz .LBB18_32
; %bb.21:
	s_mov_b32 s0, exec_lo
	v_cmpx_gt_f32_e32 0x41200000, v6
	s_cbranch_execz .LBB18_25
; %bb.22:
	s_mov_b32 s1, 0
	.p2align	6
.LBB18_23:                              ; =>This Inner Loop Header: Depth=1
	v_div_scale_f32 v0, null, v6, v6, 1.0
	v_div_scale_f32 v4, vcc_lo, 1.0, v6, 1.0
	v_rcp_f32_e32 v2, v0
	v_fma_f32 v3, -v0, v2, 1.0
	v_fmac_f32_e32 v2, v3, v2
	v_mul_f32_e32 v3, v4, v2
	v_fma_f32 v5, -v0, v3, v4
	v_fmac_f32_e32 v3, v5, v2
	v_fma_f32 v0, -v0, v3, v4
	v_div_fmas_f32 v0, v0, v2, v3
	v_div_fixup_f32 v0, v0, v6, 1.0
	v_add_f32_e32 v6, 1.0, v6
	v_sub_f32_e32 v1, v1, v0
	v_cmp_ngt_f32_e32 vcc_lo, 0x41200000, v6
	s_or_b32 s1, vcc_lo, s1
	s_andn2_b32 exec_lo, exec_lo, s1
	s_cbranch_execnz .LBB18_23
; %bb.24:
	s_or_b32 exec_lo, exec_lo, s1
.LBB18_25:
	s_or_b32 exec_lo, exec_lo, s0
                                        ; implicit-def: $vgpr0
	s_mov_b32 s0, exec_lo
	v_cmpx_neq_f32_e32 0x41200000, v6
	s_xor_b32 s18, exec_lo, s0
	s_cbranch_execz .LBB18_29
; %bb.26:
	v_cvt_f64_f32_e32 v[2:3], v6
	s_mov_b32 s0, 0x85d8a000
	s_mov_b32 s1, 0x43763457
	v_mov_b32_e32 v0, 0
	v_cmp_gt_f64_e32 vcc_lo, s[0:1], v[2:3]
	s_and_saveexec_b32 s0, vcc_lo
	s_cbranch_execz .LBB18_28
; %bb.27:
	v_mul_f32_e32 v0, v6, v6
	v_div_scale_f32 v2, null, v0, v0, 1.0
	v_rcp_f32_e32 v3, v2
	v_fma_f32 v4, -v2, v3, 1.0
	v_fmac_f32_e32 v3, v4, v3
	v_div_scale_f32 v4, vcc_lo, 1.0, v0, 1.0
	v_mul_f32_e32 v5, v4, v3
	v_fma_f32 v7, -v2, v5, v4
	v_fmac_f32_e32 v5, v7, v3
	v_fma_f32 v2, -v2, v5, v4
	v_div_fmas_f32 v2, v2, v3, v5
	v_div_fixup_f32 v0, v2, v0, 1.0
	v_fmaak_f32 v2, 0, v0, 0x3daaaaab
	v_fmaak_f32 v2, v0, v2, 0xbcaccacd
	;; [unrolled: 1-line block ×7, first 2 shown]
	v_mul_f32_e32 v0, v0, v2
.LBB18_28:
	s_or_b32 exec_lo, exec_lo, s0
	v_cmp_gt_f32_e32 vcc_lo, 0x800000, v6
	v_div_scale_f32 v2, null, v6, v6, -0.5
	v_div_scale_f32 v7, s0, -0.5, v6, -0.5
	v_cndmask_b32_e64 v3, 0, 32, vcc_lo
	v_rcp_f32_e32 v4, v2
	v_ldexp_f32 v3, v6, v3
	v_log_f32_e32 v3, v3
	v_fma_f32 v5, -v2, v4, 1.0
	v_fmac_f32_e32 v4, v5, v4
	v_mul_f32_e32 v5, 0x3f317217, v3
	v_mul_f32_e32 v8, v7, v4
	v_cmp_gt_f32_e64 s1, 0x7f800000, |v3|
	v_fma_f32 v5, 0x3f317217, v3, -v5
	v_fma_f32 v9, -v2, v8, v7
	v_fmamk_f32 v5, v3, 0x3377d1cf, v5
	v_fmac_f32_e32 v8, v9, v4
	v_fmac_f32_e32 v5, 0x3f317217, v3
	v_fma_f32 v2, -v2, v8, v7
	v_cndmask_b32_e64 v3, v3, v5, s1
	v_cndmask_b32_e64 v5, 0, 0x41b17218, vcc_lo
	s_mov_b32 vcc_lo, s0
	v_div_fmas_f32 v2, v2, v4, v8
	v_sub_f32_e32 v3, v3, v5
	v_div_fixup_f32 v2, v2, v6, -0.5
	v_add_f32_e32 v2, v3, v2
	v_sub_f32_e32 v0, v2, v0
	v_add_f32_e32 v0, v1, v0
                                        ; implicit-def: $vgpr1
.LBB18_29:
	s_andn2_saveexec_b32 s0, s18
; %bb.30:
	v_add_f32_e32 v0, 0x40101cb7, v1
; %bb.31:
	s_or_b32 exec_lo, exec_lo, s0
.LBB18_32:
	s_or_b32 exec_lo, exec_lo, s17
                                        ; implicit-def: $vgpr6
.LBB18_33:
	s_andn2_saveexec_b32 s0, s12
; %bb.34:
	v_xor_b32_e32 v0, 0x80000000, v6
	s_mov_b32 s1, 0x7f800000
	v_bfi_b32 v0, 0x7fffffff, s1, v0
; %bb.35:
	s_or_b32 exec_lo, exec_lo, s0
	v_mul_lo_u32 v1, v11, s2
	s_and_b32 s1, s4, 0xff
	s_cmp_lt_i32 s1, 11
	v_ashrrev_i32_e32 v3, 31, v1
	v_add_co_u32 v2, vcc_lo, s8, v1
	v_add_co_ci_u32_e64 v3, null, s9, v3, vcc_lo
	s_cbranch_scc1 .LBB18_43
; %bb.36:
	s_and_b32 s12, 0xffff, s1
	s_cmp_gt_i32 s12, 25
	s_cbranch_scc0 .LBB18_46
; %bb.37:
	s_cmp_gt_i32 s12, 28
	s_cbranch_scc0 .LBB18_48
; %bb.38:
	;; [unrolled: 3-line block ×4, first 2 shown]
	s_mov_b32 s18, 0
	s_mov_b32 s0, -1
	s_cmp_eq_u32 s12, 46
	s_mov_b32 s17, 0
	s_cbranch_scc0 .LBB18_57
; %bb.41:
	v_bfe_u32 v1, v0, 16, 1
	v_cmp_o_f32_e32 vcc_lo, v0, v0
	v_mov_b32_e32 v4, 0x7fc0
	s_mov_b32 s17, -1
	s_mov_b32 s0, 0
	v_add3_u32 v1, v0, v1, 0x7fff
	v_cndmask_b32_sdwa v1, v4, v1, vcc_lo dst_sel:DWORD dst_unused:UNUSED_PAD src0_sel:DWORD src1_sel:WORD_1
	global_store_dword v[2:3], v1, off
	s_branch .LBB18_57
.LBB18_42:
	s_mov_b32 s1, 0
                                        ; implicit-def: $vgpr6
	s_cbranch_execnz .LBB18_191
	s_branch .LBB18_225
.LBB18_43:
	s_mov_b32 s0, 0
	s_mov_b32 s17, 0
	s_cbranch_execnz .LBB18_126
.LBB18_44:
	s_andn2_b32 vcc_lo, exec_lo, s17
	s_cbranch_vccnz .LBB18_274
	s_branch .LBB18_164
.LBB18_45:
	s_mov_b32 s12, -1
	s_mov_b32 s1, 0
                                        ; implicit-def: $vgpr6
	s_branch .LBB18_172
.LBB18_46:
	s_mov_b32 s18, -1
	s_mov_b32 s0, 0
	s_mov_b32 s17, 0
	s_branch .LBB18_84
.LBB18_47:
	s_mov_b32 s12, -1
	s_mov_b32 s1, 0
                                        ; implicit-def: $vgpr6
	s_branch .LBB18_167
.LBB18_48:
	s_mov_b32 s18, -1
	s_mov_b32 s0, 0
	s_mov_b32 s17, 0
	s_branch .LBB18_67
.LBB18_49:
	s_mov_b32 s12, -1
	s_branch .LBB18_52
.LBB18_50:
	s_mov_b32 s18, -1
	s_mov_b32 s0, 0
	s_mov_b32 s17, 0
	s_branch .LBB18_63
.LBB18_51:
	s_mov_b32 s14, -1
.LBB18_52:
	s_mov_b32 s1, 0
                                        ; implicit-def: $vgpr6
.LBB18_53:
	s_and_b32 vcc_lo, exec_lo, s12
	s_cbranch_vccz .LBB18_166
; %bb.54:
	s_cmp_eq_u32 s0, 44
	s_cbranch_scc0 .LBB18_165
; %bb.55:
	global_load_ubyte v2, v[0:1], off
	s_mov_b32 s14, 0
	s_mov_b32 s1, -1
	s_waitcnt vmcnt(0)
	v_lshlrev_b32_e32 v3, 23, v2
	v_cmp_ne_u32_e32 vcc_lo, 0xff, v2
	v_cndmask_b32_e32 v3, 0x7f800001, v3, vcc_lo
	v_cmp_ne_u32_e32 vcc_lo, 0, v2
	v_cndmask_b32_e32 v6, 0x400000, v3, vcc_lo
	s_branch .LBB18_166
.LBB18_56:
	s_mov_b32 s18, -1
	s_mov_b32 s0, 0
	s_mov_b32 s17, 0
.LBB18_57:
	s_and_b32 vcc_lo, exec_lo, s18
	s_cbranch_vccz .LBB18_62
; %bb.58:
	s_cmp_eq_u32 s12, 44
	s_mov_b32 s0, -1
	s_cbranch_scc0 .LBB18_62
; %bb.59:
	v_bfe_u32 v4, v0, 23, 8
	v_mov_b32_e32 v1, 0xff
	s_mov_b32 s17, exec_lo
	v_cmpx_ne_u32_e32 0xff, v4
	s_cbranch_execz .LBB18_61
; %bb.60:
	v_and_b32_e32 v1, 0x400000, v0
	v_and_or_b32 v4, 0x3fffff, v0, v4
	v_cmp_ne_u32_e32 vcc_lo, 0, v1
	v_cmp_ne_u32_e64 s0, 0, v4
	v_lshrrev_b32_e32 v1, 23, v0
	s_and_b32 s0, vcc_lo, s0
	v_cndmask_b32_e64 v4, 0, 1, s0
	v_add_nc_u32_e32 v1, v1, v4
.LBB18_61:
	s_or_b32 exec_lo, exec_lo, s17
	s_mov_b32 s17, -1
	s_mov_b32 s0, 0
	global_store_byte v[2:3], v1, off
.LBB18_62:
	s_mov_b32 s18, 0
.LBB18_63:
	s_and_b32 vcc_lo, exec_lo, s18
	s_cbranch_vccz .LBB18_66
; %bb.64:
	s_cmp_eq_u32 s12, 29
	s_mov_b32 s0, -1
	s_cbranch_scc0 .LBB18_66
; %bb.65:
	v_trunc_f32_e32 v1, v0
	s_mov_b32 s17, -1
	s_mov_b32 s0, 0
	s_mov_b32 s18, 0
	v_mul_f32_e32 v4, 0x2f800000, v1
	v_floor_f32_e32 v4, v4
	v_fmamk_f32 v1, v4, 0xcf800000, v1
	v_cvt_u32_f32_e32 v5, v4
	v_cvt_u32_f32_e32 v4, v1
	global_store_dwordx2 v[2:3], v[4:5], off
	s_branch .LBB18_67
.LBB18_66:
	s_mov_b32 s18, 0
.LBB18_67:
	s_and_b32 vcc_lo, exec_lo, s18
	s_cbranch_vccz .LBB18_83
; %bb.68:
	s_cmp_lt_i32 s12, 27
	s_mov_b32 s17, -1
	s_cbranch_scc1 .LBB18_74
; %bb.69:
	v_cvt_u32_f32_e32 v1, v0
	s_cmp_gt_i32 s12, 27
	s_cbranch_scc0 .LBB18_71
; %bb.70:
	s_mov_b32 s17, 0
	global_store_dword v[2:3], v1, off
.LBB18_71:
	s_andn2_b32 vcc_lo, exec_lo, s17
	s_cbranch_vccnz .LBB18_73
; %bb.72:
	global_store_short v[2:3], v1, off
.LBB18_73:
	s_mov_b32 s17, 0
.LBB18_74:
	s_andn2_b32 vcc_lo, exec_lo, s17
	s_cbranch_vccnz .LBB18_82
; %bb.75:
	v_and_b32_e32 v1, 0x7fffffff, v0
	v_mov_b32_e32 v4, 0x80
	s_mov_b32 s17, exec_lo
	v_cmpx_gt_u32_e32 0x43800000, v1
	s_cbranch_execz .LBB18_81
; %bb.76:
	v_cmp_lt_u32_e32 vcc_lo, 0x3bffffff, v1
	s_mov_b32 s18, 0
                                        ; implicit-def: $vgpr1
	s_and_saveexec_b32 s19, vcc_lo
	s_xor_b32 s19, exec_lo, s19
	s_cbranch_execz .LBB18_327
; %bb.77:
	v_bfe_u32 v1, v0, 20, 1
	s_mov_b32 s18, exec_lo
	v_add3_u32 v1, v0, v1, 0x487ffff
	v_lshrrev_b32_e32 v1, 20, v1
	s_andn2_saveexec_b32 s19, s19
	s_cbranch_execnz .LBB18_328
.LBB18_78:
	s_or_b32 exec_lo, exec_lo, s19
	v_mov_b32_e32 v4, 0
	s_and_saveexec_b32 s19, s18
.LBB18_79:
	v_lshrrev_b32_e32 v4, 24, v0
	v_and_or_b32 v4, 0x80, v4, v1
.LBB18_80:
	s_or_b32 exec_lo, exec_lo, s19
.LBB18_81:
	s_or_b32 exec_lo, exec_lo, s17
	global_store_byte v[2:3], v4, off
.LBB18_82:
	s_mov_b32 s17, -1
.LBB18_83:
	s_mov_b32 s18, 0
.LBB18_84:
	s_and_b32 vcc_lo, exec_lo, s18
	s_cbranch_vccz .LBB18_125
; %bb.85:
	s_cmp_gt_i32 s12, 22
	s_mov_b32 s18, -1
	s_cbranch_scc0 .LBB18_117
; %bb.86:
	s_cmp_lt_i32 s12, 24
	s_mov_b32 s17, -1
	s_cbranch_scc1 .LBB18_106
; %bb.87:
	s_cmp_gt_i32 s12, 24
	s_cbranch_scc0 .LBB18_95
; %bb.88:
	v_and_b32_e32 v1, 0x7fffffff, v0
	v_mov_b32_e32 v4, 0x80
	s_mov_b32 s17, exec_lo
	v_cmpx_gt_u32_e32 0x47800000, v1
	s_cbranch_execz .LBB18_94
; %bb.89:
	v_cmp_lt_u32_e32 vcc_lo, 0x37ffffff, v1
	s_mov_b32 s18, 0
                                        ; implicit-def: $vgpr1
	s_and_saveexec_b32 s19, vcc_lo
	s_xor_b32 s19, exec_lo, s19
	s_cbranch_execz .LBB18_331
; %bb.90:
	v_bfe_u32 v1, v0, 21, 1
	s_mov_b32 s18, exec_lo
	v_add3_u32 v1, v0, v1, 0x88fffff
	v_lshrrev_b32_e32 v1, 21, v1
	s_andn2_saveexec_b32 s19, s19
	s_cbranch_execnz .LBB18_332
.LBB18_91:
	s_or_b32 exec_lo, exec_lo, s19
	v_mov_b32_e32 v4, 0
	s_and_saveexec_b32 s19, s18
.LBB18_92:
	v_lshrrev_b32_e32 v4, 24, v0
	v_and_or_b32 v4, 0x80, v4, v1
.LBB18_93:
	s_or_b32 exec_lo, exec_lo, s19
.LBB18_94:
	s_or_b32 exec_lo, exec_lo, s17
	s_mov_b32 s17, 0
	global_store_byte v[2:3], v4, off
.LBB18_95:
	s_and_b32 vcc_lo, exec_lo, s17
	s_cbranch_vccz .LBB18_105
; %bb.96:
	v_and_b32_e32 v4, 0x7fffffff, v0
	s_mov_b32 s17, exec_lo
                                        ; implicit-def: $vgpr1
	v_cmpx_gt_u32_e32 0x43f00000, v4
	s_xor_b32 s17, exec_lo, s17
	s_cbranch_execz .LBB18_102
; %bb.97:
	s_mov_b32 s18, exec_lo
                                        ; implicit-def: $vgpr1
	v_cmpx_lt_u32_e32 0x3c7fffff, v4
	s_xor_b32 s18, exec_lo, s18
; %bb.98:
	v_bfe_u32 v1, v0, 20, 1
	v_add3_u32 v1, v0, v1, 0x407ffff
	v_and_b32_e32 v4, 0xff00000, v1
	v_lshrrev_b32_e32 v1, 20, v1
	v_cmp_ne_u32_e32 vcc_lo, 0x7f00000, v4
	v_cndmask_b32_e32 v1, 0x7e, v1, vcc_lo
; %bb.99:
	s_andn2_saveexec_b32 s18, s18
; %bb.100:
	v_add_f32_e64 v1, 0x46800000, |v0|
; %bb.101:
	s_or_b32 exec_lo, exec_lo, s18
                                        ; implicit-def: $vgpr4
.LBB18_102:
	s_andn2_saveexec_b32 s17, s17
; %bb.103:
	v_mov_b32_e32 v1, 0x7f
	v_cmp_lt_u32_e32 vcc_lo, 0x7f800000, v4
	v_cndmask_b32_e32 v1, 0x7e, v1, vcc_lo
; %bb.104:
	s_or_b32 exec_lo, exec_lo, s17
	v_lshrrev_b32_e32 v4, 24, v0
	v_and_or_b32 v1, 0x80, v4, v1
	global_store_byte v[2:3], v1, off
.LBB18_105:
	s_mov_b32 s17, 0
.LBB18_106:
	s_andn2_b32 vcc_lo, exec_lo, s17
	s_cbranch_vccnz .LBB18_116
; %bb.107:
	v_and_b32_e32 v4, 0x7fffffff, v0
	s_mov_b32 s17, exec_lo
                                        ; implicit-def: $vgpr1
	v_cmpx_gt_u32_e32 0x47800000, v4
	s_xor_b32 s17, exec_lo, s17
	s_cbranch_execz .LBB18_113
; %bb.108:
	s_mov_b32 s18, exec_lo
                                        ; implicit-def: $vgpr1
	v_cmpx_lt_u32_e32 0x387fffff, v4
	s_xor_b32 s18, exec_lo, s18
; %bb.109:
	v_bfe_u32 v1, v0, 21, 1
	v_add3_u32 v1, v0, v1, 0x80fffff
	v_lshrrev_b32_e32 v1, 21, v1
; %bb.110:
	s_andn2_saveexec_b32 s18, s18
; %bb.111:
	v_add_f32_e64 v1, 0x43000000, |v0|
; %bb.112:
	s_or_b32 exec_lo, exec_lo, s18
                                        ; implicit-def: $vgpr4
.LBB18_113:
	s_andn2_saveexec_b32 s17, s17
; %bb.114:
	v_mov_b32_e32 v1, 0x7f
	v_cmp_lt_u32_e32 vcc_lo, 0x7f800000, v4
	v_cndmask_b32_e32 v1, 0x7c, v1, vcc_lo
; %bb.115:
	s_or_b32 exec_lo, exec_lo, s17
	v_lshrrev_b32_e32 v4, 24, v0
	v_and_or_b32 v1, 0x80, v4, v1
	global_store_byte v[2:3], v1, off
.LBB18_116:
	s_mov_b32 s18, 0
	s_mov_b32 s17, -1
.LBB18_117:
	s_andn2_b32 vcc_lo, exec_lo, s18
	s_cbranch_vccnz .LBB18_125
; %bb.118:
	s_cmp_gt_i32 s12, 14
	s_mov_b32 s18, -1
	s_cbranch_scc0 .LBB18_122
; %bb.119:
	s_cmp_eq_u32 s12, 15
	s_mov_b32 s0, -1
	s_cbranch_scc0 .LBB18_121
; %bb.120:
	v_bfe_u32 v1, v0, 16, 1
	v_cmp_o_f32_e32 vcc_lo, v0, v0
	v_mov_b32_e32 v4, 0x7fc0
	s_mov_b32 s17, -1
	s_mov_b32 s0, 0
	v_add3_u32 v1, v0, v1, 0x7fff
	v_cndmask_b32_sdwa v1, v4, v1, vcc_lo dst_sel:DWORD dst_unused:UNUSED_PAD src0_sel:DWORD src1_sel:WORD_1
	global_store_short v[2:3], v1, off
.LBB18_121:
	s_mov_b32 s18, 0
.LBB18_122:
	s_and_b32 vcc_lo, exec_lo, s18
	s_cbranch_vccz .LBB18_125
; %bb.123:
	s_cmp_eq_u32 s12, 11
	s_mov_b32 s0, -1
	s_cbranch_scc0 .LBB18_125
; %bb.124:
	v_cmp_neq_f32_e32 vcc_lo, 0, v0
	s_mov_b32 s0, 0
	s_mov_b32 s17, -1
	v_cndmask_b32_e64 v1, 0, 1, vcc_lo
	global_store_byte v[2:3], v1, off
.LBB18_125:
	s_branch .LBB18_44
.LBB18_126:
	s_and_b32 s1, 0xffff, s1
	s_mov_b32 s12, -1
	s_cmp_lt_i32 s1, 5
	s_cbranch_scc1 .LBB18_147
; %bb.127:
	s_cmp_lt_i32 s1, 8
	s_cbranch_scc1 .LBB18_137
; %bb.128:
	;; [unrolled: 3-line block ×3, first 2 shown]
	s_cmp_gt_i32 s1, 9
	s_cbranch_scc0 .LBB18_131
; %bb.130:
	v_cvt_f64_f32_e32 v[4:5], v0
	v_mov_b32_e32 v6, 0
	s_mov_b32 s12, 0
	v_mov_b32_e32 v7, v6
	global_store_dwordx4 v[2:3], v[4:7], off
.LBB18_131:
	s_andn2_b32 vcc_lo, exec_lo, s12
	s_cbranch_vccnz .LBB18_133
; %bb.132:
	v_mov_b32_e32 v1, 0
	global_store_dwordx2 v[2:3], v[0:1], off
.LBB18_133:
	s_mov_b32 s12, 0
.LBB18_134:
	s_andn2_b32 vcc_lo, exec_lo, s12
	s_cbranch_vccnz .LBB18_136
; %bb.135:
	v_cvt_f16_f32_e32 v1, v0
	v_and_b32_e32 v1, 0xffff, v1
	global_store_dword v[2:3], v1, off
.LBB18_136:
	s_mov_b32 s12, 0
.LBB18_137:
	s_andn2_b32 vcc_lo, exec_lo, s12
	s_cbranch_vccnz .LBB18_146
; %bb.138:
	s_cmp_lt_i32 s1, 6
	s_mov_b32 s12, -1
	s_cbranch_scc1 .LBB18_144
; %bb.139:
	s_cmp_gt_i32 s1, 6
	s_cbranch_scc0 .LBB18_141
; %bb.140:
	v_cvt_f64_f32_e32 v[4:5], v0
	s_mov_b32 s12, 0
	global_store_dwordx2 v[2:3], v[4:5], off
.LBB18_141:
	s_andn2_b32 vcc_lo, exec_lo, s12
	s_cbranch_vccnz .LBB18_143
; %bb.142:
	global_store_dword v[2:3], v0, off
.LBB18_143:
	s_mov_b32 s12, 0
.LBB18_144:
	s_andn2_b32 vcc_lo, exec_lo, s12
	s_cbranch_vccnz .LBB18_146
; %bb.145:
	v_cvt_f16_f32_e32 v1, v0
	global_store_short v[2:3], v1, off
.LBB18_146:
	s_mov_b32 s12, 0
.LBB18_147:
	s_andn2_b32 vcc_lo, exec_lo, s12
	s_cbranch_vccnz .LBB18_163
; %bb.148:
	s_cmp_lt_i32 s1, 2
	s_mov_b32 s12, -1
	s_cbranch_scc1 .LBB18_158
; %bb.149:
	s_cmp_lt_i32 s1, 3
	s_cbranch_scc1 .LBB18_155
; %bb.150:
	s_cmp_gt_i32 s1, 3
	s_cbranch_scc0 .LBB18_152
; %bb.151:
	v_trunc_f32_e32 v1, v0
	s_mov_b32 s12, 0
	v_mul_f32_e64 v4, 0x2f800000, |v1|
	v_floor_f32_e32 v4, v4
	v_fma_f32 v5, 0xcf800000, v4, |v1|
	v_ashrrev_i32_e32 v1, 31, v1
	v_cvt_u32_f32_e32 v4, v4
	v_cvt_u32_f32_e32 v5, v5
	v_xor_b32_e32 v6, v4, v1
	v_xor_b32_e32 v5, v5, v1
	v_sub_co_u32 v4, vcc_lo, v5, v1
	v_sub_co_ci_u32_e64 v5, null, v6, v1, vcc_lo
	global_store_dwordx2 v[2:3], v[4:5], off
.LBB18_152:
	s_andn2_b32 vcc_lo, exec_lo, s12
	s_cbranch_vccnz .LBB18_154
; %bb.153:
	v_cvt_i32_f32_e32 v1, v0
	global_store_dword v[2:3], v1, off
.LBB18_154:
	s_mov_b32 s12, 0
.LBB18_155:
	s_andn2_b32 vcc_lo, exec_lo, s12
	s_cbranch_vccnz .LBB18_157
; %bb.156:
	v_cvt_i32_f32_e32 v1, v0
	global_store_short v[2:3], v1, off
.LBB18_157:
	s_mov_b32 s12, 0
.LBB18_158:
	s_andn2_b32 vcc_lo, exec_lo, s12
	s_cbranch_vccnz .LBB18_163
; %bb.159:
	s_cmp_gt_i32 s1, 0
	s_mov_b32 s1, -1
	s_cbranch_scc0 .LBB18_161
; %bb.160:
	v_cvt_i32_f32_e32 v1, v0
	s_mov_b32 s1, 0
	global_store_byte v[2:3], v1, off
.LBB18_161:
	s_andn2_b32 vcc_lo, exec_lo, s1
	s_cbranch_vccnz .LBB18_163
; %bb.162:
	v_trunc_f32_e32 v0, v0
	v_mul_f32_e64 v1, 0x2f800000, |v0|
	v_floor_f32_e32 v1, v1
	v_fma_f32 v1, 0xcf800000, v1, |v0|
	v_ashrrev_i32_e32 v0, 31, v0
	v_cvt_u32_f32_e32 v1, v1
	v_xor_b32_e32 v1, v1, v0
	v_sub_nc_u32_e32 v0, v1, v0
	global_store_byte v[2:3], v0, off
.LBB18_163:
.LBB18_164:
	v_add_nc_u32_e32 v11, 0x80, v11
	s_mov_b32 s1, -1
	s_branch .LBB18_275
.LBB18_165:
	s_mov_b32 s14, -1
                                        ; implicit-def: $vgpr6
.LBB18_166:
	s_mov_b32 s12, 0
.LBB18_167:
	s_and_b32 vcc_lo, exec_lo, s12
	s_cbranch_vccz .LBB18_171
; %bb.168:
	s_cmp_eq_u32 s0, 29
	s_cbranch_scc0 .LBB18_170
; %bb.169:
	global_load_dwordx2 v[2:3], v[0:1], off
	s_mov_b32 s1, -1
	s_mov_b32 s14, 0
	s_mov_b32 s12, 0
	s_waitcnt vmcnt(0)
	v_ffbh_u32_e32 v4, v3
	v_min_u32_e32 v4, 32, v4
	v_lshlrev_b64 v[2:3], v4, v[2:3]
	v_min_u32_e32 v2, 1, v2
	v_or_b32_e32 v2, v3, v2
	v_sub_nc_u32_e32 v3, 32, v4
	v_cvt_f32_u32_e32 v2, v2
	v_ldexp_f32 v6, v2, v3
	s_branch .LBB18_172
.LBB18_170:
	s_mov_b32 s14, -1
                                        ; implicit-def: $vgpr6
.LBB18_171:
	s_mov_b32 s12, 0
.LBB18_172:
	s_and_b32 vcc_lo, exec_lo, s12
	s_cbranch_vccz .LBB18_190
; %bb.173:
	s_cmp_lt_i32 s0, 27
	s_cbranch_scc1 .LBB18_176
; %bb.174:
	s_cmp_gt_i32 s0, 27
	s_cbranch_scc0 .LBB18_177
; %bb.175:
	global_load_dword v2, v[0:1], off
	s_mov_b32 s1, 0
	s_waitcnt vmcnt(0)
	v_cvt_f32_u32_e32 v6, v2
	s_branch .LBB18_178
.LBB18_176:
	s_mov_b32 s1, -1
                                        ; implicit-def: $vgpr6
	s_branch .LBB18_181
.LBB18_177:
	s_mov_b32 s1, -1
                                        ; implicit-def: $vgpr6
.LBB18_178:
	s_andn2_b32 vcc_lo, exec_lo, s1
	s_cbranch_vccnz .LBB18_180
; %bb.179:
	global_load_ushort v2, v[0:1], off
	s_waitcnt vmcnt(0)
	v_cvt_f32_u32_e32 v6, v2
.LBB18_180:
	s_mov_b32 s1, 0
.LBB18_181:
	s_andn2_b32 vcc_lo, exec_lo, s1
	s_cbranch_vccnz .LBB18_189
; %bb.182:
	global_load_ubyte v2, v[0:1], off
	s_mov_b32 s1, 0
	s_mov_b32 s12, exec_lo
	s_waitcnt vmcnt(0)
	v_cmpx_lt_i16_e32 0x7f, v2
	s_xor_b32 s12, exec_lo, s12
	s_cbranch_execz .LBB18_202
; %bb.183:
	s_mov_b32 s1, -1
	s_mov_b32 s17, exec_lo
	v_cmpx_eq_u16_e32 0x80, v2
; %bb.184:
	s_xor_b32 s1, exec_lo, -1
; %bb.185:
	s_or_b32 exec_lo, exec_lo, s17
	s_and_b32 s1, s1, exec_lo
	s_or_saveexec_b32 s12, s12
	v_mov_b32_e32 v6, 0x7f800001
	s_xor_b32 exec_lo, exec_lo, s12
	s_cbranch_execnz .LBB18_203
.LBB18_186:
	s_or_b32 exec_lo, exec_lo, s12
	s_and_saveexec_b32 s12, s1
	s_cbranch_execz .LBB18_188
.LBB18_187:
	v_and_b32_e32 v3, 0xffff, v2
	v_lshlrev_b32_e32 v2, 24, v2
	v_and_b32_e32 v4, 7, v3
	v_bfe_u32 v7, v3, 3, 4
	v_and_b32_e32 v2, 0x80000000, v2
	v_ffbh_u32_e32 v5, v4
	v_cmp_eq_u32_e32 vcc_lo, 0, v7
	v_min_u32_e32 v5, 32, v5
	v_subrev_nc_u32_e32 v6, 28, v5
	v_sub_nc_u32_e32 v5, 29, v5
	v_lshlrev_b32_e32 v3, v6, v3
	v_cndmask_b32_e32 v5, v7, v5, vcc_lo
	v_and_b32_e32 v3, 7, v3
	v_cndmask_b32_e32 v3, v4, v3, vcc_lo
	v_lshl_add_u32 v4, v5, 23, 0x3b800000
	v_lshlrev_b32_e32 v3, 20, v3
	v_or3_b32 v6, v2, v4, v3
.LBB18_188:
	s_or_b32 exec_lo, exec_lo, s12
.LBB18_189:
	s_mov_b32 s1, -1
.LBB18_190:
	s_branch .LBB18_225
.LBB18_191:
	s_cmp_gt_i32 s0, 22
	s_cbranch_scc0 .LBB18_201
; %bb.192:
	s_cmp_lt_i32 s0, 24
	s_cbranch_scc1 .LBB18_204
; %bb.193:
	s_cmp_gt_i32 s0, 24
	s_cbranch_scc0 .LBB18_205
; %bb.194:
	global_load_ubyte v2, v[0:1], off
	s_mov_b32 s1, 0
	s_mov_b32 s12, exec_lo
	s_waitcnt vmcnt(0)
	v_cmpx_lt_i16_e32 0x7f, v2
	s_xor_b32 s12, exec_lo, s12
	s_cbranch_execz .LBB18_217
; %bb.195:
	s_mov_b32 s1, -1
	s_mov_b32 s17, exec_lo
	v_cmpx_eq_u16_e32 0x80, v2
; %bb.196:
	s_xor_b32 s1, exec_lo, -1
; %bb.197:
	s_or_b32 exec_lo, exec_lo, s17
	s_and_b32 s1, s1, exec_lo
	s_or_saveexec_b32 s12, s12
	v_mov_b32_e32 v6, 0x7f800001
	s_xor_b32 exec_lo, exec_lo, s12
	s_cbranch_execnz .LBB18_218
.LBB18_198:
	s_or_b32 exec_lo, exec_lo, s12
	s_and_saveexec_b32 s12, s1
	s_cbranch_execz .LBB18_200
.LBB18_199:
	v_and_b32_e32 v3, 0xffff, v2
	v_lshlrev_b32_e32 v2, 24, v2
	v_and_b32_e32 v4, 3, v3
	v_bfe_u32 v7, v3, 2, 5
	v_and_b32_e32 v2, 0x80000000, v2
	v_ffbh_u32_e32 v5, v4
	v_cmp_eq_u32_e32 vcc_lo, 0, v7
	v_min_u32_e32 v5, 32, v5
	v_subrev_nc_u32_e32 v6, 29, v5
	v_sub_nc_u32_e32 v5, 30, v5
	v_lshlrev_b32_e32 v3, v6, v3
	v_cndmask_b32_e32 v5, v7, v5, vcc_lo
	v_and_b32_e32 v3, 3, v3
	v_cndmask_b32_e32 v3, v4, v3, vcc_lo
	v_lshl_add_u32 v4, v5, 23, 0x37800000
	v_lshlrev_b32_e32 v3, 21, v3
	v_or3_b32 v6, v2, v4, v3
.LBB18_200:
	s_or_b32 exec_lo, exec_lo, s12
	s_mov_b32 s1, 0
	s_branch .LBB18_206
.LBB18_201:
	s_mov_b32 s12, -1
                                        ; implicit-def: $vgpr6
	s_branch .LBB18_212
.LBB18_202:
	s_or_saveexec_b32 s12, s12
	v_mov_b32_e32 v6, 0x7f800001
	s_xor_b32 exec_lo, exec_lo, s12
	s_cbranch_execz .LBB18_186
.LBB18_203:
	v_cmp_ne_u16_e32 vcc_lo, 0, v2
	v_mov_b32_e32 v6, 0
	s_andn2_b32 s1, s1, exec_lo
	s_and_b32 s17, vcc_lo, exec_lo
	s_or_b32 s1, s1, s17
	s_or_b32 exec_lo, exec_lo, s12
	s_and_saveexec_b32 s12, s1
	s_cbranch_execnz .LBB18_187
	s_branch .LBB18_188
.LBB18_204:
	s_mov_b32 s1, -1
                                        ; implicit-def: $vgpr6
	s_branch .LBB18_209
.LBB18_205:
	s_mov_b32 s1, -1
                                        ; implicit-def: $vgpr6
.LBB18_206:
	s_and_b32 vcc_lo, exec_lo, s1
	s_cbranch_vccz .LBB18_208
; %bb.207:
	global_load_ubyte v2, v[0:1], off
	s_waitcnt vmcnt(0)
	v_lshlrev_b32_e32 v2, 24, v2
	v_and_b32_e32 v3, 0x7f000000, v2
	v_ffbh_u32_e32 v4, v3
	v_add_nc_u32_e32 v6, 0x1000000, v3
	v_cmp_ne_u32_e32 vcc_lo, 0, v3
	v_min_u32_e32 v4, 32, v4
	v_sub_nc_u32_e64 v4, v4, 4 clamp
	v_lshlrev_b32_e32 v5, v4, v3
	v_lshlrev_b32_e32 v4, 23, v4
	v_lshrrev_b32_e32 v5, 4, v5
	v_sub_nc_u32_e32 v4, v5, v4
	v_ashrrev_i32_e32 v5, 8, v6
	v_add_nc_u32_e32 v4, 0x3c000000, v4
	v_and_or_b32 v4, 0x7f800000, v5, v4
	v_cndmask_b32_e32 v3, 0, v4, vcc_lo
	v_and_or_b32 v6, 0x80000000, v2, v3
.LBB18_208:
	s_mov_b32 s1, 0
.LBB18_209:
	s_andn2_b32 vcc_lo, exec_lo, s1
	s_cbranch_vccnz .LBB18_211
; %bb.210:
	global_load_ubyte v2, v[0:1], off
	s_waitcnt vmcnt(0)
	v_lshlrev_b32_e32 v3, 25, v2
	v_lshlrev_b16 v2, 8, v2
	v_lshrrev_b32_e32 v4, 4, v3
	v_and_or_b32 v5, 0x7f00, v2, 0.5
	v_cmp_gt_u32_e32 vcc_lo, 0x8000000, v3
	v_bfe_i32 v2, v2, 0, 16
	v_or_b32_e32 v4, 0x70000000, v4
	v_add_f32_e32 v5, -0.5, v5
	v_mul_f32_e32 v4, 0x7800000, v4
	v_cndmask_b32_e32 v3, v4, v5, vcc_lo
	v_and_or_b32 v6, 0x80000000, v2, v3
.LBB18_211:
	s_mov_b32 s12, 0
	s_mov_b32 s1, -1
.LBB18_212:
	s_andn2_b32 vcc_lo, exec_lo, s12
	s_cbranch_vccnz .LBB18_225
; %bb.213:
	s_cmp_gt_i32 s0, 14
	s_cbranch_scc0 .LBB18_216
; %bb.214:
	s_cmp_eq_u32 s0, 15
	s_cbranch_scc0 .LBB18_219
; %bb.215:
	global_load_ushort v2, v[0:1], off
	s_mov_b32 s1, -1
	s_mov_b32 s14, 0
	s_waitcnt vmcnt(0)
	v_lshlrev_b32_e32 v6, 16, v2
	s_branch .LBB18_220
.LBB18_216:
	s_mov_b32 s12, -1
                                        ; implicit-def: $vgpr6
	s_branch .LBB18_221
.LBB18_217:
	s_or_saveexec_b32 s12, s12
	v_mov_b32_e32 v6, 0x7f800001
	s_xor_b32 exec_lo, exec_lo, s12
	s_cbranch_execz .LBB18_198
.LBB18_218:
	v_cmp_ne_u16_e32 vcc_lo, 0, v2
	v_mov_b32_e32 v6, 0
	s_andn2_b32 s1, s1, exec_lo
	s_and_b32 s17, vcc_lo, exec_lo
	s_or_b32 s1, s1, s17
	s_or_b32 exec_lo, exec_lo, s12
	s_and_saveexec_b32 s12, s1
	s_cbranch_execnz .LBB18_199
	s_branch .LBB18_200
.LBB18_219:
	s_mov_b32 s14, -1
                                        ; implicit-def: $vgpr6
.LBB18_220:
	s_mov_b32 s12, 0
.LBB18_221:
	s_and_b32 vcc_lo, exec_lo, s12
	s_cbranch_vccz .LBB18_225
; %bb.222:
	s_cmp_eq_u32 s0, 11
	s_cbranch_scc0 .LBB18_224
; %bb.223:
	global_load_ubyte v2, v[0:1], off
	s_mov_b32 s14, 0
	s_mov_b32 s1, -1
	s_waitcnt vmcnt(0)
	v_cmp_ne_u16_e32 vcc_lo, 0, v2
	v_cndmask_b32_e64 v6, 0, 1.0, vcc_lo
	s_branch .LBB18_225
.LBB18_224:
	s_mov_b32 s14, -1
                                        ; implicit-def: $vgpr6
.LBB18_225:
	s_branch .LBB18_10
.LBB18_226:
	s_cmp_lt_i32 s0, 5
	s_cbranch_scc1 .LBB18_231
; %bb.227:
	s_cmp_lt_i32 s0, 8
	s_cbranch_scc1 .LBB18_232
; %bb.228:
	;; [unrolled: 3-line block ×3, first 2 shown]
	s_cmp_gt_i32 s0, 9
	s_cbranch_scc0 .LBB18_234
; %bb.230:
	global_load_dwordx2 v[2:3], v[0:1], off
	s_mov_b32 s1, 0
	s_waitcnt vmcnt(0)
	v_cvt_f32_f64_e32 v6, v[2:3]
	s_branch .LBB18_235
.LBB18_231:
                                        ; implicit-def: $vgpr6
	s_branch .LBB18_253
.LBB18_232:
	s_mov_b32 s1, -1
                                        ; implicit-def: $vgpr6
	s_branch .LBB18_241
.LBB18_233:
	s_mov_b32 s1, -1
                                        ; implicit-def: $vgpr6
	s_branch .LBB18_238
.LBB18_234:
	s_mov_b32 s1, -1
                                        ; implicit-def: $vgpr6
.LBB18_235:
	s_andn2_b32 vcc_lo, exec_lo, s1
	s_cbranch_vccnz .LBB18_237
; %bb.236:
	global_load_dword v6, v[0:1], off
.LBB18_237:
	s_mov_b32 s1, 0
.LBB18_238:
	s_andn2_b32 vcc_lo, exec_lo, s1
	s_cbranch_vccnz .LBB18_240
; %bb.239:
	global_load_dword v2, v[0:1], off
	s_waitcnt vmcnt(0)
	v_cvt_f32_f16_e32 v6, v2
.LBB18_240:
	s_mov_b32 s1, 0
.LBB18_241:
	s_andn2_b32 vcc_lo, exec_lo, s1
	s_cbranch_vccnz .LBB18_252
; %bb.242:
	s_cmp_lt_i32 s0, 6
	s_cbranch_scc1 .LBB18_245
; %bb.243:
	s_cmp_gt_i32 s0, 6
	s_cbranch_scc0 .LBB18_246
; %bb.244:
	global_load_dwordx2 v[2:3], v[0:1], off
	s_mov_b32 s1, 0
	s_waitcnt vmcnt(0)
	v_cvt_f32_f64_e32 v6, v[2:3]
	s_branch .LBB18_247
.LBB18_245:
	s_mov_b32 s1, -1
                                        ; implicit-def: $vgpr6
	s_branch .LBB18_250
.LBB18_246:
	s_mov_b32 s1, -1
                                        ; implicit-def: $vgpr6
.LBB18_247:
	s_andn2_b32 vcc_lo, exec_lo, s1
	s_cbranch_vccnz .LBB18_249
; %bb.248:
	global_load_dword v6, v[0:1], off
.LBB18_249:
	s_mov_b32 s1, 0
.LBB18_250:
	s_andn2_b32 vcc_lo, exec_lo, s1
	s_cbranch_vccnz .LBB18_252
; %bb.251:
	global_load_ushort v2, v[0:1], off
	s_waitcnt vmcnt(0)
	v_cvt_f32_f16_e32 v6, v2
.LBB18_252:
	s_cbranch_execnz .LBB18_272
.LBB18_253:
	s_cmp_lt_i32 s0, 2
	s_cbranch_scc1 .LBB18_257
; %bb.254:
	s_cmp_lt_i32 s0, 3
	s_cbranch_scc1 .LBB18_258
; %bb.255:
	s_cmp_gt_i32 s0, 3
	s_cbranch_scc0 .LBB18_259
; %bb.256:
	global_load_dwordx2 v[2:3], v[0:1], off
	s_mov_b32 s1, 0
	s_waitcnt vmcnt(0)
	v_xor_b32_e32 v4, v2, v3
	v_ffbh_i32_e32 v5, v3
	v_ashrrev_i32_e32 v4, 31, v4
	v_add_nc_u32_e32 v5, -1, v5
	v_add_nc_u32_e32 v4, 32, v4
	v_min_u32_e32 v4, v5, v4
	v_lshlrev_b64 v[2:3], v4, v[2:3]
	v_min_u32_e32 v2, 1, v2
	v_or_b32_e32 v2, v3, v2
	v_sub_nc_u32_e32 v3, 32, v4
	v_cvt_f32_i32_e32 v2, v2
	v_ldexp_f32 v6, v2, v3
	s_branch .LBB18_260
.LBB18_257:
	s_mov_b32 s1, -1
                                        ; implicit-def: $vgpr6
	s_branch .LBB18_266
.LBB18_258:
	s_mov_b32 s1, -1
                                        ; implicit-def: $vgpr6
	s_branch .LBB18_263
.LBB18_259:
	s_mov_b32 s1, -1
                                        ; implicit-def: $vgpr6
.LBB18_260:
	s_andn2_b32 vcc_lo, exec_lo, s1
	s_cbranch_vccnz .LBB18_262
; %bb.261:
	global_load_dword v2, v[0:1], off
	s_waitcnt vmcnt(0)
	v_cvt_f32_i32_e32 v6, v2
.LBB18_262:
	s_mov_b32 s1, 0
.LBB18_263:
	s_andn2_b32 vcc_lo, exec_lo, s1
	s_cbranch_vccnz .LBB18_265
; %bb.264:
	global_load_sshort v2, v[0:1], off
	s_waitcnt vmcnt(0)
	v_cvt_f32_i32_e32 v6, v2
.LBB18_265:
	s_mov_b32 s1, 0
.LBB18_266:
	s_andn2_b32 vcc_lo, exec_lo, s1
	s_cbranch_vccnz .LBB18_272
; %bb.267:
	s_cmp_gt_i32 s0, 0
	s_mov_b32 s0, 0
	s_cbranch_scc0 .LBB18_269
; %bb.268:
	global_load_sbyte v2, v[0:1], off
	s_waitcnt vmcnt(0)
	v_cvt_f32_i32_e32 v6, v2
	s_branch .LBB18_270
.LBB18_269:
	s_mov_b32 s0, -1
                                        ; implicit-def: $vgpr6
.LBB18_270:
	s_andn2_b32 vcc_lo, exec_lo, s0
	s_cbranch_vccnz .LBB18_272
; %bb.271:
	global_load_ubyte v0, v[0:1], off
	s_waitcnt vmcnt(0)
	v_cvt_f32_ubyte0_e32 v6, v0
.LBB18_272:
	s_branch .LBB18_11
.LBB18_273:
	s_mov_b32 s0, 0
.LBB18_274:
	s_mov_b32 s1, 0
                                        ; implicit-def: $vgpr11
.LBB18_275:
	s_and_b32 s12, s0, exec_lo
	s_and_b32 s14, s14, exec_lo
	s_orn2_b32 s1, s1, exec_lo
.LBB18_276:
	s_or_b32 exec_lo, exec_lo, s15
	s_mov_b32 s17, 0
	s_mov_b32 s0, 0
                                        ; implicit-def: $vgpr0_vgpr1
                                        ; implicit-def: $vgpr6
	s_and_saveexec_b32 s15, s1
	s_cbranch_execz .LBB18_285
; %bb.277:
	s_mov_b32 s0, -1
	s_mov_b32 s16, s14
	s_mov_b32 s17, s12
	s_mov_b32 s18, exec_lo
	v_cmpx_gt_i32_e64 s13, v11
	s_cbranch_execz .LBB18_563
; %bb.278:
	v_mul_lo_u32 v0, v11, s3
	s_and_b32 s0, 0xffff, s6
	s_cmp_lt_i32 s0, 11
	v_ashrrev_i32_e32 v1, 31, v0
	v_add_co_u32 v0, vcc_lo, s10, v0
	v_add_co_ci_u32_e64 v1, null, s11, v1, vcc_lo
	s_cbranch_scc1 .LBB18_288
; %bb.279:
	s_cmp_gt_i32 s0, 25
	s_cbranch_scc0 .LBB18_321
; %bb.280:
	s_cmp_gt_i32 s0, 28
	s_cbranch_scc0 .LBB18_323
	;; [unrolled: 3-line block ×4, first 2 shown]
; %bb.283:
	s_cmp_eq_u32 s0, 46
	s_mov_b32 s17, 0
	s_cbranch_scc0 .LBB18_333
; %bb.284:
	global_load_dword v2, v[0:1], off
	s_mov_b32 s1, -1
	s_mov_b32 s16, 0
	s_waitcnt vmcnt(0)
	v_lshlrev_b32_e32 v6, 16, v2
	s_branch .LBB18_335
.LBB18_285:
	s_or_b32 exec_lo, exec_lo, s15
	s_mov_b32 s13, 0
	s_and_saveexec_b32 s1, s14
	s_cbranch_execnz .LBB18_935
.LBB18_286:
	s_or_b32 exec_lo, exec_lo, s1
	s_and_saveexec_b32 s1, s16
	s_xor_b32 s1, exec_lo, s1
	s_cbranch_execz .LBB18_936
.LBB18_287:
	global_load_ubyte v2, v[0:1], off
	s_or_b32 s0, s0, exec_lo
	s_waitcnt vmcnt(0)
	v_cmp_ne_u16_e32 vcc_lo, 0, v2
	v_cndmask_b32_e64 v6, 0, 1.0, vcc_lo
	s_or_b32 exec_lo, exec_lo, s1
	s_and_saveexec_b32 s1, s17
	s_cbranch_execz .LBB18_982
	s_branch .LBB18_937
.LBB18_288:
	s_mov_b32 s1, 0
	s_mov_b32 s16, s14
                                        ; implicit-def: $vgpr6
	s_cbranch_execnz .LBB18_512
.LBB18_289:
	s_andn2_b32 vcc_lo, exec_lo, s1
	s_cbranch_vccnz .LBB18_560
.LBB18_290:
                                        ; implicit-def: $vgpr0
	s_mov_b32 s0, exec_lo
	s_waitcnt vmcnt(0)
	v_cmpx_neq_f32_e32 0, v6
	s_xor_b32 s17, exec_lo, s0
	s_cbranch_execz .LBB18_312
; %bb.291:
	v_mov_b32_e32 v1, 0
	s_mov_b32 s0, -1
	s_mov_b32 s19, exec_lo
	v_cmpx_gt_f32_e32 0, v6
	s_cbranch_execz .LBB18_299
; %bb.292:
	v_trunc_f32_e32 v0, v6
	v_mov_b32_e32 v1, 0
	s_mov_b32 s1, 0
	s_mov_b32 s20, exec_lo
	v_cmpx_neq_f32_e32 v6, v0
	s_cbranch_execz .LBB18_298
; %bb.293:
	v_cvt_f64_f32_e32 v[0:1], v6
	s_mov_b32 s1, 0xc00921fb
	s_mov_b32 s0, 0x54442d18
	s_mov_b32 s21, exec_lo
                                        ; implicit-def: $vgpr7
                                        ; implicit-def: $vgpr4_vgpr5
	v_trunc_f64_e32 v[2:3], v[0:1]
	v_cmp_neq_f64_e64 vcc_lo, 0x7ff00000, |v[0:1]|
	v_add_f64 v[2:3], v[0:1], -v[2:3]
	v_mul_f64 v[2:3], |v[2:3]|, s[0:1]
	v_cndmask_b32_e32 v1, 0x80000000, v3, vcc_lo
	v_cndmask_b32_e32 v0, 0, v2, vcc_lo
                                        ; implicit-def: $vgpr2_vgpr3
	v_cmpx_ngt_f64_e64 0x41d00000, |v[0:1]|
	s_xor_b32 s21, exec_lo, s21
	s_cbranch_execz .LBB18_295
; %bb.294:
	v_ldexp_f64 v[2:3], |v[0:1]|, 0xffffff80
	v_cmp_le_f64_e64 vcc_lo, 0x7b000000, |v[0:1]|
	v_trig_preop_f64 v[4:5], |v[0:1]|, 0
	v_and_b32_e32 v7, 0x7fffffff, v1
	v_trig_preop_f64 v[18:19], |v[0:1]|, 2
	v_mov_b32_e32 v26, 0
	s_mov_b32 s1, 0x3ff921fb
	s_mov_b32 s22, 0x33145c07
	;; [unrolled: 1-line block ×3, first 2 shown]
	v_cndmask_b32_e32 v3, v7, v3, vcc_lo
	v_cndmask_b32_e32 v2, v0, v2, vcc_lo
	v_trig_preop_f64 v[7:8], |v[0:1]|, 1
	v_mul_f64 v[9:10], v[4:5], v[2:3]
	v_mul_f64 v[24:25], v[18:19], v[2:3]
	;; [unrolled: 1-line block ×3, first 2 shown]
	v_fma_f64 v[4:5], v[4:5], v[2:3], -v[9:10]
	v_fma_f64 v[7:8], v[7:8], v[2:3], -v[12:13]
	;; [unrolled: 1-line block ×3, first 2 shown]
	v_add_f64 v[14:15], v[12:13], v[4:5]
	v_add_f64 v[16:17], v[14:15], -v[12:13]
	v_add_f64 v[22:23], v[9:10], v[14:15]
	v_add_f64 v[20:21], v[14:15], -v[16:17]
	v_add_f64 v[4:5], v[4:5], -v[16:17]
	v_ldexp_f64 v[16:17], v[22:23], -2
	v_add_f64 v[9:10], v[22:23], -v[9:10]
	v_add_f64 v[12:13], v[12:13], -v[20:21]
	v_add_f64 v[20:21], v[24:25], v[7:8]
	v_cmp_neq_f64_e64 vcc_lo, 0x7ff00000, |v[16:17]|
	v_add_f64 v[9:10], v[14:15], -v[9:10]
	v_add_f64 v[4:5], v[4:5], v[12:13]
	v_fract_f64_e32 v[12:13], v[16:17]
	v_add_f64 v[14:15], v[20:21], v[4:5]
	v_ldexp_f64 v[12:13], v[12:13], 2
	v_add_f64 v[16:17], v[9:10], v[14:15]
	v_cndmask_b32_e32 v13, 0, v13, vcc_lo
	v_cndmask_b32_e32 v12, 0, v12, vcc_lo
	v_add_f64 v[22:23], v[16:17], v[12:13]
	v_add_f64 v[9:10], v[16:17], -v[9:10]
	v_cmp_gt_f64_e32 vcc_lo, 0, v[22:23]
	v_add_f64 v[22:23], v[20:21], -v[24:25]
	v_cndmask_b32_e64 v27, 0, 0x40100000, vcc_lo
	v_add_f64 v[31:32], v[20:21], -v[22:23]
	v_add_f64 v[7:8], v[7:8], -v[22:23]
	v_add_f64 v[12:13], v[12:13], v[26:27]
	v_add_f64 v[27:28], v[14:15], -v[20:21]
	v_add_f64 v[22:23], v[24:25], -v[31:32]
	v_add_f64 v[29:30], v[16:17], v[12:13]
	;; [unrolled: 3-line block ×3, first 2 shown]
	v_cvt_i32_f64_e32 v29, v[29:30]
	v_add_f64 v[20:21], v[20:21], -v[33:34]
	v_cvt_f64_i32_e32 v[27:28], v29
	v_add_f64 v[4:5], v[4:5], v[20:21]
	v_add_f64 v[12:13], v[12:13], -v[27:28]
	v_add_f64 v[4:5], v[7:8], v[4:5]
	v_add_f64 v[7:8], v[14:15], -v[9:10]
	v_add_f64 v[18:19], v[16:17], v[12:13]
	v_add_f64 v[2:3], v[2:3], v[4:5]
	v_add_f64 v[4:5], v[18:19], -v[12:13]
	v_cmp_le_f64_e32 vcc_lo, 0.5, v[18:19]
	v_add_f64 v[2:3], v[7:8], v[2:3]
	v_add_f64 v[4:5], v[16:17], -v[4:5]
	v_cndmask_b32_e64 v27, 0, 0x3ff00000, vcc_lo
	v_add_co_ci_u32_e64 v7, null, 0, v29, vcc_lo
	v_add_f64 v[2:3], v[2:3], v[4:5]
	v_add_f64 v[4:5], v[18:19], -v[26:27]
	v_add_f64 v[8:9], v[4:5], v[2:3]
	v_mul_f64 v[12:13], v[8:9], s[0:1]
	v_add_f64 v[4:5], v[8:9], -v[4:5]
	v_fma_f64 v[14:15], v[8:9], s[0:1], -v[12:13]
	v_add_f64 v[2:3], v[2:3], -v[4:5]
	v_fma_f64 v[4:5], v[8:9], s[22:23], v[14:15]
	v_fma_f64 v[4:5], v[2:3], s[0:1], v[4:5]
	v_add_f64 v[2:3], v[12:13], v[4:5]
	v_add_f64 v[8:9], v[2:3], -v[12:13]
	v_add_f64 v[4:5], v[4:5], -v[8:9]
.LBB18_295:
	s_andn2_saveexec_b32 s0, s21
	s_cbranch_execz .LBB18_297
; %bb.296:
	s_mov_b32 s22, 0x6dc9c883
	s_mov_b32 s23, 0x3fe45f30
	;; [unrolled: 1-line block ×3, first 2 shown]
	v_mul_f64 v[2:3], |v[0:1]|, s[22:23]
	s_mov_b32 s22, 0x54442d18
	s_mov_b32 s23, 0xbff921fb
	;; [unrolled: 1-line block ×3, first 2 shown]
	v_rndne_f64_e32 v[7:8], v[2:3]
	v_fma_f64 v[2:3], v[7:8], s[22:23], |v[0:1]|
	v_mul_f64 v[4:5], v[7:8], s[24:25]
	s_mov_b32 s22, 0x252049c0
	s_mov_b32 s23, 0xb97b839a
	v_fma_f64 v[12:13], v[7:8], s[24:25], v[2:3]
	v_add_f64 v[9:10], v[2:3], v[4:5]
	s_mov_b32 s25, 0x3c91a626
	v_add_f64 v[2:3], v[2:3], -v[9:10]
	v_add_f64 v[9:10], v[9:10], -v[12:13]
	v_add_f64 v[2:3], v[2:3], v[4:5]
	v_fma_f64 v[4:5], v[7:8], s[24:25], v[4:5]
	v_add_f64 v[2:3], v[9:10], v[2:3]
	v_add_f64 v[2:3], v[2:3], -v[4:5]
	v_fma_f64 v[4:5], v[7:8], s[22:23], v[2:3]
	v_cvt_i32_f64_e32 v7, v[7:8]
	v_add_f64 v[2:3], v[12:13], v[4:5]
	v_add_f64 v[9:10], v[2:3], -v[12:13]
	v_add_f64 v[4:5], v[4:5], -v[9:10]
.LBB18_297:
	s_or_b32 exec_lo, exec_lo, s0
	v_mul_f64 v[8:9], v[2:3], v[2:3]
	v_add_f64 v[12:13], v[4:5], v[4:5]
	s_mov_b32 s22, 0xa9a29f71
	s_mov_b32 s24, 0xc751c08c
	;; [unrolled: 1-line block ×4, first 2 shown]
	v_cmp_class_f64_e64 s0, v[0:1], 0x1f8
	v_and_b32_e32 v7, 1, v7
	v_and_b32_e32 v1, 0x80000000, v1
	v_sub_f32_e32 v6, 1.0, v6
	s_mov_b32 s1, exec_lo
	v_cmp_eq_u32_e32 vcc_lo, 0, v7
	v_fma_f64 v[14:15], v[2:3], v[2:3], -v[8:9]
	v_fma_f64 v[12:13], v[2:3], v[12:13], v[14:15]
	v_add_f64 v[8:9], v[8:9], v[12:13]
	v_fma_f64 v[12:13], v[8:9], s[24:25], s[22:23]
	s_mov_b32 s22, 0x90a8aae0
	s_mov_b32 s23, 0x3f17746f
	v_fma_f64 v[12:13], v[8:9], v[12:13], s[22:23]
	s_mov_b32 s22, 0xa6fbf144
	s_mov_b32 s23, 0xbefbb44d
	;; [unrolled: 3-line block ×13, first 2 shown]
	v_mul_f64 v[8:9], v[8:9], v[12:13]
	v_mul_f64 v[12:13], v[2:3], v[8:9]
	v_add_f64 v[14:15], v[2:3], v[12:13]
	v_fma_f64 v[8:9], v[2:3], v[8:9], -v[12:13]
	v_add_f64 v[2:3], v[14:15], -v[2:3]
	v_add_f64 v[4:5], v[4:5], v[8:9]
	v_add_f64 v[2:3], v[12:13], -v[2:3]
	v_add_f64 v[2:3], v[4:5], v[2:3]
	v_add_f64 v[4:5], v[14:15], v[2:3]
	v_rcp_f64_e32 v[8:9], v[4:5]
	v_fma_f64 v[12:13], -v[4:5], v[8:9], 1.0
	v_fma_f64 v[8:9], v[12:13], v[8:9], v[8:9]
	v_fma_f64 v[12:13], -v[4:5], v[8:9], 1.0
	v_fma_f64 v[8:9], v[12:13], v[8:9], v[8:9]
	v_add_f64 v[12:13], v[4:5], -v[14:15]
	v_mul_f64 v[14:15], v[4:5], v[8:9]
	v_add_f64 v[2:3], v[2:3], -v[12:13]
	v_fma_f64 v[12:13], v[8:9], v[4:5], -v[14:15]
	v_fma_f64 v[2:3], v[8:9], v[2:3], v[12:13]
	v_add_f64 v[12:13], v[14:15], v[2:3]
	v_add_f64 v[16:17], -v[12:13], 1.0
	v_add_f64 v[14:15], v[12:13], -v[14:15]
	v_add_f64 v[18:19], -v[16:17], 1.0
	v_add_f64 v[2:3], v[14:15], -v[2:3]
	v_add_f64 v[12:13], v[18:19], -v[12:13]
	v_add_f64 v[2:3], v[2:3], v[12:13]
	v_add_f64 v[2:3], v[16:17], v[2:3]
	v_mul_f64 v[2:3], v[8:9], v[2:3]
	v_add_f64 v[2:3], v[8:9], v[2:3]
	v_xor_b32_e32 v0, 0x80000000, v3
	v_cndmask_b32_e32 v2, v2, v4, vcc_lo
	v_cndmask_b32_e32 v0, v0, v5, vcc_lo
	v_xor_b32_e32 v1, v0, v1
	v_cndmask_b32_e64 v0, 0, v2, s0
	v_cndmask_b32_e64 v1, 0x7ff80000, v1, s0
	v_div_scale_f64 v[2:3], null, v[0:1], v[0:1], s[22:23]
	v_rcp_f64_e32 v[4:5], v[2:3]
	v_fma_f64 v[7:8], -v[2:3], v[4:5], 1.0
	v_fma_f64 v[4:5], v[4:5], v[7:8], v[4:5]
	v_fma_f64 v[7:8], -v[2:3], v[4:5], 1.0
	v_fma_f64 v[4:5], v[4:5], v[7:8], v[4:5]
	v_div_scale_f64 v[7:8], vcc_lo, s[22:23], v[0:1], s[22:23]
	v_mul_f64 v[9:10], v[7:8], v[4:5]
	v_fma_f64 v[2:3], -v[2:3], v[9:10], v[7:8]
	v_div_fmas_f64 v[2:3], v[2:3], v[4:5], v[9:10]
	v_div_fixup_f64 v[0:1], v[2:3], v[0:1], s[22:23]
	v_cvt_f32_f64_e32 v1, v[0:1]
.LBB18_298:
	s_or_b32 exec_lo, exec_lo, s20
	s_orn2_b32 s0, s1, exec_lo
.LBB18_299:
	s_or_b32 exec_lo, exec_lo, s19
	v_mov_b32_e32 v0, 0x7fc00000
	s_and_saveexec_b32 s19, s0
	s_cbranch_execz .LBB18_311
; %bb.300:
	s_mov_b32 s0, exec_lo
	v_cmpx_gt_f32_e32 0x41200000, v6
	s_cbranch_execz .LBB18_304
; %bb.301:
	s_mov_b32 s1, 0
	.p2align	6
.LBB18_302:                             ; =>This Inner Loop Header: Depth=1
	v_div_scale_f32 v0, null, v6, v6, 1.0
	v_div_scale_f32 v4, vcc_lo, 1.0, v6, 1.0
	v_rcp_f32_e32 v2, v0
	v_fma_f32 v3, -v0, v2, 1.0
	v_fmac_f32_e32 v2, v3, v2
	v_mul_f32_e32 v3, v4, v2
	v_fma_f32 v5, -v0, v3, v4
	v_fmac_f32_e32 v3, v5, v2
	v_fma_f32 v0, -v0, v3, v4
	v_div_fmas_f32 v0, v0, v2, v3
	v_div_fixup_f32 v0, v0, v6, 1.0
	v_add_f32_e32 v6, 1.0, v6
	v_sub_f32_e32 v1, v1, v0
	v_cmp_ngt_f32_e32 vcc_lo, 0x41200000, v6
	s_or_b32 s1, vcc_lo, s1
	s_andn2_b32 exec_lo, exec_lo, s1
	s_cbranch_execnz .LBB18_302
; %bb.303:
	s_or_b32 exec_lo, exec_lo, s1
.LBB18_304:
	s_or_b32 exec_lo, exec_lo, s0
                                        ; implicit-def: $vgpr0
	s_mov_b32 s0, exec_lo
	v_cmpx_neq_f32_e32 0x41200000, v6
	s_xor_b32 s20, exec_lo, s0
	s_cbranch_execz .LBB18_308
; %bb.305:
	v_cvt_f64_f32_e32 v[2:3], v6
	s_mov_b32 s0, 0x85d8a000
	s_mov_b32 s1, 0x43763457
	v_mov_b32_e32 v0, 0
	v_cmp_gt_f64_e32 vcc_lo, s[0:1], v[2:3]
	s_and_saveexec_b32 s0, vcc_lo
	s_cbranch_execz .LBB18_307
; %bb.306:
	v_mul_f32_e32 v0, v6, v6
	v_div_scale_f32 v2, null, v0, v0, 1.0
	v_rcp_f32_e32 v3, v2
	v_fma_f32 v4, -v2, v3, 1.0
	v_fmac_f32_e32 v3, v4, v3
	v_div_scale_f32 v4, vcc_lo, 1.0, v0, 1.0
	v_mul_f32_e32 v5, v4, v3
	v_fma_f32 v7, -v2, v5, v4
	v_fmac_f32_e32 v5, v7, v3
	v_fma_f32 v2, -v2, v5, v4
	v_div_fmas_f32 v2, v2, v3, v5
	v_div_fixup_f32 v0, v2, v0, 1.0
	v_fmaak_f32 v2, 0, v0, 0x3daaaaab
	v_fmaak_f32 v2, v0, v2, 0xbcaccacd
	;; [unrolled: 1-line block ×7, first 2 shown]
	v_mul_f32_e32 v0, v0, v2
.LBB18_307:
	s_or_b32 exec_lo, exec_lo, s0
	v_cmp_gt_f32_e32 vcc_lo, 0x800000, v6
	v_div_scale_f32 v2, null, v6, v6, -0.5
	v_div_scale_f32 v7, s0, -0.5, v6, -0.5
	v_cndmask_b32_e64 v3, 0, 32, vcc_lo
	v_rcp_f32_e32 v4, v2
	v_ldexp_f32 v3, v6, v3
	v_log_f32_e32 v3, v3
	v_fma_f32 v5, -v2, v4, 1.0
	v_fmac_f32_e32 v4, v5, v4
	v_mul_f32_e32 v5, 0x3f317217, v3
	v_mul_f32_e32 v8, v7, v4
	v_cmp_gt_f32_e64 s1, 0x7f800000, |v3|
	v_fma_f32 v5, 0x3f317217, v3, -v5
	v_fma_f32 v9, -v2, v8, v7
	v_fmamk_f32 v5, v3, 0x3377d1cf, v5
	v_fmac_f32_e32 v8, v9, v4
	v_fmac_f32_e32 v5, 0x3f317217, v3
	v_fma_f32 v2, -v2, v8, v7
	v_cndmask_b32_e64 v3, v3, v5, s1
	v_cndmask_b32_e64 v5, 0, 0x41b17218, vcc_lo
	s_mov_b32 vcc_lo, s0
	v_div_fmas_f32 v2, v2, v4, v8
	v_sub_f32_e32 v3, v3, v5
	v_div_fixup_f32 v2, v2, v6, -0.5
	v_add_f32_e32 v2, v3, v2
	v_sub_f32_e32 v0, v2, v0
	v_add_f32_e32 v0, v1, v0
                                        ; implicit-def: $vgpr1
.LBB18_308:
	s_andn2_saveexec_b32 s0, s20
; %bb.309:
	v_add_f32_e32 v0, 0x40101cb7, v1
; %bb.310:
	s_or_b32 exec_lo, exec_lo, s0
.LBB18_311:
	s_or_b32 exec_lo, exec_lo, s19
                                        ; implicit-def: $vgpr6
.LBB18_312:
	s_andn2_saveexec_b32 s0, s17
; %bb.313:
	v_xor_b32_e32 v0, 0x80000000, v6
	s_mov_b32 s1, 0x7f800000
	v_bfi_b32 v0, 0x7fffffff, s1, v0
; %bb.314:
	s_or_b32 exec_lo, exec_lo, s0
	v_mul_lo_u32 v1, v11, s2
	s_and_b32 s1, s4, 0xff
	s_cmp_lt_i32 s1, 11
	v_ashrrev_i32_e32 v3, 31, v1
	v_add_co_u32 v2, vcc_lo, s8, v1
	v_add_co_ci_u32_e64 v3, null, s9, v3, vcc_lo
	s_cbranch_scc1 .LBB18_322
; %bb.315:
	s_and_b32 s17, 0xffff, s1
	s_cmp_gt_i32 s17, 25
	s_cbranch_scc0 .LBB18_324
; %bb.316:
	s_cmp_gt_i32 s17, 28
	s_cbranch_scc0 .LBB18_326
; %bb.317:
	s_cmp_gt_i32 s17, 43
	s_cbranch_scc0 .LBB18_330
; %bb.318:
	s_cmp_gt_i32 s17, 45
	s_cbranch_scc0 .LBB18_338
; %bb.319:
	s_mov_b32 s20, 0
	s_mov_b32 s0, -1
	s_cmp_eq_u32 s17, 46
	s_mov_b32 s19, 0
	s_cbranch_scc0 .LBB18_339
; %bb.320:
	v_bfe_u32 v1, v0, 16, 1
	v_cmp_o_f32_e32 vcc_lo, v0, v0
	v_mov_b32_e32 v4, 0x7fc0
	s_mov_b32 s19, -1
	s_mov_b32 s0, 0
	v_add3_u32 v1, v0, v1, 0x7fff
	v_cndmask_b32_sdwa v1, v4, v1, vcc_lo dst_sel:DWORD dst_unused:UNUSED_PAD src0_sel:DWORD src1_sel:WORD_1
	global_store_dword v[2:3], v1, off
	s_branch .LBB18_339
.LBB18_321:
	s_mov_b32 s17, -1
	s_mov_b32 s1, 0
	s_mov_b32 s16, s14
                                        ; implicit-def: $vgpr6
	s_branch .LBB18_476
.LBB18_322:
	s_mov_b32 s17, -1
	s_mov_b32 s19, 0
	s_mov_b32 s0, s12
	s_branch .LBB18_408
.LBB18_323:
	s_mov_b32 s17, -1
	s_mov_b32 s1, 0
	s_mov_b32 s16, s14
                                        ; implicit-def: $vgpr6
	s_branch .LBB18_457
.LBB18_324:
	s_mov_b32 s20, -1
	s_mov_b32 s19, 0
	s_mov_b32 s0, s12
	s_branch .LBB18_366
.LBB18_325:
	s_mov_b32 s17, -1
	s_mov_b32 s1, 0
	s_mov_b32 s16, s14
                                        ; implicit-def: $vgpr6
	s_branch .LBB18_452
.LBB18_326:
	s_mov_b32 s20, -1
	s_mov_b32 s19, 0
	s_mov_b32 s0, s12
	s_branch .LBB18_349
.LBB18_327:
	s_andn2_saveexec_b32 s19, s19
	s_cbranch_execz .LBB18_78
.LBB18_328:
	v_add_f32_e64 v1, 0x46000000, |v0|
	s_andn2_b32 s18, s18, exec_lo
	v_and_b32_e32 v1, 0xff, v1
	v_cmp_ne_u32_e32 vcc_lo, 0, v1
	s_and_b32 s20, vcc_lo, exec_lo
	s_or_b32 s18, s18, s20
	s_or_b32 exec_lo, exec_lo, s19
	v_mov_b32_e32 v4, 0
	s_and_saveexec_b32 s19, s18
	s_cbranch_execnz .LBB18_79
	s_branch .LBB18_80
.LBB18_329:
	s_mov_b32 s17, -1
	s_mov_b32 s1, 0
	s_mov_b32 s16, s14
	s_branch .LBB18_334
.LBB18_330:
	s_mov_b32 s20, -1
	s_mov_b32 s19, 0
	s_mov_b32 s0, s12
	s_branch .LBB18_345
.LBB18_331:
	s_andn2_saveexec_b32 s19, s19
	s_cbranch_execz .LBB18_91
.LBB18_332:
	v_add_f32_e64 v1, 0x42800000, |v0|
	s_andn2_b32 s18, s18, exec_lo
	v_and_b32_e32 v1, 0xff, v1
	v_cmp_ne_u32_e32 vcc_lo, 0, v1
	s_and_b32 s20, vcc_lo, exec_lo
	s_or_b32 s18, s18, s20
	s_or_b32 exec_lo, exec_lo, s19
	v_mov_b32_e32 v4, 0
	s_and_saveexec_b32 s19, s18
	s_cbranch_execnz .LBB18_92
	s_branch .LBB18_93
.LBB18_333:
	s_mov_b32 s16, -1
	s_mov_b32 s1, 0
.LBB18_334:
                                        ; implicit-def: $vgpr6
.LBB18_335:
	s_and_b32 vcc_lo, exec_lo, s17
	s_cbranch_vccz .LBB18_451
; %bb.336:
	s_cmp_eq_u32 s0, 44
	s_cbranch_scc0 .LBB18_450
; %bb.337:
	global_load_ubyte v2, v[0:1], off
	s_mov_b32 s16, 0
	s_mov_b32 s1, -1
	s_waitcnt vmcnt(0)
	v_lshlrev_b32_e32 v3, 23, v2
	v_cmp_ne_u32_e32 vcc_lo, 0xff, v2
	v_cndmask_b32_e32 v3, 0x7f800001, v3, vcc_lo
	v_cmp_ne_u32_e32 vcc_lo, 0, v2
	v_cndmask_b32_e32 v6, 0x400000, v3, vcc_lo
	s_branch .LBB18_451
.LBB18_338:
	s_mov_b32 s20, -1
	s_mov_b32 s19, 0
	s_mov_b32 s0, s12
.LBB18_339:
	s_and_b32 vcc_lo, exec_lo, s20
	s_cbranch_vccz .LBB18_344
; %bb.340:
	s_cmp_eq_u32 s17, 44
	s_mov_b32 s0, -1
	s_cbranch_scc0 .LBB18_344
; %bb.341:
	v_bfe_u32 v4, v0, 23, 8
	v_mov_b32_e32 v1, 0xff
	s_mov_b32 s19, exec_lo
	v_cmpx_ne_u32_e32 0xff, v4
	s_cbranch_execz .LBB18_343
; %bb.342:
	v_and_b32_e32 v1, 0x400000, v0
	v_and_or_b32 v4, 0x3fffff, v0, v4
	v_cmp_ne_u32_e32 vcc_lo, 0, v1
	v_cmp_ne_u32_e64 s0, 0, v4
	v_lshrrev_b32_e32 v1, 23, v0
	s_and_b32 s0, vcc_lo, s0
	v_cndmask_b32_e64 v4, 0, 1, s0
	v_add_nc_u32_e32 v1, v1, v4
.LBB18_343:
	s_or_b32 exec_lo, exec_lo, s19
	s_mov_b32 s19, -1
	s_mov_b32 s0, 0
	global_store_byte v[2:3], v1, off
.LBB18_344:
	s_mov_b32 s20, 0
.LBB18_345:
	s_and_b32 vcc_lo, exec_lo, s20
	s_cbranch_vccz .LBB18_348
; %bb.346:
	s_cmp_eq_u32 s17, 29
	s_mov_b32 s0, -1
	s_cbranch_scc0 .LBB18_348
; %bb.347:
	v_trunc_f32_e32 v1, v0
	s_mov_b32 s19, -1
	s_mov_b32 s0, 0
	s_mov_b32 s20, 0
	v_mul_f32_e32 v4, 0x2f800000, v1
	v_floor_f32_e32 v4, v4
	v_fmamk_f32 v1, v4, 0xcf800000, v1
	v_cvt_u32_f32_e32 v5, v4
	v_cvt_u32_f32_e32 v4, v1
	global_store_dwordx2 v[2:3], v[4:5], off
	s_branch .LBB18_349
.LBB18_348:
	s_mov_b32 s20, 0
.LBB18_349:
	s_and_b32 vcc_lo, exec_lo, s20
	s_cbranch_vccz .LBB18_365
; %bb.350:
	s_cmp_lt_i32 s17, 27
	s_mov_b32 s19, -1
	s_cbranch_scc1 .LBB18_356
; %bb.351:
	v_cvt_u32_f32_e32 v1, v0
	s_cmp_gt_i32 s17, 27
	s_cbranch_scc0 .LBB18_353
; %bb.352:
	s_mov_b32 s19, 0
	global_store_dword v[2:3], v1, off
.LBB18_353:
	s_andn2_b32 vcc_lo, exec_lo, s19
	s_cbranch_vccnz .LBB18_355
; %bb.354:
	global_store_short v[2:3], v1, off
.LBB18_355:
	s_mov_b32 s19, 0
.LBB18_356:
	s_andn2_b32 vcc_lo, exec_lo, s19
	s_cbranch_vccnz .LBB18_364
; %bb.357:
	v_and_b32_e32 v1, 0x7fffffff, v0
	v_mov_b32_e32 v4, 0x80
	s_mov_b32 s19, exec_lo
	v_cmpx_gt_u32_e32 0x43800000, v1
	s_cbranch_execz .LBB18_363
; %bb.358:
	v_cmp_lt_u32_e32 vcc_lo, 0x3bffffff, v1
	s_mov_b32 s20, 0
                                        ; implicit-def: $vgpr1
	s_and_saveexec_b32 s21, vcc_lo
	s_xor_b32 s21, exec_lo, s21
	s_cbranch_execz .LBB18_576
; %bb.359:
	v_bfe_u32 v1, v0, 20, 1
	s_mov_b32 s20, exec_lo
	v_add3_u32 v1, v0, v1, 0x487ffff
	v_lshrrev_b32_e32 v1, 20, v1
	s_andn2_saveexec_b32 s21, s21
	s_cbranch_execnz .LBB18_577
.LBB18_360:
	s_or_b32 exec_lo, exec_lo, s21
	v_mov_b32_e32 v4, 0
	s_and_saveexec_b32 s21, s20
.LBB18_361:
	v_lshrrev_b32_e32 v4, 24, v0
	v_and_or_b32 v4, 0x80, v4, v1
.LBB18_362:
	s_or_b32 exec_lo, exec_lo, s21
.LBB18_363:
	s_or_b32 exec_lo, exec_lo, s19
	global_store_byte v[2:3], v4, off
.LBB18_364:
	s_mov_b32 s19, -1
.LBB18_365:
	s_mov_b32 s20, 0
.LBB18_366:
	s_and_b32 vcc_lo, exec_lo, s20
	s_cbranch_vccz .LBB18_407
; %bb.367:
	s_cmp_gt_i32 s17, 22
	s_mov_b32 s20, -1
	s_cbranch_scc0 .LBB18_399
; %bb.368:
	s_cmp_lt_i32 s17, 24
	s_mov_b32 s19, -1
	s_cbranch_scc1 .LBB18_388
; %bb.369:
	s_cmp_gt_i32 s17, 24
	s_cbranch_scc0 .LBB18_377
; %bb.370:
	v_and_b32_e32 v1, 0x7fffffff, v0
	v_mov_b32_e32 v4, 0x80
	s_mov_b32 s19, exec_lo
	v_cmpx_gt_u32_e32 0x47800000, v1
	s_cbranch_execz .LBB18_376
; %bb.371:
	v_cmp_lt_u32_e32 vcc_lo, 0x37ffffff, v1
	s_mov_b32 s20, 0
                                        ; implicit-def: $vgpr1
	s_and_saveexec_b32 s21, vcc_lo
	s_xor_b32 s21, exec_lo, s21
	s_cbranch_execz .LBB18_579
; %bb.372:
	v_bfe_u32 v1, v0, 21, 1
	s_mov_b32 s20, exec_lo
	v_add3_u32 v1, v0, v1, 0x88fffff
	v_lshrrev_b32_e32 v1, 21, v1
	s_andn2_saveexec_b32 s21, s21
	s_cbranch_execnz .LBB18_580
.LBB18_373:
	s_or_b32 exec_lo, exec_lo, s21
	v_mov_b32_e32 v4, 0
	s_and_saveexec_b32 s21, s20
.LBB18_374:
	v_lshrrev_b32_e32 v4, 24, v0
	v_and_or_b32 v4, 0x80, v4, v1
.LBB18_375:
	s_or_b32 exec_lo, exec_lo, s21
.LBB18_376:
	s_or_b32 exec_lo, exec_lo, s19
	s_mov_b32 s19, 0
	global_store_byte v[2:3], v4, off
.LBB18_377:
	s_and_b32 vcc_lo, exec_lo, s19
	s_cbranch_vccz .LBB18_387
; %bb.378:
	v_and_b32_e32 v4, 0x7fffffff, v0
	s_mov_b32 s19, exec_lo
                                        ; implicit-def: $vgpr1
	v_cmpx_gt_u32_e32 0x43f00000, v4
	s_xor_b32 s19, exec_lo, s19
	s_cbranch_execz .LBB18_384
; %bb.379:
	s_mov_b32 s20, exec_lo
                                        ; implicit-def: $vgpr1
	v_cmpx_lt_u32_e32 0x3c7fffff, v4
	s_xor_b32 s20, exec_lo, s20
; %bb.380:
	v_bfe_u32 v1, v0, 20, 1
	v_add3_u32 v1, v0, v1, 0x407ffff
	v_and_b32_e32 v4, 0xff00000, v1
	v_lshrrev_b32_e32 v1, 20, v1
	v_cmp_ne_u32_e32 vcc_lo, 0x7f00000, v4
	v_cndmask_b32_e32 v1, 0x7e, v1, vcc_lo
; %bb.381:
	s_andn2_saveexec_b32 s20, s20
; %bb.382:
	v_add_f32_e64 v1, 0x46800000, |v0|
; %bb.383:
	s_or_b32 exec_lo, exec_lo, s20
                                        ; implicit-def: $vgpr4
.LBB18_384:
	s_andn2_saveexec_b32 s19, s19
; %bb.385:
	v_mov_b32_e32 v1, 0x7f
	v_cmp_lt_u32_e32 vcc_lo, 0x7f800000, v4
	v_cndmask_b32_e32 v1, 0x7e, v1, vcc_lo
; %bb.386:
	s_or_b32 exec_lo, exec_lo, s19
	v_lshrrev_b32_e32 v4, 24, v0
	v_and_or_b32 v1, 0x80, v4, v1
	global_store_byte v[2:3], v1, off
.LBB18_387:
	s_mov_b32 s19, 0
.LBB18_388:
	s_andn2_b32 vcc_lo, exec_lo, s19
	s_cbranch_vccnz .LBB18_398
; %bb.389:
	v_and_b32_e32 v4, 0x7fffffff, v0
	s_mov_b32 s19, exec_lo
                                        ; implicit-def: $vgpr1
	v_cmpx_gt_u32_e32 0x47800000, v4
	s_xor_b32 s19, exec_lo, s19
	s_cbranch_execz .LBB18_395
; %bb.390:
	s_mov_b32 s20, exec_lo
                                        ; implicit-def: $vgpr1
	v_cmpx_lt_u32_e32 0x387fffff, v4
	s_xor_b32 s20, exec_lo, s20
; %bb.391:
	v_bfe_u32 v1, v0, 21, 1
	v_add3_u32 v1, v0, v1, 0x80fffff
	v_lshrrev_b32_e32 v1, 21, v1
; %bb.392:
	s_andn2_saveexec_b32 s20, s20
; %bb.393:
	v_add_f32_e64 v1, 0x43000000, |v0|
; %bb.394:
	s_or_b32 exec_lo, exec_lo, s20
                                        ; implicit-def: $vgpr4
.LBB18_395:
	s_andn2_saveexec_b32 s19, s19
; %bb.396:
	v_mov_b32_e32 v1, 0x7f
	v_cmp_lt_u32_e32 vcc_lo, 0x7f800000, v4
	v_cndmask_b32_e32 v1, 0x7c, v1, vcc_lo
; %bb.397:
	s_or_b32 exec_lo, exec_lo, s19
	v_lshrrev_b32_e32 v4, 24, v0
	v_and_or_b32 v1, 0x80, v4, v1
	global_store_byte v[2:3], v1, off
.LBB18_398:
	s_mov_b32 s20, 0
	s_mov_b32 s19, -1
.LBB18_399:
	s_andn2_b32 vcc_lo, exec_lo, s20
	s_cbranch_vccnz .LBB18_407
; %bb.400:
	s_cmp_gt_i32 s17, 14
	s_mov_b32 s20, -1
	s_cbranch_scc0 .LBB18_404
; %bb.401:
	s_cmp_eq_u32 s17, 15
	s_mov_b32 s0, -1
	s_cbranch_scc0 .LBB18_403
; %bb.402:
	v_bfe_u32 v1, v0, 16, 1
	v_cmp_o_f32_e32 vcc_lo, v0, v0
	v_mov_b32_e32 v4, 0x7fc0
	s_mov_b32 s19, -1
	s_mov_b32 s0, 0
	v_add3_u32 v1, v0, v1, 0x7fff
	v_cndmask_b32_sdwa v1, v4, v1, vcc_lo dst_sel:DWORD dst_unused:UNUSED_PAD src0_sel:DWORD src1_sel:WORD_1
	global_store_short v[2:3], v1, off
.LBB18_403:
	s_mov_b32 s20, 0
.LBB18_404:
	s_and_b32 vcc_lo, exec_lo, s20
	s_cbranch_vccz .LBB18_407
; %bb.405:
	s_cmp_eq_u32 s17, 11
	s_mov_b32 s0, -1
	s_cbranch_scc0 .LBB18_407
; %bb.406:
	v_cmp_neq_f32_e32 vcc_lo, 0, v0
	s_mov_b32 s0, 0
	s_mov_b32 s19, -1
	v_cndmask_b32_e64 v1, 0, 1, vcc_lo
	global_store_byte v[2:3], v1, off
.LBB18_407:
	s_mov_b32 s17, 0
.LBB18_408:
	s_and_b32 vcc_lo, exec_lo, s17
	s_cbranch_vccz .LBB18_447
; %bb.409:
	s_and_b32 s1, 0xffff, s1
	s_mov_b32 s17, -1
	s_cmp_lt_i32 s1, 5
	s_cbranch_scc1 .LBB18_430
; %bb.410:
	s_cmp_lt_i32 s1, 8
	s_cbranch_scc1 .LBB18_420
; %bb.411:
	;; [unrolled: 3-line block ×3, first 2 shown]
	s_cmp_gt_i32 s1, 9
	s_cbranch_scc0 .LBB18_414
; %bb.413:
	v_cvt_f64_f32_e32 v[4:5], v0
	v_mov_b32_e32 v6, 0
	s_mov_b32 s17, 0
	v_mov_b32_e32 v7, v6
	global_store_dwordx4 v[2:3], v[4:7], off
.LBB18_414:
	s_andn2_b32 vcc_lo, exec_lo, s17
	s_cbranch_vccnz .LBB18_416
; %bb.415:
	v_mov_b32_e32 v1, 0
	global_store_dwordx2 v[2:3], v[0:1], off
.LBB18_416:
	s_mov_b32 s17, 0
.LBB18_417:
	s_andn2_b32 vcc_lo, exec_lo, s17
	s_cbranch_vccnz .LBB18_419
; %bb.418:
	v_cvt_f16_f32_e32 v1, v0
	v_and_b32_e32 v1, 0xffff, v1
	global_store_dword v[2:3], v1, off
.LBB18_419:
	s_mov_b32 s17, 0
.LBB18_420:
	s_andn2_b32 vcc_lo, exec_lo, s17
	s_cbranch_vccnz .LBB18_429
; %bb.421:
	s_cmp_lt_i32 s1, 6
	s_mov_b32 s17, -1
	s_cbranch_scc1 .LBB18_427
; %bb.422:
	s_cmp_gt_i32 s1, 6
	s_cbranch_scc0 .LBB18_424
; %bb.423:
	v_cvt_f64_f32_e32 v[4:5], v0
	s_mov_b32 s17, 0
	global_store_dwordx2 v[2:3], v[4:5], off
.LBB18_424:
	s_andn2_b32 vcc_lo, exec_lo, s17
	s_cbranch_vccnz .LBB18_426
; %bb.425:
	global_store_dword v[2:3], v0, off
.LBB18_426:
	s_mov_b32 s17, 0
.LBB18_427:
	s_andn2_b32 vcc_lo, exec_lo, s17
	s_cbranch_vccnz .LBB18_429
; %bb.428:
	v_cvt_f16_f32_e32 v1, v0
	global_store_short v[2:3], v1, off
.LBB18_429:
	s_mov_b32 s17, 0
.LBB18_430:
	s_andn2_b32 vcc_lo, exec_lo, s17
	s_cbranch_vccnz .LBB18_446
; %bb.431:
	s_cmp_lt_i32 s1, 2
	s_mov_b32 s17, -1
	s_cbranch_scc1 .LBB18_441
; %bb.432:
	s_cmp_lt_i32 s1, 3
	s_cbranch_scc1 .LBB18_438
; %bb.433:
	s_cmp_gt_i32 s1, 3
	s_cbranch_scc0 .LBB18_435
; %bb.434:
	v_trunc_f32_e32 v1, v0
	s_mov_b32 s17, 0
	v_mul_f32_e64 v4, 0x2f800000, |v1|
	v_floor_f32_e32 v4, v4
	v_fma_f32 v5, 0xcf800000, v4, |v1|
	v_ashrrev_i32_e32 v1, 31, v1
	v_cvt_u32_f32_e32 v4, v4
	v_cvt_u32_f32_e32 v5, v5
	v_xor_b32_e32 v6, v4, v1
	v_xor_b32_e32 v5, v5, v1
	v_sub_co_u32 v4, vcc_lo, v5, v1
	v_sub_co_ci_u32_e64 v5, null, v6, v1, vcc_lo
	global_store_dwordx2 v[2:3], v[4:5], off
.LBB18_435:
	s_andn2_b32 vcc_lo, exec_lo, s17
	s_cbranch_vccnz .LBB18_437
; %bb.436:
	v_cvt_i32_f32_e32 v1, v0
	global_store_dword v[2:3], v1, off
.LBB18_437:
	s_mov_b32 s17, 0
.LBB18_438:
	s_andn2_b32 vcc_lo, exec_lo, s17
	s_cbranch_vccnz .LBB18_440
; %bb.439:
	v_cvt_i32_f32_e32 v1, v0
	global_store_short v[2:3], v1, off
.LBB18_440:
	s_mov_b32 s17, 0
.LBB18_441:
	s_andn2_b32 vcc_lo, exec_lo, s17
	s_cbranch_vccnz .LBB18_446
; %bb.442:
	s_cmp_gt_i32 s1, 0
	s_mov_b32 s1, -1
	s_cbranch_scc0 .LBB18_444
; %bb.443:
	v_cvt_i32_f32_e32 v1, v0
	s_mov_b32 s1, 0
	global_store_byte v[2:3], v1, off
.LBB18_444:
	s_andn2_b32 vcc_lo, exec_lo, s1
	s_cbranch_vccnz .LBB18_446
; %bb.445:
	v_trunc_f32_e32 v0, v0
	v_mul_f32_e64 v1, 0x2f800000, |v0|
	v_floor_f32_e32 v1, v1
	v_fma_f32 v1, 0xcf800000, v1, |v0|
	v_ashrrev_i32_e32 v0, 31, v0
	v_cvt_u32_f32_e32 v1, v1
	v_xor_b32_e32 v1, v1, v0
	v_sub_nc_u32_e32 v0, v1, v0
	global_store_byte v[2:3], v0, off
.LBB18_446:
	s_mov_b32 s19, -1
.LBB18_447:
	s_andn2_b32 vcc_lo, exec_lo, s19
	s_cbranch_vccnz .LBB18_449
; %bb.448:
	v_add_nc_u32_e32 v11, 0x80, v11
	s_mov_b32 s1, -1
	s_branch .LBB18_562
.LBB18_449:
	s_mov_b32 s1, 0
	s_branch .LBB18_561
.LBB18_450:
	s_mov_b32 s16, -1
                                        ; implicit-def: $vgpr6
.LBB18_451:
	s_mov_b32 s17, 0
.LBB18_452:
	s_and_b32 vcc_lo, exec_lo, s17
	s_cbranch_vccz .LBB18_456
; %bb.453:
	s_cmp_eq_u32 s0, 29
	s_cbranch_scc0 .LBB18_455
; %bb.454:
	global_load_dwordx2 v[2:3], v[0:1], off
	s_mov_b32 s1, -1
	s_mov_b32 s16, 0
	s_mov_b32 s17, 0
	s_waitcnt vmcnt(0)
	v_ffbh_u32_e32 v4, v3
	v_min_u32_e32 v4, 32, v4
	v_lshlrev_b64 v[2:3], v4, v[2:3]
	v_min_u32_e32 v2, 1, v2
	v_or_b32_e32 v2, v3, v2
	v_sub_nc_u32_e32 v3, 32, v4
	v_cvt_f32_u32_e32 v2, v2
	v_ldexp_f32 v6, v2, v3
	s_branch .LBB18_457
.LBB18_455:
	s_mov_b32 s16, -1
                                        ; implicit-def: $vgpr6
.LBB18_456:
	s_mov_b32 s17, 0
.LBB18_457:
	s_and_b32 vcc_lo, exec_lo, s17
	s_cbranch_vccz .LBB18_475
; %bb.458:
	s_cmp_lt_i32 s0, 27
	s_cbranch_scc1 .LBB18_461
; %bb.459:
	s_cmp_gt_i32 s0, 27
	s_cbranch_scc0 .LBB18_462
; %bb.460:
	global_load_dword v2, v[0:1], off
	s_mov_b32 s1, 0
	s_waitcnt vmcnt(0)
	v_cvt_f32_u32_e32 v6, v2
	s_branch .LBB18_463
.LBB18_461:
	s_mov_b32 s1, -1
                                        ; implicit-def: $vgpr6
	s_branch .LBB18_466
.LBB18_462:
	s_mov_b32 s1, -1
                                        ; implicit-def: $vgpr6
.LBB18_463:
	s_andn2_b32 vcc_lo, exec_lo, s1
	s_cbranch_vccnz .LBB18_465
; %bb.464:
	global_load_ushort v2, v[0:1], off
	s_waitcnt vmcnt(0)
	v_cvt_f32_u32_e32 v6, v2
.LBB18_465:
	s_mov_b32 s1, 0
.LBB18_466:
	s_andn2_b32 vcc_lo, exec_lo, s1
	s_cbranch_vccnz .LBB18_474
; %bb.467:
	global_load_ubyte v2, v[0:1], off
	s_mov_b32 s1, 0
	s_mov_b32 s17, exec_lo
	s_waitcnt vmcnt(0)
	v_cmpx_lt_i16_e32 0x7f, v2
	s_xor_b32 s17, exec_lo, s17
	s_cbranch_execz .LBB18_488
; %bb.468:
	s_mov_b32 s1, -1
	s_mov_b32 s19, exec_lo
	v_cmpx_eq_u16_e32 0x80, v2
; %bb.469:
	s_xor_b32 s1, exec_lo, -1
; %bb.470:
	s_or_b32 exec_lo, exec_lo, s19
	s_and_b32 s1, s1, exec_lo
	s_or_saveexec_b32 s17, s17
	v_mov_b32_e32 v6, 0x7f800001
	s_xor_b32 exec_lo, exec_lo, s17
	s_cbranch_execnz .LBB18_489
.LBB18_471:
	s_or_b32 exec_lo, exec_lo, s17
	s_and_saveexec_b32 s17, s1
	s_cbranch_execz .LBB18_473
.LBB18_472:
	v_and_b32_e32 v3, 0xffff, v2
	v_lshlrev_b32_e32 v2, 24, v2
	v_and_b32_e32 v4, 7, v3
	v_bfe_u32 v7, v3, 3, 4
	v_and_b32_e32 v2, 0x80000000, v2
	v_ffbh_u32_e32 v5, v4
	v_cmp_eq_u32_e32 vcc_lo, 0, v7
	v_min_u32_e32 v5, 32, v5
	v_subrev_nc_u32_e32 v6, 28, v5
	v_sub_nc_u32_e32 v5, 29, v5
	v_lshlrev_b32_e32 v3, v6, v3
	v_cndmask_b32_e32 v5, v7, v5, vcc_lo
	v_and_b32_e32 v3, 7, v3
	v_cndmask_b32_e32 v3, v4, v3, vcc_lo
	v_lshl_add_u32 v4, v5, 23, 0x3b800000
	v_lshlrev_b32_e32 v3, 20, v3
	v_or3_b32 v6, v2, v4, v3
.LBB18_473:
	s_or_b32 exec_lo, exec_lo, s17
.LBB18_474:
	s_mov_b32 s1, -1
.LBB18_475:
	s_mov_b32 s17, 0
.LBB18_476:
	s_and_b32 vcc_lo, exec_lo, s17
	s_cbranch_vccz .LBB18_511
; %bb.477:
	s_cmp_gt_i32 s0, 22
	s_cbranch_scc0 .LBB18_487
; %bb.478:
	s_cmp_lt_i32 s0, 24
	s_cbranch_scc1 .LBB18_490
; %bb.479:
	s_cmp_gt_i32 s0, 24
	s_cbranch_scc0 .LBB18_491
; %bb.480:
	global_load_ubyte v2, v[0:1], off
	s_mov_b32 s1, 0
	s_mov_b32 s17, exec_lo
	s_waitcnt vmcnt(0)
	v_cmpx_lt_i16_e32 0x7f, v2
	s_xor_b32 s17, exec_lo, s17
	s_cbranch_execz .LBB18_503
; %bb.481:
	s_mov_b32 s1, -1
	s_mov_b32 s19, exec_lo
	v_cmpx_eq_u16_e32 0x80, v2
; %bb.482:
	s_xor_b32 s1, exec_lo, -1
; %bb.483:
	s_or_b32 exec_lo, exec_lo, s19
	s_and_b32 s1, s1, exec_lo
	s_or_saveexec_b32 s17, s17
	v_mov_b32_e32 v6, 0x7f800001
	s_xor_b32 exec_lo, exec_lo, s17
	s_cbranch_execnz .LBB18_504
.LBB18_484:
	s_or_b32 exec_lo, exec_lo, s17
	s_and_saveexec_b32 s17, s1
	s_cbranch_execz .LBB18_486
.LBB18_485:
	v_and_b32_e32 v3, 0xffff, v2
	v_lshlrev_b32_e32 v2, 24, v2
	v_and_b32_e32 v4, 3, v3
	v_bfe_u32 v7, v3, 2, 5
	v_and_b32_e32 v2, 0x80000000, v2
	v_ffbh_u32_e32 v5, v4
	v_cmp_eq_u32_e32 vcc_lo, 0, v7
	v_min_u32_e32 v5, 32, v5
	v_subrev_nc_u32_e32 v6, 29, v5
	v_sub_nc_u32_e32 v5, 30, v5
	v_lshlrev_b32_e32 v3, v6, v3
	v_cndmask_b32_e32 v5, v7, v5, vcc_lo
	v_and_b32_e32 v3, 3, v3
	v_cndmask_b32_e32 v3, v4, v3, vcc_lo
	v_lshl_add_u32 v4, v5, 23, 0x37800000
	v_lshlrev_b32_e32 v3, 21, v3
	v_or3_b32 v6, v2, v4, v3
.LBB18_486:
	s_or_b32 exec_lo, exec_lo, s17
	s_mov_b32 s1, 0
	s_branch .LBB18_492
.LBB18_487:
	s_mov_b32 s17, -1
                                        ; implicit-def: $vgpr6
	s_branch .LBB18_498
.LBB18_488:
	s_or_saveexec_b32 s17, s17
	v_mov_b32_e32 v6, 0x7f800001
	s_xor_b32 exec_lo, exec_lo, s17
	s_cbranch_execz .LBB18_471
.LBB18_489:
	v_cmp_ne_u16_e32 vcc_lo, 0, v2
	v_mov_b32_e32 v6, 0
	s_andn2_b32 s1, s1, exec_lo
	s_and_b32 s19, vcc_lo, exec_lo
	s_or_b32 s1, s1, s19
	s_or_b32 exec_lo, exec_lo, s17
	s_and_saveexec_b32 s17, s1
	s_cbranch_execnz .LBB18_472
	s_branch .LBB18_473
.LBB18_490:
	s_mov_b32 s1, -1
                                        ; implicit-def: $vgpr6
	s_branch .LBB18_495
.LBB18_491:
	s_mov_b32 s1, -1
                                        ; implicit-def: $vgpr6
.LBB18_492:
	s_and_b32 vcc_lo, exec_lo, s1
	s_cbranch_vccz .LBB18_494
; %bb.493:
	global_load_ubyte v2, v[0:1], off
	s_waitcnt vmcnt(0)
	v_lshlrev_b32_e32 v2, 24, v2
	v_and_b32_e32 v3, 0x7f000000, v2
	v_ffbh_u32_e32 v4, v3
	v_add_nc_u32_e32 v6, 0x1000000, v3
	v_cmp_ne_u32_e32 vcc_lo, 0, v3
	v_min_u32_e32 v4, 32, v4
	v_sub_nc_u32_e64 v4, v4, 4 clamp
	v_lshlrev_b32_e32 v5, v4, v3
	v_lshlrev_b32_e32 v4, 23, v4
	v_lshrrev_b32_e32 v5, 4, v5
	v_sub_nc_u32_e32 v4, v5, v4
	v_ashrrev_i32_e32 v5, 8, v6
	v_add_nc_u32_e32 v4, 0x3c000000, v4
	v_and_or_b32 v4, 0x7f800000, v5, v4
	v_cndmask_b32_e32 v3, 0, v4, vcc_lo
	v_and_or_b32 v6, 0x80000000, v2, v3
.LBB18_494:
	s_mov_b32 s1, 0
.LBB18_495:
	s_andn2_b32 vcc_lo, exec_lo, s1
	s_cbranch_vccnz .LBB18_497
; %bb.496:
	global_load_ubyte v2, v[0:1], off
	s_waitcnt vmcnt(0)
	v_lshlrev_b32_e32 v3, 25, v2
	v_lshlrev_b16 v2, 8, v2
	v_lshrrev_b32_e32 v4, 4, v3
	v_and_or_b32 v5, 0x7f00, v2, 0.5
	v_cmp_gt_u32_e32 vcc_lo, 0x8000000, v3
	v_bfe_i32 v2, v2, 0, 16
	v_or_b32_e32 v4, 0x70000000, v4
	v_add_f32_e32 v5, -0.5, v5
	v_mul_f32_e32 v4, 0x7800000, v4
	v_cndmask_b32_e32 v3, v4, v5, vcc_lo
	v_and_or_b32 v6, 0x80000000, v2, v3
.LBB18_497:
	s_mov_b32 s17, 0
	s_mov_b32 s1, -1
.LBB18_498:
	s_andn2_b32 vcc_lo, exec_lo, s17
	s_cbranch_vccnz .LBB18_511
; %bb.499:
	s_cmp_gt_i32 s0, 14
	s_cbranch_scc0 .LBB18_502
; %bb.500:
	s_cmp_eq_u32 s0, 15
	s_cbranch_scc0 .LBB18_505
; %bb.501:
	global_load_ushort v2, v[0:1], off
	s_mov_b32 s1, -1
	s_mov_b32 s16, 0
	s_waitcnt vmcnt(0)
	v_lshlrev_b32_e32 v6, 16, v2
	s_branch .LBB18_506
.LBB18_502:
	s_mov_b32 s17, -1
                                        ; implicit-def: $vgpr6
	s_branch .LBB18_507
.LBB18_503:
	s_or_saveexec_b32 s17, s17
	v_mov_b32_e32 v6, 0x7f800001
	s_xor_b32 exec_lo, exec_lo, s17
	s_cbranch_execz .LBB18_484
.LBB18_504:
	v_cmp_ne_u16_e32 vcc_lo, 0, v2
	v_mov_b32_e32 v6, 0
	s_andn2_b32 s1, s1, exec_lo
	s_and_b32 s19, vcc_lo, exec_lo
	s_or_b32 s1, s1, s19
	s_or_b32 exec_lo, exec_lo, s17
	s_and_saveexec_b32 s17, s1
	s_cbranch_execnz .LBB18_485
	s_branch .LBB18_486
.LBB18_505:
	s_mov_b32 s16, -1
                                        ; implicit-def: $vgpr6
.LBB18_506:
	s_mov_b32 s17, 0
.LBB18_507:
	s_and_b32 vcc_lo, exec_lo, s17
	s_cbranch_vccz .LBB18_511
; %bb.508:
	s_cmp_eq_u32 s0, 11
	s_cbranch_scc0 .LBB18_510
; %bb.509:
	global_load_ubyte v2, v[0:1], off
	s_mov_b32 s16, 0
	s_mov_b32 s1, -1
	s_waitcnt vmcnt(0)
	v_cmp_ne_u16_e32 vcc_lo, 0, v2
	v_cndmask_b32_e64 v6, 0, 1.0, vcc_lo
	s_branch .LBB18_511
.LBB18_510:
	s_mov_b32 s16, -1
                                        ; implicit-def: $vgpr6
.LBB18_511:
	s_branch .LBB18_289
.LBB18_512:
	s_cmp_lt_i32 s0, 5
	s_cbranch_scc1 .LBB18_517
; %bb.513:
	s_cmp_lt_i32 s0, 8
	s_cbranch_scc1 .LBB18_518
; %bb.514:
	;; [unrolled: 3-line block ×3, first 2 shown]
	s_cmp_gt_i32 s0, 9
	s_cbranch_scc0 .LBB18_520
; %bb.516:
	global_load_dwordx2 v[2:3], v[0:1], off
	s_mov_b32 s1, 0
	s_waitcnt vmcnt(0)
	v_cvt_f32_f64_e32 v6, v[2:3]
	s_branch .LBB18_521
.LBB18_517:
	s_mov_b32 s1, -1
                                        ; implicit-def: $vgpr6
	s_branch .LBB18_539
.LBB18_518:
	s_mov_b32 s1, -1
                                        ; implicit-def: $vgpr6
	s_branch .LBB18_527
.LBB18_519:
	s_mov_b32 s1, -1
                                        ; implicit-def: $vgpr6
	s_branch .LBB18_524
.LBB18_520:
	s_mov_b32 s1, -1
                                        ; implicit-def: $vgpr6
.LBB18_521:
	s_andn2_b32 vcc_lo, exec_lo, s1
	s_cbranch_vccnz .LBB18_523
; %bb.522:
	global_load_dword v6, v[0:1], off
.LBB18_523:
	s_mov_b32 s1, 0
.LBB18_524:
	s_andn2_b32 vcc_lo, exec_lo, s1
	s_cbranch_vccnz .LBB18_526
; %bb.525:
	global_load_dword v2, v[0:1], off
	s_waitcnt vmcnt(0)
	v_cvt_f32_f16_e32 v6, v2
.LBB18_526:
	s_mov_b32 s1, 0
.LBB18_527:
	s_andn2_b32 vcc_lo, exec_lo, s1
	s_cbranch_vccnz .LBB18_538
; %bb.528:
	s_cmp_lt_i32 s0, 6
	s_cbranch_scc1 .LBB18_531
; %bb.529:
	s_cmp_gt_i32 s0, 6
	s_cbranch_scc0 .LBB18_532
; %bb.530:
	global_load_dwordx2 v[2:3], v[0:1], off
	s_mov_b32 s1, 0
	s_waitcnt vmcnt(0)
	v_cvt_f32_f64_e32 v6, v[2:3]
	s_branch .LBB18_533
.LBB18_531:
	s_mov_b32 s1, -1
                                        ; implicit-def: $vgpr6
	s_branch .LBB18_536
.LBB18_532:
	s_mov_b32 s1, -1
                                        ; implicit-def: $vgpr6
.LBB18_533:
	s_andn2_b32 vcc_lo, exec_lo, s1
	s_cbranch_vccnz .LBB18_535
; %bb.534:
	global_load_dword v6, v[0:1], off
.LBB18_535:
	s_mov_b32 s1, 0
.LBB18_536:
	s_andn2_b32 vcc_lo, exec_lo, s1
	s_cbranch_vccnz .LBB18_538
; %bb.537:
	global_load_ushort v2, v[0:1], off
	s_waitcnt vmcnt(0)
	v_cvt_f32_f16_e32 v6, v2
.LBB18_538:
	s_mov_b32 s1, 0
.LBB18_539:
	s_andn2_b32 vcc_lo, exec_lo, s1
	s_cbranch_vccnz .LBB18_559
; %bb.540:
	s_cmp_lt_i32 s0, 2
	s_cbranch_scc1 .LBB18_544
; %bb.541:
	s_cmp_lt_i32 s0, 3
	s_cbranch_scc1 .LBB18_545
; %bb.542:
	s_cmp_gt_i32 s0, 3
	s_cbranch_scc0 .LBB18_546
; %bb.543:
	global_load_dwordx2 v[2:3], v[0:1], off
	s_mov_b32 s1, 0
	s_waitcnt vmcnt(0)
	v_xor_b32_e32 v4, v2, v3
	v_ffbh_i32_e32 v5, v3
	v_ashrrev_i32_e32 v4, 31, v4
	v_add_nc_u32_e32 v5, -1, v5
	v_add_nc_u32_e32 v4, 32, v4
	v_min_u32_e32 v4, v5, v4
	v_lshlrev_b64 v[2:3], v4, v[2:3]
	v_min_u32_e32 v2, 1, v2
	v_or_b32_e32 v2, v3, v2
	v_sub_nc_u32_e32 v3, 32, v4
	v_cvt_f32_i32_e32 v2, v2
	v_ldexp_f32 v6, v2, v3
	s_branch .LBB18_547
.LBB18_544:
	s_mov_b32 s1, -1
                                        ; implicit-def: $vgpr6
	s_branch .LBB18_553
.LBB18_545:
	s_mov_b32 s1, -1
                                        ; implicit-def: $vgpr6
	s_branch .LBB18_550
.LBB18_546:
	s_mov_b32 s1, -1
                                        ; implicit-def: $vgpr6
.LBB18_547:
	s_andn2_b32 vcc_lo, exec_lo, s1
	s_cbranch_vccnz .LBB18_549
; %bb.548:
	global_load_dword v2, v[0:1], off
	s_waitcnt vmcnt(0)
	v_cvt_f32_i32_e32 v6, v2
.LBB18_549:
	s_mov_b32 s1, 0
.LBB18_550:
	s_andn2_b32 vcc_lo, exec_lo, s1
	s_cbranch_vccnz .LBB18_552
; %bb.551:
	global_load_sshort v2, v[0:1], off
	s_waitcnt vmcnt(0)
	v_cvt_f32_i32_e32 v6, v2
.LBB18_552:
	s_mov_b32 s1, 0
.LBB18_553:
	s_andn2_b32 vcc_lo, exec_lo, s1
	s_cbranch_vccnz .LBB18_559
; %bb.554:
	s_cmp_gt_i32 s0, 0
	s_mov_b32 s0, 0
	s_cbranch_scc0 .LBB18_556
; %bb.555:
	global_load_sbyte v2, v[0:1], off
	s_waitcnt vmcnt(0)
	v_cvt_f32_i32_e32 v6, v2
	s_branch .LBB18_557
.LBB18_556:
	s_mov_b32 s0, -1
                                        ; implicit-def: $vgpr6
.LBB18_557:
	s_andn2_b32 vcc_lo, exec_lo, s0
	s_cbranch_vccnz .LBB18_559
; %bb.558:
	global_load_ubyte v0, v[0:1], off
	s_waitcnt vmcnt(0)
	v_cvt_f32_ubyte0_e32 v6, v0
.LBB18_559:
	s_branch .LBB18_290
.LBB18_560:
	s_mov_b32 s1, 0
	s_mov_b32 s0, s12
.LBB18_561:
                                        ; implicit-def: $vgpr11
.LBB18_562:
	s_andn2_b32 s17, s12, exec_lo
	s_and_b32 s0, s0, exec_lo
	s_andn2_b32 s19, s14, exec_lo
	s_and_b32 s16, s16, exec_lo
	s_or_b32 s17, s17, s0
	s_or_b32 s16, s19, s16
	s_orn2_b32 s0, s1, exec_lo
.LBB18_563:
	s_or_b32 exec_lo, exec_lo, s18
	s_mov_b32 s1, 0
	s_mov_b32 s19, 0
	;; [unrolled: 1-line block ×3, first 2 shown]
                                        ; implicit-def: $vgpr0_vgpr1
                                        ; implicit-def: $vgpr6
	s_and_saveexec_b32 s18, s0
	s_cbranch_execz .LBB18_934
; %bb.564:
	s_mov_b32 s20, -1
	s_mov_b32 s0, s16
	s_mov_b32 s1, s17
	s_mov_b32 s19, exec_lo
	v_cmpx_gt_i32_e64 s13, v11
	s_cbranch_execz .LBB18_848
; %bb.565:
	v_mul_lo_u32 v0, v11, s3
	s_and_b32 s0, 0xffff, s6
	s_cmp_lt_i32 s0, 11
	v_ashrrev_i32_e32 v1, 31, v0
	v_add_co_u32 v0, vcc_lo, s10, v0
	v_add_co_ci_u32_e64 v1, null, s11, v1, vcc_lo
	s_cbranch_scc1 .LBB18_572
; %bb.566:
	s_cmp_gt_i32 s0, 25
	s_cbranch_scc0 .LBB18_573
; %bb.567:
	s_cmp_gt_i32 s0, 28
	s_cbranch_scc0 .LBB18_574
	;; [unrolled: 3-line block ×4, first 2 shown]
; %bb.570:
	s_cmp_eq_u32 s0, 46
	s_mov_b32 s21, 0
	s_cbranch_scc0 .LBB18_581
; %bb.571:
	global_load_dword v2, v[0:1], off
	s_mov_b32 s1, -1
	s_mov_b32 s20, 0
	s_waitcnt vmcnt(0)
	v_lshlrev_b32_e32 v6, 16, v2
	s_branch .LBB18_583
.LBB18_572:
	s_mov_b32 s21, -1
	s_mov_b32 s1, 0
	s_mov_b32 s20, s16
                                        ; implicit-def: $vgpr6
	s_branch .LBB18_648
.LBB18_573:
	s_mov_b32 s21, -1
	s_mov_b32 s1, 0
	s_mov_b32 s20, s16
                                        ; implicit-def: $vgpr6
	s_branch .LBB18_612
.LBB18_574:
	s_mov_b32 s21, -1
	s_mov_b32 s1, 0
	s_mov_b32 s20, s16
                                        ; implicit-def: $vgpr6
	s_branch .LBB18_593
.LBB18_575:
	s_mov_b32 s21, -1
	s_mov_b32 s1, 0
	s_mov_b32 s20, s16
                                        ; implicit-def: $vgpr6
	s_branch .LBB18_588
.LBB18_576:
	s_andn2_saveexec_b32 s21, s21
	s_cbranch_execz .LBB18_360
.LBB18_577:
	v_add_f32_e64 v1, 0x46000000, |v0|
	s_andn2_b32 s20, s20, exec_lo
	v_and_b32_e32 v1, 0xff, v1
	v_cmp_ne_u32_e32 vcc_lo, 0, v1
	s_and_b32 s22, vcc_lo, exec_lo
	s_or_b32 s20, s20, s22
	s_or_b32 exec_lo, exec_lo, s21
	v_mov_b32_e32 v4, 0
	s_and_saveexec_b32 s21, s20
	s_cbranch_execnz .LBB18_361
	s_branch .LBB18_362
.LBB18_578:
	s_mov_b32 s21, -1
	s_mov_b32 s1, 0
	s_mov_b32 s20, s16
	s_branch .LBB18_582
.LBB18_579:
	s_andn2_saveexec_b32 s21, s21
	s_cbranch_execz .LBB18_373
.LBB18_580:
	v_add_f32_e64 v1, 0x42800000, |v0|
	s_andn2_b32 s20, s20, exec_lo
	v_and_b32_e32 v1, 0xff, v1
	v_cmp_ne_u32_e32 vcc_lo, 0, v1
	s_and_b32 s22, vcc_lo, exec_lo
	s_or_b32 s20, s20, s22
	s_or_b32 exec_lo, exec_lo, s21
	v_mov_b32_e32 v4, 0
	s_and_saveexec_b32 s21, s20
	s_cbranch_execnz .LBB18_374
	s_branch .LBB18_375
.LBB18_581:
	s_mov_b32 s1, 0
.LBB18_582:
                                        ; implicit-def: $vgpr6
.LBB18_583:
	s_and_b32 vcc_lo, exec_lo, s21
	s_cbranch_vccz .LBB18_587
; %bb.584:
	s_cmp_eq_u32 s0, 44
	s_cbranch_scc0 .LBB18_586
; %bb.585:
	global_load_ubyte v2, v[0:1], off
	s_mov_b32 s20, 0
	s_mov_b32 s1, -1
	s_waitcnt vmcnt(0)
	v_lshlrev_b32_e32 v3, 23, v2
	v_cmp_ne_u32_e32 vcc_lo, 0xff, v2
	v_cndmask_b32_e32 v3, 0x7f800001, v3, vcc_lo
	v_cmp_ne_u32_e32 vcc_lo, 0, v2
	v_cndmask_b32_e32 v6, 0x400000, v3, vcc_lo
	s_branch .LBB18_587
.LBB18_586:
	s_mov_b32 s20, -1
                                        ; implicit-def: $vgpr6
.LBB18_587:
	s_mov_b32 s21, 0
.LBB18_588:
	s_and_b32 vcc_lo, exec_lo, s21
	s_cbranch_vccz .LBB18_592
; %bb.589:
	s_cmp_eq_u32 s0, 29
	s_cbranch_scc0 .LBB18_591
; %bb.590:
	global_load_dwordx2 v[2:3], v[0:1], off
	s_mov_b32 s1, -1
	s_mov_b32 s20, 0
	s_mov_b32 s21, 0
	s_waitcnt vmcnt(0)
	v_ffbh_u32_e32 v4, v3
	v_min_u32_e32 v4, 32, v4
	v_lshlrev_b64 v[2:3], v4, v[2:3]
	v_min_u32_e32 v2, 1, v2
	v_or_b32_e32 v2, v3, v2
	v_sub_nc_u32_e32 v3, 32, v4
	v_cvt_f32_u32_e32 v2, v2
	v_ldexp_f32 v6, v2, v3
	s_branch .LBB18_593
.LBB18_591:
	s_mov_b32 s20, -1
                                        ; implicit-def: $vgpr6
.LBB18_592:
	s_mov_b32 s21, 0
.LBB18_593:
	s_and_b32 vcc_lo, exec_lo, s21
	s_cbranch_vccz .LBB18_611
; %bb.594:
	s_cmp_lt_i32 s0, 27
	s_cbranch_scc1 .LBB18_597
; %bb.595:
	s_cmp_gt_i32 s0, 27
	s_cbranch_scc0 .LBB18_598
; %bb.596:
	global_load_dword v2, v[0:1], off
	s_mov_b32 s1, 0
	s_waitcnt vmcnt(0)
	v_cvt_f32_u32_e32 v6, v2
	s_branch .LBB18_599
.LBB18_597:
	s_mov_b32 s1, -1
                                        ; implicit-def: $vgpr6
	s_branch .LBB18_602
.LBB18_598:
	s_mov_b32 s1, -1
                                        ; implicit-def: $vgpr6
.LBB18_599:
	s_andn2_b32 vcc_lo, exec_lo, s1
	s_cbranch_vccnz .LBB18_601
; %bb.600:
	global_load_ushort v2, v[0:1], off
	s_waitcnt vmcnt(0)
	v_cvt_f32_u32_e32 v6, v2
.LBB18_601:
	s_mov_b32 s1, 0
.LBB18_602:
	s_andn2_b32 vcc_lo, exec_lo, s1
	s_cbranch_vccnz .LBB18_610
; %bb.603:
	global_load_ubyte v2, v[0:1], off
	s_mov_b32 s1, 0
	s_mov_b32 s21, exec_lo
	s_waitcnt vmcnt(0)
	v_cmpx_lt_i16_e32 0x7f, v2
	s_xor_b32 s21, exec_lo, s21
	s_cbranch_execz .LBB18_624
; %bb.604:
	s_mov_b32 s1, -1
	s_mov_b32 s22, exec_lo
	v_cmpx_eq_u16_e32 0x80, v2
; %bb.605:
	s_xor_b32 s1, exec_lo, -1
; %bb.606:
	s_or_b32 exec_lo, exec_lo, s22
	s_and_b32 s1, s1, exec_lo
	s_or_saveexec_b32 s21, s21
	v_mov_b32_e32 v6, 0x7f800001
	s_xor_b32 exec_lo, exec_lo, s21
	s_cbranch_execnz .LBB18_625
.LBB18_607:
	s_or_b32 exec_lo, exec_lo, s21
	s_and_saveexec_b32 s21, s1
	s_cbranch_execz .LBB18_609
.LBB18_608:
	v_and_b32_e32 v3, 0xffff, v2
	v_lshlrev_b32_e32 v2, 24, v2
	v_and_b32_e32 v4, 7, v3
	v_bfe_u32 v7, v3, 3, 4
	v_and_b32_e32 v2, 0x80000000, v2
	v_ffbh_u32_e32 v5, v4
	v_cmp_eq_u32_e32 vcc_lo, 0, v7
	v_min_u32_e32 v5, 32, v5
	v_subrev_nc_u32_e32 v6, 28, v5
	v_sub_nc_u32_e32 v5, 29, v5
	v_lshlrev_b32_e32 v3, v6, v3
	v_cndmask_b32_e32 v5, v7, v5, vcc_lo
	v_and_b32_e32 v3, 7, v3
	v_cndmask_b32_e32 v3, v4, v3, vcc_lo
	v_lshl_add_u32 v4, v5, 23, 0x3b800000
	v_lshlrev_b32_e32 v3, 20, v3
	v_or3_b32 v6, v2, v4, v3
.LBB18_609:
	s_or_b32 exec_lo, exec_lo, s21
.LBB18_610:
	s_mov_b32 s1, -1
.LBB18_611:
	s_mov_b32 s21, 0
.LBB18_612:
	s_and_b32 vcc_lo, exec_lo, s21
	s_cbranch_vccz .LBB18_647
; %bb.613:
	s_cmp_gt_i32 s0, 22
	s_cbranch_scc0 .LBB18_623
; %bb.614:
	s_cmp_lt_i32 s0, 24
	s_cbranch_scc1 .LBB18_626
; %bb.615:
	s_cmp_gt_i32 s0, 24
	s_cbranch_scc0 .LBB18_627
; %bb.616:
	global_load_ubyte v2, v[0:1], off
	s_mov_b32 s1, 0
	s_mov_b32 s21, exec_lo
	s_waitcnt vmcnt(0)
	v_cmpx_lt_i16_e32 0x7f, v2
	s_xor_b32 s21, exec_lo, s21
	s_cbranch_execz .LBB18_639
; %bb.617:
	s_mov_b32 s1, -1
	s_mov_b32 s22, exec_lo
	v_cmpx_eq_u16_e32 0x80, v2
; %bb.618:
	s_xor_b32 s1, exec_lo, -1
; %bb.619:
	s_or_b32 exec_lo, exec_lo, s22
	s_and_b32 s1, s1, exec_lo
	s_or_saveexec_b32 s21, s21
	v_mov_b32_e32 v6, 0x7f800001
	s_xor_b32 exec_lo, exec_lo, s21
	s_cbranch_execnz .LBB18_640
.LBB18_620:
	s_or_b32 exec_lo, exec_lo, s21
	s_and_saveexec_b32 s21, s1
	s_cbranch_execz .LBB18_622
.LBB18_621:
	v_and_b32_e32 v3, 0xffff, v2
	v_lshlrev_b32_e32 v2, 24, v2
	v_and_b32_e32 v4, 3, v3
	v_bfe_u32 v7, v3, 2, 5
	v_and_b32_e32 v2, 0x80000000, v2
	v_ffbh_u32_e32 v5, v4
	v_cmp_eq_u32_e32 vcc_lo, 0, v7
	v_min_u32_e32 v5, 32, v5
	v_subrev_nc_u32_e32 v6, 29, v5
	v_sub_nc_u32_e32 v5, 30, v5
	v_lshlrev_b32_e32 v3, v6, v3
	v_cndmask_b32_e32 v5, v7, v5, vcc_lo
	v_and_b32_e32 v3, 3, v3
	v_cndmask_b32_e32 v3, v4, v3, vcc_lo
	v_lshl_add_u32 v4, v5, 23, 0x37800000
	v_lshlrev_b32_e32 v3, 21, v3
	v_or3_b32 v6, v2, v4, v3
.LBB18_622:
	s_or_b32 exec_lo, exec_lo, s21
	s_mov_b32 s1, 0
	s_branch .LBB18_628
.LBB18_623:
	s_mov_b32 s21, -1
                                        ; implicit-def: $vgpr6
	s_branch .LBB18_634
.LBB18_624:
	s_or_saveexec_b32 s21, s21
	v_mov_b32_e32 v6, 0x7f800001
	s_xor_b32 exec_lo, exec_lo, s21
	s_cbranch_execz .LBB18_607
.LBB18_625:
	v_cmp_ne_u16_e32 vcc_lo, 0, v2
	v_mov_b32_e32 v6, 0
	s_andn2_b32 s1, s1, exec_lo
	s_and_b32 s22, vcc_lo, exec_lo
	s_or_b32 s1, s1, s22
	s_or_b32 exec_lo, exec_lo, s21
	s_and_saveexec_b32 s21, s1
	s_cbranch_execnz .LBB18_608
	s_branch .LBB18_609
.LBB18_626:
	s_mov_b32 s1, -1
                                        ; implicit-def: $vgpr6
	s_branch .LBB18_631
.LBB18_627:
	s_mov_b32 s1, -1
                                        ; implicit-def: $vgpr6
.LBB18_628:
	s_and_b32 vcc_lo, exec_lo, s1
	s_cbranch_vccz .LBB18_630
; %bb.629:
	global_load_ubyte v2, v[0:1], off
	s_waitcnt vmcnt(0)
	v_lshlrev_b32_e32 v2, 24, v2
	v_and_b32_e32 v3, 0x7f000000, v2
	v_ffbh_u32_e32 v4, v3
	v_add_nc_u32_e32 v6, 0x1000000, v3
	v_cmp_ne_u32_e32 vcc_lo, 0, v3
	v_min_u32_e32 v4, 32, v4
	v_sub_nc_u32_e64 v4, v4, 4 clamp
	v_lshlrev_b32_e32 v5, v4, v3
	v_lshlrev_b32_e32 v4, 23, v4
	v_lshrrev_b32_e32 v5, 4, v5
	v_sub_nc_u32_e32 v4, v5, v4
	v_ashrrev_i32_e32 v5, 8, v6
	v_add_nc_u32_e32 v4, 0x3c000000, v4
	v_and_or_b32 v4, 0x7f800000, v5, v4
	v_cndmask_b32_e32 v3, 0, v4, vcc_lo
	v_and_or_b32 v6, 0x80000000, v2, v3
.LBB18_630:
	s_mov_b32 s1, 0
.LBB18_631:
	s_andn2_b32 vcc_lo, exec_lo, s1
	s_cbranch_vccnz .LBB18_633
; %bb.632:
	global_load_ubyte v2, v[0:1], off
	s_waitcnt vmcnt(0)
	v_lshlrev_b32_e32 v3, 25, v2
	v_lshlrev_b16 v2, 8, v2
	v_lshrrev_b32_e32 v4, 4, v3
	v_and_or_b32 v5, 0x7f00, v2, 0.5
	v_cmp_gt_u32_e32 vcc_lo, 0x8000000, v3
	v_bfe_i32 v2, v2, 0, 16
	v_or_b32_e32 v4, 0x70000000, v4
	v_add_f32_e32 v5, -0.5, v5
	v_mul_f32_e32 v4, 0x7800000, v4
	v_cndmask_b32_e32 v3, v4, v5, vcc_lo
	v_and_or_b32 v6, 0x80000000, v2, v3
.LBB18_633:
	s_mov_b32 s21, 0
	s_mov_b32 s1, -1
.LBB18_634:
	s_andn2_b32 vcc_lo, exec_lo, s21
	s_cbranch_vccnz .LBB18_647
; %bb.635:
	s_cmp_gt_i32 s0, 14
	s_cbranch_scc0 .LBB18_638
; %bb.636:
	s_cmp_eq_u32 s0, 15
	s_cbranch_scc0 .LBB18_641
; %bb.637:
	global_load_ushort v2, v[0:1], off
	s_mov_b32 s1, -1
	s_mov_b32 s20, 0
	s_waitcnt vmcnt(0)
	v_lshlrev_b32_e32 v6, 16, v2
	s_branch .LBB18_642
.LBB18_638:
	s_mov_b32 s21, -1
                                        ; implicit-def: $vgpr6
	s_branch .LBB18_643
.LBB18_639:
	s_or_saveexec_b32 s21, s21
	v_mov_b32_e32 v6, 0x7f800001
	s_xor_b32 exec_lo, exec_lo, s21
	s_cbranch_execz .LBB18_620
.LBB18_640:
	v_cmp_ne_u16_e32 vcc_lo, 0, v2
	v_mov_b32_e32 v6, 0
	s_andn2_b32 s1, s1, exec_lo
	s_and_b32 s22, vcc_lo, exec_lo
	s_or_b32 s1, s1, s22
	s_or_b32 exec_lo, exec_lo, s21
	s_and_saveexec_b32 s21, s1
	s_cbranch_execnz .LBB18_621
	s_branch .LBB18_622
.LBB18_641:
	s_mov_b32 s20, -1
                                        ; implicit-def: $vgpr6
.LBB18_642:
	s_mov_b32 s21, 0
.LBB18_643:
	s_and_b32 vcc_lo, exec_lo, s21
	s_cbranch_vccz .LBB18_647
; %bb.644:
	s_cmp_eq_u32 s0, 11
	s_cbranch_scc0 .LBB18_646
; %bb.645:
	global_load_ubyte v2, v[0:1], off
	s_mov_b32 s20, 0
	s_mov_b32 s1, -1
	s_waitcnt vmcnt(0)
	v_cmp_ne_u16_e32 vcc_lo, 0, v2
	v_cndmask_b32_e64 v6, 0, 1.0, vcc_lo
	s_branch .LBB18_647
.LBB18_646:
	s_mov_b32 s20, -1
                                        ; implicit-def: $vgpr6
.LBB18_647:
	s_mov_b32 s21, 0
.LBB18_648:
	s_and_b32 vcc_lo, exec_lo, s21
	s_cbranch_vccz .LBB18_697
; %bb.649:
	s_cmp_lt_i32 s0, 5
	s_cbranch_scc1 .LBB18_654
; %bb.650:
	s_cmp_lt_i32 s0, 8
	s_cbranch_scc1 .LBB18_655
	;; [unrolled: 3-line block ×3, first 2 shown]
; %bb.652:
	s_cmp_gt_i32 s0, 9
	s_cbranch_scc0 .LBB18_657
; %bb.653:
	global_load_dwordx2 v[2:3], v[0:1], off
	s_mov_b32 s1, 0
	s_waitcnt vmcnt(0)
	v_cvt_f32_f64_e32 v6, v[2:3]
	s_branch .LBB18_658
.LBB18_654:
	s_mov_b32 s1, -1
                                        ; implicit-def: $vgpr6
	s_branch .LBB18_676
.LBB18_655:
	s_mov_b32 s1, -1
                                        ; implicit-def: $vgpr6
	s_branch .LBB18_664
.LBB18_656:
	s_mov_b32 s1, -1
                                        ; implicit-def: $vgpr6
	s_branch .LBB18_661
.LBB18_657:
	s_mov_b32 s1, -1
                                        ; implicit-def: $vgpr6
.LBB18_658:
	s_andn2_b32 vcc_lo, exec_lo, s1
	s_cbranch_vccnz .LBB18_660
; %bb.659:
	global_load_dword v6, v[0:1], off
.LBB18_660:
	s_mov_b32 s1, 0
.LBB18_661:
	s_andn2_b32 vcc_lo, exec_lo, s1
	s_cbranch_vccnz .LBB18_663
; %bb.662:
	global_load_dword v2, v[0:1], off
	s_waitcnt vmcnt(0)
	v_cvt_f32_f16_e32 v6, v2
.LBB18_663:
	s_mov_b32 s1, 0
.LBB18_664:
	s_andn2_b32 vcc_lo, exec_lo, s1
	s_cbranch_vccnz .LBB18_675
; %bb.665:
	s_cmp_lt_i32 s0, 6
	s_cbranch_scc1 .LBB18_668
; %bb.666:
	s_cmp_gt_i32 s0, 6
	s_cbranch_scc0 .LBB18_669
; %bb.667:
	global_load_dwordx2 v[2:3], v[0:1], off
	s_mov_b32 s1, 0
	s_waitcnt vmcnt(0)
	v_cvt_f32_f64_e32 v6, v[2:3]
	s_branch .LBB18_670
.LBB18_668:
	s_mov_b32 s1, -1
                                        ; implicit-def: $vgpr6
	s_branch .LBB18_673
.LBB18_669:
	s_mov_b32 s1, -1
                                        ; implicit-def: $vgpr6
.LBB18_670:
	s_andn2_b32 vcc_lo, exec_lo, s1
	s_cbranch_vccnz .LBB18_672
; %bb.671:
	global_load_dword v6, v[0:1], off
.LBB18_672:
	s_mov_b32 s1, 0
.LBB18_673:
	s_andn2_b32 vcc_lo, exec_lo, s1
	s_cbranch_vccnz .LBB18_675
; %bb.674:
	global_load_ushort v2, v[0:1], off
	s_waitcnt vmcnt(0)
	v_cvt_f32_f16_e32 v6, v2
.LBB18_675:
	s_mov_b32 s1, 0
.LBB18_676:
	s_andn2_b32 vcc_lo, exec_lo, s1
	s_cbranch_vccnz .LBB18_696
; %bb.677:
	s_cmp_lt_i32 s0, 2
	s_cbranch_scc1 .LBB18_681
; %bb.678:
	s_cmp_lt_i32 s0, 3
	s_cbranch_scc1 .LBB18_682
; %bb.679:
	s_cmp_gt_i32 s0, 3
	s_cbranch_scc0 .LBB18_683
; %bb.680:
	global_load_dwordx2 v[2:3], v[0:1], off
	s_mov_b32 s1, 0
	s_waitcnt vmcnt(0)
	v_xor_b32_e32 v4, v2, v3
	v_ffbh_i32_e32 v5, v3
	v_ashrrev_i32_e32 v4, 31, v4
	v_add_nc_u32_e32 v5, -1, v5
	v_add_nc_u32_e32 v4, 32, v4
	v_min_u32_e32 v4, v5, v4
	v_lshlrev_b64 v[2:3], v4, v[2:3]
	v_min_u32_e32 v2, 1, v2
	v_or_b32_e32 v2, v3, v2
	v_sub_nc_u32_e32 v3, 32, v4
	v_cvt_f32_i32_e32 v2, v2
	v_ldexp_f32 v6, v2, v3
	s_branch .LBB18_684
.LBB18_681:
	s_mov_b32 s1, -1
                                        ; implicit-def: $vgpr6
	s_branch .LBB18_690
.LBB18_682:
	s_mov_b32 s1, -1
                                        ; implicit-def: $vgpr6
	s_branch .LBB18_687
.LBB18_683:
	s_mov_b32 s1, -1
                                        ; implicit-def: $vgpr6
.LBB18_684:
	s_andn2_b32 vcc_lo, exec_lo, s1
	s_cbranch_vccnz .LBB18_686
; %bb.685:
	global_load_dword v2, v[0:1], off
	s_waitcnt vmcnt(0)
	v_cvt_f32_i32_e32 v6, v2
.LBB18_686:
	s_mov_b32 s1, 0
.LBB18_687:
	s_andn2_b32 vcc_lo, exec_lo, s1
	s_cbranch_vccnz .LBB18_689
; %bb.688:
	global_load_sshort v2, v[0:1], off
	s_waitcnt vmcnt(0)
	v_cvt_f32_i32_e32 v6, v2
.LBB18_689:
	s_mov_b32 s1, 0
.LBB18_690:
	s_andn2_b32 vcc_lo, exec_lo, s1
	s_cbranch_vccnz .LBB18_696
; %bb.691:
	s_cmp_gt_i32 s0, 0
	s_mov_b32 s0, 0
	s_cbranch_scc0 .LBB18_693
; %bb.692:
	global_load_sbyte v2, v[0:1], off
	s_waitcnt vmcnt(0)
	v_cvt_f32_i32_e32 v6, v2
	s_branch .LBB18_694
.LBB18_693:
	s_mov_b32 s0, -1
                                        ; implicit-def: $vgpr6
.LBB18_694:
	s_andn2_b32 vcc_lo, exec_lo, s0
	s_cbranch_vccnz .LBB18_696
; %bb.695:
	global_load_ubyte v0, v[0:1], off
	s_waitcnt vmcnt(0)
	v_cvt_f32_ubyte0_e32 v6, v0
.LBB18_696:
	s_mov_b32 s1, -1
.LBB18_697:
	s_andn2_b32 vcc_lo, exec_lo, s1
	s_cbranch_vccnz .LBB18_729
; %bb.698:
                                        ; implicit-def: $vgpr0
	s_mov_b32 s0, exec_lo
	s_waitcnt vmcnt(0)
	v_cmpx_neq_f32_e32 0, v6
	s_xor_b32 s21, exec_lo, s0
	s_cbranch_execz .LBB18_720
; %bb.699:
	v_mov_b32_e32 v1, 0
	s_mov_b32 s0, -1
	s_mov_b32 s22, exec_lo
	v_cmpx_gt_f32_e32 0, v6
	s_cbranch_execz .LBB18_707
; %bb.700:
	v_trunc_f32_e32 v0, v6
	v_mov_b32_e32 v1, 0
	s_mov_b32 s1, 0
	s_mov_b32 s23, exec_lo
	v_cmpx_neq_f32_e32 v6, v0
	s_cbranch_execz .LBB18_706
; %bb.701:
	v_cvt_f64_f32_e32 v[0:1], v6
	s_mov_b32 s1, 0xc00921fb
	s_mov_b32 s0, 0x54442d18
	s_mov_b32 s24, exec_lo
                                        ; implicit-def: $vgpr7
                                        ; implicit-def: $vgpr4_vgpr5
	v_trunc_f64_e32 v[2:3], v[0:1]
	v_cmp_neq_f64_e64 vcc_lo, 0x7ff00000, |v[0:1]|
	v_add_f64 v[2:3], v[0:1], -v[2:3]
	v_mul_f64 v[2:3], |v[2:3]|, s[0:1]
	v_cndmask_b32_e32 v1, 0x80000000, v3, vcc_lo
	v_cndmask_b32_e32 v0, 0, v2, vcc_lo
                                        ; implicit-def: $vgpr2_vgpr3
	v_cmpx_ngt_f64_e64 0x41d00000, |v[0:1]|
	s_xor_b32 s24, exec_lo, s24
	s_cbranch_execz .LBB18_703
; %bb.702:
	v_ldexp_f64 v[2:3], |v[0:1]|, 0xffffff80
	v_cmp_le_f64_e64 vcc_lo, 0x7b000000, |v[0:1]|
	v_trig_preop_f64 v[4:5], |v[0:1]|, 0
	v_and_b32_e32 v7, 0x7fffffff, v1
	v_trig_preop_f64 v[18:19], |v[0:1]|, 2
	v_mov_b32_e32 v26, 0
	s_mov_b32 s1, 0x3ff921fb
	s_mov_b32 s26, 0x33145c07
	;; [unrolled: 1-line block ×3, first 2 shown]
	v_cndmask_b32_e32 v3, v7, v3, vcc_lo
	v_cndmask_b32_e32 v2, v0, v2, vcc_lo
	v_trig_preop_f64 v[7:8], |v[0:1]|, 1
	v_mul_f64 v[9:10], v[4:5], v[2:3]
	v_mul_f64 v[24:25], v[18:19], v[2:3]
	;; [unrolled: 1-line block ×3, first 2 shown]
	v_fma_f64 v[4:5], v[4:5], v[2:3], -v[9:10]
	v_fma_f64 v[7:8], v[7:8], v[2:3], -v[12:13]
	v_fma_f64 v[2:3], v[18:19], v[2:3], -v[24:25]
	v_add_f64 v[14:15], v[12:13], v[4:5]
	v_add_f64 v[16:17], v[14:15], -v[12:13]
	v_add_f64 v[22:23], v[9:10], v[14:15]
	v_add_f64 v[20:21], v[14:15], -v[16:17]
	v_add_f64 v[4:5], v[4:5], -v[16:17]
	v_ldexp_f64 v[16:17], v[22:23], -2
	v_add_f64 v[9:10], v[22:23], -v[9:10]
	v_add_f64 v[12:13], v[12:13], -v[20:21]
	v_add_f64 v[20:21], v[24:25], v[7:8]
	v_cmp_neq_f64_e64 vcc_lo, 0x7ff00000, |v[16:17]|
	v_add_f64 v[9:10], v[14:15], -v[9:10]
	v_add_f64 v[4:5], v[4:5], v[12:13]
	v_fract_f64_e32 v[12:13], v[16:17]
	v_add_f64 v[14:15], v[20:21], v[4:5]
	v_ldexp_f64 v[12:13], v[12:13], 2
	v_add_f64 v[16:17], v[9:10], v[14:15]
	v_cndmask_b32_e32 v13, 0, v13, vcc_lo
	v_cndmask_b32_e32 v12, 0, v12, vcc_lo
	v_add_f64 v[22:23], v[16:17], v[12:13]
	v_add_f64 v[9:10], v[16:17], -v[9:10]
	v_cmp_gt_f64_e32 vcc_lo, 0, v[22:23]
	v_add_f64 v[22:23], v[20:21], -v[24:25]
	v_cndmask_b32_e64 v27, 0, 0x40100000, vcc_lo
	v_add_f64 v[31:32], v[20:21], -v[22:23]
	v_add_f64 v[7:8], v[7:8], -v[22:23]
	v_add_f64 v[12:13], v[12:13], v[26:27]
	v_add_f64 v[27:28], v[14:15], -v[20:21]
	v_add_f64 v[22:23], v[24:25], -v[31:32]
	v_add_f64 v[29:30], v[16:17], v[12:13]
	;; [unrolled: 3-line block ×3, first 2 shown]
	v_cvt_i32_f64_e32 v29, v[29:30]
	v_add_f64 v[20:21], v[20:21], -v[33:34]
	v_cvt_f64_i32_e32 v[27:28], v29
	v_add_f64 v[4:5], v[4:5], v[20:21]
	v_add_f64 v[12:13], v[12:13], -v[27:28]
	v_add_f64 v[4:5], v[7:8], v[4:5]
	v_add_f64 v[7:8], v[14:15], -v[9:10]
	v_add_f64 v[18:19], v[16:17], v[12:13]
	v_add_f64 v[2:3], v[2:3], v[4:5]
	v_add_f64 v[4:5], v[18:19], -v[12:13]
	v_cmp_le_f64_e32 vcc_lo, 0.5, v[18:19]
	v_add_f64 v[2:3], v[7:8], v[2:3]
	v_add_f64 v[4:5], v[16:17], -v[4:5]
	v_cndmask_b32_e64 v27, 0, 0x3ff00000, vcc_lo
	v_add_co_ci_u32_e64 v7, null, 0, v29, vcc_lo
	v_add_f64 v[2:3], v[2:3], v[4:5]
	v_add_f64 v[4:5], v[18:19], -v[26:27]
	v_add_f64 v[8:9], v[4:5], v[2:3]
	v_mul_f64 v[12:13], v[8:9], s[0:1]
	v_add_f64 v[4:5], v[8:9], -v[4:5]
	v_fma_f64 v[14:15], v[8:9], s[0:1], -v[12:13]
	v_add_f64 v[2:3], v[2:3], -v[4:5]
	v_fma_f64 v[4:5], v[8:9], s[26:27], v[14:15]
	v_fma_f64 v[4:5], v[2:3], s[0:1], v[4:5]
	v_add_f64 v[2:3], v[12:13], v[4:5]
	v_add_f64 v[8:9], v[2:3], -v[12:13]
	v_add_f64 v[4:5], v[4:5], -v[8:9]
.LBB18_703:
	s_andn2_saveexec_b32 s0, s24
	s_cbranch_execz .LBB18_705
; %bb.704:
	s_mov_b32 s24, 0x6dc9c883
	s_mov_b32 s25, 0x3fe45f30
	;; [unrolled: 1-line block ×3, first 2 shown]
	v_mul_f64 v[2:3], |v[0:1]|, s[24:25]
	s_mov_b32 s24, 0x54442d18
	s_mov_b32 s25, 0xbff921fb
	;; [unrolled: 1-line block ×3, first 2 shown]
	v_rndne_f64_e32 v[7:8], v[2:3]
	v_fma_f64 v[2:3], v[7:8], s[24:25], |v[0:1]|
	v_mul_f64 v[4:5], v[7:8], s[26:27]
	s_mov_b32 s24, 0x252049c0
	s_mov_b32 s25, 0xb97b839a
	v_fma_f64 v[12:13], v[7:8], s[26:27], v[2:3]
	v_add_f64 v[9:10], v[2:3], v[4:5]
	s_mov_b32 s27, 0x3c91a626
	v_add_f64 v[2:3], v[2:3], -v[9:10]
	v_add_f64 v[9:10], v[9:10], -v[12:13]
	v_add_f64 v[2:3], v[2:3], v[4:5]
	v_fma_f64 v[4:5], v[7:8], s[26:27], v[4:5]
	v_add_f64 v[2:3], v[9:10], v[2:3]
	v_add_f64 v[2:3], v[2:3], -v[4:5]
	v_fma_f64 v[4:5], v[7:8], s[24:25], v[2:3]
	v_cvt_i32_f64_e32 v7, v[7:8]
	v_add_f64 v[2:3], v[12:13], v[4:5]
	v_add_f64 v[9:10], v[2:3], -v[12:13]
	v_add_f64 v[4:5], v[4:5], -v[9:10]
.LBB18_705:
	s_or_b32 exec_lo, exec_lo, s0
	v_mul_f64 v[8:9], v[2:3], v[2:3]
	v_add_f64 v[12:13], v[4:5], v[4:5]
	s_mov_b32 s24, 0xa9a29f71
	s_mov_b32 s26, 0xc751c08c
	;; [unrolled: 1-line block ×4, first 2 shown]
	v_cmp_class_f64_e64 s0, v[0:1], 0x1f8
	v_and_b32_e32 v7, 1, v7
	v_and_b32_e32 v1, 0x80000000, v1
	v_sub_f32_e32 v6, 1.0, v6
	s_mov_b32 s1, exec_lo
	v_cmp_eq_u32_e32 vcc_lo, 0, v7
	v_fma_f64 v[14:15], v[2:3], v[2:3], -v[8:9]
	v_fma_f64 v[12:13], v[2:3], v[12:13], v[14:15]
	v_add_f64 v[8:9], v[8:9], v[12:13]
	v_fma_f64 v[12:13], v[8:9], s[26:27], s[24:25]
	s_mov_b32 s24, 0x90a8aae0
	s_mov_b32 s25, 0x3f17746f
	v_fma_f64 v[12:13], v[8:9], v[12:13], s[24:25]
	s_mov_b32 s24, 0xa6fbf144
	s_mov_b32 s25, 0xbefbb44d
	;; [unrolled: 3-line block ×13, first 2 shown]
	v_mul_f64 v[8:9], v[8:9], v[12:13]
	v_mul_f64 v[12:13], v[2:3], v[8:9]
	v_add_f64 v[14:15], v[2:3], v[12:13]
	v_fma_f64 v[8:9], v[2:3], v[8:9], -v[12:13]
	v_add_f64 v[2:3], v[14:15], -v[2:3]
	v_add_f64 v[4:5], v[4:5], v[8:9]
	v_add_f64 v[2:3], v[12:13], -v[2:3]
	v_add_f64 v[2:3], v[4:5], v[2:3]
	v_add_f64 v[4:5], v[14:15], v[2:3]
	v_rcp_f64_e32 v[8:9], v[4:5]
	v_fma_f64 v[12:13], -v[4:5], v[8:9], 1.0
	v_fma_f64 v[8:9], v[12:13], v[8:9], v[8:9]
	v_fma_f64 v[12:13], -v[4:5], v[8:9], 1.0
	v_fma_f64 v[8:9], v[12:13], v[8:9], v[8:9]
	v_add_f64 v[12:13], v[4:5], -v[14:15]
	v_mul_f64 v[14:15], v[4:5], v[8:9]
	v_add_f64 v[2:3], v[2:3], -v[12:13]
	v_fma_f64 v[12:13], v[8:9], v[4:5], -v[14:15]
	v_fma_f64 v[2:3], v[8:9], v[2:3], v[12:13]
	v_add_f64 v[12:13], v[14:15], v[2:3]
	v_add_f64 v[16:17], -v[12:13], 1.0
	v_add_f64 v[14:15], v[12:13], -v[14:15]
	v_add_f64 v[18:19], -v[16:17], 1.0
	v_add_f64 v[2:3], v[14:15], -v[2:3]
	v_add_f64 v[12:13], v[18:19], -v[12:13]
	v_add_f64 v[2:3], v[2:3], v[12:13]
	v_add_f64 v[2:3], v[16:17], v[2:3]
	v_mul_f64 v[2:3], v[8:9], v[2:3]
	v_add_f64 v[2:3], v[8:9], v[2:3]
	v_xor_b32_e32 v0, 0x80000000, v3
	v_cndmask_b32_e32 v2, v2, v4, vcc_lo
	v_cndmask_b32_e32 v0, v0, v5, vcc_lo
	v_xor_b32_e32 v1, v0, v1
	v_cndmask_b32_e64 v0, 0, v2, s0
	v_cndmask_b32_e64 v1, 0x7ff80000, v1, s0
	v_div_scale_f64 v[2:3], null, v[0:1], v[0:1], s[24:25]
	v_rcp_f64_e32 v[4:5], v[2:3]
	v_fma_f64 v[7:8], -v[2:3], v[4:5], 1.0
	v_fma_f64 v[4:5], v[4:5], v[7:8], v[4:5]
	v_fma_f64 v[7:8], -v[2:3], v[4:5], 1.0
	v_fma_f64 v[4:5], v[4:5], v[7:8], v[4:5]
	v_div_scale_f64 v[7:8], vcc_lo, s[24:25], v[0:1], s[24:25]
	v_mul_f64 v[9:10], v[7:8], v[4:5]
	v_fma_f64 v[2:3], -v[2:3], v[9:10], v[7:8]
	v_div_fmas_f64 v[2:3], v[2:3], v[4:5], v[9:10]
	v_div_fixup_f64 v[0:1], v[2:3], v[0:1], s[24:25]
	v_cvt_f32_f64_e32 v1, v[0:1]
.LBB18_706:
	s_or_b32 exec_lo, exec_lo, s23
	s_orn2_b32 s0, s1, exec_lo
.LBB18_707:
	s_or_b32 exec_lo, exec_lo, s22
	v_mov_b32_e32 v0, 0x7fc00000
	s_and_saveexec_b32 s22, s0
	s_cbranch_execz .LBB18_719
; %bb.708:
	s_mov_b32 s0, exec_lo
	v_cmpx_gt_f32_e32 0x41200000, v6
	s_cbranch_execz .LBB18_712
; %bb.709:
	s_mov_b32 s1, 0
.LBB18_710:                             ; =>This Inner Loop Header: Depth=1
	v_div_scale_f32 v0, null, v6, v6, 1.0
	v_div_scale_f32 v4, vcc_lo, 1.0, v6, 1.0
	v_rcp_f32_e32 v2, v0
	v_fma_f32 v3, -v0, v2, 1.0
	v_fmac_f32_e32 v2, v3, v2
	v_mul_f32_e32 v3, v4, v2
	v_fma_f32 v5, -v0, v3, v4
	v_fmac_f32_e32 v3, v5, v2
	v_fma_f32 v0, -v0, v3, v4
	v_div_fmas_f32 v0, v0, v2, v3
	v_div_fixup_f32 v0, v0, v6, 1.0
	v_add_f32_e32 v6, 1.0, v6
	v_sub_f32_e32 v1, v1, v0
	v_cmp_ngt_f32_e32 vcc_lo, 0x41200000, v6
	s_or_b32 s1, vcc_lo, s1
	s_andn2_b32 exec_lo, exec_lo, s1
	s_cbranch_execnz .LBB18_710
; %bb.711:
	s_or_b32 exec_lo, exec_lo, s1
.LBB18_712:
	s_or_b32 exec_lo, exec_lo, s0
                                        ; implicit-def: $vgpr0
	s_mov_b32 s0, exec_lo
	v_cmpx_neq_f32_e32 0x41200000, v6
	s_xor_b32 s23, exec_lo, s0
	s_cbranch_execz .LBB18_716
; %bb.713:
	v_cvt_f64_f32_e32 v[2:3], v6
	s_mov_b32 s0, 0x85d8a000
	s_mov_b32 s1, 0x43763457
	v_mov_b32_e32 v0, 0
	v_cmp_gt_f64_e32 vcc_lo, s[0:1], v[2:3]
	s_and_saveexec_b32 s0, vcc_lo
	s_cbranch_execz .LBB18_715
; %bb.714:
	v_mul_f32_e32 v0, v6, v6
	v_div_scale_f32 v2, null, v0, v0, 1.0
	v_rcp_f32_e32 v3, v2
	v_fma_f32 v4, -v2, v3, 1.0
	v_fmac_f32_e32 v3, v4, v3
	v_div_scale_f32 v4, vcc_lo, 1.0, v0, 1.0
	v_mul_f32_e32 v5, v4, v3
	v_fma_f32 v7, -v2, v5, v4
	v_fmac_f32_e32 v5, v7, v3
	v_fma_f32 v2, -v2, v5, v4
	v_div_fmas_f32 v2, v2, v3, v5
	v_div_fixup_f32 v0, v2, v0, 1.0
	v_fmaak_f32 v2, 0, v0, 0x3daaaaab
	v_fmaak_f32 v2, v0, v2, 0xbcaccacd
	;; [unrolled: 1-line block ×7, first 2 shown]
	v_mul_f32_e32 v0, v0, v2
.LBB18_715:
	s_or_b32 exec_lo, exec_lo, s0
	v_cmp_gt_f32_e32 vcc_lo, 0x800000, v6
	v_div_scale_f32 v2, null, v6, v6, -0.5
	v_div_scale_f32 v7, s0, -0.5, v6, -0.5
	v_cndmask_b32_e64 v3, 0, 32, vcc_lo
	v_rcp_f32_e32 v4, v2
	v_ldexp_f32 v3, v6, v3
	v_log_f32_e32 v3, v3
	v_fma_f32 v5, -v2, v4, 1.0
	v_fmac_f32_e32 v4, v5, v4
	v_mul_f32_e32 v5, 0x3f317217, v3
	v_mul_f32_e32 v8, v7, v4
	v_cmp_gt_f32_e64 s1, 0x7f800000, |v3|
	v_fma_f32 v5, 0x3f317217, v3, -v5
	v_fma_f32 v9, -v2, v8, v7
	v_fmamk_f32 v5, v3, 0x3377d1cf, v5
	v_fmac_f32_e32 v8, v9, v4
	v_fmac_f32_e32 v5, 0x3f317217, v3
	v_fma_f32 v2, -v2, v8, v7
	v_cndmask_b32_e64 v3, v3, v5, s1
	v_cndmask_b32_e64 v5, 0, 0x41b17218, vcc_lo
	s_mov_b32 vcc_lo, s0
	v_div_fmas_f32 v2, v2, v4, v8
	v_sub_f32_e32 v3, v3, v5
	v_div_fixup_f32 v2, v2, v6, -0.5
	v_add_f32_e32 v2, v3, v2
	v_sub_f32_e32 v0, v2, v0
	v_add_f32_e32 v0, v1, v0
                                        ; implicit-def: $vgpr1
.LBB18_716:
	s_andn2_saveexec_b32 s0, s23
; %bb.717:
	v_add_f32_e32 v0, 0x40101cb7, v1
; %bb.718:
	s_or_b32 exec_lo, exec_lo, s0
.LBB18_719:
	s_or_b32 exec_lo, exec_lo, s22
                                        ; implicit-def: $vgpr6
.LBB18_720:
	s_andn2_saveexec_b32 s0, s21
; %bb.721:
	v_xor_b32_e32 v0, 0x80000000, v6
	s_mov_b32 s1, 0x7f800000
	v_bfi_b32 v0, 0x7fffffff, s1, v0
; %bb.722:
	s_or_b32 exec_lo, exec_lo, s0
	v_mul_lo_u32 v1, v11, s2
	s_and_b32 s1, s4, 0xff
	s_cmp_lt_i32 s1, 11
	v_ashrrev_i32_e32 v3, 31, v1
	v_add_co_u32 v2, vcc_lo, s8, v1
	v_add_co_ci_u32_e64 v3, null, s9, v3, vcc_lo
	s_cbranch_scc1 .LBB18_730
; %bb.723:
	s_and_b32 s21, 0xffff, s1
	s_cmp_gt_i32 s21, 25
	s_cbranch_scc0 .LBB18_731
; %bb.724:
	s_cmp_gt_i32 s21, 28
	s_cbranch_scc0 .LBB18_732
; %bb.725:
	s_cmp_gt_i32 s21, 43
	s_cbranch_scc0 .LBB18_733
; %bb.726:
	s_cmp_gt_i32 s21, 45
	s_cbranch_scc0 .LBB18_734
; %bb.727:
	s_mov_b32 s23, 0
	s_mov_b32 s0, -1
	s_cmp_eq_u32 s21, 46
	s_mov_b32 s22, 0
	s_cbranch_scc0 .LBB18_735
; %bb.728:
	v_bfe_u32 v1, v0, 16, 1
	v_cmp_o_f32_e32 vcc_lo, v0, v0
	v_mov_b32_e32 v4, 0x7fc0
	s_mov_b32 s22, -1
	s_mov_b32 s0, 0
	v_add3_u32 v1, v0, v1, 0x7fff
	v_cndmask_b32_sdwa v1, v4, v1, vcc_lo dst_sel:DWORD dst_unused:UNUSED_PAD src0_sel:DWORD src1_sel:WORD_1
	global_store_dword v[2:3], v1, off
	s_branch .LBB18_735
.LBB18_729:
	s_mov_b32 s21, 0
	s_mov_b32 s0, s17
	s_branch .LBB18_846
.LBB18_730:
	s_mov_b32 s21, -1
	s_mov_b32 s22, 0
	s_mov_b32 s0, s17
	s_branch .LBB18_804
.LBB18_731:
	s_mov_b32 s23, -1
	s_mov_b32 s22, 0
	s_mov_b32 s0, s17
	s_branch .LBB18_762
.LBB18_732:
	s_mov_b32 s23, -1
	s_mov_b32 s22, 0
	s_mov_b32 s0, s17
	s_branch .LBB18_745
.LBB18_733:
	s_mov_b32 s23, -1
	s_mov_b32 s22, 0
	s_mov_b32 s0, s17
	s_branch .LBB18_741
.LBB18_734:
	s_mov_b32 s23, -1
	s_mov_b32 s22, 0
	s_mov_b32 s0, s17
.LBB18_735:
	s_and_b32 vcc_lo, exec_lo, s23
	s_cbranch_vccz .LBB18_740
; %bb.736:
	s_cmp_eq_u32 s21, 44
	s_mov_b32 s0, -1
	s_cbranch_scc0 .LBB18_740
; %bb.737:
	v_bfe_u32 v4, v0, 23, 8
	v_mov_b32_e32 v1, 0xff
	s_mov_b32 s22, exec_lo
	v_cmpx_ne_u32_e32 0xff, v4
	s_cbranch_execz .LBB18_739
; %bb.738:
	v_and_b32_e32 v1, 0x400000, v0
	v_and_or_b32 v4, 0x3fffff, v0, v4
	v_cmp_ne_u32_e32 vcc_lo, 0, v1
	v_cmp_ne_u32_e64 s0, 0, v4
	v_lshrrev_b32_e32 v1, 23, v0
	s_and_b32 s0, vcc_lo, s0
	v_cndmask_b32_e64 v4, 0, 1, s0
	v_add_nc_u32_e32 v1, v1, v4
.LBB18_739:
	s_or_b32 exec_lo, exec_lo, s22
	s_mov_b32 s22, -1
	s_mov_b32 s0, 0
	global_store_byte v[2:3], v1, off
.LBB18_740:
	s_mov_b32 s23, 0
.LBB18_741:
	s_and_b32 vcc_lo, exec_lo, s23
	s_cbranch_vccz .LBB18_744
; %bb.742:
	s_cmp_eq_u32 s21, 29
	s_mov_b32 s0, -1
	s_cbranch_scc0 .LBB18_744
; %bb.743:
	v_trunc_f32_e32 v1, v0
	s_mov_b32 s22, -1
	s_mov_b32 s0, 0
	s_mov_b32 s23, 0
	v_mul_f32_e32 v4, 0x2f800000, v1
	v_floor_f32_e32 v4, v4
	v_fmamk_f32 v1, v4, 0xcf800000, v1
	v_cvt_u32_f32_e32 v5, v4
	v_cvt_u32_f32_e32 v4, v1
	global_store_dwordx2 v[2:3], v[4:5], off
	s_branch .LBB18_745
.LBB18_744:
	s_mov_b32 s23, 0
.LBB18_745:
	s_and_b32 vcc_lo, exec_lo, s23
	s_cbranch_vccz .LBB18_761
; %bb.746:
	s_cmp_lt_i32 s21, 27
	s_mov_b32 s22, -1
	s_cbranch_scc1 .LBB18_752
; %bb.747:
	v_cvt_u32_f32_e32 v1, v0
	s_cmp_gt_i32 s21, 27
	s_cbranch_scc0 .LBB18_749
; %bb.748:
	s_mov_b32 s22, 0
	global_store_dword v[2:3], v1, off
.LBB18_749:
	s_andn2_b32 vcc_lo, exec_lo, s22
	s_cbranch_vccnz .LBB18_751
; %bb.750:
	global_store_short v[2:3], v1, off
.LBB18_751:
	s_mov_b32 s22, 0
.LBB18_752:
	s_andn2_b32 vcc_lo, exec_lo, s22
	s_cbranch_vccnz .LBB18_760
; %bb.753:
	v_and_b32_e32 v1, 0x7fffffff, v0
	v_mov_b32_e32 v4, 0x80
	s_mov_b32 s22, exec_lo
	v_cmpx_gt_u32_e32 0x43800000, v1
	s_cbranch_execz .LBB18_759
; %bb.754:
	v_cmp_lt_u32_e32 vcc_lo, 0x3bffffff, v1
	s_mov_b32 s23, 0
                                        ; implicit-def: $vgpr1
	s_and_saveexec_b32 s24, vcc_lo
	s_xor_b32 s24, exec_lo, s24
	s_cbranch_execz .LBB18_861
; %bb.755:
	v_bfe_u32 v1, v0, 20, 1
	s_mov_b32 s23, exec_lo
	v_add3_u32 v1, v0, v1, 0x487ffff
	v_lshrrev_b32_e32 v1, 20, v1
	s_andn2_saveexec_b32 s24, s24
	s_cbranch_execnz .LBB18_862
.LBB18_756:
	s_or_b32 exec_lo, exec_lo, s24
	v_mov_b32_e32 v4, 0
	s_and_saveexec_b32 s24, s23
.LBB18_757:
	v_lshrrev_b32_e32 v4, 24, v0
	v_and_or_b32 v4, 0x80, v4, v1
.LBB18_758:
	s_or_b32 exec_lo, exec_lo, s24
.LBB18_759:
	s_or_b32 exec_lo, exec_lo, s22
	global_store_byte v[2:3], v4, off
.LBB18_760:
	s_mov_b32 s22, -1
.LBB18_761:
	s_mov_b32 s23, 0
.LBB18_762:
	s_and_b32 vcc_lo, exec_lo, s23
	s_cbranch_vccz .LBB18_803
; %bb.763:
	s_cmp_gt_i32 s21, 22
	s_mov_b32 s23, -1
	s_cbranch_scc0 .LBB18_795
; %bb.764:
	s_cmp_lt_i32 s21, 24
	s_mov_b32 s22, -1
	s_cbranch_scc1 .LBB18_784
; %bb.765:
	s_cmp_gt_i32 s21, 24
	s_cbranch_scc0 .LBB18_773
; %bb.766:
	v_and_b32_e32 v1, 0x7fffffff, v0
	v_mov_b32_e32 v4, 0x80
	s_mov_b32 s22, exec_lo
	v_cmpx_gt_u32_e32 0x47800000, v1
	s_cbranch_execz .LBB18_772
; %bb.767:
	v_cmp_lt_u32_e32 vcc_lo, 0x37ffffff, v1
	s_mov_b32 s23, 0
                                        ; implicit-def: $vgpr1
	s_and_saveexec_b32 s24, vcc_lo
	s_xor_b32 s24, exec_lo, s24
	s_cbranch_execz .LBB18_864
; %bb.768:
	v_bfe_u32 v1, v0, 21, 1
	s_mov_b32 s23, exec_lo
	v_add3_u32 v1, v0, v1, 0x88fffff
	v_lshrrev_b32_e32 v1, 21, v1
	s_andn2_saveexec_b32 s24, s24
	s_cbranch_execnz .LBB18_865
.LBB18_769:
	s_or_b32 exec_lo, exec_lo, s24
	v_mov_b32_e32 v4, 0
	s_and_saveexec_b32 s24, s23
.LBB18_770:
	v_lshrrev_b32_e32 v4, 24, v0
	v_and_or_b32 v4, 0x80, v4, v1
.LBB18_771:
	s_or_b32 exec_lo, exec_lo, s24
.LBB18_772:
	s_or_b32 exec_lo, exec_lo, s22
	s_mov_b32 s22, 0
	global_store_byte v[2:3], v4, off
.LBB18_773:
	s_and_b32 vcc_lo, exec_lo, s22
	s_cbranch_vccz .LBB18_783
; %bb.774:
	v_and_b32_e32 v4, 0x7fffffff, v0
	s_mov_b32 s22, exec_lo
                                        ; implicit-def: $vgpr1
	v_cmpx_gt_u32_e32 0x43f00000, v4
	s_xor_b32 s22, exec_lo, s22
	s_cbranch_execz .LBB18_780
; %bb.775:
	s_mov_b32 s23, exec_lo
                                        ; implicit-def: $vgpr1
	v_cmpx_lt_u32_e32 0x3c7fffff, v4
	s_xor_b32 s23, exec_lo, s23
; %bb.776:
	v_bfe_u32 v1, v0, 20, 1
	v_add3_u32 v1, v0, v1, 0x407ffff
	v_and_b32_e32 v4, 0xff00000, v1
	v_lshrrev_b32_e32 v1, 20, v1
	v_cmp_ne_u32_e32 vcc_lo, 0x7f00000, v4
	v_cndmask_b32_e32 v1, 0x7e, v1, vcc_lo
; %bb.777:
	s_andn2_saveexec_b32 s23, s23
; %bb.778:
	v_add_f32_e64 v1, 0x46800000, |v0|
; %bb.779:
	s_or_b32 exec_lo, exec_lo, s23
                                        ; implicit-def: $vgpr4
.LBB18_780:
	s_andn2_saveexec_b32 s22, s22
; %bb.781:
	v_mov_b32_e32 v1, 0x7f
	v_cmp_lt_u32_e32 vcc_lo, 0x7f800000, v4
	v_cndmask_b32_e32 v1, 0x7e, v1, vcc_lo
; %bb.782:
	s_or_b32 exec_lo, exec_lo, s22
	v_lshrrev_b32_e32 v4, 24, v0
	v_and_or_b32 v1, 0x80, v4, v1
	global_store_byte v[2:3], v1, off
.LBB18_783:
	s_mov_b32 s22, 0
.LBB18_784:
	s_andn2_b32 vcc_lo, exec_lo, s22
	s_cbranch_vccnz .LBB18_794
; %bb.785:
	v_and_b32_e32 v4, 0x7fffffff, v0
	s_mov_b32 s22, exec_lo
                                        ; implicit-def: $vgpr1
	v_cmpx_gt_u32_e32 0x47800000, v4
	s_xor_b32 s22, exec_lo, s22
	s_cbranch_execz .LBB18_791
; %bb.786:
	s_mov_b32 s23, exec_lo
                                        ; implicit-def: $vgpr1
	v_cmpx_lt_u32_e32 0x387fffff, v4
	s_xor_b32 s23, exec_lo, s23
; %bb.787:
	v_bfe_u32 v1, v0, 21, 1
	v_add3_u32 v1, v0, v1, 0x80fffff
	v_lshrrev_b32_e32 v1, 21, v1
; %bb.788:
	s_andn2_saveexec_b32 s23, s23
; %bb.789:
	v_add_f32_e64 v1, 0x43000000, |v0|
; %bb.790:
	s_or_b32 exec_lo, exec_lo, s23
                                        ; implicit-def: $vgpr4
.LBB18_791:
	s_andn2_saveexec_b32 s22, s22
; %bb.792:
	v_mov_b32_e32 v1, 0x7f
	v_cmp_lt_u32_e32 vcc_lo, 0x7f800000, v4
	v_cndmask_b32_e32 v1, 0x7c, v1, vcc_lo
; %bb.793:
	s_or_b32 exec_lo, exec_lo, s22
	v_lshrrev_b32_e32 v4, 24, v0
	v_and_or_b32 v1, 0x80, v4, v1
	global_store_byte v[2:3], v1, off
.LBB18_794:
	s_mov_b32 s23, 0
	s_mov_b32 s22, -1
.LBB18_795:
	s_andn2_b32 vcc_lo, exec_lo, s23
	s_cbranch_vccnz .LBB18_803
; %bb.796:
	s_cmp_gt_i32 s21, 14
	s_mov_b32 s23, -1
	s_cbranch_scc0 .LBB18_800
; %bb.797:
	s_cmp_eq_u32 s21, 15
	s_mov_b32 s0, -1
	s_cbranch_scc0 .LBB18_799
; %bb.798:
	v_bfe_u32 v1, v0, 16, 1
	v_cmp_o_f32_e32 vcc_lo, v0, v0
	v_mov_b32_e32 v4, 0x7fc0
	s_mov_b32 s22, -1
	s_mov_b32 s0, 0
	v_add3_u32 v1, v0, v1, 0x7fff
	v_cndmask_b32_sdwa v1, v4, v1, vcc_lo dst_sel:DWORD dst_unused:UNUSED_PAD src0_sel:DWORD src1_sel:WORD_1
	global_store_short v[2:3], v1, off
.LBB18_799:
	s_mov_b32 s23, 0
.LBB18_800:
	s_and_b32 vcc_lo, exec_lo, s23
	s_cbranch_vccz .LBB18_803
; %bb.801:
	s_cmp_eq_u32 s21, 11
	s_mov_b32 s0, -1
	s_cbranch_scc0 .LBB18_803
; %bb.802:
	v_cmp_neq_f32_e32 vcc_lo, 0, v0
	s_mov_b32 s0, 0
	s_mov_b32 s22, -1
	v_cndmask_b32_e64 v1, 0, 1, vcc_lo
	global_store_byte v[2:3], v1, off
.LBB18_803:
	s_mov_b32 s21, 0
.LBB18_804:
	s_and_b32 vcc_lo, exec_lo, s21
	s_cbranch_vccz .LBB18_843
; %bb.805:
	s_and_b32 s1, 0xffff, s1
	s_mov_b32 s21, -1
	s_cmp_lt_i32 s1, 5
	s_cbranch_scc1 .LBB18_826
; %bb.806:
	s_cmp_lt_i32 s1, 8
	s_cbranch_scc1 .LBB18_816
; %bb.807:
	;; [unrolled: 3-line block ×3, first 2 shown]
	s_cmp_gt_i32 s1, 9
	s_cbranch_scc0 .LBB18_810
; %bb.809:
	v_cvt_f64_f32_e32 v[4:5], v0
	v_mov_b32_e32 v6, 0
	s_mov_b32 s21, 0
	v_mov_b32_e32 v7, v6
	global_store_dwordx4 v[2:3], v[4:7], off
.LBB18_810:
	s_andn2_b32 vcc_lo, exec_lo, s21
	s_cbranch_vccnz .LBB18_812
; %bb.811:
	v_mov_b32_e32 v1, 0
	global_store_dwordx2 v[2:3], v[0:1], off
.LBB18_812:
	s_mov_b32 s21, 0
.LBB18_813:
	s_andn2_b32 vcc_lo, exec_lo, s21
	s_cbranch_vccnz .LBB18_815
; %bb.814:
	v_cvt_f16_f32_e32 v1, v0
	v_and_b32_e32 v1, 0xffff, v1
	global_store_dword v[2:3], v1, off
.LBB18_815:
	s_mov_b32 s21, 0
.LBB18_816:
	s_andn2_b32 vcc_lo, exec_lo, s21
	s_cbranch_vccnz .LBB18_825
; %bb.817:
	s_cmp_lt_i32 s1, 6
	s_mov_b32 s21, -1
	s_cbranch_scc1 .LBB18_823
; %bb.818:
	s_cmp_gt_i32 s1, 6
	s_cbranch_scc0 .LBB18_820
; %bb.819:
	v_cvt_f64_f32_e32 v[4:5], v0
	s_mov_b32 s21, 0
	global_store_dwordx2 v[2:3], v[4:5], off
.LBB18_820:
	s_andn2_b32 vcc_lo, exec_lo, s21
	s_cbranch_vccnz .LBB18_822
; %bb.821:
	global_store_dword v[2:3], v0, off
.LBB18_822:
	s_mov_b32 s21, 0
.LBB18_823:
	s_andn2_b32 vcc_lo, exec_lo, s21
	s_cbranch_vccnz .LBB18_825
; %bb.824:
	v_cvt_f16_f32_e32 v1, v0
	global_store_short v[2:3], v1, off
.LBB18_825:
	s_mov_b32 s21, 0
.LBB18_826:
	s_andn2_b32 vcc_lo, exec_lo, s21
	s_cbranch_vccnz .LBB18_842
; %bb.827:
	s_cmp_lt_i32 s1, 2
	s_mov_b32 s21, -1
	s_cbranch_scc1 .LBB18_837
; %bb.828:
	s_cmp_lt_i32 s1, 3
	s_cbranch_scc1 .LBB18_834
; %bb.829:
	s_cmp_gt_i32 s1, 3
	s_cbranch_scc0 .LBB18_831
; %bb.830:
	v_trunc_f32_e32 v1, v0
	s_mov_b32 s21, 0
	v_mul_f32_e64 v4, 0x2f800000, |v1|
	v_floor_f32_e32 v4, v4
	v_fma_f32 v5, 0xcf800000, v4, |v1|
	v_ashrrev_i32_e32 v1, 31, v1
	v_cvt_u32_f32_e32 v4, v4
	v_cvt_u32_f32_e32 v5, v5
	v_xor_b32_e32 v6, v4, v1
	v_xor_b32_e32 v5, v5, v1
	v_sub_co_u32 v4, vcc_lo, v5, v1
	v_sub_co_ci_u32_e64 v5, null, v6, v1, vcc_lo
	global_store_dwordx2 v[2:3], v[4:5], off
.LBB18_831:
	s_andn2_b32 vcc_lo, exec_lo, s21
	s_cbranch_vccnz .LBB18_833
; %bb.832:
	v_cvt_i32_f32_e32 v1, v0
	global_store_dword v[2:3], v1, off
.LBB18_833:
	s_mov_b32 s21, 0
.LBB18_834:
	s_andn2_b32 vcc_lo, exec_lo, s21
	s_cbranch_vccnz .LBB18_836
; %bb.835:
	v_cvt_i32_f32_e32 v1, v0
	global_store_short v[2:3], v1, off
.LBB18_836:
	s_mov_b32 s21, 0
.LBB18_837:
	s_andn2_b32 vcc_lo, exec_lo, s21
	s_cbranch_vccnz .LBB18_842
; %bb.838:
	s_cmp_gt_i32 s1, 0
	s_mov_b32 s1, -1
	s_cbranch_scc0 .LBB18_840
; %bb.839:
	v_cvt_i32_f32_e32 v1, v0
	s_mov_b32 s1, 0
	global_store_byte v[2:3], v1, off
.LBB18_840:
	s_andn2_b32 vcc_lo, exec_lo, s1
	s_cbranch_vccnz .LBB18_842
; %bb.841:
	v_trunc_f32_e32 v0, v0
	v_mul_f32_e64 v1, 0x2f800000, |v0|
	v_floor_f32_e32 v1, v1
	v_fma_f32 v1, 0xcf800000, v1, |v0|
	v_ashrrev_i32_e32 v0, 31, v0
	v_cvt_u32_f32_e32 v1, v1
	v_xor_b32_e32 v1, v1, v0
	v_sub_nc_u32_e32 v0, v1, v0
	global_store_byte v[2:3], v0, off
.LBB18_842:
	s_mov_b32 s22, -1
.LBB18_843:
	s_andn2_b32 vcc_lo, exec_lo, s22
	s_cbranch_vccnz .LBB18_845
; %bb.844:
	v_add_nc_u32_e32 v11, 0x80, v11
	s_mov_b32 s21, -1
	s_branch .LBB18_847
.LBB18_845:
	s_mov_b32 s21, 0
.LBB18_846:
                                        ; implicit-def: $vgpr11
.LBB18_847:
	s_andn2_b32 s1, s17, exec_lo
	s_and_b32 s0, s0, exec_lo
	s_andn2_b32 s22, s16, exec_lo
	s_and_b32 s20, s20, exec_lo
	s_or_b32 s1, s1, s0
	s_or_b32 s0, s22, s20
	s_orn2_b32 s20, s21, exec_lo
.LBB18_848:
	s_or_b32 exec_lo, exec_lo, s19
	s_mov_b32 s21, 0
	s_mov_b32 s22, 0
	s_mov_b32 s23, 0
                                        ; implicit-def: $vgpr0_vgpr1
                                        ; implicit-def: $vgpr6
	s_and_saveexec_b32 s19, s20
	s_cbranch_execz .LBB18_933
; %bb.849:
	v_cmp_gt_i32_e32 vcc_lo, s13, v11
	s_mov_b32 s20, 0
	s_mov_b32 s21, s0
	;; [unrolled: 1-line block ×3, first 2 shown]
                                        ; implicit-def: $vgpr0_vgpr1
                                        ; implicit-def: $vgpr6
	s_and_saveexec_b32 s13, vcc_lo
	s_cbranch_execz .LBB18_932
; %bb.850:
	v_mul_lo_u32 v0, v11, s3
	s_and_b32 s20, 0xffff, s6
	s_cmp_lt_i32 s20, 11
	v_ashrrev_i32_e32 v1, 31, v0
	v_add_co_u32 v0, vcc_lo, s10, v0
	v_add_co_ci_u32_e64 v1, null, s11, v1, vcc_lo
	s_cbranch_scc1 .LBB18_857
; %bb.851:
	s_cmp_gt_i32 s20, 25
	s_cbranch_scc0 .LBB18_858
; %bb.852:
	s_cmp_gt_i32 s20, 28
	s_cbranch_scc0 .LBB18_859
	;; [unrolled: 3-line block ×4, first 2 shown]
; %bb.855:
	s_cmp_eq_u32 s20, 46
	s_cbranch_scc0 .LBB18_866
; %bb.856:
	global_load_dword v2, v[0:1], off
	s_mov_b32 s21, 0
	s_mov_b32 s23, -1
	s_waitcnt vmcnt(0)
	v_lshlrev_b32_e32 v6, 16, v2
	s_branch .LBB18_868
.LBB18_857:
	s_mov_b32 s20, -1
	s_mov_b32 s21, s0
                                        ; implicit-def: $vgpr6
	s_branch .LBB18_931
.LBB18_858:
	s_mov_b32 s24, -1
	s_mov_b32 s21, s0
                                        ; implicit-def: $vgpr6
	s_branch .LBB18_897
.LBB18_859:
	s_mov_b32 s24, -1
	s_mov_b32 s21, s0
                                        ; implicit-def: $vgpr6
	s_branch .LBB18_878
.LBB18_860:
	s_mov_b32 s24, -1
	s_mov_b32 s21, s0
                                        ; implicit-def: $vgpr6
	s_branch .LBB18_873
.LBB18_861:
	s_andn2_saveexec_b32 s24, s24
	s_cbranch_execz .LBB18_756
.LBB18_862:
	v_add_f32_e64 v1, 0x46000000, |v0|
	s_andn2_b32 s23, s23, exec_lo
	v_and_b32_e32 v1, 0xff, v1
	v_cmp_ne_u32_e32 vcc_lo, 0, v1
	s_and_b32 s25, vcc_lo, exec_lo
	s_or_b32 s23, s23, s25
	s_or_b32 exec_lo, exec_lo, s24
	v_mov_b32_e32 v4, 0
	s_and_saveexec_b32 s24, s23
	s_cbranch_execnz .LBB18_757
	s_branch .LBB18_758
.LBB18_863:
	s_mov_b32 s24, -1
	s_mov_b32 s21, s0
	s_branch .LBB18_867
.LBB18_864:
	s_andn2_saveexec_b32 s24, s24
	s_cbranch_execz .LBB18_769
.LBB18_865:
	v_add_f32_e64 v1, 0x42800000, |v0|
	s_andn2_b32 s23, s23, exec_lo
	v_and_b32_e32 v1, 0xff, v1
	v_cmp_ne_u32_e32 vcc_lo, 0, v1
	s_and_b32 s25, vcc_lo, exec_lo
	s_or_b32 s23, s23, s25
	s_or_b32 exec_lo, exec_lo, s24
	v_mov_b32_e32 v4, 0
	s_and_saveexec_b32 s24, s23
	s_cbranch_execnz .LBB18_770
	s_branch .LBB18_771
.LBB18_866:
	s_mov_b32 s21, -1
.LBB18_867:
                                        ; implicit-def: $vgpr6
.LBB18_868:
	s_and_b32 vcc_lo, exec_lo, s24
	s_cbranch_vccz .LBB18_872
; %bb.869:
	s_cmp_eq_u32 s20, 44
	s_cbranch_scc0 .LBB18_871
; %bb.870:
	global_load_ubyte v2, v[0:1], off
	s_mov_b32 s21, 0
	s_mov_b32 s23, -1
	s_waitcnt vmcnt(0)
	v_lshlrev_b32_e32 v3, 23, v2
	v_cmp_ne_u32_e32 vcc_lo, 0xff, v2
	v_cndmask_b32_e32 v3, 0x7f800001, v3, vcc_lo
	v_cmp_ne_u32_e32 vcc_lo, 0, v2
	v_cndmask_b32_e32 v6, 0x400000, v3, vcc_lo
	s_branch .LBB18_872
.LBB18_871:
	s_mov_b32 s21, -1
                                        ; implicit-def: $vgpr6
.LBB18_872:
	s_mov_b32 s24, 0
.LBB18_873:
	s_and_b32 vcc_lo, exec_lo, s24
	s_cbranch_vccz .LBB18_877
; %bb.874:
	s_cmp_eq_u32 s20, 29
	s_cbranch_scc0 .LBB18_876
; %bb.875:
	global_load_dwordx2 v[2:3], v[0:1], off
	s_mov_b32 s21, 0
	s_mov_b32 s23, -1
	s_mov_b32 s24, 0
	s_waitcnt vmcnt(0)
	v_ffbh_u32_e32 v4, v3
	v_min_u32_e32 v4, 32, v4
	v_lshlrev_b64 v[2:3], v4, v[2:3]
	v_min_u32_e32 v2, 1, v2
	v_or_b32_e32 v2, v3, v2
	v_sub_nc_u32_e32 v3, 32, v4
	v_cvt_f32_u32_e32 v2, v2
	v_ldexp_f32 v6, v2, v3
	s_branch .LBB18_878
.LBB18_876:
	s_mov_b32 s21, -1
                                        ; implicit-def: $vgpr6
.LBB18_877:
	s_mov_b32 s24, 0
.LBB18_878:
	s_and_b32 vcc_lo, exec_lo, s24
	s_cbranch_vccz .LBB18_896
; %bb.879:
	s_cmp_lt_i32 s20, 27
	s_cbranch_scc1 .LBB18_882
; %bb.880:
	s_cmp_gt_i32 s20, 27
	s_cbranch_scc0 .LBB18_883
; %bb.881:
	global_load_dword v2, v[0:1], off
	s_mov_b32 s23, 0
	s_waitcnt vmcnt(0)
	v_cvt_f32_u32_e32 v6, v2
	s_branch .LBB18_884
.LBB18_882:
	s_mov_b32 s23, -1
                                        ; implicit-def: $vgpr6
	s_branch .LBB18_887
.LBB18_883:
	s_mov_b32 s23, -1
                                        ; implicit-def: $vgpr6
.LBB18_884:
	s_andn2_b32 vcc_lo, exec_lo, s23
	s_cbranch_vccnz .LBB18_886
; %bb.885:
	global_load_ushort v2, v[0:1], off
	s_waitcnt vmcnt(0)
	v_cvt_f32_u32_e32 v6, v2
.LBB18_886:
	s_mov_b32 s23, 0
.LBB18_887:
	s_andn2_b32 vcc_lo, exec_lo, s23
	s_cbranch_vccnz .LBB18_895
; %bb.888:
	global_load_ubyte v2, v[0:1], off
	s_mov_b32 s23, 0
	s_mov_b32 s24, exec_lo
	s_waitcnt vmcnt(0)
	v_cmpx_lt_i16_e32 0x7f, v2
	s_xor_b32 s24, exec_lo, s24
	s_cbranch_execz .LBB18_909
; %bb.889:
	s_mov_b32 s23, -1
	s_mov_b32 s25, exec_lo
	v_cmpx_eq_u16_e32 0x80, v2
; %bb.890:
	s_xor_b32 s23, exec_lo, -1
; %bb.891:
	s_or_b32 exec_lo, exec_lo, s25
	s_and_b32 s23, s23, exec_lo
	s_or_saveexec_b32 s24, s24
	v_mov_b32_e32 v6, 0x7f800001
	s_xor_b32 exec_lo, exec_lo, s24
	s_cbranch_execnz .LBB18_910
.LBB18_892:
	s_or_b32 exec_lo, exec_lo, s24
	s_and_saveexec_b32 s24, s23
	s_cbranch_execz .LBB18_894
.LBB18_893:
	v_and_b32_e32 v3, 0xffff, v2
	v_lshlrev_b32_e32 v2, 24, v2
	v_and_b32_e32 v4, 7, v3
	v_bfe_u32 v7, v3, 3, 4
	v_and_b32_e32 v2, 0x80000000, v2
	v_ffbh_u32_e32 v5, v4
	v_cmp_eq_u32_e32 vcc_lo, 0, v7
	v_min_u32_e32 v5, 32, v5
	v_subrev_nc_u32_e32 v6, 28, v5
	v_sub_nc_u32_e32 v5, 29, v5
	v_lshlrev_b32_e32 v3, v6, v3
	v_cndmask_b32_e32 v5, v7, v5, vcc_lo
	v_and_b32_e32 v3, 7, v3
	v_cndmask_b32_e32 v3, v4, v3, vcc_lo
	v_lshl_add_u32 v4, v5, 23, 0x3b800000
	v_lshlrev_b32_e32 v3, 20, v3
	v_or3_b32 v6, v2, v4, v3
.LBB18_894:
	s_or_b32 exec_lo, exec_lo, s24
.LBB18_895:
	s_mov_b32 s23, -1
.LBB18_896:
	s_mov_b32 s24, 0
.LBB18_897:
	s_and_b32 vcc_lo, exec_lo, s24
	s_cbranch_vccz .LBB18_930
; %bb.898:
	s_cmp_gt_i32 s20, 22
	s_cbranch_scc0 .LBB18_908
; %bb.899:
	s_cmp_lt_i32 s20, 24
	s_cbranch_scc1 .LBB18_911
; %bb.900:
	s_cmp_gt_i32 s20, 24
	s_cbranch_scc0 .LBB18_912
; %bb.901:
	global_load_ubyte v2, v[0:1], off
	s_mov_b32 s23, exec_lo
	s_waitcnt vmcnt(0)
	v_cmpx_lt_i16_e32 0x7f, v2
	s_xor_b32 s23, exec_lo, s23
	s_cbranch_execz .LBB18_924
; %bb.902:
	s_mov_b32 s22, -1
	s_mov_b32 s24, exec_lo
	v_cmpx_eq_u16_e32 0x80, v2
; %bb.903:
	s_xor_b32 s22, exec_lo, -1
; %bb.904:
	s_or_b32 exec_lo, exec_lo, s24
	s_and_b32 s22, s22, exec_lo
	s_or_saveexec_b32 s23, s23
	v_mov_b32_e32 v6, 0x7f800001
	s_xor_b32 exec_lo, exec_lo, s23
	s_cbranch_execnz .LBB18_925
.LBB18_905:
	s_or_b32 exec_lo, exec_lo, s23
	s_and_saveexec_b32 s23, s22
	s_cbranch_execz .LBB18_907
.LBB18_906:
	v_and_b32_e32 v3, 0xffff, v2
	v_lshlrev_b32_e32 v2, 24, v2
	v_and_b32_e32 v4, 3, v3
	v_bfe_u32 v7, v3, 2, 5
	v_and_b32_e32 v2, 0x80000000, v2
	v_ffbh_u32_e32 v5, v4
	v_cmp_eq_u32_e32 vcc_lo, 0, v7
	v_min_u32_e32 v5, 32, v5
	v_subrev_nc_u32_e32 v6, 29, v5
	v_sub_nc_u32_e32 v5, 30, v5
	v_lshlrev_b32_e32 v3, v6, v3
	v_cndmask_b32_e32 v5, v7, v5, vcc_lo
	v_and_b32_e32 v3, 3, v3
	v_cndmask_b32_e32 v3, v4, v3, vcc_lo
	v_lshl_add_u32 v4, v5, 23, 0x37800000
	v_lshlrev_b32_e32 v3, 21, v3
	v_or3_b32 v6, v2, v4, v3
.LBB18_907:
	s_or_b32 exec_lo, exec_lo, s23
	s_mov_b32 s22, 0
	s_branch .LBB18_913
.LBB18_908:
	s_mov_b32 s22, -1
                                        ; implicit-def: $vgpr6
	s_branch .LBB18_919
.LBB18_909:
	s_or_saveexec_b32 s24, s24
	v_mov_b32_e32 v6, 0x7f800001
	s_xor_b32 exec_lo, exec_lo, s24
	s_cbranch_execz .LBB18_892
.LBB18_910:
	v_cmp_ne_u16_e32 vcc_lo, 0, v2
	v_mov_b32_e32 v6, 0
	s_andn2_b32 s23, s23, exec_lo
	s_and_b32 s25, vcc_lo, exec_lo
	s_or_b32 s23, s23, s25
	s_or_b32 exec_lo, exec_lo, s24
	s_and_saveexec_b32 s24, s23
	s_cbranch_execnz .LBB18_893
	s_branch .LBB18_894
.LBB18_911:
	s_mov_b32 s22, -1
                                        ; implicit-def: $vgpr6
	s_branch .LBB18_916
.LBB18_912:
	s_mov_b32 s22, -1
                                        ; implicit-def: $vgpr6
.LBB18_913:
	s_and_b32 vcc_lo, exec_lo, s22
	s_cbranch_vccz .LBB18_915
; %bb.914:
	global_load_ubyte v2, v[0:1], off
	s_waitcnt vmcnt(0)
	v_lshlrev_b32_e32 v2, 24, v2
	v_and_b32_e32 v3, 0x7f000000, v2
	v_ffbh_u32_e32 v4, v3
	v_add_nc_u32_e32 v6, 0x1000000, v3
	v_cmp_ne_u32_e32 vcc_lo, 0, v3
	v_min_u32_e32 v4, 32, v4
	v_sub_nc_u32_e64 v4, v4, 4 clamp
	v_lshlrev_b32_e32 v5, v4, v3
	v_lshlrev_b32_e32 v4, 23, v4
	v_lshrrev_b32_e32 v5, 4, v5
	v_sub_nc_u32_e32 v4, v5, v4
	v_ashrrev_i32_e32 v5, 8, v6
	v_add_nc_u32_e32 v4, 0x3c000000, v4
	v_and_or_b32 v4, 0x7f800000, v5, v4
	v_cndmask_b32_e32 v3, 0, v4, vcc_lo
	v_and_or_b32 v6, 0x80000000, v2, v3
.LBB18_915:
	s_mov_b32 s22, 0
.LBB18_916:
	s_andn2_b32 vcc_lo, exec_lo, s22
	s_cbranch_vccnz .LBB18_918
; %bb.917:
	global_load_ubyte v2, v[0:1], off
	s_waitcnt vmcnt(0)
	v_lshlrev_b32_e32 v3, 25, v2
	v_lshlrev_b16 v2, 8, v2
	v_lshrrev_b32_e32 v4, 4, v3
	v_and_or_b32 v5, 0x7f00, v2, 0.5
	v_cmp_gt_u32_e32 vcc_lo, 0x8000000, v3
	v_bfe_i32 v2, v2, 0, 16
	v_or_b32_e32 v4, 0x70000000, v4
	v_add_f32_e32 v5, -0.5, v5
	v_mul_f32_e32 v4, 0x7800000, v4
	v_cndmask_b32_e32 v3, v4, v5, vcc_lo
	v_and_or_b32 v6, 0x80000000, v2, v3
.LBB18_918:
	s_mov_b32 s22, 0
	s_mov_b32 s23, -1
.LBB18_919:
	s_andn2_b32 vcc_lo, exec_lo, s22
	s_mov_b32 s22, 0
	s_cbranch_vccnz .LBB18_930
; %bb.920:
	s_cmp_gt_i32 s20, 14
	s_cbranch_scc0 .LBB18_923
; %bb.921:
	s_cmp_eq_u32 s20, 15
	s_cbranch_scc0 .LBB18_926
; %bb.922:
	global_load_ushort v2, v[0:1], off
	s_mov_b32 s21, 0
	s_mov_b32 s23, -1
	s_waitcnt vmcnt(0)
	v_lshlrev_b32_e32 v6, 16, v2
	s_branch .LBB18_928
.LBB18_923:
	s_mov_b32 s22, -1
	s_branch .LBB18_927
.LBB18_924:
	s_or_saveexec_b32 s23, s23
	v_mov_b32_e32 v6, 0x7f800001
	s_xor_b32 exec_lo, exec_lo, s23
	s_cbranch_execz .LBB18_905
.LBB18_925:
	v_cmp_ne_u16_e32 vcc_lo, 0, v2
	v_mov_b32_e32 v6, 0
	s_andn2_b32 s22, s22, exec_lo
	s_and_b32 s24, vcc_lo, exec_lo
	s_or_b32 s22, s22, s24
	s_or_b32 exec_lo, exec_lo, s23
	s_and_saveexec_b32 s23, s22
	s_cbranch_execnz .LBB18_906
	s_branch .LBB18_907
.LBB18_926:
	s_mov_b32 s21, -1
.LBB18_927:
                                        ; implicit-def: $vgpr6
.LBB18_928:
	s_and_b32 vcc_lo, exec_lo, s22
	s_mov_b32 s22, 0
	s_cbranch_vccz .LBB18_930
; %bb.929:
	s_cmp_lg_u32 s20, 11
	s_mov_b32 s22, -1
	s_cselect_b32 s20, -1, 0
	s_andn2_b32 s21, s21, exec_lo
	s_and_b32 s20, s20, exec_lo
	s_or_b32 s21, s21, s20
.LBB18_930:
	s_mov_b32 s20, 0
.LBB18_931:
	s_andn2_b32 s25, s0, exec_lo
	s_and_b32 s21, s21, exec_lo
	s_and_b32 s23, s23, exec_lo
	;; [unrolled: 1-line block ×4, first 2 shown]
	s_or_b32 s21, s25, s21
.LBB18_932:
	s_or_b32 exec_lo, exec_lo, s13
	s_andn2_b32 s0, s0, exec_lo
	s_and_b32 s13, s21, exec_lo
	s_and_b32 s23, s23, exec_lo
	;; [unrolled: 1-line block ×4, first 2 shown]
	s_or_b32 s0, s0, s13
.LBB18_933:
	s_or_b32 exec_lo, exec_lo, s19
	s_andn2_b32 s13, s17, exec_lo
	s_and_b32 s1, s1, exec_lo
	s_and_b32 s0, s0, exec_lo
	s_or_b32 s17, s13, s1
	s_andn2_b32 s13, s16, exec_lo
	s_and_b32 s20, s23, exec_lo
	s_and_b32 s19, s22, exec_lo
	s_and_b32 s1, s21, exec_lo
	s_or_b32 s16, s13, s0
.LBB18_934:
	s_or_b32 exec_lo, exec_lo, s18
	s_andn2_b32 s0, s12, exec_lo
	s_and_b32 s12, s17, exec_lo
	s_andn2_b32 s13, s14, exec_lo
	s_and_b32 s14, s16, exec_lo
	s_or_b32 s12, s0, s12
	s_and_b32 s0, s20, exec_lo
	s_and_b32 s17, s19, exec_lo
	;; [unrolled: 1-line block ×3, first 2 shown]
	s_or_b32 s14, s13, s14
	s_or_b32 exec_lo, exec_lo, s15
	s_mov_b32 s13, 0
	s_and_saveexec_b32 s1, s14
	s_cbranch_execz .LBB18_286
.LBB18_935:
	s_mov_b32 s13, exec_lo
	s_andn2_b32 s16, s16, exec_lo
	s_trap 2
	s_or_b32 exec_lo, exec_lo, s1
	s_and_saveexec_b32 s1, s16
	s_xor_b32 s1, exec_lo, s1
	s_cbranch_execnz .LBB18_287
.LBB18_936:
	s_or_b32 exec_lo, exec_lo, s1
	s_and_saveexec_b32 s1, s17
	s_cbranch_execz .LBB18_982
.LBB18_937:
	s_sext_i32_i16 s14, s6
	s_cmp_lt_i32 s14, 5
	s_cbranch_scc1 .LBB18_942
; %bb.938:
	s_cmp_lt_i32 s14, 8
	s_cbranch_scc1 .LBB18_943
; %bb.939:
	;; [unrolled: 3-line block ×3, first 2 shown]
	s_cmp_gt_i32 s14, 9
	s_cbranch_scc0 .LBB18_945
; %bb.941:
	global_load_dwordx2 v[2:3], v[0:1], off
	s_mov_b32 s14, 0
	s_waitcnt vmcnt(0)
	v_cvt_f32_f64_e32 v6, v[2:3]
	s_branch .LBB18_946
.LBB18_942:
                                        ; implicit-def: $vgpr6
	s_branch .LBB18_963
.LBB18_943:
                                        ; implicit-def: $vgpr6
	s_branch .LBB18_952
.LBB18_944:
	s_mov_b32 s14, -1
                                        ; implicit-def: $vgpr6
	s_branch .LBB18_949
.LBB18_945:
	s_mov_b32 s14, -1
                                        ; implicit-def: $vgpr6
.LBB18_946:
	s_andn2_b32 vcc_lo, exec_lo, s14
	s_cbranch_vccnz .LBB18_948
; %bb.947:
	global_load_dword v6, v[0:1], off
.LBB18_948:
	s_mov_b32 s14, 0
.LBB18_949:
	s_andn2_b32 vcc_lo, exec_lo, s14
	s_cbranch_vccnz .LBB18_951
; %bb.950:
	global_load_dword v2, v[0:1], off
	s_waitcnt vmcnt(0)
	v_cvt_f32_f16_e32 v6, v2
.LBB18_951:
	s_cbranch_execnz .LBB18_962
.LBB18_952:
	s_sext_i32_i16 s14, s6
	s_cmp_lt_i32 s14, 6
	s_cbranch_scc1 .LBB18_955
; %bb.953:
	s_cmp_gt_i32 s14, 6
	s_cbranch_scc0 .LBB18_956
; %bb.954:
	global_load_dwordx2 v[2:3], v[0:1], off
	s_mov_b32 s14, 0
	s_waitcnt vmcnt(0)
	v_cvt_f32_f64_e32 v6, v[2:3]
	s_branch .LBB18_957
.LBB18_955:
	s_mov_b32 s14, -1
                                        ; implicit-def: $vgpr6
	s_branch .LBB18_960
.LBB18_956:
	s_mov_b32 s14, -1
                                        ; implicit-def: $vgpr6
.LBB18_957:
	s_andn2_b32 vcc_lo, exec_lo, s14
	s_cbranch_vccnz .LBB18_959
; %bb.958:
	global_load_dword v6, v[0:1], off
.LBB18_959:
	s_mov_b32 s14, 0
.LBB18_960:
	s_andn2_b32 vcc_lo, exec_lo, s14
	s_cbranch_vccnz .LBB18_962
; %bb.961:
	global_load_ushort v2, v[0:1], off
	s_waitcnt vmcnt(0)
	v_cvt_f32_f16_e32 v6, v2
.LBB18_962:
	s_cbranch_execnz .LBB18_981
.LBB18_963:
	s_sext_i32_i16 s14, s6
	s_cmp_lt_i32 s14, 2
	s_cbranch_scc1 .LBB18_967
; %bb.964:
	s_cmp_lt_i32 s14, 3
	s_cbranch_scc1 .LBB18_968
; %bb.965:
	s_cmp_gt_i32 s14, 3
	s_cbranch_scc0 .LBB18_969
; %bb.966:
	global_load_dwordx2 v[2:3], v[0:1], off
	s_mov_b32 s14, 0
	s_waitcnt vmcnt(0)
	v_xor_b32_e32 v4, v2, v3
	v_ffbh_i32_e32 v5, v3
	v_ashrrev_i32_e32 v4, 31, v4
	v_add_nc_u32_e32 v5, -1, v5
	v_add_nc_u32_e32 v4, 32, v4
	v_min_u32_e32 v4, v5, v4
	v_lshlrev_b64 v[2:3], v4, v[2:3]
	v_min_u32_e32 v2, 1, v2
	v_or_b32_e32 v2, v3, v2
	v_sub_nc_u32_e32 v3, 32, v4
	v_cvt_f32_i32_e32 v2, v2
	v_ldexp_f32 v6, v2, v3
	s_branch .LBB18_970
.LBB18_967:
                                        ; implicit-def: $vgpr6
	s_branch .LBB18_976
.LBB18_968:
	s_mov_b32 s14, -1
                                        ; implicit-def: $vgpr6
	s_branch .LBB18_973
.LBB18_969:
	s_mov_b32 s14, -1
                                        ; implicit-def: $vgpr6
.LBB18_970:
	s_andn2_b32 vcc_lo, exec_lo, s14
	s_cbranch_vccnz .LBB18_972
; %bb.971:
	global_load_dword v2, v[0:1], off
	s_waitcnt vmcnt(0)
	v_cvt_f32_i32_e32 v6, v2
.LBB18_972:
	s_mov_b32 s14, 0
.LBB18_973:
	s_andn2_b32 vcc_lo, exec_lo, s14
	s_cbranch_vccnz .LBB18_975
; %bb.974:
	global_load_sshort v2, v[0:1], off
	s_waitcnt vmcnt(0)
	v_cvt_f32_i32_e32 v6, v2
.LBB18_975:
	s_cbranch_execnz .LBB18_981
.LBB18_976:
	s_sext_i32_i16 s14, s6
	s_cmp_gt_i32 s14, 0
	s_mov_b32 s14, 0
	s_cbranch_scc0 .LBB18_978
; %bb.977:
	global_load_sbyte v2, v[0:1], off
	s_waitcnt vmcnt(0)
	v_cvt_f32_i32_e32 v6, v2
	s_branch .LBB18_979
.LBB18_978:
	s_mov_b32 s14, -1
                                        ; implicit-def: $vgpr6
.LBB18_979:
	s_andn2_b32 vcc_lo, exec_lo, s14
	s_cbranch_vccnz .LBB18_981
; %bb.980:
	global_load_ubyte v0, v[0:1], off
	s_waitcnt vmcnt(0)
	v_cvt_f32_ubyte0_e32 v6, v0
.LBB18_981:
	s_or_b32 s0, s0, exec_lo
.LBB18_982:
	s_or_b32 exec_lo, exec_lo, s1
	s_mov_b32 s16, 0
	s_mov_b32 s15, 0
                                        ; implicit-def: $sgpr1
                                        ; implicit-def: $vgpr2_vgpr3
                                        ; implicit-def: $vgpr0
	s_and_saveexec_b32 s14, s0
	s_cbranch_execz .LBB18_1014
; %bb.983:
                                        ; implicit-def: $vgpr0
	s_mov_b32 s0, exec_lo
	s_waitcnt vmcnt(0)
	v_cmpx_neq_f32_e32 0, v6
	s_xor_b32 s15, exec_lo, s0
	s_cbranch_execz .LBB18_1005
; %bb.984:
	v_mov_b32_e32 v1, 0
	s_mov_b32 s0, -1
	s_mov_b32 s16, exec_lo
	v_cmpx_gt_f32_e32 0, v6
	s_cbranch_execz .LBB18_992
; %bb.985:
	v_trunc_f32_e32 v0, v6
	v_mov_b32_e32 v1, 0
	s_mov_b32 s1, 0
	s_mov_b32 s17, exec_lo
	v_cmpx_neq_f32_e32 v6, v0
	s_cbranch_execz .LBB18_991
; %bb.986:
	v_cvt_f64_f32_e32 v[0:1], v6
	s_mov_b32 s1, 0xc00921fb
	s_mov_b32 s0, 0x54442d18
	s_mov_b32 s18, exec_lo
                                        ; implicit-def: $vgpr7
                                        ; implicit-def: $vgpr4_vgpr5
	v_trunc_f64_e32 v[2:3], v[0:1]
	v_cmp_neq_f64_e64 vcc_lo, 0x7ff00000, |v[0:1]|
	v_add_f64 v[2:3], v[0:1], -v[2:3]
	v_mul_f64 v[2:3], |v[2:3]|, s[0:1]
	v_cndmask_b32_e32 v1, 0x80000000, v3, vcc_lo
	v_cndmask_b32_e32 v0, 0, v2, vcc_lo
                                        ; implicit-def: $vgpr2_vgpr3
	v_cmpx_ngt_f64_e64 0x41d00000, |v[0:1]|
	s_xor_b32 s18, exec_lo, s18
	s_cbranch_execz .LBB18_988
; %bb.987:
	v_ldexp_f64 v[2:3], |v[0:1]|, 0xffffff80
	v_cmp_le_f64_e64 vcc_lo, 0x7b000000, |v[0:1]|
	v_trig_preop_f64 v[4:5], |v[0:1]|, 0
	v_and_b32_e32 v7, 0x7fffffff, v1
	v_trig_preop_f64 v[18:19], |v[0:1]|, 2
	v_mov_b32_e32 v26, 0
	s_mov_b32 s1, 0x3ff921fb
	s_mov_b32 s20, 0x33145c07
	;; [unrolled: 1-line block ×3, first 2 shown]
	v_cndmask_b32_e32 v3, v7, v3, vcc_lo
	v_cndmask_b32_e32 v2, v0, v2, vcc_lo
	v_trig_preop_f64 v[7:8], |v[0:1]|, 1
	v_mul_f64 v[9:10], v[4:5], v[2:3]
	v_mul_f64 v[24:25], v[18:19], v[2:3]
	;; [unrolled: 1-line block ×3, first 2 shown]
	v_fma_f64 v[4:5], v[4:5], v[2:3], -v[9:10]
	v_fma_f64 v[7:8], v[7:8], v[2:3], -v[12:13]
	;; [unrolled: 1-line block ×3, first 2 shown]
	v_add_f64 v[14:15], v[12:13], v[4:5]
	v_add_f64 v[16:17], v[14:15], -v[12:13]
	v_add_f64 v[22:23], v[9:10], v[14:15]
	v_add_f64 v[20:21], v[14:15], -v[16:17]
	v_add_f64 v[4:5], v[4:5], -v[16:17]
	v_ldexp_f64 v[16:17], v[22:23], -2
	v_add_f64 v[9:10], v[22:23], -v[9:10]
	v_add_f64 v[12:13], v[12:13], -v[20:21]
	v_add_f64 v[20:21], v[24:25], v[7:8]
	v_cmp_neq_f64_e64 vcc_lo, 0x7ff00000, |v[16:17]|
	v_add_f64 v[9:10], v[14:15], -v[9:10]
	v_add_f64 v[4:5], v[4:5], v[12:13]
	v_fract_f64_e32 v[12:13], v[16:17]
	v_add_f64 v[14:15], v[20:21], v[4:5]
	v_ldexp_f64 v[12:13], v[12:13], 2
	v_add_f64 v[16:17], v[9:10], v[14:15]
	v_cndmask_b32_e32 v13, 0, v13, vcc_lo
	v_cndmask_b32_e32 v12, 0, v12, vcc_lo
	v_add_f64 v[22:23], v[16:17], v[12:13]
	v_add_f64 v[9:10], v[16:17], -v[9:10]
	v_cmp_gt_f64_e32 vcc_lo, 0, v[22:23]
	v_add_f64 v[22:23], v[20:21], -v[24:25]
	v_cndmask_b32_e64 v27, 0, 0x40100000, vcc_lo
	v_add_f64 v[31:32], v[20:21], -v[22:23]
	v_add_f64 v[7:8], v[7:8], -v[22:23]
	v_add_f64 v[12:13], v[12:13], v[26:27]
	v_add_f64 v[27:28], v[14:15], -v[20:21]
	v_add_f64 v[22:23], v[24:25], -v[31:32]
	v_add_f64 v[29:30], v[16:17], v[12:13]
	;; [unrolled: 3-line block ×3, first 2 shown]
	v_cvt_i32_f64_e32 v29, v[29:30]
	v_add_f64 v[20:21], v[20:21], -v[33:34]
	v_cvt_f64_i32_e32 v[27:28], v29
	v_add_f64 v[4:5], v[4:5], v[20:21]
	v_add_f64 v[12:13], v[12:13], -v[27:28]
	v_add_f64 v[4:5], v[7:8], v[4:5]
	v_add_f64 v[7:8], v[14:15], -v[9:10]
	v_add_f64 v[18:19], v[16:17], v[12:13]
	v_add_f64 v[2:3], v[2:3], v[4:5]
	v_add_f64 v[4:5], v[18:19], -v[12:13]
	v_cmp_le_f64_e32 vcc_lo, 0.5, v[18:19]
	v_add_f64 v[2:3], v[7:8], v[2:3]
	v_add_f64 v[4:5], v[16:17], -v[4:5]
	v_cndmask_b32_e64 v27, 0, 0x3ff00000, vcc_lo
	v_add_co_ci_u32_e64 v7, null, 0, v29, vcc_lo
	v_add_f64 v[2:3], v[2:3], v[4:5]
	v_add_f64 v[4:5], v[18:19], -v[26:27]
	v_add_f64 v[8:9], v[4:5], v[2:3]
	v_mul_f64 v[12:13], v[8:9], s[0:1]
	v_add_f64 v[4:5], v[8:9], -v[4:5]
	v_fma_f64 v[14:15], v[8:9], s[0:1], -v[12:13]
	v_add_f64 v[2:3], v[2:3], -v[4:5]
	v_fma_f64 v[4:5], v[8:9], s[20:21], v[14:15]
	v_fma_f64 v[4:5], v[2:3], s[0:1], v[4:5]
	v_add_f64 v[2:3], v[12:13], v[4:5]
	v_add_f64 v[8:9], v[2:3], -v[12:13]
	v_add_f64 v[4:5], v[4:5], -v[8:9]
.LBB18_988:
	s_andn2_saveexec_b32 s0, s18
	s_cbranch_execz .LBB18_990
; %bb.989:
	s_mov_b32 s18, 0x6dc9c883
	s_mov_b32 s19, 0x3fe45f30
	;; [unrolled: 1-line block ×3, first 2 shown]
	v_mul_f64 v[2:3], |v[0:1]|, s[18:19]
	s_mov_b32 s18, 0x54442d18
	s_mov_b32 s19, 0xbff921fb
	s_mov_b32 s20, 0x33145c00
	v_rndne_f64_e32 v[7:8], v[2:3]
	v_fma_f64 v[2:3], v[7:8], s[18:19], |v[0:1]|
	v_mul_f64 v[4:5], v[7:8], s[20:21]
	s_mov_b32 s18, 0x252049c0
	s_mov_b32 s19, 0xb97b839a
	v_fma_f64 v[12:13], v[7:8], s[20:21], v[2:3]
	v_add_f64 v[9:10], v[2:3], v[4:5]
	s_mov_b32 s21, 0x3c91a626
	v_add_f64 v[2:3], v[2:3], -v[9:10]
	v_add_f64 v[9:10], v[9:10], -v[12:13]
	v_add_f64 v[2:3], v[2:3], v[4:5]
	v_fma_f64 v[4:5], v[7:8], s[20:21], v[4:5]
	v_add_f64 v[2:3], v[9:10], v[2:3]
	v_add_f64 v[2:3], v[2:3], -v[4:5]
	v_fma_f64 v[4:5], v[7:8], s[18:19], v[2:3]
	v_cvt_i32_f64_e32 v7, v[7:8]
	v_add_f64 v[2:3], v[12:13], v[4:5]
	v_add_f64 v[9:10], v[2:3], -v[12:13]
	v_add_f64 v[4:5], v[4:5], -v[9:10]
.LBB18_990:
	s_or_b32 exec_lo, exec_lo, s0
	v_mul_f64 v[8:9], v[2:3], v[2:3]
	v_add_f64 v[12:13], v[4:5], v[4:5]
	s_mov_b32 s18, 0xa9a29f71
	s_mov_b32 s20, 0xc751c08c
	;; [unrolled: 1-line block ×4, first 2 shown]
	v_cmp_class_f64_e64 s0, v[0:1], 0x1f8
	v_and_b32_e32 v7, 1, v7
	v_and_b32_e32 v1, 0x80000000, v1
	v_sub_f32_e32 v6, 1.0, v6
	s_mov_b32 s1, exec_lo
	v_cmp_eq_u32_e32 vcc_lo, 0, v7
	v_fma_f64 v[14:15], v[2:3], v[2:3], -v[8:9]
	v_fma_f64 v[12:13], v[2:3], v[12:13], v[14:15]
	v_add_f64 v[8:9], v[8:9], v[12:13]
	v_fma_f64 v[12:13], v[8:9], s[20:21], s[18:19]
	s_mov_b32 s18, 0x90a8aae0
	s_mov_b32 s19, 0x3f17746f
	v_fma_f64 v[12:13], v[8:9], v[12:13], s[18:19]
	s_mov_b32 s18, 0xa6fbf144
	s_mov_b32 s19, 0xbefbb44d
	;; [unrolled: 3-line block ×13, first 2 shown]
	v_mul_f64 v[8:9], v[8:9], v[12:13]
	v_mul_f64 v[12:13], v[2:3], v[8:9]
	v_add_f64 v[14:15], v[2:3], v[12:13]
	v_fma_f64 v[8:9], v[2:3], v[8:9], -v[12:13]
	v_add_f64 v[2:3], v[14:15], -v[2:3]
	v_add_f64 v[4:5], v[4:5], v[8:9]
	v_add_f64 v[2:3], v[12:13], -v[2:3]
	v_add_f64 v[2:3], v[4:5], v[2:3]
	v_add_f64 v[4:5], v[14:15], v[2:3]
	v_rcp_f64_e32 v[8:9], v[4:5]
	v_fma_f64 v[12:13], -v[4:5], v[8:9], 1.0
	v_fma_f64 v[8:9], v[12:13], v[8:9], v[8:9]
	v_fma_f64 v[12:13], -v[4:5], v[8:9], 1.0
	v_fma_f64 v[8:9], v[12:13], v[8:9], v[8:9]
	v_add_f64 v[12:13], v[4:5], -v[14:15]
	v_mul_f64 v[14:15], v[4:5], v[8:9]
	v_add_f64 v[2:3], v[2:3], -v[12:13]
	v_fma_f64 v[12:13], v[8:9], v[4:5], -v[14:15]
	v_fma_f64 v[2:3], v[8:9], v[2:3], v[12:13]
	v_add_f64 v[12:13], v[14:15], v[2:3]
	v_add_f64 v[16:17], -v[12:13], 1.0
	v_add_f64 v[14:15], v[12:13], -v[14:15]
	v_add_f64 v[18:19], -v[16:17], 1.0
	v_add_f64 v[2:3], v[14:15], -v[2:3]
	v_add_f64 v[12:13], v[18:19], -v[12:13]
	v_add_f64 v[2:3], v[2:3], v[12:13]
	v_add_f64 v[2:3], v[16:17], v[2:3]
	v_mul_f64 v[2:3], v[8:9], v[2:3]
	v_add_f64 v[2:3], v[8:9], v[2:3]
	v_xor_b32_e32 v0, 0x80000000, v3
	v_cndmask_b32_e32 v2, v2, v4, vcc_lo
	v_cndmask_b32_e32 v0, v0, v5, vcc_lo
	v_xor_b32_e32 v1, v0, v1
	v_cndmask_b32_e64 v0, 0, v2, s0
	v_cndmask_b32_e64 v1, 0x7ff80000, v1, s0
	v_div_scale_f64 v[2:3], null, v[0:1], v[0:1], s[18:19]
	v_rcp_f64_e32 v[4:5], v[2:3]
	v_fma_f64 v[7:8], -v[2:3], v[4:5], 1.0
	v_fma_f64 v[4:5], v[4:5], v[7:8], v[4:5]
	v_fma_f64 v[7:8], -v[2:3], v[4:5], 1.0
	v_fma_f64 v[4:5], v[4:5], v[7:8], v[4:5]
	v_div_scale_f64 v[7:8], vcc_lo, s[18:19], v[0:1], s[18:19]
	v_mul_f64 v[9:10], v[7:8], v[4:5]
	v_fma_f64 v[2:3], -v[2:3], v[9:10], v[7:8]
	v_div_fmas_f64 v[2:3], v[2:3], v[4:5], v[9:10]
	v_div_fixup_f64 v[0:1], v[2:3], v[0:1], s[18:19]
	v_cvt_f32_f64_e32 v1, v[0:1]
.LBB18_991:
	s_or_b32 exec_lo, exec_lo, s17
	s_orn2_b32 s0, s1, exec_lo
.LBB18_992:
	s_or_b32 exec_lo, exec_lo, s16
	v_mov_b32_e32 v0, 0x7fc00000
	s_and_saveexec_b32 s16, s0
	s_cbranch_execz .LBB18_1004
; %bb.993:
	s_mov_b32 s0, exec_lo
	v_cmpx_gt_f32_e32 0x41200000, v6
	s_cbranch_execz .LBB18_997
; %bb.994:
	s_mov_b32 s1, 0
	.p2align	6
.LBB18_995:                             ; =>This Inner Loop Header: Depth=1
	v_div_scale_f32 v0, null, v6, v6, 1.0
	v_div_scale_f32 v4, vcc_lo, 1.0, v6, 1.0
	v_rcp_f32_e32 v2, v0
	v_fma_f32 v3, -v0, v2, 1.0
	v_fmac_f32_e32 v2, v3, v2
	v_mul_f32_e32 v3, v4, v2
	v_fma_f32 v5, -v0, v3, v4
	v_fmac_f32_e32 v3, v5, v2
	v_fma_f32 v0, -v0, v3, v4
	v_div_fmas_f32 v0, v0, v2, v3
	v_div_fixup_f32 v0, v0, v6, 1.0
	v_add_f32_e32 v6, 1.0, v6
	v_sub_f32_e32 v1, v1, v0
	v_cmp_ngt_f32_e32 vcc_lo, 0x41200000, v6
	s_or_b32 s1, vcc_lo, s1
	s_andn2_b32 exec_lo, exec_lo, s1
	s_cbranch_execnz .LBB18_995
; %bb.996:
	s_or_b32 exec_lo, exec_lo, s1
.LBB18_997:
	s_or_b32 exec_lo, exec_lo, s0
                                        ; implicit-def: $vgpr0
	s_mov_b32 s0, exec_lo
	v_cmpx_neq_f32_e32 0x41200000, v6
	s_xor_b32 s17, exec_lo, s0
	s_cbranch_execz .LBB18_1001
; %bb.998:
	v_cvt_f64_f32_e32 v[2:3], v6
	s_mov_b32 s0, 0x85d8a000
	s_mov_b32 s1, 0x43763457
	v_mov_b32_e32 v0, 0
	v_cmp_gt_f64_e32 vcc_lo, s[0:1], v[2:3]
	s_and_saveexec_b32 s0, vcc_lo
	s_cbranch_execz .LBB18_1000
; %bb.999:
	v_mul_f32_e32 v0, v6, v6
	v_div_scale_f32 v2, null, v0, v0, 1.0
	v_rcp_f32_e32 v3, v2
	v_fma_f32 v4, -v2, v3, 1.0
	v_fmac_f32_e32 v3, v4, v3
	v_div_scale_f32 v4, vcc_lo, 1.0, v0, 1.0
	v_mul_f32_e32 v5, v4, v3
	v_fma_f32 v7, -v2, v5, v4
	v_fmac_f32_e32 v5, v7, v3
	v_fma_f32 v2, -v2, v5, v4
	v_div_fmas_f32 v2, v2, v3, v5
	v_div_fixup_f32 v0, v2, v0, 1.0
	v_fmaak_f32 v2, 0, v0, 0x3daaaaab
	v_fmaak_f32 v2, v0, v2, 0xbcaccacd
	;; [unrolled: 1-line block ×7, first 2 shown]
	v_mul_f32_e32 v0, v0, v2
.LBB18_1000:
	s_or_b32 exec_lo, exec_lo, s0
	v_cmp_gt_f32_e32 vcc_lo, 0x800000, v6
	v_div_scale_f32 v2, null, v6, v6, -0.5
	v_div_scale_f32 v7, s0, -0.5, v6, -0.5
	v_cndmask_b32_e64 v3, 0, 32, vcc_lo
	v_rcp_f32_e32 v4, v2
	v_ldexp_f32 v3, v6, v3
	v_log_f32_e32 v3, v3
	v_fma_f32 v5, -v2, v4, 1.0
	v_fmac_f32_e32 v4, v5, v4
	v_mul_f32_e32 v5, 0x3f317217, v3
	v_mul_f32_e32 v8, v7, v4
	v_cmp_gt_f32_e64 s1, 0x7f800000, |v3|
	v_fma_f32 v5, 0x3f317217, v3, -v5
	v_fma_f32 v9, -v2, v8, v7
	v_fmamk_f32 v5, v3, 0x3377d1cf, v5
	v_fmac_f32_e32 v8, v9, v4
	v_fmac_f32_e32 v5, 0x3f317217, v3
	v_fma_f32 v2, -v2, v8, v7
	v_cndmask_b32_e64 v3, v3, v5, s1
	v_cndmask_b32_e64 v5, 0, 0x41b17218, vcc_lo
	s_mov_b32 vcc_lo, s0
	v_div_fmas_f32 v2, v2, v4, v8
	v_sub_f32_e32 v3, v3, v5
	v_div_fixup_f32 v2, v2, v6, -0.5
	v_add_f32_e32 v2, v3, v2
	v_sub_f32_e32 v0, v2, v0
	v_add_f32_e32 v0, v1, v0
                                        ; implicit-def: $vgpr1
.LBB18_1001:
	s_andn2_saveexec_b32 s0, s17
; %bb.1002:
	v_add_f32_e32 v0, 0x40101cb7, v1
; %bb.1003:
	s_or_b32 exec_lo, exec_lo, s0
.LBB18_1004:
	s_or_b32 exec_lo, exec_lo, s16
                                        ; implicit-def: $vgpr6
.LBB18_1005:
	s_andn2_saveexec_b32 s0, s15
; %bb.1006:
	v_xor_b32_e32 v0, 0x80000000, v6
	s_mov_b32 s1, 0x7f800000
	v_bfi_b32 v0, 0x7fffffff, s1, v0
; %bb.1007:
	s_or_b32 exec_lo, exec_lo, s0
	v_mul_lo_u32 v1, v11, s2
	s_and_b32 s1, s4, 0xff
	s_cmp_lt_i32 s1, 11
	v_ashrrev_i32_e32 v3, 31, v1
	v_add_co_u32 v2, vcc_lo, s8, v1
	v_add_co_ci_u32_e64 v3, null, s9, v3, vcc_lo
	s_cbranch_scc1 .LBB18_1017
; %bb.1008:
	s_and_b32 s15, 0xffff, s1
	s_mov_b32 s16, -1
	s_cmp_gt_i32 s15, 25
	s_mov_b32 s0, s12
	s_cbranch_scc0 .LBB18_1045
; %bb.1009:
	s_cmp_gt_i32 s15, 28
	s_mov_b32 s0, s12
	s_cbranch_scc0 .LBB18_1029
; %bb.1010:
	;; [unrolled: 4-line block ×4, first 2 shown]
	s_cmp_eq_u32 s15, 46
	s_mov_b32 s0, -1
	s_cbranch_scc0 .LBB18_1018
; %bb.1013:
	v_bfe_u32 v1, v0, 16, 1
	v_cmp_o_f32_e32 vcc_lo, v0, v0
	v_mov_b32_e32 v4, 0x7fc0
	s_mov_b32 s0, 0
	s_mov_b32 s16, 0
	v_add3_u32 v1, v0, v1, 0x7fff
	v_cndmask_b32_sdwa v1, v4, v1, vcc_lo dst_sel:DWORD dst_unused:UNUSED_PAD src0_sel:DWORD src1_sel:WORD_1
	global_store_dword v[2:3], v1, off
	s_branch .LBB18_1019
.LBB18_1014:
	s_or_b32 exec_lo, exec_lo, s14
	s_and_saveexec_b32 s0, s12
	s_cbranch_execnz .LBB18_1087
.LBB18_1015:
	s_or_b32 exec_lo, exec_lo, s0
	s_and_saveexec_b32 s0, s16
	s_xor_b32 s0, exec_lo, s0
	s_cbranch_execz .LBB18_1088
.LBB18_1016:
	v_cmp_neq_f32_e32 vcc_lo, 0, v0
	v_cndmask_b32_e64 v1, 0, 1, vcc_lo
	global_store_byte v[2:3], v1, off
	s_or_b32 exec_lo, exec_lo, s0
	s_and_saveexec_b32 s0, s15
	s_xor_b32 s0, exec_lo, s0
	s_cbranch_execz .LBB18_1126
	s_branch .LBB18_1089
.LBB18_1017:
	s_mov_b32 s17, 0
	s_mov_b32 s16, -1
	s_mov_b32 s0, s12
	s_branch .LBB18_1086
.LBB18_1018:
	s_mov_b32 s16, 0
.LBB18_1019:
	s_and_b32 vcc_lo, exec_lo, s16
	s_cbranch_vccz .LBB18_1024
; %bb.1020:
	s_cmp_eq_u32 s15, 44
	s_mov_b32 s0, -1
	s_cbranch_scc0 .LBB18_1024
; %bb.1021:
	v_bfe_u32 v4, v0, 23, 8
	v_mov_b32_e32 v1, 0xff
	s_mov_b32 s16, exec_lo
	v_cmpx_ne_u32_e32 0xff, v4
	s_cbranch_execz .LBB18_1023
; %bb.1022:
	v_and_b32_e32 v1, 0x400000, v0
	v_and_or_b32 v4, 0x3fffff, v0, v4
	v_cmp_ne_u32_e32 vcc_lo, 0, v1
	v_cmp_ne_u32_e64 s0, 0, v4
	v_lshrrev_b32_e32 v1, 23, v0
	s_and_b32 s0, vcc_lo, s0
	v_cndmask_b32_e64 v4, 0, 1, s0
	v_add_nc_u32_e32 v1, v1, v4
.LBB18_1023:
	s_or_b32 exec_lo, exec_lo, s16
	s_mov_b32 s0, 0
	global_store_byte v[2:3], v1, off
.LBB18_1024:
	s_mov_b32 s16, 0
.LBB18_1025:
	s_and_b32 vcc_lo, exec_lo, s16
	s_cbranch_vccz .LBB18_1028
; %bb.1026:
	s_cmp_eq_u32 s15, 29
	s_mov_b32 s0, -1
	s_cbranch_scc0 .LBB18_1028
; %bb.1027:
	v_trunc_f32_e32 v1, v0
	s_mov_b32 s0, 0
	s_mov_b32 s16, 0
	v_mul_f32_e32 v4, 0x2f800000, v1
	v_floor_f32_e32 v4, v4
	v_fmamk_f32 v1, v4, 0xcf800000, v1
	v_cvt_u32_f32_e32 v5, v4
	v_cvt_u32_f32_e32 v4, v1
	global_store_dwordx2 v[2:3], v[4:5], off
	s_branch .LBB18_1029
.LBB18_1028:
	s_mov_b32 s16, 0
.LBB18_1029:
	s_and_b32 vcc_lo, exec_lo, s16
	s_cbranch_vccz .LBB18_1044
; %bb.1030:
	s_cmp_lt_i32 s15, 27
	s_mov_b32 s16, -1
	s_cbranch_scc1 .LBB18_1036
; %bb.1031:
	v_cvt_u32_f32_e32 v1, v0
	s_cmp_gt_i32 s15, 27
	s_cbranch_scc0 .LBB18_1033
; %bb.1032:
	s_mov_b32 s16, 0
	global_store_dword v[2:3], v1, off
.LBB18_1033:
	s_andn2_b32 vcc_lo, exec_lo, s16
	s_cbranch_vccnz .LBB18_1035
; %bb.1034:
	global_store_short v[2:3], v1, off
.LBB18_1035:
	s_mov_b32 s16, 0
.LBB18_1036:
	s_andn2_b32 vcc_lo, exec_lo, s16
	s_cbranch_vccnz .LBB18_1044
; %bb.1037:
	v_and_b32_e32 v1, 0x7fffffff, v0
	v_mov_b32_e32 v4, 0x80
	s_mov_b32 s16, exec_lo
	v_cmpx_gt_u32_e32 0x43800000, v1
	s_cbranch_execz .LBB18_1043
; %bb.1038:
	v_cmp_lt_u32_e32 vcc_lo, 0x3bffffff, v1
	s_mov_b32 s17, 0
                                        ; implicit-def: $vgpr1
	s_and_saveexec_b32 s18, vcc_lo
	s_xor_b32 s18, exec_lo, s18
	s_cbranch_execz .LBB18_1141
; %bb.1039:
	v_bfe_u32 v1, v0, 20, 1
	s_mov_b32 s17, exec_lo
	v_add3_u32 v1, v0, v1, 0x487ffff
	v_lshrrev_b32_e32 v1, 20, v1
	s_andn2_saveexec_b32 s18, s18
	s_cbranch_execnz .LBB18_1142
.LBB18_1040:
	s_or_b32 exec_lo, exec_lo, s18
	v_mov_b32_e32 v4, 0
	s_and_saveexec_b32 s18, s17
.LBB18_1041:
	v_lshrrev_b32_e32 v4, 24, v0
	v_and_or_b32 v4, 0x80, v4, v1
.LBB18_1042:
	s_or_b32 exec_lo, exec_lo, s18
.LBB18_1043:
	s_or_b32 exec_lo, exec_lo, s16
	global_store_byte v[2:3], v4, off
.LBB18_1044:
	s_mov_b32 s16, 0
.LBB18_1045:
	s_and_b32 vcc_lo, exec_lo, s16
	s_mov_b32 s16, 0
	s_cbranch_vccz .LBB18_1085
; %bb.1046:
	s_cmp_gt_i32 s15, 22
	s_mov_b32 s17, -1
	s_cbranch_scc0 .LBB18_1078
; %bb.1047:
	s_cmp_lt_i32 s15, 24
	s_cbranch_scc1 .LBB18_1067
; %bb.1048:
	s_cmp_gt_i32 s15, 24
	s_cbranch_scc0 .LBB18_1056
; %bb.1049:
	v_and_b32_e32 v1, 0x7fffffff, v0
	v_mov_b32_e32 v4, 0x80
	s_mov_b32 s17, exec_lo
	v_cmpx_gt_u32_e32 0x47800000, v1
	s_cbranch_execz .LBB18_1055
; %bb.1050:
	v_cmp_lt_u32_e32 vcc_lo, 0x37ffffff, v1
	s_mov_b32 s18, 0
                                        ; implicit-def: $vgpr1
	s_and_saveexec_b32 s19, vcc_lo
	s_xor_b32 s19, exec_lo, s19
	s_cbranch_execz .LBB18_1291
; %bb.1051:
	v_bfe_u32 v1, v0, 21, 1
	s_mov_b32 s18, exec_lo
	v_add3_u32 v1, v0, v1, 0x88fffff
	v_lshrrev_b32_e32 v1, 21, v1
	s_andn2_saveexec_b32 s19, s19
	s_cbranch_execnz .LBB18_1292
.LBB18_1052:
	s_or_b32 exec_lo, exec_lo, s19
	v_mov_b32_e32 v4, 0
	s_and_saveexec_b32 s19, s18
.LBB18_1053:
	v_lshrrev_b32_e32 v4, 24, v0
	v_and_or_b32 v4, 0x80, v4, v1
.LBB18_1054:
	s_or_b32 exec_lo, exec_lo, s19
.LBB18_1055:
	s_or_b32 exec_lo, exec_lo, s17
	s_mov_b32 s17, 0
	global_store_byte v[2:3], v4, off
.LBB18_1056:
	s_and_b32 vcc_lo, exec_lo, s17
	s_cbranch_vccz .LBB18_1066
; %bb.1057:
	v_and_b32_e32 v4, 0x7fffffff, v0
	s_mov_b32 s17, exec_lo
                                        ; implicit-def: $vgpr1
	v_cmpx_gt_u32_e32 0x43f00000, v4
	s_xor_b32 s17, exec_lo, s17
	s_cbranch_execz .LBB18_1063
; %bb.1058:
	s_mov_b32 s18, exec_lo
                                        ; implicit-def: $vgpr1
	v_cmpx_lt_u32_e32 0x3c7fffff, v4
	s_xor_b32 s18, exec_lo, s18
; %bb.1059:
	v_bfe_u32 v1, v0, 20, 1
	v_add3_u32 v1, v0, v1, 0x407ffff
	v_and_b32_e32 v4, 0xff00000, v1
	v_lshrrev_b32_e32 v1, 20, v1
	v_cmp_ne_u32_e32 vcc_lo, 0x7f00000, v4
	v_cndmask_b32_e32 v1, 0x7e, v1, vcc_lo
; %bb.1060:
	s_andn2_saveexec_b32 s18, s18
; %bb.1061:
	v_add_f32_e64 v1, 0x46800000, |v0|
; %bb.1062:
	s_or_b32 exec_lo, exec_lo, s18
                                        ; implicit-def: $vgpr4
.LBB18_1063:
	s_andn2_saveexec_b32 s17, s17
; %bb.1064:
	v_mov_b32_e32 v1, 0x7f
	v_cmp_lt_u32_e32 vcc_lo, 0x7f800000, v4
	v_cndmask_b32_e32 v1, 0x7e, v1, vcc_lo
; %bb.1065:
	s_or_b32 exec_lo, exec_lo, s17
	v_lshrrev_b32_e32 v4, 24, v0
	v_and_or_b32 v1, 0x80, v4, v1
	global_store_byte v[2:3], v1, off
.LBB18_1066:
	s_mov_b32 s17, 0
.LBB18_1067:
	s_andn2_b32 vcc_lo, exec_lo, s17
	s_cbranch_vccnz .LBB18_1077
; %bb.1068:
	v_and_b32_e32 v4, 0x7fffffff, v0
	s_mov_b32 s17, exec_lo
                                        ; implicit-def: $vgpr1
	v_cmpx_gt_u32_e32 0x47800000, v4
	s_xor_b32 s17, exec_lo, s17
	s_cbranch_execz .LBB18_1074
; %bb.1069:
	s_mov_b32 s18, exec_lo
                                        ; implicit-def: $vgpr1
	v_cmpx_lt_u32_e32 0x387fffff, v4
	s_xor_b32 s18, exec_lo, s18
; %bb.1070:
	v_bfe_u32 v1, v0, 21, 1
	v_add3_u32 v1, v0, v1, 0x80fffff
	v_lshrrev_b32_e32 v1, 21, v1
; %bb.1071:
	s_andn2_saveexec_b32 s18, s18
; %bb.1072:
	v_add_f32_e64 v1, 0x43000000, |v0|
; %bb.1073:
	s_or_b32 exec_lo, exec_lo, s18
                                        ; implicit-def: $vgpr4
.LBB18_1074:
	s_andn2_saveexec_b32 s17, s17
; %bb.1075:
	v_mov_b32_e32 v1, 0x7f
	v_cmp_lt_u32_e32 vcc_lo, 0x7f800000, v4
	v_cndmask_b32_e32 v1, 0x7c, v1, vcc_lo
; %bb.1076:
	s_or_b32 exec_lo, exec_lo, s17
	v_lshrrev_b32_e32 v4, 24, v0
	v_and_or_b32 v1, 0x80, v4, v1
	global_store_byte v[2:3], v1, off
.LBB18_1077:
	s_mov_b32 s17, 0
.LBB18_1078:
	s_andn2_b32 vcc_lo, exec_lo, s17
	s_mov_b32 s17, 0
	s_cbranch_vccnz .LBB18_1086
; %bb.1079:
	s_cmp_gt_i32 s15, 14
	s_mov_b32 s17, -1
	s_cbranch_scc0 .LBB18_1083
; %bb.1080:
	s_cmp_eq_u32 s15, 15
	s_mov_b32 s0, -1
	s_cbranch_scc0 .LBB18_1082
; %bb.1081:
	v_bfe_u32 v1, v0, 16, 1
	v_cmp_o_f32_e32 vcc_lo, v0, v0
	v_mov_b32_e32 v4, 0x7fc0
	s_mov_b32 s0, 0
	v_add3_u32 v1, v0, v1, 0x7fff
	v_cndmask_b32_sdwa v1, v4, v1, vcc_lo dst_sel:DWORD dst_unused:UNUSED_PAD src0_sel:DWORD src1_sel:WORD_1
	global_store_short v[2:3], v1, off
.LBB18_1082:
	s_mov_b32 s17, 0
.LBB18_1083:
	s_and_b32 vcc_lo, exec_lo, s17
	s_mov_b32 s17, 0
	s_cbranch_vccz .LBB18_1086
; %bb.1084:
	s_cmp_lg_u32 s15, 11
	s_mov_b32 s17, -1
	s_cselect_b32 s15, -1, 0
	s_andn2_b32 s0, s0, exec_lo
	s_and_b32 s15, s15, exec_lo
	s_or_b32 s0, s0, s15
	s_branch .LBB18_1086
.LBB18_1085:
	s_mov_b32 s17, 0
.LBB18_1086:
	s_andn2_b32 s12, s12, exec_lo
	s_and_b32 s0, s0, exec_lo
	s_and_b32 s15, s16, exec_lo
	;; [unrolled: 1-line block ×3, first 2 shown]
	s_or_b32 s12, s12, s0
	s_or_b32 exec_lo, exec_lo, s14
	s_and_saveexec_b32 s0, s12
	s_cbranch_execz .LBB18_1015
.LBB18_1087:
	s_or_b32 s13, s13, exec_lo
	s_andn2_b32 s16, s16, exec_lo
	s_trap 2
	s_or_b32 exec_lo, exec_lo, s0
	s_and_saveexec_b32 s0, s16
	s_xor_b32 s0, exec_lo, s0
	s_cbranch_execnz .LBB18_1016
.LBB18_1088:
	s_or_b32 exec_lo, exec_lo, s0
	s_and_saveexec_b32 s0, s15
	s_xor_b32 s0, exec_lo, s0
	s_cbranch_execz .LBB18_1126
.LBB18_1089:
	s_sext_i32_i16 s14, s1
	s_mov_b32 s12, -1
	s_cmp_lt_i32 s14, 5
	s_cbranch_scc1 .LBB18_1110
; %bb.1090:
	s_cmp_lt_i32 s14, 8
	s_cbranch_scc1 .LBB18_1100
; %bb.1091:
	;; [unrolled: 3-line block ×3, first 2 shown]
	s_cmp_gt_i32 s14, 9
	s_cbranch_scc0 .LBB18_1094
; %bb.1093:
	v_cvt_f64_f32_e32 v[4:5], v0
	s_waitcnt vmcnt(0)
	v_mov_b32_e32 v6, 0
	s_mov_b32 s12, 0
	v_mov_b32_e32 v7, v6
	global_store_dwordx4 v[2:3], v[4:7], off
.LBB18_1094:
	s_andn2_b32 vcc_lo, exec_lo, s12
	s_cbranch_vccnz .LBB18_1096
; %bb.1095:
	v_mov_b32_e32 v1, 0
	global_store_dwordx2 v[2:3], v[0:1], off
.LBB18_1096:
	s_mov_b32 s12, 0
.LBB18_1097:
	s_andn2_b32 vcc_lo, exec_lo, s12
	s_cbranch_vccnz .LBB18_1099
; %bb.1098:
	v_cvt_f16_f32_e32 v1, v0
	v_and_b32_e32 v1, 0xffff, v1
	global_store_dword v[2:3], v1, off
.LBB18_1099:
	s_mov_b32 s12, 0
.LBB18_1100:
	s_andn2_b32 vcc_lo, exec_lo, s12
	s_cbranch_vccnz .LBB18_1109
; %bb.1101:
	s_sext_i32_i16 s14, s1
	s_mov_b32 s12, -1
	s_cmp_lt_i32 s14, 6
	s_cbranch_scc1 .LBB18_1107
; %bb.1102:
	s_cmp_gt_i32 s14, 6
	s_cbranch_scc0 .LBB18_1104
; %bb.1103:
	v_cvt_f64_f32_e32 v[4:5], v0
	s_mov_b32 s12, 0
	global_store_dwordx2 v[2:3], v[4:5], off
.LBB18_1104:
	s_andn2_b32 vcc_lo, exec_lo, s12
	s_cbranch_vccnz .LBB18_1106
; %bb.1105:
	global_store_dword v[2:3], v0, off
.LBB18_1106:
	s_mov_b32 s12, 0
.LBB18_1107:
	s_andn2_b32 vcc_lo, exec_lo, s12
	s_cbranch_vccnz .LBB18_1109
; %bb.1108:
	v_cvt_f16_f32_e32 v1, v0
	global_store_short v[2:3], v1, off
.LBB18_1109:
	s_mov_b32 s12, 0
.LBB18_1110:
	s_andn2_b32 vcc_lo, exec_lo, s12
	s_cbranch_vccnz .LBB18_1126
; %bb.1111:
	s_sext_i32_i16 s14, s1
	s_mov_b32 s12, -1
	s_cmp_lt_i32 s14, 2
	s_cbranch_scc1 .LBB18_1121
; %bb.1112:
	s_cmp_lt_i32 s14, 3
	s_cbranch_scc1 .LBB18_1118
; %bb.1113:
	s_cmp_gt_i32 s14, 3
	s_cbranch_scc0 .LBB18_1115
; %bb.1114:
	v_trunc_f32_e32 v1, v0
	s_mov_b32 s12, 0
	v_mul_f32_e64 v4, 0x2f800000, |v1|
	v_floor_f32_e32 v4, v4
	v_fma_f32 v5, 0xcf800000, v4, |v1|
	v_ashrrev_i32_e32 v1, 31, v1
	v_cvt_u32_f32_e32 v4, v4
	v_cvt_u32_f32_e32 v5, v5
	s_waitcnt vmcnt(0)
	v_xor_b32_e32 v6, v4, v1
	v_xor_b32_e32 v5, v5, v1
	v_sub_co_u32 v4, vcc_lo, v5, v1
	v_sub_co_ci_u32_e64 v5, null, v6, v1, vcc_lo
	global_store_dwordx2 v[2:3], v[4:5], off
.LBB18_1115:
	s_andn2_b32 vcc_lo, exec_lo, s12
	s_cbranch_vccnz .LBB18_1117
; %bb.1116:
	v_cvt_i32_f32_e32 v1, v0
	global_store_dword v[2:3], v1, off
.LBB18_1117:
	s_mov_b32 s12, 0
.LBB18_1118:
	s_andn2_b32 vcc_lo, exec_lo, s12
	s_cbranch_vccnz .LBB18_1120
; %bb.1119:
	v_cvt_i32_f32_e32 v1, v0
	global_store_short v[2:3], v1, off
.LBB18_1120:
	s_mov_b32 s12, 0
.LBB18_1121:
	s_andn2_b32 vcc_lo, exec_lo, s12
	s_cbranch_vccnz .LBB18_1126
; %bb.1122:
	s_sext_i32_i16 s1, s1
	s_cmp_gt_i32 s1, 0
	s_mov_b32 s1, -1
	s_cbranch_scc0 .LBB18_1124
; %bb.1123:
	v_cvt_i32_f32_e32 v1, v0
	s_mov_b32 s1, 0
	global_store_byte v[2:3], v1, off
.LBB18_1124:
	s_andn2_b32 vcc_lo, exec_lo, s1
	s_cbranch_vccnz .LBB18_1126
; %bb.1125:
	v_trunc_f32_e32 v0, v0
	v_mul_f32_e64 v1, 0x2f800000, |v0|
	v_floor_f32_e32 v1, v1
	v_fma_f32 v1, 0xcf800000, v1, |v0|
	v_ashrrev_i32_e32 v0, 31, v0
	v_cvt_u32_f32_e32 v1, v1
	v_xor_b32_e32 v1, v1, v0
	v_sub_nc_u32_e32 v0, v1, v0
	global_store_byte v[2:3], v0, off
.LBB18_1126:
	s_or_b32 exec_lo, exec_lo, s0
	s_and_b32 s12, s13, exec_lo
                                        ; implicit-def: $vgpr11
.LBB18_1127:
	s_or_saveexec_b32 s7, s7
	s_mov_b32 s0, 0
                                        ; implicit-def: $sgpr1
                                        ; implicit-def: $vgpr0_vgpr1
                                        ; implicit-def: $vgpr6
	s_xor_b32 exec_lo, exec_lo, s7
	s_cbranch_execz .LBB18_1820
; %bb.1128:
	s_waitcnt vmcnt(0)
	v_mul_lo_u32 v6, s3, v11
	s_and_b32 s6, 0xffff, s6
	s_cmp_lt_i32 s6, 11
	v_ashrrev_i32_e32 v1, 31, v6
	v_add_co_u32 v0, vcc_lo, s10, v6
	v_add_co_ci_u32_e64 v1, null, s11, v1, vcc_lo
	s_cbranch_scc1 .LBB18_1135
; %bb.1129:
	s_cmp_gt_i32 s6, 25
	s_mov_b32 s1, 0
	s_cbranch_scc0 .LBB18_1137
; %bb.1130:
	s_cmp_gt_i32 s6, 28
	s_cbranch_scc0 .LBB18_1138
; %bb.1131:
	s_cmp_gt_i32 s6, 43
	;; [unrolled: 3-line block ×3, first 2 shown]
	s_cbranch_scc0 .LBB18_1140
; %bb.1133:
	s_cmp_eq_u32 s6, 46
	s_mov_b32 s5, 0
	s_cbranch_scc0 .LBB18_1143
; %bb.1134:
	global_load_dword v2, v[0:1], off
	s_mov_b32 s13, -1
	s_waitcnt vmcnt(0)
	v_lshlrev_b32_e32 v7, 16, v2
	s_branch .LBB18_1145
.LBB18_1135:
	s_mov_b32 s13, 0
	s_mov_b32 s5, s12
                                        ; implicit-def: $vgpr7
	s_cbranch_execnz .LBB18_1208
.LBB18_1136:
	s_andn2_b32 vcc_lo, exec_lo, s13
	s_cbranch_vccz .LBB18_1253
	s_branch .LBB18_1818
.LBB18_1137:
	s_mov_b32 s13, 0
                                        ; implicit-def: $vgpr7
	s_cbranch_execnz .LBB18_1173
	s_branch .LBB18_1204
.LBB18_1138:
	s_mov_b32 s5, -1
	s_mov_b32 s13, 0
                                        ; implicit-def: $vgpr7
	s_branch .LBB18_1154
.LBB18_1139:
	s_mov_b32 s13, 0
                                        ; implicit-def: $vgpr7
	s_cbranch_execnz .LBB18_1150
	s_branch .LBB18_1153
.LBB18_1140:
	s_mov_b32 s5, -1
	s_branch .LBB18_1144
.LBB18_1141:
	s_andn2_saveexec_b32 s18, s18
	s_cbranch_execz .LBB18_1040
.LBB18_1142:
	v_add_f32_e64 v1, 0x46000000, |v0|
	s_andn2_b32 s17, s17, exec_lo
	v_and_b32_e32 v1, 0xff, v1
	v_cmp_ne_u32_e32 vcc_lo, 0, v1
	s_and_b32 s19, vcc_lo, exec_lo
	s_or_b32 s17, s17, s19
	s_or_b32 exec_lo, exec_lo, s18
	v_mov_b32_e32 v4, 0
	s_and_saveexec_b32 s18, s17
	s_cbranch_execnz .LBB18_1041
	s_branch .LBB18_1042
.LBB18_1143:
	s_mov_b32 s0, -1
.LBB18_1144:
	s_mov_b32 s13, 0
                                        ; implicit-def: $vgpr7
.LBB18_1145:
	s_and_b32 vcc_lo, exec_lo, s5
	s_cbranch_vccz .LBB18_1148
; %bb.1146:
	s_cmp_eq_u32 s6, 44
	s_cbranch_scc0 .LBB18_1149
; %bb.1147:
	global_load_ubyte v2, v[0:1], off
	s_mov_b32 s0, 0
	s_mov_b32 s13, -1
	s_waitcnt vmcnt(0)
	v_lshlrev_b32_e32 v3, 23, v2
	v_cmp_ne_u32_e32 vcc_lo, 0xff, v2
	v_cndmask_b32_e32 v3, 0x7f800001, v3, vcc_lo
	v_cmp_ne_u32_e32 vcc_lo, 0, v2
	v_cndmask_b32_e32 v7, 0x400000, v3, vcc_lo
.LBB18_1148:
	s_branch .LBB18_1153
.LBB18_1149:
	s_mov_b32 s0, -1
                                        ; implicit-def: $vgpr7
	s_branch .LBB18_1153
.LBB18_1150:
	s_cmp_eq_u32 s6, 29
	s_cbranch_scc0 .LBB18_1152
; %bb.1151:
	global_load_dwordx2 v[2:3], v[0:1], off
	s_mov_b32 s0, 0
	s_mov_b32 s13, -1
	s_mov_b32 s5, 0
	s_waitcnt vmcnt(0)
	v_ffbh_u32_e32 v4, v3
	v_min_u32_e32 v4, 32, v4
	v_lshlrev_b64 v[2:3], v4, v[2:3]
	v_min_u32_e32 v2, 1, v2
	v_or_b32_e32 v2, v3, v2
	v_sub_nc_u32_e32 v3, 32, v4
	v_cvt_f32_u32_e32 v2, v2
	v_ldexp_f32 v7, v2, v3
	s_branch .LBB18_1154
.LBB18_1152:
	s_mov_b32 s0, -1
                                        ; implicit-def: $vgpr7
.LBB18_1153:
	s_mov_b32 s5, 0
.LBB18_1154:
	s_and_b32 vcc_lo, exec_lo, s5
	s_cbranch_vccz .LBB18_1172
; %bb.1155:
	s_cmp_lt_i32 s6, 27
	s_cbranch_scc1 .LBB18_1158
; %bb.1156:
	s_cmp_gt_i32 s6, 27
	s_cbranch_scc0 .LBB18_1159
; %bb.1157:
	global_load_dword v2, v[0:1], off
	s_mov_b32 s5, 0
	s_waitcnt vmcnt(0)
	v_cvt_f32_u32_e32 v7, v2
	s_branch .LBB18_1160
.LBB18_1158:
	s_mov_b32 s5, -1
                                        ; implicit-def: $vgpr7
	s_branch .LBB18_1163
.LBB18_1159:
	s_mov_b32 s5, -1
                                        ; implicit-def: $vgpr7
.LBB18_1160:
	s_andn2_b32 vcc_lo, exec_lo, s5
	s_cbranch_vccnz .LBB18_1162
; %bb.1161:
	global_load_ushort v2, v[0:1], off
	s_waitcnt vmcnt(0)
	v_cvt_f32_u32_e32 v7, v2
.LBB18_1162:
	s_mov_b32 s5, 0
.LBB18_1163:
	s_andn2_b32 vcc_lo, exec_lo, s5
	s_cbranch_vccnz .LBB18_1171
; %bb.1164:
	global_load_ubyte v2, v[0:1], off
	s_mov_b32 s5, 0
	s_mov_b32 s13, exec_lo
	s_waitcnt vmcnt(0)
	v_cmpx_lt_i16_e32 0x7f, v2
	s_xor_b32 s13, exec_lo, s13
	s_cbranch_execz .LBB18_1184
; %bb.1165:
	s_mov_b32 s5, -1
	s_mov_b32 s14, exec_lo
	v_cmpx_eq_u16_e32 0x80, v2
; %bb.1166:
	s_xor_b32 s5, exec_lo, -1
; %bb.1167:
	s_or_b32 exec_lo, exec_lo, s14
	s_and_b32 s5, s5, exec_lo
	s_or_saveexec_b32 s13, s13
	v_mov_b32_e32 v7, 0x7f800001
	s_xor_b32 exec_lo, exec_lo, s13
	s_cbranch_execnz .LBB18_1185
.LBB18_1168:
	s_or_b32 exec_lo, exec_lo, s13
	s_and_saveexec_b32 s13, s5
	s_cbranch_execz .LBB18_1170
.LBB18_1169:
	v_and_b32_e32 v3, 0xffff, v2
	v_lshlrev_b32_e32 v2, 24, v2
	v_and_b32_e32 v4, 7, v3
	v_bfe_u32 v8, v3, 3, 4
	v_and_b32_e32 v2, 0x80000000, v2
	v_ffbh_u32_e32 v5, v4
	v_cmp_eq_u32_e32 vcc_lo, 0, v8
	v_min_u32_e32 v5, 32, v5
	v_subrev_nc_u32_e32 v7, 28, v5
	v_sub_nc_u32_e32 v5, 29, v5
	v_lshlrev_b32_e32 v3, v7, v3
	v_cndmask_b32_e32 v5, v8, v5, vcc_lo
	v_and_b32_e32 v3, 7, v3
	v_cndmask_b32_e32 v3, v4, v3, vcc_lo
	v_lshl_add_u32 v4, v5, 23, 0x3b800000
	v_lshlrev_b32_e32 v3, 20, v3
	v_or3_b32 v7, v2, v4, v3
.LBB18_1170:
	s_or_b32 exec_lo, exec_lo, s13
.LBB18_1171:
	s_mov_b32 s13, -1
.LBB18_1172:
	s_branch .LBB18_1204
.LBB18_1173:
	s_cmp_gt_i32 s6, 22
	s_cbranch_scc0 .LBB18_1183
; %bb.1174:
	s_cmp_lt_i32 s6, 24
	s_cbranch_scc1 .LBB18_1186
; %bb.1175:
	s_cmp_gt_i32 s6, 24
	s_cbranch_scc0 .LBB18_1187
; %bb.1176:
	global_load_ubyte v2, v[0:1], off
	s_mov_b32 s5, exec_lo
	s_waitcnt vmcnt(0)
	v_cmpx_lt_i16_e32 0x7f, v2
	s_xor_b32 s5, exec_lo, s5
	s_cbranch_execz .LBB18_1198
; %bb.1177:
	s_mov_b32 s1, -1
	s_mov_b32 s13, exec_lo
	v_cmpx_eq_u16_e32 0x80, v2
; %bb.1178:
	s_xor_b32 s1, exec_lo, -1
; %bb.1179:
	s_or_b32 exec_lo, exec_lo, s13
	s_and_b32 s1, s1, exec_lo
	s_or_saveexec_b32 s5, s5
	v_mov_b32_e32 v7, 0x7f800001
	s_xor_b32 exec_lo, exec_lo, s5
	s_cbranch_execnz .LBB18_1199
.LBB18_1180:
	s_or_b32 exec_lo, exec_lo, s5
	s_and_saveexec_b32 s5, s1
	s_cbranch_execz .LBB18_1182
.LBB18_1181:
	v_and_b32_e32 v3, 0xffff, v2
	v_lshlrev_b32_e32 v2, 24, v2
	v_and_b32_e32 v4, 3, v3
	v_bfe_u32 v8, v3, 2, 5
	v_and_b32_e32 v2, 0x80000000, v2
	v_ffbh_u32_e32 v5, v4
	v_cmp_eq_u32_e32 vcc_lo, 0, v8
	v_min_u32_e32 v5, 32, v5
	v_subrev_nc_u32_e32 v7, 29, v5
	v_sub_nc_u32_e32 v5, 30, v5
	v_lshlrev_b32_e32 v3, v7, v3
	v_cndmask_b32_e32 v5, v8, v5, vcc_lo
	v_and_b32_e32 v3, 3, v3
	v_cndmask_b32_e32 v3, v4, v3, vcc_lo
	v_lshl_add_u32 v4, v5, 23, 0x37800000
	v_lshlrev_b32_e32 v3, 21, v3
	v_or3_b32 v7, v2, v4, v3
.LBB18_1182:
	s_or_b32 exec_lo, exec_lo, s5
	s_mov_b32 s1, 0
	s_branch .LBB18_1188
.LBB18_1183:
                                        ; implicit-def: $vgpr7
	s_mov_b32 s1, 0
	s_branch .LBB18_1194
.LBB18_1184:
	s_or_saveexec_b32 s13, s13
	v_mov_b32_e32 v7, 0x7f800001
	s_xor_b32 exec_lo, exec_lo, s13
	s_cbranch_execz .LBB18_1168
.LBB18_1185:
	v_cmp_ne_u16_e32 vcc_lo, 0, v2
	v_mov_b32_e32 v7, 0
	s_andn2_b32 s5, s5, exec_lo
	s_and_b32 s14, vcc_lo, exec_lo
	s_or_b32 s5, s5, s14
	s_or_b32 exec_lo, exec_lo, s13
	s_and_saveexec_b32 s13, s5
	s_cbranch_execnz .LBB18_1169
	s_branch .LBB18_1170
.LBB18_1186:
	s_mov_b32 s1, -1
                                        ; implicit-def: $vgpr7
	s_branch .LBB18_1191
.LBB18_1187:
	s_mov_b32 s1, -1
                                        ; implicit-def: $vgpr7
.LBB18_1188:
	s_and_b32 vcc_lo, exec_lo, s1
	s_cbranch_vccz .LBB18_1190
; %bb.1189:
	global_load_ubyte v2, v[0:1], off
	s_waitcnt vmcnt(0)
	v_lshlrev_b32_e32 v2, 24, v2
	v_and_b32_e32 v3, 0x7f000000, v2
	v_ffbh_u32_e32 v4, v3
	v_add_nc_u32_e32 v7, 0x1000000, v3
	v_cmp_ne_u32_e32 vcc_lo, 0, v3
	v_min_u32_e32 v4, 32, v4
	v_sub_nc_u32_e64 v4, v4, 4 clamp
	v_lshlrev_b32_e32 v5, v4, v3
	v_lshlrev_b32_e32 v4, 23, v4
	v_lshrrev_b32_e32 v5, 4, v5
	v_sub_nc_u32_e32 v4, v5, v4
	v_ashrrev_i32_e32 v5, 8, v7
	v_add_nc_u32_e32 v4, 0x3c000000, v4
	v_and_or_b32 v4, 0x7f800000, v5, v4
	v_cndmask_b32_e32 v3, 0, v4, vcc_lo
	v_and_or_b32 v7, 0x80000000, v2, v3
.LBB18_1190:
	s_mov_b32 s1, 0
.LBB18_1191:
	s_andn2_b32 vcc_lo, exec_lo, s1
	s_cbranch_vccnz .LBB18_1193
; %bb.1192:
	global_load_ubyte v2, v[0:1], off
	s_waitcnt vmcnt(0)
	v_lshlrev_b32_e32 v3, 25, v2
	v_lshlrev_b16 v2, 8, v2
	v_lshrrev_b32_e32 v4, 4, v3
	v_and_or_b32 v5, 0x7f00, v2, 0.5
	v_cmp_gt_u32_e32 vcc_lo, 0x8000000, v3
	v_bfe_i32 v2, v2, 0, 16
	v_or_b32_e32 v4, 0x70000000, v4
	v_add_f32_e32 v5, -0.5, v5
	v_mul_f32_e32 v4, 0x7800000, v4
	v_cndmask_b32_e32 v3, v4, v5, vcc_lo
	v_and_or_b32 v7, 0x80000000, v2, v3
.LBB18_1193:
	s_mov_b32 s13, -1
	s_mov_b32 s1, 0
	s_cbranch_execnz .LBB18_1204
.LBB18_1194:
	s_cmp_gt_i32 s6, 14
	s_cbranch_scc0 .LBB18_1197
; %bb.1195:
	s_cmp_eq_u32 s6, 15
	s_cbranch_scc0 .LBB18_1200
; %bb.1196:
	global_load_ushort v2, v[0:1], off
	s_mov_b32 s0, 0
	s_mov_b32 s13, -1
	s_waitcnt vmcnt(0)
	v_lshlrev_b32_e32 v7, 16, v2
	s_branch .LBB18_1202
.LBB18_1197:
	s_mov_b32 s1, -1
	s_branch .LBB18_1201
.LBB18_1198:
	s_or_saveexec_b32 s5, s5
	v_mov_b32_e32 v7, 0x7f800001
	s_xor_b32 exec_lo, exec_lo, s5
	s_cbranch_execz .LBB18_1180
.LBB18_1199:
	v_cmp_ne_u16_e32 vcc_lo, 0, v2
	v_mov_b32_e32 v7, 0
	s_andn2_b32 s1, s1, exec_lo
	s_and_b32 s13, vcc_lo, exec_lo
	s_or_b32 s1, s1, s13
	s_or_b32 exec_lo, exec_lo, s5
	s_and_saveexec_b32 s5, s1
	s_cbranch_execnz .LBB18_1181
	s_branch .LBB18_1182
.LBB18_1200:
	s_mov_b32 s0, -1
.LBB18_1201:
                                        ; implicit-def: $vgpr7
.LBB18_1202:
	s_and_b32 vcc_lo, exec_lo, s1
	s_mov_b32 s1, 0
	s_cbranch_vccz .LBB18_1204
; %bb.1203:
	s_cmp_lg_u32 s6, 11
	s_mov_b32 s1, -1
	s_cselect_b32 s0, -1, 0
.LBB18_1204:
	s_and_b32 vcc_lo, exec_lo, s0
	s_mov_b32 s5, s12
	s_cbranch_vccnz .LBB18_1289
; %bb.1205:
	s_andn2_b32 vcc_lo, exec_lo, s1
	s_cbranch_vccnz .LBB18_1207
.LBB18_1206:
	global_load_ubyte v2, v[0:1], off
	s_mov_b32 s13, -1
	s_waitcnt vmcnt(0)
	v_cmp_ne_u16_e32 vcc_lo, 0, v2
	v_cndmask_b32_e64 v7, 0, 1.0, vcc_lo
.LBB18_1207:
	s_branch .LBB18_1136
.LBB18_1208:
	s_cmp_lt_i32 s6, 5
	s_cbranch_scc1 .LBB18_1213
; %bb.1209:
	s_cmp_lt_i32 s6, 8
	s_cbranch_scc1 .LBB18_1214
; %bb.1210:
	;; [unrolled: 3-line block ×3, first 2 shown]
	s_cmp_gt_i32 s6, 9
	s_cbranch_scc0 .LBB18_1216
; %bb.1212:
	global_load_dwordx2 v[2:3], v[0:1], off
	s_mov_b32 s0, 0
	s_waitcnt vmcnt(0)
	v_cvt_f32_f64_e32 v7, v[2:3]
	s_branch .LBB18_1217
.LBB18_1213:
                                        ; implicit-def: $vgpr7
	s_branch .LBB18_1234
.LBB18_1214:
                                        ; implicit-def: $vgpr7
	s_branch .LBB18_1223
.LBB18_1215:
	s_mov_b32 s0, -1
                                        ; implicit-def: $vgpr7
	s_branch .LBB18_1220
.LBB18_1216:
	s_mov_b32 s0, -1
                                        ; implicit-def: $vgpr7
.LBB18_1217:
	s_andn2_b32 vcc_lo, exec_lo, s0
	s_cbranch_vccnz .LBB18_1219
; %bb.1218:
	global_load_dword v7, v[0:1], off
.LBB18_1219:
	s_mov_b32 s0, 0
.LBB18_1220:
	s_andn2_b32 vcc_lo, exec_lo, s0
	s_cbranch_vccnz .LBB18_1222
; %bb.1221:
	global_load_dword v2, v[0:1], off
	s_waitcnt vmcnt(0)
	v_cvt_f32_f16_e32 v7, v2
.LBB18_1222:
	s_cbranch_execnz .LBB18_1233
.LBB18_1223:
	s_cmp_lt_i32 s6, 6
	s_cbranch_scc1 .LBB18_1226
; %bb.1224:
	s_cmp_gt_i32 s6, 6
	s_cbranch_scc0 .LBB18_1227
; %bb.1225:
	global_load_dwordx2 v[2:3], v[0:1], off
	s_mov_b32 s0, 0
	s_waitcnt vmcnt(0)
	v_cvt_f32_f64_e32 v7, v[2:3]
	s_branch .LBB18_1228
.LBB18_1226:
	s_mov_b32 s0, -1
                                        ; implicit-def: $vgpr7
	s_branch .LBB18_1231
.LBB18_1227:
	s_mov_b32 s0, -1
                                        ; implicit-def: $vgpr7
.LBB18_1228:
	s_andn2_b32 vcc_lo, exec_lo, s0
	s_cbranch_vccnz .LBB18_1230
; %bb.1229:
	global_load_dword v7, v[0:1], off
.LBB18_1230:
	s_mov_b32 s0, 0
.LBB18_1231:
	s_andn2_b32 vcc_lo, exec_lo, s0
	s_cbranch_vccnz .LBB18_1233
; %bb.1232:
	global_load_ushort v2, v[0:1], off
	s_waitcnt vmcnt(0)
	v_cvt_f32_f16_e32 v7, v2
.LBB18_1233:
	s_cbranch_execnz .LBB18_1252
.LBB18_1234:
	s_cmp_lt_i32 s6, 2
	s_cbranch_scc1 .LBB18_1238
; %bb.1235:
	s_cmp_lt_i32 s6, 3
	s_cbranch_scc1 .LBB18_1239
; %bb.1236:
	s_cmp_gt_i32 s6, 3
	s_cbranch_scc0 .LBB18_1240
; %bb.1237:
	global_load_dwordx2 v[2:3], v[0:1], off
	s_mov_b32 s0, 0
	s_waitcnt vmcnt(0)
	v_xor_b32_e32 v4, v2, v3
	v_ffbh_i32_e32 v5, v3
	v_ashrrev_i32_e32 v4, 31, v4
	v_add_nc_u32_e32 v5, -1, v5
	v_add_nc_u32_e32 v4, 32, v4
	v_min_u32_e32 v4, v5, v4
	v_lshlrev_b64 v[2:3], v4, v[2:3]
	v_min_u32_e32 v2, 1, v2
	v_or_b32_e32 v2, v3, v2
	v_sub_nc_u32_e32 v3, 32, v4
	v_cvt_f32_i32_e32 v2, v2
	v_ldexp_f32 v7, v2, v3
	s_branch .LBB18_1241
.LBB18_1238:
                                        ; implicit-def: $vgpr7
	s_branch .LBB18_1247
.LBB18_1239:
	s_mov_b32 s0, -1
                                        ; implicit-def: $vgpr7
	s_branch .LBB18_1244
.LBB18_1240:
	s_mov_b32 s0, -1
                                        ; implicit-def: $vgpr7
.LBB18_1241:
	s_andn2_b32 vcc_lo, exec_lo, s0
	s_cbranch_vccnz .LBB18_1243
; %bb.1242:
	global_load_dword v2, v[0:1], off
	s_waitcnt vmcnt(0)
	v_cvt_f32_i32_e32 v7, v2
.LBB18_1243:
	s_mov_b32 s0, 0
.LBB18_1244:
	s_andn2_b32 vcc_lo, exec_lo, s0
	s_cbranch_vccnz .LBB18_1246
; %bb.1245:
	global_load_sshort v2, v[0:1], off
	s_waitcnt vmcnt(0)
	v_cvt_f32_i32_e32 v7, v2
.LBB18_1246:
	s_cbranch_execnz .LBB18_1252
.LBB18_1247:
	s_cmp_gt_i32 s6, 0
	s_mov_b32 s0, 0
	s_cbranch_scc0 .LBB18_1249
; %bb.1248:
	global_load_sbyte v2, v[0:1], off
	s_waitcnt vmcnt(0)
	v_cvt_f32_i32_e32 v7, v2
	s_branch .LBB18_1250
.LBB18_1249:
	s_mov_b32 s0, -1
                                        ; implicit-def: $vgpr7
.LBB18_1250:
	s_andn2_b32 vcc_lo, exec_lo, s0
	s_cbranch_vccnz .LBB18_1252
; %bb.1251:
	global_load_ubyte v0, v[0:1], off
	s_waitcnt vmcnt(0)
	v_cvt_f32_ubyte0_e32 v7, v0
.LBB18_1252:
.LBB18_1253:
                                        ; implicit-def: $vgpr0
	s_mov_b32 s0, exec_lo
	s_waitcnt vmcnt(0)
	v_cmpx_neq_f32_e32 0, v7
	s_xor_b32 s13, exec_lo, s0
	s_cbranch_execz .LBB18_1275
; %bb.1254:
	v_mov_b32_e32 v1, 0
	s_mov_b32 s0, -1
	s_mov_b32 s14, exec_lo
	v_cmpx_gt_f32_e32 0, v7
	s_cbranch_execz .LBB18_1262
; %bb.1255:
	v_trunc_f32_e32 v0, v7
	v_mov_b32_e32 v1, 0
	s_mov_b32 s1, 0
	s_mov_b32 s15, exec_lo
	v_cmpx_neq_f32_e32 v7, v0
	s_cbranch_execz .LBB18_1261
; %bb.1256:
	v_cvt_f64_f32_e32 v[0:1], v7
	s_mov_b32 s1, 0xc00921fb
	s_mov_b32 s0, 0x54442d18
	s_mov_b32 s16, exec_lo
                                        ; implicit-def: $vgpr8
                                        ; implicit-def: $vgpr4_vgpr5
	v_trunc_f64_e32 v[2:3], v[0:1]
	v_cmp_neq_f64_e64 vcc_lo, 0x7ff00000, |v[0:1]|
	v_add_f64 v[2:3], v[0:1], -v[2:3]
	v_mul_f64 v[2:3], |v[2:3]|, s[0:1]
	v_cndmask_b32_e32 v1, 0x80000000, v3, vcc_lo
	v_cndmask_b32_e32 v0, 0, v2, vcc_lo
                                        ; implicit-def: $vgpr2_vgpr3
	v_cmpx_ngt_f64_e64 0x41d00000, |v[0:1]|
	s_xor_b32 s16, exec_lo, s16
	s_cbranch_execz .LBB18_1258
; %bb.1257:
	v_ldexp_f64 v[2:3], |v[0:1]|, 0xffffff80
	v_cmp_le_f64_e64 vcc_lo, 0x7b000000, |v[0:1]|
	v_trig_preop_f64 v[4:5], |v[0:1]|, 0
	v_and_b32_e32 v8, 0x7fffffff, v1
	v_trig_preop_f64 v[20:21], |v[0:1]|, 2
	v_mov_b32_e32 v28, 0
	s_mov_b32 s1, 0x3ff921fb
	s_mov_b32 s18, 0x33145c07
	;; [unrolled: 1-line block ×3, first 2 shown]
	v_cndmask_b32_e32 v3, v8, v3, vcc_lo
	v_cndmask_b32_e32 v2, v0, v2, vcc_lo
	v_trig_preop_f64 v[8:9], |v[0:1]|, 1
	v_mul_f64 v[12:13], v[4:5], v[2:3]
	v_mul_f64 v[26:27], v[20:21], v[2:3]
	;; [unrolled: 1-line block ×3, first 2 shown]
	v_fma_f64 v[4:5], v[4:5], v[2:3], -v[12:13]
	v_fma_f64 v[8:9], v[8:9], v[2:3], -v[14:15]
	;; [unrolled: 1-line block ×3, first 2 shown]
	v_add_f64 v[16:17], v[14:15], v[4:5]
	v_add_f64 v[18:19], v[16:17], -v[14:15]
	v_add_f64 v[24:25], v[12:13], v[16:17]
	v_add_f64 v[22:23], v[16:17], -v[18:19]
	v_add_f64 v[4:5], v[4:5], -v[18:19]
	v_ldexp_f64 v[18:19], v[24:25], -2
	v_add_f64 v[12:13], v[24:25], -v[12:13]
	v_add_f64 v[14:15], v[14:15], -v[22:23]
	v_add_f64 v[22:23], v[26:27], v[8:9]
	v_cmp_neq_f64_e64 vcc_lo, 0x7ff00000, |v[18:19]|
	v_add_f64 v[12:13], v[16:17], -v[12:13]
	v_add_f64 v[4:5], v[4:5], v[14:15]
	v_fract_f64_e32 v[14:15], v[18:19]
	v_add_f64 v[16:17], v[22:23], v[4:5]
	v_ldexp_f64 v[14:15], v[14:15], 2
	v_add_f64 v[18:19], v[12:13], v[16:17]
	v_cndmask_b32_e32 v15, 0, v15, vcc_lo
	v_cndmask_b32_e32 v14, 0, v14, vcc_lo
	v_add_f64 v[24:25], v[18:19], v[14:15]
	v_add_f64 v[12:13], v[18:19], -v[12:13]
	v_cmp_gt_f64_e32 vcc_lo, 0, v[24:25]
	v_add_f64 v[24:25], v[22:23], -v[26:27]
	v_add_f64 v[12:13], v[16:17], -v[12:13]
	v_cndmask_b32_e64 v29, 0, 0x40100000, vcc_lo
	v_add_f64 v[33:34], v[22:23], -v[24:25]
	v_add_f64 v[8:9], v[8:9], -v[24:25]
	v_add_f64 v[14:15], v[14:15], v[28:29]
	v_add_f64 v[29:30], v[16:17], -v[22:23]
	v_add_f64 v[24:25], v[26:27], -v[33:34]
	v_add_f64 v[31:32], v[18:19], v[14:15]
	;; [unrolled: 3-line block ×3, first 2 shown]
	v_cvt_i32_f64_e32 v31, v[31:32]
	v_add_f64 v[22:23], v[22:23], -v[35:36]
	v_cvt_f64_i32_e32 v[29:30], v31
	v_add_f64 v[4:5], v[4:5], v[22:23]
	v_add_f64 v[14:15], v[14:15], -v[29:30]
	v_add_f64 v[4:5], v[8:9], v[4:5]
	v_add_f64 v[9:10], v[18:19], v[14:15]
	;; [unrolled: 1-line block ×3, first 2 shown]
	v_add_f64 v[4:5], v[9:10], -v[14:15]
	v_cmp_le_f64_e32 vcc_lo, 0.5, v[9:10]
	v_add_f64 v[2:3], v[12:13], v[2:3]
	v_add_f64 v[4:5], v[18:19], -v[4:5]
	v_cndmask_b32_e64 v29, 0, 0x3ff00000, vcc_lo
	v_add_co_ci_u32_e64 v8, null, 0, v31, vcc_lo
	v_add_f64 v[2:3], v[2:3], v[4:5]
	v_add_f64 v[4:5], v[9:10], -v[28:29]
	v_add_f64 v[9:10], v[4:5], v[2:3]
	v_mul_f64 v[12:13], v[9:10], s[0:1]
	v_add_f64 v[4:5], v[9:10], -v[4:5]
	v_fma_f64 v[14:15], v[9:10], s[0:1], -v[12:13]
	v_add_f64 v[2:3], v[2:3], -v[4:5]
	v_fma_f64 v[4:5], v[9:10], s[18:19], v[14:15]
	v_fma_f64 v[4:5], v[2:3], s[0:1], v[4:5]
	v_add_f64 v[2:3], v[12:13], v[4:5]
	v_add_f64 v[9:10], v[2:3], -v[12:13]
	v_add_f64 v[4:5], v[4:5], -v[9:10]
.LBB18_1258:
	s_andn2_saveexec_b32 s0, s16
	s_cbranch_execz .LBB18_1260
; %bb.1259:
	s_mov_b32 s16, 0x6dc9c883
	s_mov_b32 s17, 0x3fe45f30
	;; [unrolled: 1-line block ×3, first 2 shown]
	v_mul_f64 v[2:3], |v[0:1]|, s[16:17]
	s_mov_b32 s16, 0x54442d18
	s_mov_b32 s17, 0xbff921fb
	s_mov_b32 s18, 0x33145c00
	v_rndne_f64_e32 v[8:9], v[2:3]
	v_fma_f64 v[2:3], v[8:9], s[16:17], |v[0:1]|
	v_mul_f64 v[4:5], v[8:9], s[18:19]
	s_mov_b32 s16, 0x252049c0
	s_mov_b32 s17, 0xb97b839a
	v_fma_f64 v[14:15], v[8:9], s[18:19], v[2:3]
	v_add_f64 v[12:13], v[2:3], v[4:5]
	s_mov_b32 s19, 0x3c91a626
	v_add_f64 v[2:3], v[2:3], -v[12:13]
	v_add_f64 v[12:13], v[12:13], -v[14:15]
	v_add_f64 v[2:3], v[2:3], v[4:5]
	v_fma_f64 v[4:5], v[8:9], s[18:19], v[4:5]
	v_add_f64 v[2:3], v[12:13], v[2:3]
	v_add_f64 v[2:3], v[2:3], -v[4:5]
	v_fma_f64 v[4:5], v[8:9], s[16:17], v[2:3]
	v_cvt_i32_f64_e32 v8, v[8:9]
	v_add_f64 v[2:3], v[14:15], v[4:5]
	v_add_f64 v[12:13], v[2:3], -v[14:15]
	v_add_f64 v[4:5], v[4:5], -v[12:13]
.LBB18_1260:
	s_or_b32 exec_lo, exec_lo, s0
	v_mul_f64 v[9:10], v[2:3], v[2:3]
	v_add_f64 v[12:13], v[4:5], v[4:5]
	s_mov_b32 s16, 0xa9a29f71
	s_mov_b32 s18, 0xc751c08c
	;; [unrolled: 1-line block ×4, first 2 shown]
	v_cmp_class_f64_e64 s0, v[0:1], 0x1f8
	v_and_b32_e32 v8, 1, v8
	v_and_b32_e32 v1, 0x80000000, v1
	v_sub_f32_e32 v7, 1.0, v7
	s_mov_b32 s1, exec_lo
	v_cmp_eq_u32_e32 vcc_lo, 0, v8
	v_fma_f64 v[14:15], v[2:3], v[2:3], -v[9:10]
	v_fma_f64 v[12:13], v[2:3], v[12:13], v[14:15]
	v_add_f64 v[9:10], v[9:10], v[12:13]
	v_fma_f64 v[12:13], v[9:10], s[18:19], s[16:17]
	s_mov_b32 s16, 0x90a8aae0
	s_mov_b32 s17, 0x3f17746f
	v_fma_f64 v[12:13], v[9:10], v[12:13], s[16:17]
	s_mov_b32 s16, 0xa6fbf144
	s_mov_b32 s17, 0xbefbb44d
	v_fma_f64 v[12:13], v[9:10], v[12:13], s[16:17]
	s_mov_b32 s16, 0xa7943acf
	s_mov_b32 s17, 0x3f21e634
	v_fma_f64 v[12:13], v[9:10], v[12:13], s[16:17]
	s_mov_b32 s16, 0xdeb68feb
	s_mov_b32 s17, 0x3f2d250f
	v_fma_f64 v[12:13], v[9:10], v[12:13], s[16:17]
	s_mov_b32 s16, 0xb58c4d95
	s_mov_b32 s17, 0x3f437fd9
	v_fma_f64 v[12:13], v[9:10], v[12:13], s[16:17]
	s_mov_b32 s16, 0x15120e2c
	s_mov_b32 s17, 0x3f57d5af
	v_fma_f64 v[12:13], v[9:10], v[12:13], s[16:17]
	s_mov_b32 s16, 0xe09491df
	s_mov_b32 s17, 0x3f6d6d93
	v_fma_f64 v[12:13], v[9:10], v[12:13], s[16:17]
	s_mov_b32 s16, 0x2033784d
	s_mov_b32 s17, 0x3f8226e1
	v_fma_f64 v[12:13], v[9:10], v[12:13], s[16:17]
	s_mov_b32 s16, 0x9ac36ae2
	s_mov_b32 s17, 0x3f9664f4
	v_fma_f64 v[12:13], v[9:10], v[12:13], s[16:17]
	s_mov_b32 s16, 0x1b451c21
	s_mov_b32 s17, 0x3faba1ba
	v_fma_f64 v[12:13], v[9:10], v[12:13], s[16:17]
	s_mov_b32 s16, 0x111185b7
	s_mov_b32 s17, 0x3fc11111
	v_fma_f64 v[12:13], v[9:10], v[12:13], s[16:17]
	s_mov_b32 s16, 0x555554ee
	s_mov_b32 s17, 0x3fd55555
	v_fma_f64 v[12:13], v[9:10], v[12:13], s[16:17]
	s_mov_b32 s16, 0x54442d18
	s_mov_b32 s17, 0xc00921fb
	v_mul_f64 v[9:10], v[9:10], v[12:13]
	v_mul_f64 v[12:13], v[2:3], v[9:10]
	v_add_f64 v[14:15], v[2:3], v[12:13]
	v_fma_f64 v[9:10], v[2:3], v[9:10], -v[12:13]
	v_add_f64 v[2:3], v[14:15], -v[2:3]
	v_add_f64 v[4:5], v[4:5], v[9:10]
	v_add_f64 v[2:3], v[12:13], -v[2:3]
	v_add_f64 v[2:3], v[4:5], v[2:3]
	v_add_f64 v[4:5], v[14:15], v[2:3]
	v_rcp_f64_e32 v[9:10], v[4:5]
	v_fma_f64 v[12:13], -v[4:5], v[9:10], 1.0
	v_fma_f64 v[9:10], v[12:13], v[9:10], v[9:10]
	v_fma_f64 v[12:13], -v[4:5], v[9:10], 1.0
	v_fma_f64 v[9:10], v[12:13], v[9:10], v[9:10]
	v_add_f64 v[12:13], v[4:5], -v[14:15]
	v_mul_f64 v[14:15], v[4:5], v[9:10]
	v_add_f64 v[2:3], v[2:3], -v[12:13]
	v_fma_f64 v[12:13], v[9:10], v[4:5], -v[14:15]
	v_fma_f64 v[2:3], v[9:10], v[2:3], v[12:13]
	v_add_f64 v[12:13], v[14:15], v[2:3]
	v_add_f64 v[16:17], -v[12:13], 1.0
	v_add_f64 v[14:15], v[12:13], -v[14:15]
	v_add_f64 v[18:19], -v[16:17], 1.0
	v_add_f64 v[2:3], v[14:15], -v[2:3]
	v_add_f64 v[12:13], v[18:19], -v[12:13]
	v_add_f64 v[2:3], v[2:3], v[12:13]
	v_add_f64 v[2:3], v[16:17], v[2:3]
	v_mul_f64 v[2:3], v[9:10], v[2:3]
	v_add_f64 v[2:3], v[9:10], v[2:3]
	v_xor_b32_e32 v0, 0x80000000, v3
	v_cndmask_b32_e32 v2, v2, v4, vcc_lo
	v_cndmask_b32_e32 v0, v0, v5, vcc_lo
	v_xor_b32_e32 v1, v0, v1
	v_cndmask_b32_e64 v0, 0, v2, s0
	v_cndmask_b32_e64 v1, 0x7ff80000, v1, s0
	v_div_scale_f64 v[2:3], null, v[0:1], v[0:1], s[16:17]
	v_rcp_f64_e32 v[4:5], v[2:3]
	v_fma_f64 v[8:9], -v[2:3], v[4:5], 1.0
	v_fma_f64 v[4:5], v[4:5], v[8:9], v[4:5]
	v_fma_f64 v[8:9], -v[2:3], v[4:5], 1.0
	v_fma_f64 v[4:5], v[4:5], v[8:9], v[4:5]
	v_div_scale_f64 v[8:9], vcc_lo, s[16:17], v[0:1], s[16:17]
	v_mul_f64 v[12:13], v[8:9], v[4:5]
	v_fma_f64 v[2:3], -v[2:3], v[12:13], v[8:9]
	v_div_fmas_f64 v[2:3], v[2:3], v[4:5], v[12:13]
	v_div_fixup_f64 v[0:1], v[2:3], v[0:1], s[16:17]
	v_cvt_f32_f64_e32 v1, v[0:1]
.LBB18_1261:
	s_or_b32 exec_lo, exec_lo, s15
	s_orn2_b32 s0, s1, exec_lo
.LBB18_1262:
	s_or_b32 exec_lo, exec_lo, s14
	v_mov_b32_e32 v0, 0x7fc00000
	s_and_saveexec_b32 s14, s0
	s_cbranch_execz .LBB18_1274
; %bb.1263:
	s_mov_b32 s0, exec_lo
	v_cmpx_gt_f32_e32 0x41200000, v7
	s_cbranch_execz .LBB18_1267
; %bb.1264:
	s_mov_b32 s1, 0
	.p2align	6
.LBB18_1265:                            ; =>This Inner Loop Header: Depth=1
	v_div_scale_f32 v0, null, v7, v7, 1.0
	v_div_scale_f32 v4, vcc_lo, 1.0, v7, 1.0
	v_rcp_f32_e32 v2, v0
	v_fma_f32 v3, -v0, v2, 1.0
	v_fmac_f32_e32 v2, v3, v2
	v_mul_f32_e32 v3, v4, v2
	v_fma_f32 v5, -v0, v3, v4
	v_fmac_f32_e32 v3, v5, v2
	v_fma_f32 v0, -v0, v3, v4
	v_div_fmas_f32 v0, v0, v2, v3
	v_div_fixup_f32 v0, v0, v7, 1.0
	v_add_f32_e32 v7, 1.0, v7
	v_sub_f32_e32 v1, v1, v0
	v_cmp_ngt_f32_e32 vcc_lo, 0x41200000, v7
	s_or_b32 s1, vcc_lo, s1
	s_andn2_b32 exec_lo, exec_lo, s1
	s_cbranch_execnz .LBB18_1265
; %bb.1266:
	s_or_b32 exec_lo, exec_lo, s1
.LBB18_1267:
	s_or_b32 exec_lo, exec_lo, s0
                                        ; implicit-def: $vgpr0
	s_mov_b32 s0, exec_lo
	v_cmpx_neq_f32_e32 0x41200000, v7
	s_xor_b32 s15, exec_lo, s0
	s_cbranch_execz .LBB18_1271
; %bb.1268:
	v_cvt_f64_f32_e32 v[2:3], v7
	s_mov_b32 s0, 0x85d8a000
	s_mov_b32 s1, 0x43763457
	v_mov_b32_e32 v0, 0
	v_cmp_gt_f64_e32 vcc_lo, s[0:1], v[2:3]
	s_and_saveexec_b32 s0, vcc_lo
	s_cbranch_execz .LBB18_1270
; %bb.1269:
	v_mul_f32_e32 v0, v7, v7
	v_div_scale_f32 v2, null, v0, v0, 1.0
	v_rcp_f32_e32 v3, v2
	v_fma_f32 v4, -v2, v3, 1.0
	v_fmac_f32_e32 v3, v4, v3
	v_div_scale_f32 v4, vcc_lo, 1.0, v0, 1.0
	v_mul_f32_e32 v5, v4, v3
	v_fma_f32 v8, -v2, v5, v4
	v_fmac_f32_e32 v5, v8, v3
	v_fma_f32 v2, -v2, v5, v4
	v_div_fmas_f32 v2, v2, v3, v5
	v_div_fixup_f32 v0, v2, v0, 1.0
	v_fmaak_f32 v2, 0, v0, 0x3daaaaab
	v_fmaak_f32 v2, v0, v2, 0xbcaccacd
	;; [unrolled: 1-line block ×7, first 2 shown]
	v_mul_f32_e32 v0, v0, v2
.LBB18_1270:
	s_or_b32 exec_lo, exec_lo, s0
	v_cmp_gt_f32_e32 vcc_lo, 0x800000, v7
	v_div_scale_f32 v2, null, v7, v7, -0.5
	v_div_scale_f32 v8, s0, -0.5, v7, -0.5
	v_cndmask_b32_e64 v3, 0, 32, vcc_lo
	v_rcp_f32_e32 v4, v2
	v_ldexp_f32 v3, v7, v3
	v_log_f32_e32 v3, v3
	v_fma_f32 v5, -v2, v4, 1.0
	v_fmac_f32_e32 v4, v5, v4
	v_mul_f32_e32 v5, 0x3f317217, v3
	v_mul_f32_e32 v9, v8, v4
	v_cmp_gt_f32_e64 s1, 0x7f800000, |v3|
	v_fma_f32 v5, 0x3f317217, v3, -v5
	v_fma_f32 v10, -v2, v9, v8
	v_fmamk_f32 v5, v3, 0x3377d1cf, v5
	v_fmac_f32_e32 v9, v10, v4
	v_fmac_f32_e32 v5, 0x3f317217, v3
	v_fma_f32 v2, -v2, v9, v8
	v_cndmask_b32_e64 v3, v3, v5, s1
	v_cndmask_b32_e64 v5, 0, 0x41b17218, vcc_lo
	s_mov_b32 vcc_lo, s0
	v_div_fmas_f32 v2, v2, v4, v9
	v_sub_f32_e32 v3, v3, v5
	v_div_fixup_f32 v2, v2, v7, -0.5
	v_add_f32_e32 v2, v3, v2
	v_sub_f32_e32 v0, v2, v0
	v_add_f32_e32 v0, v1, v0
                                        ; implicit-def: $vgpr1
.LBB18_1271:
	s_andn2_saveexec_b32 s0, s15
; %bb.1272:
	v_add_f32_e32 v0, 0x40101cb7, v1
; %bb.1273:
	s_or_b32 exec_lo, exec_lo, s0
.LBB18_1274:
	s_or_b32 exec_lo, exec_lo, s14
                                        ; implicit-def: $vgpr7
.LBB18_1275:
	s_andn2_saveexec_b32 s0, s13
; %bb.1276:
	v_xor_b32_e32 v0, 0x80000000, v7
	s_mov_b32 s1, 0x7f800000
	v_bfi_b32 v0, 0x7fffffff, s1, v0
; %bb.1277:
	s_or_b32 exec_lo, exec_lo, s0
	s_lshl_b32 s3, s3, 7
	s_cmp_lt_i32 s6, 11
	v_add_nc_u32_e32 v7, s3, v6
	v_ashrrev_i32_e32 v2, 31, v7
	v_add_co_u32 v1, vcc_lo, s10, v7
	v_add_co_ci_u32_e64 v2, null, s11, v2, vcc_lo
	s_cbranch_scc1 .LBB18_1284
; %bb.1278:
	s_cmp_gt_i32 s6, 25
	s_mov_b32 s1, 0
	s_cbranch_scc0 .LBB18_1286
; %bb.1279:
	s_cmp_gt_i32 s6, 28
	s_cbranch_scc0 .LBB18_1287
; %bb.1280:
	s_cmp_gt_i32 s6, 43
	;; [unrolled: 3-line block ×3, first 2 shown]
	s_cbranch_scc0 .LBB18_1290
; %bb.1282:
	s_cmp_eq_u32 s6, 46
	s_mov_b32 s14, 0
	s_cbranch_scc0 .LBB18_1293
; %bb.1283:
	global_load_dword v3, v[1:2], off
	s_mov_b32 s0, 0
	s_mov_b32 s13, -1
	s_waitcnt vmcnt(0)
	v_lshlrev_b32_e32 v8, 16, v3
	s_branch .LBB18_1295
.LBB18_1284:
	s_mov_b32 s13, 0
                                        ; implicit-def: $vgpr8
	s_cbranch_execnz .LBB18_1360
.LBB18_1285:
	s_andn2_b32 vcc_lo, exec_lo, s13
	s_cbranch_vccnz .LBB18_1818
	s_branch .LBB18_1407
.LBB18_1286:
	s_mov_b32 s13, 0
	s_mov_b32 s0, 0
                                        ; implicit-def: $vgpr8
	s_cbranch_execnz .LBB18_1324
	s_branch .LBB18_1356
.LBB18_1287:
	s_mov_b32 s14, -1
	s_mov_b32 s13, 0
	s_mov_b32 s0, 0
                                        ; implicit-def: $vgpr8
	s_branch .LBB18_1305
.LBB18_1288:
	s_mov_b32 s14, -1
	s_mov_b32 s13, 0
	s_mov_b32 s0, 0
                                        ; implicit-def: $vgpr8
	s_branch .LBB18_1300
.LBB18_1289:
	s_or_b32 s5, s12, exec_lo
	s_trap 2
	s_cbranch_execz .LBB18_1206
	s_branch .LBB18_1207
.LBB18_1290:
	s_mov_b32 s14, -1
	s_mov_b32 s13, 0
	s_mov_b32 s0, 0
	s_branch .LBB18_1294
.LBB18_1291:
	s_andn2_saveexec_b32 s19, s19
	s_cbranch_execz .LBB18_1052
.LBB18_1292:
	v_add_f32_e64 v1, 0x42800000, |v0|
	s_andn2_b32 s18, s18, exec_lo
	v_and_b32_e32 v1, 0xff, v1
	v_cmp_ne_u32_e32 vcc_lo, 0, v1
	s_and_b32 s20, vcc_lo, exec_lo
	s_or_b32 s18, s18, s20
	s_or_b32 exec_lo, exec_lo, s19
	v_mov_b32_e32 v4, 0
	s_and_saveexec_b32 s19, s18
	s_cbranch_execnz .LBB18_1053
	s_branch .LBB18_1054
.LBB18_1293:
	s_mov_b32 s0, -1
	s_mov_b32 s13, 0
.LBB18_1294:
                                        ; implicit-def: $vgpr8
.LBB18_1295:
	s_and_b32 vcc_lo, exec_lo, s14
	s_cbranch_vccz .LBB18_1299
; %bb.1296:
	s_cmp_eq_u32 s6, 44
	s_cbranch_scc0 .LBB18_1298
; %bb.1297:
	global_load_ubyte v3, v[1:2], off
	s_mov_b32 s0, 0
	s_mov_b32 s13, -1
	s_waitcnt vmcnt(0)
	v_lshlrev_b32_e32 v4, 23, v3
	v_cmp_ne_u32_e32 vcc_lo, 0xff, v3
	v_cndmask_b32_e32 v4, 0x7f800001, v4, vcc_lo
	v_cmp_ne_u32_e32 vcc_lo, 0, v3
	v_cndmask_b32_e32 v8, 0x400000, v4, vcc_lo
	s_branch .LBB18_1299
.LBB18_1298:
	s_mov_b32 s0, -1
                                        ; implicit-def: $vgpr8
.LBB18_1299:
	s_mov_b32 s14, 0
.LBB18_1300:
	s_and_b32 vcc_lo, exec_lo, s14
	s_cbranch_vccz .LBB18_1304
; %bb.1301:
	s_cmp_eq_u32 s6, 29
	s_cbranch_scc0 .LBB18_1303
; %bb.1302:
	global_load_dwordx2 v[3:4], v[1:2], off
	s_mov_b32 s0, 0
	s_mov_b32 s13, -1
	s_mov_b32 s14, 0
	s_waitcnt vmcnt(0)
	v_ffbh_u32_e32 v5, v4
	v_min_u32_e32 v5, 32, v5
	v_lshlrev_b64 v[3:4], v5, v[3:4]
	v_min_u32_e32 v3, 1, v3
	v_or_b32_e32 v3, v4, v3
	v_sub_nc_u32_e32 v4, 32, v5
	v_cvt_f32_u32_e32 v3, v3
	v_ldexp_f32 v8, v3, v4
	s_branch .LBB18_1305
.LBB18_1303:
	s_mov_b32 s0, -1
                                        ; implicit-def: $vgpr8
.LBB18_1304:
	s_mov_b32 s14, 0
.LBB18_1305:
	s_and_b32 vcc_lo, exec_lo, s14
	s_cbranch_vccz .LBB18_1323
; %bb.1306:
	s_cmp_lt_i32 s6, 27
	s_cbranch_scc1 .LBB18_1309
; %bb.1307:
	s_cmp_gt_i32 s6, 27
	s_cbranch_scc0 .LBB18_1310
; %bb.1308:
	global_load_dword v3, v[1:2], off
	s_mov_b32 s13, 0
	s_waitcnt vmcnt(0)
	v_cvt_f32_u32_e32 v8, v3
	s_branch .LBB18_1311
.LBB18_1309:
	s_mov_b32 s13, -1
                                        ; implicit-def: $vgpr8
	s_branch .LBB18_1314
.LBB18_1310:
	s_mov_b32 s13, -1
                                        ; implicit-def: $vgpr8
.LBB18_1311:
	s_andn2_b32 vcc_lo, exec_lo, s13
	s_cbranch_vccnz .LBB18_1313
; %bb.1312:
	global_load_ushort v3, v[1:2], off
	s_waitcnt vmcnt(0)
	v_cvt_f32_u32_e32 v8, v3
.LBB18_1313:
	s_mov_b32 s13, 0
.LBB18_1314:
	s_andn2_b32 vcc_lo, exec_lo, s13
	s_cbranch_vccnz .LBB18_1322
; %bb.1315:
	global_load_ubyte v3, v[1:2], off
	s_mov_b32 s13, 0
	s_mov_b32 s14, exec_lo
	s_waitcnt vmcnt(0)
	v_cmpx_lt_i16_e32 0x7f, v3
	s_xor_b32 s14, exec_lo, s14
	s_cbranch_execz .LBB18_1335
; %bb.1316:
	s_mov_b32 s13, -1
	s_mov_b32 s15, exec_lo
	v_cmpx_eq_u16_e32 0x80, v3
; %bb.1317:
	s_xor_b32 s13, exec_lo, -1
; %bb.1318:
	s_or_b32 exec_lo, exec_lo, s15
	s_and_b32 s13, s13, exec_lo
	s_or_saveexec_b32 s14, s14
	v_mov_b32_e32 v8, 0x7f800001
	s_xor_b32 exec_lo, exec_lo, s14
	s_cbranch_execnz .LBB18_1336
.LBB18_1319:
	s_or_b32 exec_lo, exec_lo, s14
	s_and_saveexec_b32 s14, s13
	s_cbranch_execz .LBB18_1321
.LBB18_1320:
	v_and_b32_e32 v4, 0xffff, v3
	v_lshlrev_b32_e32 v3, 24, v3
	v_and_b32_e32 v5, 7, v4
	v_bfe_u32 v9, v4, 3, 4
	v_and_b32_e32 v3, 0x80000000, v3
	v_ffbh_u32_e32 v6, v5
	v_cmp_eq_u32_e32 vcc_lo, 0, v9
	v_min_u32_e32 v6, 32, v6
	v_subrev_nc_u32_e32 v8, 28, v6
	v_sub_nc_u32_e32 v6, 29, v6
	v_lshlrev_b32_e32 v4, v8, v4
	v_cndmask_b32_e32 v6, v9, v6, vcc_lo
	v_and_b32_e32 v4, 7, v4
	v_cndmask_b32_e32 v4, v5, v4, vcc_lo
	v_lshl_add_u32 v5, v6, 23, 0x3b800000
	v_lshlrev_b32_e32 v4, 20, v4
	v_or3_b32 v8, v3, v5, v4
.LBB18_1321:
	s_or_b32 exec_lo, exec_lo, s14
.LBB18_1322:
	s_mov_b32 s13, -1
.LBB18_1323:
	s_branch .LBB18_1356
.LBB18_1324:
	s_cmp_gt_i32 s6, 22
	s_cbranch_scc0 .LBB18_1334
; %bb.1325:
	s_cmp_lt_i32 s6, 24
	s_cbranch_scc1 .LBB18_1337
; %bb.1326:
	s_cmp_gt_i32 s6, 24
	s_cbranch_scc0 .LBB18_1338
; %bb.1327:
	global_load_ubyte v3, v[1:2], off
	s_mov_b32 s13, exec_lo
	s_waitcnt vmcnt(0)
	v_cmpx_lt_i16_e32 0x7f, v3
	s_xor_b32 s13, exec_lo, s13
	s_cbranch_execz .LBB18_1350
; %bb.1328:
	s_mov_b32 s1, -1
	s_mov_b32 s14, exec_lo
	v_cmpx_eq_u16_e32 0x80, v3
; %bb.1329:
	s_xor_b32 s1, exec_lo, -1
; %bb.1330:
	s_or_b32 exec_lo, exec_lo, s14
	s_and_b32 s1, s1, exec_lo
	s_or_saveexec_b32 s13, s13
	v_mov_b32_e32 v8, 0x7f800001
	s_xor_b32 exec_lo, exec_lo, s13
	s_cbranch_execnz .LBB18_1351
.LBB18_1331:
	s_or_b32 exec_lo, exec_lo, s13
	s_and_saveexec_b32 s13, s1
	s_cbranch_execz .LBB18_1333
.LBB18_1332:
	v_and_b32_e32 v4, 0xffff, v3
	v_lshlrev_b32_e32 v3, 24, v3
	v_and_b32_e32 v5, 3, v4
	v_bfe_u32 v9, v4, 2, 5
	v_and_b32_e32 v3, 0x80000000, v3
	v_ffbh_u32_e32 v6, v5
	v_cmp_eq_u32_e32 vcc_lo, 0, v9
	v_min_u32_e32 v6, 32, v6
	v_subrev_nc_u32_e32 v8, 29, v6
	v_sub_nc_u32_e32 v6, 30, v6
	v_lshlrev_b32_e32 v4, v8, v4
	v_cndmask_b32_e32 v6, v9, v6, vcc_lo
	v_and_b32_e32 v4, 3, v4
	v_cndmask_b32_e32 v4, v5, v4, vcc_lo
	v_lshl_add_u32 v5, v6, 23, 0x37800000
	v_lshlrev_b32_e32 v4, 21, v4
	v_or3_b32 v8, v3, v5, v4
.LBB18_1333:
	s_or_b32 exec_lo, exec_lo, s13
	s_mov_b32 s1, 0
	s_branch .LBB18_1339
.LBB18_1334:
	s_mov_b32 s1, -1
                                        ; implicit-def: $vgpr8
	s_branch .LBB18_1345
.LBB18_1335:
	s_or_saveexec_b32 s14, s14
	v_mov_b32_e32 v8, 0x7f800001
	s_xor_b32 exec_lo, exec_lo, s14
	s_cbranch_execz .LBB18_1319
.LBB18_1336:
	v_cmp_ne_u16_e32 vcc_lo, 0, v3
	v_mov_b32_e32 v8, 0
	s_andn2_b32 s13, s13, exec_lo
	s_and_b32 s15, vcc_lo, exec_lo
	s_or_b32 s13, s13, s15
	s_or_b32 exec_lo, exec_lo, s14
	s_and_saveexec_b32 s14, s13
	s_cbranch_execnz .LBB18_1320
	s_branch .LBB18_1321
.LBB18_1337:
	s_mov_b32 s1, -1
                                        ; implicit-def: $vgpr8
	s_branch .LBB18_1342
.LBB18_1338:
	s_mov_b32 s1, -1
                                        ; implicit-def: $vgpr8
.LBB18_1339:
	s_and_b32 vcc_lo, exec_lo, s1
	s_cbranch_vccz .LBB18_1341
; %bb.1340:
	global_load_ubyte v3, v[1:2], off
	s_waitcnt vmcnt(0)
	v_lshlrev_b32_e32 v3, 24, v3
	v_and_b32_e32 v4, 0x7f000000, v3
	v_ffbh_u32_e32 v5, v4
	v_add_nc_u32_e32 v8, 0x1000000, v4
	v_cmp_ne_u32_e32 vcc_lo, 0, v4
	v_min_u32_e32 v5, 32, v5
	v_sub_nc_u32_e64 v5, v5, 4 clamp
	v_lshlrev_b32_e32 v6, v5, v4
	v_lshlrev_b32_e32 v5, 23, v5
	v_lshrrev_b32_e32 v6, 4, v6
	v_sub_nc_u32_e32 v5, v6, v5
	v_ashrrev_i32_e32 v6, 8, v8
	v_add_nc_u32_e32 v5, 0x3c000000, v5
	v_and_or_b32 v5, 0x7f800000, v6, v5
	v_cndmask_b32_e32 v4, 0, v5, vcc_lo
	v_and_or_b32 v8, 0x80000000, v3, v4
.LBB18_1341:
	s_mov_b32 s1, 0
.LBB18_1342:
	s_andn2_b32 vcc_lo, exec_lo, s1
	s_cbranch_vccnz .LBB18_1344
; %bb.1343:
	global_load_ubyte v3, v[1:2], off
	s_waitcnt vmcnt(0)
	v_lshlrev_b32_e32 v4, 25, v3
	v_lshlrev_b16 v3, 8, v3
	v_lshrrev_b32_e32 v5, 4, v4
	v_and_or_b32 v6, 0x7f00, v3, 0.5
	v_cmp_gt_u32_e32 vcc_lo, 0x8000000, v4
	v_bfe_i32 v3, v3, 0, 16
	v_or_b32_e32 v5, 0x70000000, v5
	v_add_f32_e32 v6, -0.5, v6
	v_mul_f32_e32 v5, 0x7800000, v5
	v_cndmask_b32_e32 v4, v5, v6, vcc_lo
	v_and_or_b32 v8, 0x80000000, v3, v4
.LBB18_1344:
	s_mov_b32 s1, 0
	s_mov_b32 s13, -1
.LBB18_1345:
	s_andn2_b32 vcc_lo, exec_lo, s1
	s_mov_b32 s1, 0
	s_cbranch_vccnz .LBB18_1356
; %bb.1346:
	s_cmp_gt_i32 s6, 14
	s_cbranch_scc0 .LBB18_1349
; %bb.1347:
	s_cmp_eq_u32 s6, 15
	s_cbranch_scc0 .LBB18_1352
; %bb.1348:
	global_load_ushort v3, v[1:2], off
	s_mov_b32 s0, 0
	s_mov_b32 s13, -1
	s_waitcnt vmcnt(0)
	v_lshlrev_b32_e32 v8, 16, v3
	s_branch .LBB18_1354
.LBB18_1349:
	s_mov_b32 s1, -1
	s_branch .LBB18_1353
.LBB18_1350:
	s_or_saveexec_b32 s13, s13
	v_mov_b32_e32 v8, 0x7f800001
	s_xor_b32 exec_lo, exec_lo, s13
	s_cbranch_execz .LBB18_1331
.LBB18_1351:
	v_cmp_ne_u16_e32 vcc_lo, 0, v3
	v_mov_b32_e32 v8, 0
	s_andn2_b32 s1, s1, exec_lo
	s_and_b32 s14, vcc_lo, exec_lo
	s_or_b32 s1, s1, s14
	s_or_b32 exec_lo, exec_lo, s13
	s_and_saveexec_b32 s13, s1
	s_cbranch_execnz .LBB18_1332
	s_branch .LBB18_1333
.LBB18_1352:
	s_mov_b32 s0, -1
.LBB18_1353:
                                        ; implicit-def: $vgpr8
.LBB18_1354:
	s_and_b32 vcc_lo, exec_lo, s1
	s_mov_b32 s1, 0
	s_cbranch_vccz .LBB18_1356
; %bb.1355:
	s_cmp_lg_u32 s6, 11
	s_mov_b32 s1, -1
	s_cselect_b32 s0, -1, 0
.LBB18_1356:
	s_and_b32 vcc_lo, exec_lo, s0
	s_cbranch_vccnz .LBB18_1443
; %bb.1357:
	s_andn2_b32 vcc_lo, exec_lo, s1
	s_cbranch_vccnz .LBB18_1359
.LBB18_1358:
	global_load_ubyte v3, v[1:2], off
	s_mov_b32 s13, -1
	s_waitcnt vmcnt(0)
	v_cmp_ne_u16_e32 vcc_lo, 0, v3
	v_cndmask_b32_e64 v8, 0, 1.0, vcc_lo
.LBB18_1359:
	s_branch .LBB18_1285
.LBB18_1360:
	s_cmp_lt_i32 s6, 5
	s_cbranch_scc1 .LBB18_1365
; %bb.1361:
	s_cmp_lt_i32 s6, 8
	s_cbranch_scc1 .LBB18_1366
; %bb.1362:
	;; [unrolled: 3-line block ×3, first 2 shown]
	s_cmp_gt_i32 s6, 9
	s_cbranch_scc0 .LBB18_1368
; %bb.1364:
	global_load_dwordx2 v[3:4], v[1:2], off
	s_mov_b32 s0, 0
	s_waitcnt vmcnt(0)
	v_cvt_f32_f64_e32 v8, v[3:4]
	s_branch .LBB18_1369
.LBB18_1365:
                                        ; implicit-def: $vgpr8
	s_branch .LBB18_1387
.LBB18_1366:
	s_mov_b32 s0, -1
                                        ; implicit-def: $vgpr8
	s_branch .LBB18_1375
.LBB18_1367:
	s_mov_b32 s0, -1
                                        ; implicit-def: $vgpr8
	s_branch .LBB18_1372
.LBB18_1368:
	s_mov_b32 s0, -1
                                        ; implicit-def: $vgpr8
.LBB18_1369:
	s_andn2_b32 vcc_lo, exec_lo, s0
	s_cbranch_vccnz .LBB18_1371
; %bb.1370:
	global_load_dword v8, v[1:2], off
.LBB18_1371:
	s_mov_b32 s0, 0
.LBB18_1372:
	s_andn2_b32 vcc_lo, exec_lo, s0
	s_cbranch_vccnz .LBB18_1374
; %bb.1373:
	global_load_dword v3, v[1:2], off
	s_waitcnt vmcnt(0)
	v_cvt_f32_f16_e32 v8, v3
.LBB18_1374:
	s_mov_b32 s0, 0
.LBB18_1375:
	s_andn2_b32 vcc_lo, exec_lo, s0
	s_cbranch_vccnz .LBB18_1386
; %bb.1376:
	s_cmp_lt_i32 s6, 6
	s_cbranch_scc1 .LBB18_1379
; %bb.1377:
	s_cmp_gt_i32 s6, 6
	s_cbranch_scc0 .LBB18_1380
; %bb.1378:
	global_load_dwordx2 v[3:4], v[1:2], off
	s_mov_b32 s0, 0
	s_waitcnt vmcnt(0)
	v_cvt_f32_f64_e32 v8, v[3:4]
	s_branch .LBB18_1381
.LBB18_1379:
	s_mov_b32 s0, -1
                                        ; implicit-def: $vgpr8
	s_branch .LBB18_1384
.LBB18_1380:
	s_mov_b32 s0, -1
                                        ; implicit-def: $vgpr8
.LBB18_1381:
	s_andn2_b32 vcc_lo, exec_lo, s0
	s_cbranch_vccnz .LBB18_1383
; %bb.1382:
	global_load_dword v8, v[1:2], off
.LBB18_1383:
	s_mov_b32 s0, 0
.LBB18_1384:
	s_andn2_b32 vcc_lo, exec_lo, s0
	s_cbranch_vccnz .LBB18_1386
; %bb.1385:
	global_load_ushort v3, v[1:2], off
	s_waitcnt vmcnt(0)
	v_cvt_f32_f16_e32 v8, v3
.LBB18_1386:
	s_cbranch_execnz .LBB18_1406
.LBB18_1387:
	s_cmp_lt_i32 s6, 2
	s_cbranch_scc1 .LBB18_1391
; %bb.1388:
	s_cmp_lt_i32 s6, 3
	s_cbranch_scc1 .LBB18_1392
; %bb.1389:
	s_cmp_gt_i32 s6, 3
	s_cbranch_scc0 .LBB18_1393
; %bb.1390:
	global_load_dwordx2 v[3:4], v[1:2], off
	s_mov_b32 s0, 0
	s_waitcnt vmcnt(0)
	v_xor_b32_e32 v5, v3, v4
	v_ffbh_i32_e32 v6, v4
	v_ashrrev_i32_e32 v5, 31, v5
	v_add_nc_u32_e32 v6, -1, v6
	v_add_nc_u32_e32 v5, 32, v5
	v_min_u32_e32 v5, v6, v5
	v_lshlrev_b64 v[3:4], v5, v[3:4]
	v_min_u32_e32 v3, 1, v3
	v_or_b32_e32 v3, v4, v3
	v_sub_nc_u32_e32 v4, 32, v5
	v_cvt_f32_i32_e32 v3, v3
	v_ldexp_f32 v8, v3, v4
	s_branch .LBB18_1394
.LBB18_1391:
	s_mov_b32 s0, -1
                                        ; implicit-def: $vgpr8
	s_branch .LBB18_1400
.LBB18_1392:
	s_mov_b32 s0, -1
                                        ; implicit-def: $vgpr8
	s_branch .LBB18_1397
.LBB18_1393:
	s_mov_b32 s0, -1
                                        ; implicit-def: $vgpr8
.LBB18_1394:
	s_andn2_b32 vcc_lo, exec_lo, s0
	s_cbranch_vccnz .LBB18_1396
; %bb.1395:
	global_load_dword v3, v[1:2], off
	s_waitcnt vmcnt(0)
	v_cvt_f32_i32_e32 v8, v3
.LBB18_1396:
	s_mov_b32 s0, 0
.LBB18_1397:
	s_andn2_b32 vcc_lo, exec_lo, s0
	s_cbranch_vccnz .LBB18_1399
; %bb.1398:
	global_load_sshort v3, v[1:2], off
	s_waitcnt vmcnt(0)
	v_cvt_f32_i32_e32 v8, v3
.LBB18_1399:
	s_mov_b32 s0, 0
.LBB18_1400:
	s_andn2_b32 vcc_lo, exec_lo, s0
	s_cbranch_vccnz .LBB18_1406
; %bb.1401:
	s_cmp_gt_i32 s6, 0
	s_mov_b32 s0, 0
	s_cbranch_scc0 .LBB18_1403
; %bb.1402:
	global_load_sbyte v3, v[1:2], off
	s_waitcnt vmcnt(0)
	v_cvt_f32_i32_e32 v8, v3
	s_branch .LBB18_1404
.LBB18_1403:
	s_mov_b32 s0, -1
                                        ; implicit-def: $vgpr8
.LBB18_1404:
	s_andn2_b32 vcc_lo, exec_lo, s0
	s_cbranch_vccnz .LBB18_1406
; %bb.1405:
	global_load_ubyte v1, v[1:2], off
	s_waitcnt vmcnt(0)
	v_cvt_f32_ubyte0_e32 v8, v1
.LBB18_1406:
.LBB18_1407:
                                        ; implicit-def: $vgpr2
	s_mov_b32 s0, exec_lo
	s_waitcnt vmcnt(0)
	v_cmpx_neq_f32_e32 0, v8
	s_xor_b32 s13, exec_lo, s0
	s_cbranch_execz .LBB18_1429
; %bb.1408:
	v_mov_b32_e32 v1, 0
	s_mov_b32 s0, -1
	s_mov_b32 s14, exec_lo
	v_cmpx_gt_f32_e32 0, v8
	s_cbranch_execz .LBB18_1416
; %bb.1409:
	v_trunc_f32_e32 v1, v8
	s_mov_b32 s1, 0
	v_cmp_neq_f32_e32 vcc_lo, v8, v1
	v_mov_b32_e32 v1, 0
	s_and_saveexec_b32 s15, vcc_lo
	s_cbranch_execz .LBB18_1415
; %bb.1410:
	v_cvt_f64_f32_e32 v[1:2], v8
	s_mov_b32 s1, 0xc00921fb
	s_mov_b32 s0, 0x54442d18
	s_mov_b32 s16, exec_lo
                                        ; implicit-def: $vgpr9
                                        ; implicit-def: $vgpr5_vgpr6
	v_trunc_f64_e32 v[3:4], v[1:2]
	v_cmp_neq_f64_e64 vcc_lo, 0x7ff00000, |v[1:2]|
	v_add_f64 v[3:4], v[1:2], -v[3:4]
	v_mul_f64 v[3:4], |v[3:4]|, s[0:1]
	v_cndmask_b32_e32 v2, 0x80000000, v4, vcc_lo
	v_cndmask_b32_e32 v1, 0, v3, vcc_lo
                                        ; implicit-def: $vgpr3_vgpr4
	v_cmpx_ngt_f64_e64 0x41d00000, |v[1:2]|
	s_xor_b32 s16, exec_lo, s16
	s_cbranch_execz .LBB18_1412
; %bb.1411:
	v_ldexp_f64 v[3:4], |v[1:2]|, 0xffffff80
	v_cmp_le_f64_e64 vcc_lo, 0x7b000000, |v[1:2]|
	v_trig_preop_f64 v[5:6], |v[1:2]|, 0
	v_and_b32_e32 v9, 0x7fffffff, v2
	v_trig_preop_f64 v[20:21], |v[1:2]|, 2
	v_mov_b32_e32 v28, 0
	s_mov_b32 s1, 0x3ff921fb
	s_mov_b32 s18, 0x33145c07
	;; [unrolled: 1-line block ×3, first 2 shown]
	v_cndmask_b32_e32 v4, v9, v4, vcc_lo
	v_cndmask_b32_e32 v3, v1, v3, vcc_lo
	v_trig_preop_f64 v[9:10], |v[1:2]|, 1
	v_mul_f64 v[12:13], v[5:6], v[3:4]
	v_mul_f64 v[26:27], v[20:21], v[3:4]
	;; [unrolled: 1-line block ×3, first 2 shown]
	v_fma_f64 v[5:6], v[5:6], v[3:4], -v[12:13]
	v_fma_f64 v[9:10], v[9:10], v[3:4], -v[14:15]
	;; [unrolled: 1-line block ×3, first 2 shown]
	v_add_f64 v[16:17], v[14:15], v[5:6]
	v_add_f64 v[18:19], v[16:17], -v[14:15]
	v_add_f64 v[24:25], v[12:13], v[16:17]
	v_add_f64 v[22:23], v[16:17], -v[18:19]
	v_add_f64 v[5:6], v[5:6], -v[18:19]
	v_ldexp_f64 v[18:19], v[24:25], -2
	v_add_f64 v[12:13], v[24:25], -v[12:13]
	v_add_f64 v[14:15], v[14:15], -v[22:23]
	v_add_f64 v[22:23], v[26:27], v[9:10]
	v_cmp_neq_f64_e64 vcc_lo, 0x7ff00000, |v[18:19]|
	v_add_f64 v[12:13], v[16:17], -v[12:13]
	v_add_f64 v[5:6], v[5:6], v[14:15]
	v_fract_f64_e32 v[14:15], v[18:19]
	v_add_f64 v[16:17], v[22:23], v[5:6]
	v_ldexp_f64 v[14:15], v[14:15], 2
	v_add_f64 v[18:19], v[12:13], v[16:17]
	v_cndmask_b32_e32 v15, 0, v15, vcc_lo
	v_cndmask_b32_e32 v14, 0, v14, vcc_lo
	v_add_f64 v[24:25], v[18:19], v[14:15]
	v_add_f64 v[12:13], v[18:19], -v[12:13]
	v_cmp_gt_f64_e32 vcc_lo, 0, v[24:25]
	v_add_f64 v[24:25], v[22:23], -v[26:27]
	v_cndmask_b32_e64 v29, 0, 0x40100000, vcc_lo
	v_add_f64 v[33:34], v[22:23], -v[24:25]
	v_add_f64 v[9:10], v[9:10], -v[24:25]
	v_add_f64 v[14:15], v[14:15], v[28:29]
	v_add_f64 v[29:30], v[16:17], -v[22:23]
	v_add_f64 v[24:25], v[26:27], -v[33:34]
	v_add_f64 v[31:32], v[18:19], v[14:15]
	;; [unrolled: 3-line block ×3, first 2 shown]
	v_cvt_i32_f64_e32 v31, v[31:32]
	v_add_f64 v[22:23], v[22:23], -v[35:36]
	v_cvt_f64_i32_e32 v[29:30], v31
	v_add_f64 v[5:6], v[5:6], v[22:23]
	v_add_f64 v[14:15], v[14:15], -v[29:30]
	v_add_f64 v[5:6], v[9:10], v[5:6]
	v_add_f64 v[9:10], v[16:17], -v[12:13]
	v_add_f64 v[20:21], v[18:19], v[14:15]
	v_add_f64 v[3:4], v[3:4], v[5:6]
	v_add_f64 v[5:6], v[20:21], -v[14:15]
	v_cmp_le_f64_e32 vcc_lo, 0.5, v[20:21]
	v_add_f64 v[3:4], v[9:10], v[3:4]
	v_add_f64 v[5:6], v[18:19], -v[5:6]
	v_cndmask_b32_e64 v29, 0, 0x3ff00000, vcc_lo
	v_add_co_ci_u32_e64 v9, null, 0, v31, vcc_lo
	v_add_f64 v[3:4], v[3:4], v[5:6]
	v_add_f64 v[5:6], v[20:21], -v[28:29]
	v_add_f64 v[12:13], v[5:6], v[3:4]
	v_mul_f64 v[14:15], v[12:13], s[0:1]
	v_add_f64 v[5:6], v[12:13], -v[5:6]
	v_fma_f64 v[16:17], v[12:13], s[0:1], -v[14:15]
	v_add_f64 v[3:4], v[3:4], -v[5:6]
	v_fma_f64 v[5:6], v[12:13], s[18:19], v[16:17]
	v_fma_f64 v[5:6], v[3:4], s[0:1], v[5:6]
	v_add_f64 v[3:4], v[14:15], v[5:6]
	v_add_f64 v[12:13], v[3:4], -v[14:15]
	v_add_f64 v[5:6], v[5:6], -v[12:13]
.LBB18_1412:
	s_andn2_saveexec_b32 s0, s16
	s_cbranch_execz .LBB18_1414
; %bb.1413:
	s_mov_b32 s16, 0x6dc9c883
	s_mov_b32 s17, 0x3fe45f30
	;; [unrolled: 1-line block ×3, first 2 shown]
	v_mul_f64 v[3:4], |v[1:2]|, s[16:17]
	s_mov_b32 s16, 0x54442d18
	s_mov_b32 s17, 0xbff921fb
	;; [unrolled: 1-line block ×3, first 2 shown]
	v_rndne_f64_e32 v[9:10], v[3:4]
	v_fma_f64 v[3:4], v[9:10], s[16:17], |v[1:2]|
	v_mul_f64 v[5:6], v[9:10], s[18:19]
	s_mov_b32 s16, 0x252049c0
	s_mov_b32 s17, 0xb97b839a
	v_fma_f64 v[14:15], v[9:10], s[18:19], v[3:4]
	v_add_f64 v[12:13], v[3:4], v[5:6]
	s_mov_b32 s19, 0x3c91a626
	v_add_f64 v[3:4], v[3:4], -v[12:13]
	v_add_f64 v[12:13], v[12:13], -v[14:15]
	v_add_f64 v[3:4], v[3:4], v[5:6]
	v_fma_f64 v[5:6], v[9:10], s[18:19], v[5:6]
	v_add_f64 v[3:4], v[12:13], v[3:4]
	v_add_f64 v[3:4], v[3:4], -v[5:6]
	v_fma_f64 v[5:6], v[9:10], s[16:17], v[3:4]
	v_cvt_i32_f64_e32 v9, v[9:10]
	v_add_f64 v[3:4], v[14:15], v[5:6]
	v_add_f64 v[12:13], v[3:4], -v[14:15]
	v_add_f64 v[5:6], v[5:6], -v[12:13]
.LBB18_1414:
	s_or_b32 exec_lo, exec_lo, s0
	v_mul_f64 v[12:13], v[3:4], v[3:4]
	v_add_f64 v[14:15], v[5:6], v[5:6]
	s_mov_b32 s16, 0xa9a29f71
	s_mov_b32 s18, 0xc751c08c
	;; [unrolled: 1-line block ×4, first 2 shown]
	v_cmp_class_f64_e64 s0, v[1:2], 0x1f8
	v_and_b32_e32 v9, 1, v9
	v_and_b32_e32 v2, 0x80000000, v2
	v_sub_f32_e32 v8, 1.0, v8
	s_mov_b32 s1, exec_lo
	v_cmp_eq_u32_e32 vcc_lo, 0, v9
	v_fma_f64 v[16:17], v[3:4], v[3:4], -v[12:13]
	v_fma_f64 v[14:15], v[3:4], v[14:15], v[16:17]
	v_add_f64 v[12:13], v[12:13], v[14:15]
	v_fma_f64 v[14:15], v[12:13], s[18:19], s[16:17]
	s_mov_b32 s16, 0x90a8aae0
	s_mov_b32 s17, 0x3f17746f
	v_fma_f64 v[14:15], v[12:13], v[14:15], s[16:17]
	s_mov_b32 s16, 0xa6fbf144
	s_mov_b32 s17, 0xbefbb44d
	;; [unrolled: 3-line block ×13, first 2 shown]
	v_mul_f64 v[12:13], v[12:13], v[14:15]
	v_mul_f64 v[14:15], v[3:4], v[12:13]
	v_add_f64 v[16:17], v[3:4], v[14:15]
	v_fma_f64 v[12:13], v[3:4], v[12:13], -v[14:15]
	v_add_f64 v[3:4], v[16:17], -v[3:4]
	v_add_f64 v[5:6], v[5:6], v[12:13]
	v_add_f64 v[3:4], v[14:15], -v[3:4]
	v_add_f64 v[3:4], v[5:6], v[3:4]
	v_add_f64 v[5:6], v[16:17], v[3:4]
	v_rcp_f64_e32 v[12:13], v[5:6]
	v_fma_f64 v[14:15], -v[5:6], v[12:13], 1.0
	v_fma_f64 v[12:13], v[14:15], v[12:13], v[12:13]
	v_fma_f64 v[14:15], -v[5:6], v[12:13], 1.0
	v_fma_f64 v[12:13], v[14:15], v[12:13], v[12:13]
	v_add_f64 v[14:15], v[5:6], -v[16:17]
	v_mul_f64 v[16:17], v[5:6], v[12:13]
	v_add_f64 v[3:4], v[3:4], -v[14:15]
	v_fma_f64 v[14:15], v[12:13], v[5:6], -v[16:17]
	v_fma_f64 v[3:4], v[12:13], v[3:4], v[14:15]
	v_add_f64 v[14:15], v[16:17], v[3:4]
	v_add_f64 v[18:19], -v[14:15], 1.0
	v_add_f64 v[16:17], v[14:15], -v[16:17]
	v_add_f64 v[20:21], -v[18:19], 1.0
	v_add_f64 v[3:4], v[16:17], -v[3:4]
	v_add_f64 v[14:15], v[20:21], -v[14:15]
	v_add_f64 v[3:4], v[3:4], v[14:15]
	v_add_f64 v[3:4], v[18:19], v[3:4]
	v_mul_f64 v[3:4], v[12:13], v[3:4]
	v_add_f64 v[3:4], v[12:13], v[3:4]
	v_xor_b32_e32 v1, 0x80000000, v4
	v_cndmask_b32_e32 v3, v3, v5, vcc_lo
	v_cndmask_b32_e32 v1, v1, v6, vcc_lo
	v_xor_b32_e32 v2, v1, v2
	v_cndmask_b32_e64 v1, 0, v3, s0
	v_cndmask_b32_e64 v2, 0x7ff80000, v2, s0
	v_div_scale_f64 v[3:4], null, v[1:2], v[1:2], s[16:17]
	v_rcp_f64_e32 v[5:6], v[3:4]
	v_fma_f64 v[9:10], -v[3:4], v[5:6], 1.0
	v_fma_f64 v[5:6], v[5:6], v[9:10], v[5:6]
	v_fma_f64 v[9:10], -v[3:4], v[5:6], 1.0
	v_fma_f64 v[5:6], v[5:6], v[9:10], v[5:6]
	v_div_scale_f64 v[9:10], vcc_lo, s[16:17], v[1:2], s[16:17]
	v_mul_f64 v[12:13], v[9:10], v[5:6]
	v_fma_f64 v[3:4], -v[3:4], v[12:13], v[9:10]
	v_div_fmas_f64 v[3:4], v[3:4], v[5:6], v[12:13]
	v_div_fixup_f64 v[1:2], v[3:4], v[1:2], s[16:17]
	v_cvt_f32_f64_e32 v1, v[1:2]
.LBB18_1415:
	s_or_b32 exec_lo, exec_lo, s15
	s_orn2_b32 s0, s1, exec_lo
.LBB18_1416:
	s_or_b32 exec_lo, exec_lo, s14
	v_mov_b32_e32 v2, 0x7fc00000
	s_and_saveexec_b32 s14, s0
	s_cbranch_execz .LBB18_1428
; %bb.1417:
	s_mov_b32 s0, exec_lo
	v_cmpx_gt_f32_e32 0x41200000, v8
	s_cbranch_execz .LBB18_1421
; %bb.1418:
	s_mov_b32 s1, 0
	.p2align	6
.LBB18_1419:                            ; =>This Inner Loop Header: Depth=1
	v_div_scale_f32 v2, null, v8, v8, 1.0
	v_div_scale_f32 v5, vcc_lo, 1.0, v8, 1.0
	v_rcp_f32_e32 v3, v2
	v_fma_f32 v4, -v2, v3, 1.0
	v_fmac_f32_e32 v3, v4, v3
	v_mul_f32_e32 v4, v5, v3
	v_fma_f32 v6, -v2, v4, v5
	v_fmac_f32_e32 v4, v6, v3
	v_fma_f32 v2, -v2, v4, v5
	v_div_fmas_f32 v2, v2, v3, v4
	v_div_fixup_f32 v2, v2, v8, 1.0
	v_add_f32_e32 v8, 1.0, v8
	v_sub_f32_e32 v1, v1, v2
	v_cmp_ngt_f32_e32 vcc_lo, 0x41200000, v8
	s_or_b32 s1, vcc_lo, s1
	s_andn2_b32 exec_lo, exec_lo, s1
	s_cbranch_execnz .LBB18_1419
; %bb.1420:
	s_or_b32 exec_lo, exec_lo, s1
.LBB18_1421:
	s_or_b32 exec_lo, exec_lo, s0
                                        ; implicit-def: $vgpr2
	s_mov_b32 s0, exec_lo
	v_cmpx_neq_f32_e32 0x41200000, v8
	s_xor_b32 s15, exec_lo, s0
	s_cbranch_execz .LBB18_1425
; %bb.1422:
	v_cvt_f64_f32_e32 v[2:3], v8
	s_mov_b32 s0, 0x85d8a000
	s_mov_b32 s1, 0x43763457
	v_cmp_gt_f64_e32 vcc_lo, s[0:1], v[2:3]
	v_mov_b32_e32 v2, 0
	s_and_saveexec_b32 s0, vcc_lo
	s_cbranch_execz .LBB18_1424
; %bb.1423:
	v_mul_f32_e32 v2, v8, v8
	v_div_scale_f32 v3, null, v2, v2, 1.0
	v_rcp_f32_e32 v4, v3
	v_fma_f32 v5, -v3, v4, 1.0
	v_fmac_f32_e32 v4, v5, v4
	v_div_scale_f32 v5, vcc_lo, 1.0, v2, 1.0
	v_mul_f32_e32 v6, v5, v4
	v_fma_f32 v9, -v3, v6, v5
	v_fmac_f32_e32 v6, v9, v4
	v_fma_f32 v3, -v3, v6, v5
	v_div_fmas_f32 v3, v3, v4, v6
	v_div_fixup_f32 v2, v3, v2, 1.0
	v_fmaak_f32 v3, 0, v2, 0x3daaaaab
	v_fmaak_f32 v3, v2, v3, 0xbcaccacd
	;; [unrolled: 1-line block ×7, first 2 shown]
	v_mul_f32_e32 v2, v2, v3
.LBB18_1424:
	s_or_b32 exec_lo, exec_lo, s0
	v_cmp_gt_f32_e32 vcc_lo, 0x800000, v8
	v_div_scale_f32 v3, null, v8, v8, -0.5
	v_div_scale_f32 v9, s0, -0.5, v8, -0.5
	v_cndmask_b32_e64 v4, 0, 32, vcc_lo
	v_rcp_f32_e32 v5, v3
	v_ldexp_f32 v4, v8, v4
	v_log_f32_e32 v4, v4
	v_fma_f32 v6, -v3, v5, 1.0
	v_fmac_f32_e32 v5, v6, v5
	v_mul_f32_e32 v6, 0x3f317217, v4
	v_mul_f32_e32 v10, v9, v5
	v_cmp_gt_f32_e64 s1, 0x7f800000, |v4|
	v_fma_f32 v6, 0x3f317217, v4, -v6
	v_fma_f32 v12, -v3, v10, v9
	v_fmamk_f32 v6, v4, 0x3377d1cf, v6
	v_fmac_f32_e32 v10, v12, v5
	v_fmac_f32_e32 v6, 0x3f317217, v4
	v_fma_f32 v3, -v3, v10, v9
	v_cndmask_b32_e64 v4, v4, v6, s1
	v_cndmask_b32_e64 v6, 0, 0x41b17218, vcc_lo
	s_mov_b32 vcc_lo, s0
	v_div_fmas_f32 v3, v3, v5, v10
	v_sub_f32_e32 v4, v4, v6
	v_div_fixup_f32 v3, v3, v8, -0.5
	v_add_f32_e32 v3, v4, v3
	v_sub_f32_e32 v2, v3, v2
	v_add_f32_e32 v2, v1, v2
                                        ; implicit-def: $vgpr1
.LBB18_1425:
	s_andn2_saveexec_b32 s0, s15
; %bb.1426:
	v_add_f32_e32 v2, 0x40101cb7, v1
; %bb.1427:
	s_or_b32 exec_lo, exec_lo, s0
.LBB18_1428:
	s_or_b32 exec_lo, exec_lo, s14
                                        ; implicit-def: $vgpr8
.LBB18_1429:
	s_andn2_saveexec_b32 s0, s13
; %bb.1430:
	v_xor_b32_e32 v1, 0x80000000, v8
	s_mov_b32 s1, 0x7f800000
	v_bfi_b32 v2, 0x7fffffff, s1, v1
; %bb.1431:
	s_or_b32 exec_lo, exec_lo, s0
	v_add_nc_u32_e32 v1, s3, v7
	s_cmp_lt_i32 s6, 11
	v_ashrrev_i32_e32 v4, 31, v1
	v_add_co_u32 v3, vcc_lo, s10, v1
	v_add_co_ci_u32_e64 v4, null, s11, v4, vcc_lo
	s_cbranch_scc1 .LBB18_1438
; %bb.1432:
	s_cmp_gt_i32 s6, 25
	s_mov_b32 s1, 0
	s_cbranch_scc0 .LBB18_1440
; %bb.1433:
	s_cmp_gt_i32 s6, 28
	s_cbranch_scc0 .LBB18_1441
; %bb.1434:
	s_cmp_gt_i32 s6, 43
	;; [unrolled: 3-line block ×3, first 2 shown]
	s_cbranch_scc0 .LBB18_1444
; %bb.1436:
	s_cmp_eq_u32 s6, 46
	s_mov_b32 s14, 0
	s_cbranch_scc0 .LBB18_1445
; %bb.1437:
	global_load_dword v5, v[3:4], off
	s_mov_b32 s0, 0
	s_mov_b32 s13, -1
	s_waitcnt vmcnt(0)
	v_lshlrev_b32_e32 v9, 16, v5
	s_branch .LBB18_1447
.LBB18_1438:
	s_mov_b32 s13, 0
                                        ; implicit-def: $vgpr9
	s_cbranch_execnz .LBB18_1513
.LBB18_1439:
	s_andn2_b32 vcc_lo, exec_lo, s13
	s_cbranch_vccnz .LBB18_1818
	s_branch .LBB18_1561
.LBB18_1440:
	s_mov_b32 s14, -1
	s_mov_b32 s13, 0
	s_mov_b32 s0, 0
                                        ; implicit-def: $vgpr9
	s_branch .LBB18_1476
.LBB18_1441:
	s_mov_b32 s14, -1
	s_mov_b32 s13, 0
	s_mov_b32 s0, 0
                                        ; implicit-def: $vgpr9
	s_branch .LBB18_1457
.LBB18_1442:
	s_mov_b32 s14, -1
	s_mov_b32 s13, 0
	s_mov_b32 s0, 0
                                        ; implicit-def: $vgpr9
	s_branch .LBB18_1452
.LBB18_1443:
	s_or_b32 s5, s5, exec_lo
	s_trap 2
	s_cbranch_execz .LBB18_1358
	s_branch .LBB18_1359
.LBB18_1444:
	s_mov_b32 s14, -1
	s_mov_b32 s13, 0
	s_mov_b32 s0, 0
	s_branch .LBB18_1446
.LBB18_1445:
	s_mov_b32 s0, -1
	s_mov_b32 s13, 0
.LBB18_1446:
                                        ; implicit-def: $vgpr9
.LBB18_1447:
	s_and_b32 vcc_lo, exec_lo, s14
	s_cbranch_vccz .LBB18_1451
; %bb.1448:
	s_cmp_eq_u32 s6, 44
	s_cbranch_scc0 .LBB18_1450
; %bb.1449:
	global_load_ubyte v5, v[3:4], off
	s_mov_b32 s0, 0
	s_mov_b32 s13, -1
	s_waitcnt vmcnt(0)
	v_lshlrev_b32_e32 v6, 23, v5
	v_cmp_ne_u32_e32 vcc_lo, 0xff, v5
	v_cndmask_b32_e32 v6, 0x7f800001, v6, vcc_lo
	v_cmp_ne_u32_e32 vcc_lo, 0, v5
	v_cndmask_b32_e32 v9, 0x400000, v6, vcc_lo
	s_branch .LBB18_1451
.LBB18_1450:
	s_mov_b32 s0, -1
                                        ; implicit-def: $vgpr9
.LBB18_1451:
	s_mov_b32 s14, 0
.LBB18_1452:
	s_and_b32 vcc_lo, exec_lo, s14
	s_cbranch_vccz .LBB18_1456
; %bb.1453:
	s_cmp_eq_u32 s6, 29
	s_cbranch_scc0 .LBB18_1455
; %bb.1454:
	global_load_dwordx2 v[5:6], v[3:4], off
	s_mov_b32 s0, 0
	s_mov_b32 s13, -1
	s_mov_b32 s14, 0
	s_waitcnt vmcnt(0)
	v_ffbh_u32_e32 v7, v6
	v_min_u32_e32 v7, 32, v7
	v_lshlrev_b64 v[5:6], v7, v[5:6]
	v_min_u32_e32 v5, 1, v5
	v_or_b32_e32 v5, v6, v5
	v_sub_nc_u32_e32 v6, 32, v7
	v_cvt_f32_u32_e32 v5, v5
	v_ldexp_f32 v9, v5, v6
	s_branch .LBB18_1457
.LBB18_1455:
	s_mov_b32 s0, -1
                                        ; implicit-def: $vgpr9
.LBB18_1456:
	s_mov_b32 s14, 0
.LBB18_1457:
	s_and_b32 vcc_lo, exec_lo, s14
	s_cbranch_vccz .LBB18_1475
; %bb.1458:
	s_cmp_lt_i32 s6, 27
	s_cbranch_scc1 .LBB18_1461
; %bb.1459:
	s_cmp_gt_i32 s6, 27
	s_cbranch_scc0 .LBB18_1462
; %bb.1460:
	global_load_dword v5, v[3:4], off
	s_mov_b32 s13, 0
	s_waitcnt vmcnt(0)
	v_cvt_f32_u32_e32 v9, v5
	s_branch .LBB18_1463
.LBB18_1461:
	s_mov_b32 s13, -1
                                        ; implicit-def: $vgpr9
	s_branch .LBB18_1466
.LBB18_1462:
	s_mov_b32 s13, -1
                                        ; implicit-def: $vgpr9
.LBB18_1463:
	s_andn2_b32 vcc_lo, exec_lo, s13
	s_cbranch_vccnz .LBB18_1465
; %bb.1464:
	global_load_ushort v5, v[3:4], off
	s_waitcnt vmcnt(0)
	v_cvt_f32_u32_e32 v9, v5
.LBB18_1465:
	s_mov_b32 s13, 0
.LBB18_1466:
	s_andn2_b32 vcc_lo, exec_lo, s13
	s_cbranch_vccnz .LBB18_1474
; %bb.1467:
	global_load_ubyte v5, v[3:4], off
	s_mov_b32 s13, 0
	s_mov_b32 s14, exec_lo
	s_waitcnt vmcnt(0)
	v_cmpx_lt_i16_e32 0x7f, v5
	s_xor_b32 s14, exec_lo, s14
	s_cbranch_execz .LBB18_1488
; %bb.1468:
	s_mov_b32 s13, -1
	s_mov_b32 s15, exec_lo
	v_cmpx_eq_u16_e32 0x80, v5
; %bb.1469:
	s_xor_b32 s13, exec_lo, -1
; %bb.1470:
	s_or_b32 exec_lo, exec_lo, s15
	s_and_b32 s13, s13, exec_lo
	s_or_saveexec_b32 s14, s14
	v_mov_b32_e32 v9, 0x7f800001
	s_xor_b32 exec_lo, exec_lo, s14
	s_cbranch_execnz .LBB18_1489
.LBB18_1471:
	s_or_b32 exec_lo, exec_lo, s14
	s_and_saveexec_b32 s14, s13
	s_cbranch_execz .LBB18_1473
.LBB18_1472:
	v_and_b32_e32 v6, 0xffff, v5
	v_lshlrev_b32_e32 v5, 24, v5
	v_and_b32_e32 v7, 7, v6
	v_bfe_u32 v10, v6, 3, 4
	v_and_b32_e32 v5, 0x80000000, v5
	v_ffbh_u32_e32 v8, v7
	v_cmp_eq_u32_e32 vcc_lo, 0, v10
	v_min_u32_e32 v8, 32, v8
	v_subrev_nc_u32_e32 v9, 28, v8
	v_sub_nc_u32_e32 v8, 29, v8
	v_lshlrev_b32_e32 v6, v9, v6
	v_cndmask_b32_e32 v8, v10, v8, vcc_lo
	v_and_b32_e32 v6, 7, v6
	v_cndmask_b32_e32 v6, v7, v6, vcc_lo
	v_lshl_add_u32 v7, v8, 23, 0x3b800000
	v_lshlrev_b32_e32 v6, 20, v6
	v_or3_b32 v9, v5, v7, v6
.LBB18_1473:
	s_or_b32 exec_lo, exec_lo, s14
.LBB18_1474:
	s_mov_b32 s13, -1
.LBB18_1475:
	s_mov_b32 s14, 0
.LBB18_1476:
	s_and_b32 vcc_lo, exec_lo, s14
	s_cbranch_vccz .LBB18_1509
; %bb.1477:
	s_cmp_gt_i32 s6, 22
	s_cbranch_scc0 .LBB18_1487
; %bb.1478:
	s_cmp_lt_i32 s6, 24
	s_cbranch_scc1 .LBB18_1490
; %bb.1479:
	s_cmp_gt_i32 s6, 24
	s_cbranch_scc0 .LBB18_1491
; %bb.1480:
	global_load_ubyte v5, v[3:4], off
	s_mov_b32 s13, exec_lo
	s_waitcnt vmcnt(0)
	v_cmpx_lt_i16_e32 0x7f, v5
	s_xor_b32 s13, exec_lo, s13
	s_cbranch_execz .LBB18_1503
; %bb.1481:
	s_mov_b32 s1, -1
	s_mov_b32 s14, exec_lo
	v_cmpx_eq_u16_e32 0x80, v5
; %bb.1482:
	s_xor_b32 s1, exec_lo, -1
; %bb.1483:
	s_or_b32 exec_lo, exec_lo, s14
	s_and_b32 s1, s1, exec_lo
	s_or_saveexec_b32 s13, s13
	v_mov_b32_e32 v9, 0x7f800001
	s_xor_b32 exec_lo, exec_lo, s13
	s_cbranch_execnz .LBB18_1504
.LBB18_1484:
	s_or_b32 exec_lo, exec_lo, s13
	s_and_saveexec_b32 s13, s1
	s_cbranch_execz .LBB18_1486
.LBB18_1485:
	v_and_b32_e32 v6, 0xffff, v5
	v_lshlrev_b32_e32 v5, 24, v5
	v_and_b32_e32 v7, 3, v6
	v_bfe_u32 v10, v6, 2, 5
	v_and_b32_e32 v5, 0x80000000, v5
	v_ffbh_u32_e32 v8, v7
	v_cmp_eq_u32_e32 vcc_lo, 0, v10
	v_min_u32_e32 v8, 32, v8
	v_subrev_nc_u32_e32 v9, 29, v8
	v_sub_nc_u32_e32 v8, 30, v8
	v_lshlrev_b32_e32 v6, v9, v6
	v_cndmask_b32_e32 v8, v10, v8, vcc_lo
	v_and_b32_e32 v6, 3, v6
	v_cndmask_b32_e32 v6, v7, v6, vcc_lo
	v_lshl_add_u32 v7, v8, 23, 0x37800000
	v_lshlrev_b32_e32 v6, 21, v6
	v_or3_b32 v9, v5, v7, v6
.LBB18_1486:
	s_or_b32 exec_lo, exec_lo, s13
	s_mov_b32 s1, 0
	s_branch .LBB18_1492
.LBB18_1487:
	s_mov_b32 s1, -1
                                        ; implicit-def: $vgpr9
	s_branch .LBB18_1498
.LBB18_1488:
	s_or_saveexec_b32 s14, s14
	v_mov_b32_e32 v9, 0x7f800001
	s_xor_b32 exec_lo, exec_lo, s14
	s_cbranch_execz .LBB18_1471
.LBB18_1489:
	v_cmp_ne_u16_e32 vcc_lo, 0, v5
	v_mov_b32_e32 v9, 0
	s_andn2_b32 s13, s13, exec_lo
	s_and_b32 s15, vcc_lo, exec_lo
	s_or_b32 s13, s13, s15
	s_or_b32 exec_lo, exec_lo, s14
	s_and_saveexec_b32 s14, s13
	s_cbranch_execnz .LBB18_1472
	s_branch .LBB18_1473
.LBB18_1490:
	s_mov_b32 s1, -1
                                        ; implicit-def: $vgpr9
	s_branch .LBB18_1495
.LBB18_1491:
	s_mov_b32 s1, -1
                                        ; implicit-def: $vgpr9
.LBB18_1492:
	s_and_b32 vcc_lo, exec_lo, s1
	s_cbranch_vccz .LBB18_1494
; %bb.1493:
	global_load_ubyte v5, v[3:4], off
	s_waitcnt vmcnt(0)
	v_lshlrev_b32_e32 v5, 24, v5
	v_and_b32_e32 v6, 0x7f000000, v5
	v_ffbh_u32_e32 v7, v6
	v_add_nc_u32_e32 v9, 0x1000000, v6
	v_cmp_ne_u32_e32 vcc_lo, 0, v6
	v_min_u32_e32 v7, 32, v7
	v_sub_nc_u32_e64 v7, v7, 4 clamp
	v_lshlrev_b32_e32 v8, v7, v6
	v_lshlrev_b32_e32 v7, 23, v7
	v_lshrrev_b32_e32 v8, 4, v8
	v_sub_nc_u32_e32 v7, v8, v7
	v_ashrrev_i32_e32 v8, 8, v9
	v_add_nc_u32_e32 v7, 0x3c000000, v7
	v_and_or_b32 v7, 0x7f800000, v8, v7
	v_cndmask_b32_e32 v6, 0, v7, vcc_lo
	v_and_or_b32 v9, 0x80000000, v5, v6
.LBB18_1494:
	s_mov_b32 s1, 0
.LBB18_1495:
	s_andn2_b32 vcc_lo, exec_lo, s1
	s_cbranch_vccnz .LBB18_1497
; %bb.1496:
	global_load_ubyte v5, v[3:4], off
	s_waitcnt vmcnt(0)
	v_lshlrev_b32_e32 v6, 25, v5
	v_lshlrev_b16 v5, 8, v5
	v_lshrrev_b32_e32 v7, 4, v6
	v_and_or_b32 v8, 0x7f00, v5, 0.5
	v_cmp_gt_u32_e32 vcc_lo, 0x8000000, v6
	v_bfe_i32 v5, v5, 0, 16
	v_or_b32_e32 v7, 0x70000000, v7
	v_add_f32_e32 v8, -0.5, v8
	v_mul_f32_e32 v7, 0x7800000, v7
	v_cndmask_b32_e32 v6, v7, v8, vcc_lo
	v_and_or_b32 v9, 0x80000000, v5, v6
.LBB18_1497:
	s_mov_b32 s1, 0
	s_mov_b32 s13, -1
.LBB18_1498:
	s_andn2_b32 vcc_lo, exec_lo, s1
	s_mov_b32 s1, 0
	s_cbranch_vccnz .LBB18_1509
; %bb.1499:
	s_cmp_gt_i32 s6, 14
	s_cbranch_scc0 .LBB18_1502
; %bb.1500:
	s_cmp_eq_u32 s6, 15
	s_cbranch_scc0 .LBB18_1505
; %bb.1501:
	global_load_ushort v5, v[3:4], off
	s_mov_b32 s0, 0
	s_mov_b32 s13, -1
	s_waitcnt vmcnt(0)
	v_lshlrev_b32_e32 v9, 16, v5
	s_branch .LBB18_1507
.LBB18_1502:
	s_mov_b32 s1, -1
	s_branch .LBB18_1506
.LBB18_1503:
	s_or_saveexec_b32 s13, s13
	v_mov_b32_e32 v9, 0x7f800001
	s_xor_b32 exec_lo, exec_lo, s13
	s_cbranch_execz .LBB18_1484
.LBB18_1504:
	v_cmp_ne_u16_e32 vcc_lo, 0, v5
	v_mov_b32_e32 v9, 0
	s_andn2_b32 s1, s1, exec_lo
	s_and_b32 s14, vcc_lo, exec_lo
	s_or_b32 s1, s1, s14
	s_or_b32 exec_lo, exec_lo, s13
	s_and_saveexec_b32 s13, s1
	s_cbranch_execnz .LBB18_1485
	s_branch .LBB18_1486
.LBB18_1505:
	s_mov_b32 s0, -1
.LBB18_1506:
                                        ; implicit-def: $vgpr9
.LBB18_1507:
	s_and_b32 vcc_lo, exec_lo, s1
	s_mov_b32 s1, 0
	s_cbranch_vccz .LBB18_1509
; %bb.1508:
	s_cmp_lg_u32 s6, 11
	s_mov_b32 s1, -1
	s_cselect_b32 s0, -1, 0
.LBB18_1509:
	s_and_b32 vcc_lo, exec_lo, s0
	s_cbranch_vccnz .LBB18_1596
; %bb.1510:
	s_andn2_b32 vcc_lo, exec_lo, s1
	s_cbranch_vccnz .LBB18_1512
.LBB18_1511:
	global_load_ubyte v5, v[3:4], off
	s_mov_b32 s13, -1
	s_waitcnt vmcnt(0)
	v_cmp_ne_u16_e32 vcc_lo, 0, v5
	v_cndmask_b32_e64 v9, 0, 1.0, vcc_lo
.LBB18_1512:
	s_branch .LBB18_1439
.LBB18_1513:
	s_cmp_lt_i32 s6, 5
	s_cbranch_scc1 .LBB18_1518
; %bb.1514:
	s_cmp_lt_i32 s6, 8
	s_cbranch_scc1 .LBB18_1519
; %bb.1515:
	;; [unrolled: 3-line block ×3, first 2 shown]
	s_cmp_gt_i32 s6, 9
	s_cbranch_scc0 .LBB18_1521
; %bb.1517:
	global_load_dwordx2 v[5:6], v[3:4], off
	s_mov_b32 s0, 0
	s_waitcnt vmcnt(0)
	v_cvt_f32_f64_e32 v9, v[5:6]
	s_branch .LBB18_1522
.LBB18_1518:
	s_mov_b32 s0, -1
                                        ; implicit-def: $vgpr9
	s_branch .LBB18_1540
.LBB18_1519:
	s_mov_b32 s0, -1
                                        ; implicit-def: $vgpr9
	s_branch .LBB18_1528
.LBB18_1520:
	s_mov_b32 s0, -1
                                        ; implicit-def: $vgpr9
	s_branch .LBB18_1525
.LBB18_1521:
	s_mov_b32 s0, -1
                                        ; implicit-def: $vgpr9
.LBB18_1522:
	s_andn2_b32 vcc_lo, exec_lo, s0
	s_cbranch_vccnz .LBB18_1524
; %bb.1523:
	global_load_dword v9, v[3:4], off
.LBB18_1524:
	s_mov_b32 s0, 0
.LBB18_1525:
	s_andn2_b32 vcc_lo, exec_lo, s0
	s_cbranch_vccnz .LBB18_1527
; %bb.1526:
	global_load_dword v5, v[3:4], off
	s_waitcnt vmcnt(0)
	v_cvt_f32_f16_e32 v9, v5
.LBB18_1527:
	s_mov_b32 s0, 0
.LBB18_1528:
	s_andn2_b32 vcc_lo, exec_lo, s0
	s_cbranch_vccnz .LBB18_1539
; %bb.1529:
	s_cmp_lt_i32 s6, 6
	s_cbranch_scc1 .LBB18_1532
; %bb.1530:
	s_cmp_gt_i32 s6, 6
	s_cbranch_scc0 .LBB18_1533
; %bb.1531:
	global_load_dwordx2 v[5:6], v[3:4], off
	s_mov_b32 s0, 0
	s_waitcnt vmcnt(0)
	v_cvt_f32_f64_e32 v9, v[5:6]
	s_branch .LBB18_1534
.LBB18_1532:
	s_mov_b32 s0, -1
                                        ; implicit-def: $vgpr9
	s_branch .LBB18_1537
.LBB18_1533:
	s_mov_b32 s0, -1
                                        ; implicit-def: $vgpr9
.LBB18_1534:
	s_andn2_b32 vcc_lo, exec_lo, s0
	s_cbranch_vccnz .LBB18_1536
; %bb.1535:
	global_load_dword v9, v[3:4], off
.LBB18_1536:
	s_mov_b32 s0, 0
.LBB18_1537:
	s_andn2_b32 vcc_lo, exec_lo, s0
	s_cbranch_vccnz .LBB18_1539
; %bb.1538:
	global_load_ushort v5, v[3:4], off
	s_waitcnt vmcnt(0)
	v_cvt_f32_f16_e32 v9, v5
.LBB18_1539:
	s_mov_b32 s0, 0
.LBB18_1540:
	s_andn2_b32 vcc_lo, exec_lo, s0
	s_cbranch_vccnz .LBB18_1560
; %bb.1541:
	s_cmp_lt_i32 s6, 2
	s_cbranch_scc1 .LBB18_1545
; %bb.1542:
	s_cmp_lt_i32 s6, 3
	s_cbranch_scc1 .LBB18_1546
; %bb.1543:
	s_cmp_gt_i32 s6, 3
	s_cbranch_scc0 .LBB18_1547
; %bb.1544:
	global_load_dwordx2 v[5:6], v[3:4], off
	s_mov_b32 s0, 0
	s_waitcnt vmcnt(0)
	v_xor_b32_e32 v7, v5, v6
	v_ffbh_i32_e32 v8, v6
	v_ashrrev_i32_e32 v7, 31, v7
	v_add_nc_u32_e32 v8, -1, v8
	v_add_nc_u32_e32 v7, 32, v7
	v_min_u32_e32 v7, v8, v7
	v_lshlrev_b64 v[5:6], v7, v[5:6]
	v_min_u32_e32 v5, 1, v5
	v_or_b32_e32 v5, v6, v5
	v_sub_nc_u32_e32 v6, 32, v7
	v_cvt_f32_i32_e32 v5, v5
	v_ldexp_f32 v9, v5, v6
	s_branch .LBB18_1548
.LBB18_1545:
	s_mov_b32 s0, -1
                                        ; implicit-def: $vgpr9
	s_branch .LBB18_1554
.LBB18_1546:
	s_mov_b32 s0, -1
                                        ; implicit-def: $vgpr9
	s_branch .LBB18_1551
.LBB18_1547:
	s_mov_b32 s0, -1
                                        ; implicit-def: $vgpr9
.LBB18_1548:
	s_andn2_b32 vcc_lo, exec_lo, s0
	s_cbranch_vccnz .LBB18_1550
; %bb.1549:
	global_load_dword v5, v[3:4], off
	s_waitcnt vmcnt(0)
	v_cvt_f32_i32_e32 v9, v5
.LBB18_1550:
	s_mov_b32 s0, 0
.LBB18_1551:
	s_andn2_b32 vcc_lo, exec_lo, s0
	s_cbranch_vccnz .LBB18_1553
; %bb.1552:
	global_load_sshort v5, v[3:4], off
	s_waitcnt vmcnt(0)
	v_cvt_f32_i32_e32 v9, v5
.LBB18_1553:
	s_mov_b32 s0, 0
.LBB18_1554:
	s_andn2_b32 vcc_lo, exec_lo, s0
	s_cbranch_vccnz .LBB18_1560
; %bb.1555:
	s_cmp_gt_i32 s6, 0
	s_mov_b32 s0, 0
	s_cbranch_scc0 .LBB18_1557
; %bb.1556:
	global_load_sbyte v5, v[3:4], off
	s_waitcnt vmcnt(0)
	v_cvt_f32_i32_e32 v9, v5
	s_branch .LBB18_1558
.LBB18_1557:
	s_mov_b32 s0, -1
                                        ; implicit-def: $vgpr9
.LBB18_1558:
	s_andn2_b32 vcc_lo, exec_lo, s0
	s_cbranch_vccnz .LBB18_1560
; %bb.1559:
	global_load_ubyte v3, v[3:4], off
	s_waitcnt vmcnt(0)
	v_cvt_f32_ubyte0_e32 v9, v3
.LBB18_1560:
.LBB18_1561:
                                        ; implicit-def: $vgpr4
	s_mov_b32 s0, exec_lo
	s_waitcnt vmcnt(0)
	v_cmpx_neq_f32_e32 0, v9
	s_xor_b32 s13, exec_lo, s0
	s_cbranch_execz .LBB18_1583
; %bb.1562:
	v_mov_b32_e32 v3, 0
	s_mov_b32 s0, -1
	s_mov_b32 s14, exec_lo
	v_cmpx_gt_f32_e32 0, v9
	s_cbranch_execz .LBB18_1570
; %bb.1563:
	v_trunc_f32_e32 v3, v9
	s_mov_b32 s1, 0
	v_cmp_neq_f32_e32 vcc_lo, v9, v3
	v_mov_b32_e32 v3, 0
	s_and_saveexec_b32 s15, vcc_lo
	s_cbranch_execz .LBB18_1569
; %bb.1564:
	v_cvt_f64_f32_e32 v[3:4], v9
	s_mov_b32 s1, 0xc00921fb
	s_mov_b32 s0, 0x54442d18
	s_mov_b32 s16, exec_lo
                                        ; implicit-def: $vgpr10
                                        ; implicit-def: $vgpr7_vgpr8
	v_trunc_f64_e32 v[5:6], v[3:4]
	v_cmp_neq_f64_e64 vcc_lo, 0x7ff00000, |v[3:4]|
	v_add_f64 v[5:6], v[3:4], -v[5:6]
	v_mul_f64 v[5:6], |v[5:6]|, s[0:1]
	v_cndmask_b32_e32 v4, 0x80000000, v6, vcc_lo
	v_cndmask_b32_e32 v3, 0, v5, vcc_lo
                                        ; implicit-def: $vgpr5_vgpr6
	v_cmpx_ngt_f64_e64 0x41d00000, |v[3:4]|
	s_xor_b32 s16, exec_lo, s16
	s_cbranch_execz .LBB18_1566
; %bb.1565:
	v_ldexp_f64 v[5:6], |v[3:4]|, 0xffffff80
	v_cmp_le_f64_e64 vcc_lo, 0x7b000000, |v[3:4]|
	v_trig_preop_f64 v[7:8], |v[3:4]|, 0
	v_and_b32_e32 v10, 0x7fffffff, v4
	v_trig_preop_f64 v[12:13], |v[3:4]|, 1
	v_trig_preop_f64 v[22:23], |v[3:4]|, 2
	v_mov_b32_e32 v30, 0
	s_mov_b32 s1, 0x3ff921fb
	s_mov_b32 s18, 0x33145c07
	;; [unrolled: 1-line block ×3, first 2 shown]
	v_cndmask_b32_e32 v6, v10, v6, vcc_lo
	v_cndmask_b32_e32 v5, v3, v5, vcc_lo
	v_mul_f64 v[14:15], v[7:8], v[5:6]
	v_mul_f64 v[16:17], v[12:13], v[5:6]
	;; [unrolled: 1-line block ×3, first 2 shown]
	v_fma_f64 v[7:8], v[7:8], v[5:6], -v[14:15]
	v_fma_f64 v[12:13], v[12:13], v[5:6], -v[16:17]
	;; [unrolled: 1-line block ×3, first 2 shown]
	v_add_f64 v[18:19], v[16:17], v[7:8]
	v_add_f64 v[20:21], v[18:19], -v[16:17]
	v_add_f64 v[26:27], v[14:15], v[18:19]
	v_add_f64 v[24:25], v[18:19], -v[20:21]
	v_add_f64 v[7:8], v[7:8], -v[20:21]
	v_ldexp_f64 v[20:21], v[26:27], -2
	v_add_f64 v[14:15], v[26:27], -v[14:15]
	v_add_f64 v[16:17], v[16:17], -v[24:25]
	v_add_f64 v[24:25], v[28:29], v[12:13]
	v_cmp_neq_f64_e64 vcc_lo, 0x7ff00000, |v[20:21]|
	v_add_f64 v[14:15], v[18:19], -v[14:15]
	v_add_f64 v[7:8], v[7:8], v[16:17]
	v_fract_f64_e32 v[16:17], v[20:21]
	v_add_f64 v[18:19], v[24:25], v[7:8]
	v_ldexp_f64 v[16:17], v[16:17], 2
	v_add_f64 v[20:21], v[14:15], v[18:19]
	v_cndmask_b32_e32 v17, 0, v17, vcc_lo
	v_cndmask_b32_e32 v16, 0, v16, vcc_lo
	v_add_f64 v[26:27], v[20:21], v[16:17]
	v_add_f64 v[14:15], v[20:21], -v[14:15]
	v_cmp_gt_f64_e32 vcc_lo, 0, v[26:27]
	v_add_f64 v[26:27], v[24:25], -v[28:29]
	v_add_f64 v[14:15], v[18:19], -v[14:15]
	v_cndmask_b32_e64 v31, 0, 0x40100000, vcc_lo
	v_add_f64 v[35:36], v[24:25], -v[26:27]
	v_add_f64 v[12:13], v[12:13], -v[26:27]
	v_add_f64 v[16:17], v[16:17], v[30:31]
	v_add_f64 v[31:32], v[18:19], -v[24:25]
	v_add_f64 v[26:27], v[28:29], -v[35:36]
	v_add_f64 v[33:34], v[20:21], v[16:17]
	;; [unrolled: 3-line block ×3, first 2 shown]
	v_cvt_i32_f64_e32 v10, v[33:34]
	v_add_f64 v[24:25], v[24:25], -v[37:38]
	v_cvt_f64_i32_e32 v[31:32], v10
	v_add_f64 v[7:8], v[7:8], v[24:25]
	v_add_f64 v[16:17], v[16:17], -v[31:32]
	v_add_f64 v[7:8], v[12:13], v[7:8]
	v_add_f64 v[12:13], v[20:21], v[16:17]
	;; [unrolled: 1-line block ×3, first 2 shown]
	v_add_f64 v[7:8], v[12:13], -v[16:17]
	v_cmp_le_f64_e32 vcc_lo, 0.5, v[12:13]
	v_add_f64 v[5:6], v[14:15], v[5:6]
	v_add_f64 v[7:8], v[20:21], -v[7:8]
	v_cndmask_b32_e64 v31, 0, 0x3ff00000, vcc_lo
	v_add_co_ci_u32_e64 v10, null, 0, v10, vcc_lo
	v_add_f64 v[5:6], v[5:6], v[7:8]
	v_add_f64 v[7:8], v[12:13], -v[30:31]
	v_add_f64 v[12:13], v[7:8], v[5:6]
	v_mul_f64 v[14:15], v[12:13], s[0:1]
	v_add_f64 v[7:8], v[12:13], -v[7:8]
	v_fma_f64 v[16:17], v[12:13], s[0:1], -v[14:15]
	v_add_f64 v[5:6], v[5:6], -v[7:8]
	v_fma_f64 v[7:8], v[12:13], s[18:19], v[16:17]
	v_fma_f64 v[7:8], v[5:6], s[0:1], v[7:8]
	v_add_f64 v[5:6], v[14:15], v[7:8]
	v_add_f64 v[12:13], v[5:6], -v[14:15]
	v_add_f64 v[7:8], v[7:8], -v[12:13]
.LBB18_1566:
	s_andn2_saveexec_b32 s0, s16
	s_cbranch_execz .LBB18_1568
; %bb.1567:
	s_mov_b32 s16, 0x6dc9c883
	s_mov_b32 s17, 0x3fe45f30
	;; [unrolled: 1-line block ×3, first 2 shown]
	v_mul_f64 v[5:6], |v[3:4]|, s[16:17]
	s_mov_b32 s16, 0x54442d18
	s_mov_b32 s17, 0xbff921fb
	;; [unrolled: 1-line block ×3, first 2 shown]
	v_rndne_f64_e32 v[12:13], v[5:6]
	v_fma_f64 v[5:6], v[12:13], s[16:17], |v[3:4]|
	v_mul_f64 v[7:8], v[12:13], s[18:19]
	s_mov_b32 s16, 0x252049c0
	s_mov_b32 s17, 0xb97b839a
	v_cvt_i32_f64_e32 v10, v[12:13]
	v_fma_f64 v[16:17], v[12:13], s[18:19], v[5:6]
	v_add_f64 v[14:15], v[5:6], v[7:8]
	s_mov_b32 s19, 0x3c91a626
	v_add_f64 v[5:6], v[5:6], -v[14:15]
	v_add_f64 v[14:15], v[14:15], -v[16:17]
	v_add_f64 v[5:6], v[5:6], v[7:8]
	v_fma_f64 v[7:8], v[12:13], s[18:19], v[7:8]
	v_add_f64 v[5:6], v[14:15], v[5:6]
	v_add_f64 v[5:6], v[5:6], -v[7:8]
	v_fma_f64 v[7:8], v[12:13], s[16:17], v[5:6]
	v_add_f64 v[5:6], v[16:17], v[7:8]
	v_add_f64 v[14:15], v[5:6], -v[16:17]
	v_add_f64 v[7:8], v[7:8], -v[14:15]
.LBB18_1568:
	s_or_b32 exec_lo, exec_lo, s0
	v_mul_f64 v[12:13], v[5:6], v[5:6]
	v_add_f64 v[14:15], v[7:8], v[7:8]
	s_mov_b32 s16, 0xa9a29f71
	s_mov_b32 s18, 0xc751c08c
	;; [unrolled: 1-line block ×4, first 2 shown]
	v_cmp_class_f64_e64 s0, v[3:4], 0x1f8
	v_and_b32_e32 v10, 1, v10
	v_and_b32_e32 v4, 0x80000000, v4
	v_sub_f32_e32 v9, 1.0, v9
	s_mov_b32 s1, exec_lo
	v_cmp_eq_u32_e32 vcc_lo, 0, v10
	v_fma_f64 v[16:17], v[5:6], v[5:6], -v[12:13]
	v_fma_f64 v[14:15], v[5:6], v[14:15], v[16:17]
	v_add_f64 v[12:13], v[12:13], v[14:15]
	v_fma_f64 v[14:15], v[12:13], s[18:19], s[16:17]
	s_mov_b32 s16, 0x90a8aae0
	s_mov_b32 s17, 0x3f17746f
	v_fma_f64 v[14:15], v[12:13], v[14:15], s[16:17]
	s_mov_b32 s16, 0xa6fbf144
	s_mov_b32 s17, 0xbefbb44d
	;; [unrolled: 3-line block ×13, first 2 shown]
	v_mul_f64 v[12:13], v[12:13], v[14:15]
	v_mul_f64 v[14:15], v[5:6], v[12:13]
	v_add_f64 v[16:17], v[5:6], v[14:15]
	v_fma_f64 v[12:13], v[5:6], v[12:13], -v[14:15]
	v_add_f64 v[5:6], v[16:17], -v[5:6]
	v_add_f64 v[7:8], v[7:8], v[12:13]
	v_add_f64 v[5:6], v[14:15], -v[5:6]
	v_add_f64 v[5:6], v[7:8], v[5:6]
	v_add_f64 v[7:8], v[16:17], v[5:6]
	v_rcp_f64_e32 v[12:13], v[7:8]
	v_fma_f64 v[14:15], -v[7:8], v[12:13], 1.0
	v_fma_f64 v[12:13], v[14:15], v[12:13], v[12:13]
	v_fma_f64 v[14:15], -v[7:8], v[12:13], 1.0
	v_fma_f64 v[12:13], v[14:15], v[12:13], v[12:13]
	v_add_f64 v[14:15], v[7:8], -v[16:17]
	v_mul_f64 v[16:17], v[7:8], v[12:13]
	v_add_f64 v[5:6], v[5:6], -v[14:15]
	v_fma_f64 v[14:15], v[12:13], v[7:8], -v[16:17]
	v_fma_f64 v[5:6], v[12:13], v[5:6], v[14:15]
	v_add_f64 v[14:15], v[16:17], v[5:6]
	v_add_f64 v[18:19], -v[14:15], 1.0
	v_add_f64 v[16:17], v[14:15], -v[16:17]
	v_add_f64 v[20:21], -v[18:19], 1.0
	v_add_f64 v[5:6], v[16:17], -v[5:6]
	v_add_f64 v[14:15], v[20:21], -v[14:15]
	v_add_f64 v[5:6], v[5:6], v[14:15]
	v_add_f64 v[5:6], v[18:19], v[5:6]
	v_mul_f64 v[5:6], v[12:13], v[5:6]
	v_add_f64 v[5:6], v[12:13], v[5:6]
	v_xor_b32_e32 v3, 0x80000000, v6
	v_cndmask_b32_e32 v5, v5, v7, vcc_lo
	v_cndmask_b32_e32 v3, v3, v8, vcc_lo
	v_xor_b32_e32 v4, v3, v4
	v_cndmask_b32_e64 v3, 0, v5, s0
	v_cndmask_b32_e64 v4, 0x7ff80000, v4, s0
	v_div_scale_f64 v[5:6], null, v[3:4], v[3:4], s[16:17]
	v_rcp_f64_e32 v[7:8], v[5:6]
	v_fma_f64 v[12:13], -v[5:6], v[7:8], 1.0
	v_fma_f64 v[7:8], v[7:8], v[12:13], v[7:8]
	v_fma_f64 v[12:13], -v[5:6], v[7:8], 1.0
	v_fma_f64 v[7:8], v[7:8], v[12:13], v[7:8]
	v_div_scale_f64 v[12:13], vcc_lo, s[16:17], v[3:4], s[16:17]
	v_mul_f64 v[14:15], v[12:13], v[7:8]
	v_fma_f64 v[5:6], -v[5:6], v[14:15], v[12:13]
	v_div_fmas_f64 v[5:6], v[5:6], v[7:8], v[14:15]
	v_div_fixup_f64 v[3:4], v[5:6], v[3:4], s[16:17]
	v_cvt_f32_f64_e32 v3, v[3:4]
.LBB18_1569:
	s_or_b32 exec_lo, exec_lo, s15
	s_orn2_b32 s0, s1, exec_lo
.LBB18_1570:
	s_or_b32 exec_lo, exec_lo, s14
	v_mov_b32_e32 v4, 0x7fc00000
	s_and_saveexec_b32 s14, s0
	s_cbranch_execz .LBB18_1582
; %bb.1571:
	s_mov_b32 s0, exec_lo
	v_cmpx_gt_f32_e32 0x41200000, v9
	s_cbranch_execz .LBB18_1575
; %bb.1572:
	s_mov_b32 s1, 0
	.p2align	6
.LBB18_1573:                            ; =>This Inner Loop Header: Depth=1
	v_div_scale_f32 v4, null, v9, v9, 1.0
	v_div_scale_f32 v7, vcc_lo, 1.0, v9, 1.0
	v_rcp_f32_e32 v5, v4
	v_fma_f32 v6, -v4, v5, 1.0
	v_fmac_f32_e32 v5, v6, v5
	v_mul_f32_e32 v6, v7, v5
	v_fma_f32 v8, -v4, v6, v7
	v_fmac_f32_e32 v6, v8, v5
	v_fma_f32 v4, -v4, v6, v7
	v_div_fmas_f32 v4, v4, v5, v6
	v_div_fixup_f32 v4, v4, v9, 1.0
	v_add_f32_e32 v9, 1.0, v9
	v_sub_f32_e32 v3, v3, v4
	v_cmp_ngt_f32_e32 vcc_lo, 0x41200000, v9
	s_or_b32 s1, vcc_lo, s1
	s_andn2_b32 exec_lo, exec_lo, s1
	s_cbranch_execnz .LBB18_1573
; %bb.1574:
	s_or_b32 exec_lo, exec_lo, s1
.LBB18_1575:
	s_or_b32 exec_lo, exec_lo, s0
                                        ; implicit-def: $vgpr4
	s_mov_b32 s0, exec_lo
	v_cmpx_neq_f32_e32 0x41200000, v9
	s_xor_b32 s15, exec_lo, s0
	s_cbranch_execz .LBB18_1579
; %bb.1576:
	v_cvt_f64_f32_e32 v[4:5], v9
	s_mov_b32 s0, 0x85d8a000
	s_mov_b32 s1, 0x43763457
	v_cmp_gt_f64_e32 vcc_lo, s[0:1], v[4:5]
	v_mov_b32_e32 v4, 0
	s_and_saveexec_b32 s0, vcc_lo
	s_cbranch_execz .LBB18_1578
; %bb.1577:
	v_mul_f32_e32 v4, v9, v9
	v_div_scale_f32 v5, null, v4, v4, 1.0
	v_rcp_f32_e32 v6, v5
	v_fma_f32 v7, -v5, v6, 1.0
	v_fmac_f32_e32 v6, v7, v6
	v_div_scale_f32 v7, vcc_lo, 1.0, v4, 1.0
	v_mul_f32_e32 v8, v7, v6
	v_fma_f32 v10, -v5, v8, v7
	v_fmac_f32_e32 v8, v10, v6
	v_fma_f32 v5, -v5, v8, v7
	v_div_fmas_f32 v5, v5, v6, v8
	v_div_fixup_f32 v4, v5, v4, 1.0
	v_fmaak_f32 v5, 0, v4, 0x3daaaaab
	v_fmaak_f32 v5, v4, v5, 0xbcaccacd
	;; [unrolled: 1-line block ×7, first 2 shown]
	v_mul_f32_e32 v4, v4, v5
.LBB18_1578:
	s_or_b32 exec_lo, exec_lo, s0
	v_cmp_gt_f32_e32 vcc_lo, 0x800000, v9
	v_div_scale_f32 v5, null, v9, v9, -0.5
	v_div_scale_f32 v10, s0, -0.5, v9, -0.5
	v_cndmask_b32_e64 v6, 0, 32, vcc_lo
	v_rcp_f32_e32 v7, v5
	v_ldexp_f32 v6, v9, v6
	v_log_f32_e32 v6, v6
	v_fma_f32 v8, -v5, v7, 1.0
	v_fmac_f32_e32 v7, v8, v7
	v_mul_f32_e32 v8, 0x3f317217, v6
	v_mul_f32_e32 v12, v10, v7
	v_cmp_gt_f32_e64 s1, 0x7f800000, |v6|
	v_fma_f32 v8, 0x3f317217, v6, -v8
	v_fma_f32 v13, -v5, v12, v10
	v_fmamk_f32 v8, v6, 0x3377d1cf, v8
	v_fmac_f32_e32 v12, v13, v7
	v_fmac_f32_e32 v8, 0x3f317217, v6
	v_fma_f32 v5, -v5, v12, v10
	v_cndmask_b32_e64 v6, v6, v8, s1
	v_cndmask_b32_e64 v8, 0, 0x41b17218, vcc_lo
	s_mov_b32 vcc_lo, s0
	v_div_fmas_f32 v5, v5, v7, v12
	v_sub_f32_e32 v6, v6, v8
	v_div_fixup_f32 v5, v5, v9, -0.5
	v_add_f32_e32 v5, v6, v5
	v_sub_f32_e32 v4, v5, v4
	v_add_f32_e32 v4, v3, v4
                                        ; implicit-def: $vgpr3
.LBB18_1579:
	s_andn2_saveexec_b32 s0, s15
; %bb.1580:
	v_add_f32_e32 v4, 0x40101cb7, v3
; %bb.1581:
	s_or_b32 exec_lo, exec_lo, s0
.LBB18_1582:
	s_or_b32 exec_lo, exec_lo, s14
                                        ; implicit-def: $vgpr9
.LBB18_1583:
	s_andn2_saveexec_b32 s0, s13
; %bb.1584:
	v_xor_b32_e32 v3, 0x80000000, v9
	s_mov_b32 s1, 0x7f800000
	v_bfi_b32 v4, 0x7fffffff, s1, v3
; %bb.1585:
	s_or_b32 exec_lo, exec_lo, s0
	v_add_nc_u32_e32 v1, s3, v1
	s_cmp_lt_i32 s6, 11
	v_ashrrev_i32_e32 v3, 31, v1
	v_add_co_u32 v5, vcc_lo, s10, v1
	v_add_co_ci_u32_e64 v6, null, s11, v3, vcc_lo
	s_cbranch_scc1 .LBB18_1592
; %bb.1586:
	s_cmp_gt_i32 s6, 25
	s_mov_b32 s1, 0
	s_cbranch_scc0 .LBB18_1593
; %bb.1587:
	s_cmp_gt_i32 s6, 28
	s_cbranch_scc0 .LBB18_1594
; %bb.1588:
	s_cmp_gt_i32 s6, 43
	;; [unrolled: 3-line block ×3, first 2 shown]
	s_cbranch_scc0 .LBB18_1597
; %bb.1590:
	s_cmp_eq_u32 s6, 46
	s_mov_b32 s10, 0
	s_cbranch_scc0 .LBB18_1598
; %bb.1591:
	global_load_dword v1, v[5:6], off
	s_mov_b32 s0, 0
	s_mov_b32 s3, -1
	s_waitcnt vmcnt(0)
	v_lshlrev_b32_e32 v1, 16, v1
	s_branch .LBB18_1600
.LBB18_1592:
	s_mov_b32 s0, -1
	s_mov_b32 s3, 0
                                        ; implicit-def: $vgpr1
	s_branch .LBB18_1666
.LBB18_1593:
	s_mov_b32 s10, -1
	s_mov_b32 s3, 0
	s_mov_b32 s0, 0
                                        ; implicit-def: $vgpr1
	s_branch .LBB18_1629
.LBB18_1594:
	s_mov_b32 s10, -1
	s_mov_b32 s3, 0
	s_mov_b32 s0, 0
                                        ; implicit-def: $vgpr1
	s_branch .LBB18_1610
.LBB18_1595:
	s_mov_b32 s10, -1
	s_mov_b32 s3, 0
	s_mov_b32 s0, 0
                                        ; implicit-def: $vgpr1
	s_branch .LBB18_1605
.LBB18_1596:
	s_or_b32 s5, s5, exec_lo
	s_trap 2
	s_cbranch_execz .LBB18_1511
	s_branch .LBB18_1512
.LBB18_1597:
	s_mov_b32 s10, -1
	s_mov_b32 s3, 0
	s_mov_b32 s0, 0
	s_branch .LBB18_1599
.LBB18_1598:
	s_mov_b32 s0, -1
	s_mov_b32 s3, 0
.LBB18_1599:
                                        ; implicit-def: $vgpr1
.LBB18_1600:
	s_and_b32 vcc_lo, exec_lo, s10
	s_cbranch_vccz .LBB18_1604
; %bb.1601:
	s_cmp_eq_u32 s6, 44
	s_cbranch_scc0 .LBB18_1603
; %bb.1602:
	global_load_ubyte v1, v[5:6], off
	s_mov_b32 s0, 0
	s_mov_b32 s3, -1
	s_waitcnt vmcnt(0)
	v_lshlrev_b32_e32 v3, 23, v1
	v_cmp_ne_u32_e32 vcc_lo, 0xff, v1
	v_cndmask_b32_e32 v3, 0x7f800001, v3, vcc_lo
	v_cmp_ne_u32_e32 vcc_lo, 0, v1
	v_cndmask_b32_e32 v1, 0x400000, v3, vcc_lo
	s_branch .LBB18_1604
.LBB18_1603:
	s_mov_b32 s0, -1
                                        ; implicit-def: $vgpr1
.LBB18_1604:
	s_mov_b32 s10, 0
.LBB18_1605:
	s_and_b32 vcc_lo, exec_lo, s10
	s_cbranch_vccz .LBB18_1609
; %bb.1606:
	s_cmp_eq_u32 s6, 29
	s_cbranch_scc0 .LBB18_1608
; %bb.1607:
	global_load_dwordx2 v[7:8], v[5:6], off
	s_mov_b32 s0, 0
	s_mov_b32 s3, -1
	s_mov_b32 s10, 0
	s_waitcnt vmcnt(0)
	v_ffbh_u32_e32 v1, v8
	v_min_u32_e32 v1, 32, v1
	v_lshlrev_b64 v[7:8], v1, v[7:8]
	v_sub_nc_u32_e32 v1, 32, v1
	v_min_u32_e32 v3, 1, v7
	v_or_b32_e32 v3, v8, v3
	v_cvt_f32_u32_e32 v3, v3
	v_ldexp_f32 v1, v3, v1
	s_branch .LBB18_1610
.LBB18_1608:
	s_mov_b32 s0, -1
                                        ; implicit-def: $vgpr1
.LBB18_1609:
	s_mov_b32 s10, 0
.LBB18_1610:
	s_and_b32 vcc_lo, exec_lo, s10
	s_cbranch_vccz .LBB18_1628
; %bb.1611:
	s_cmp_lt_i32 s6, 27
	s_cbranch_scc1 .LBB18_1614
; %bb.1612:
	s_cmp_gt_i32 s6, 27
	s_cbranch_scc0 .LBB18_1615
; %bb.1613:
	global_load_dword v1, v[5:6], off
	s_mov_b32 s3, 0
	s_waitcnt vmcnt(0)
	v_cvt_f32_u32_e32 v1, v1
	s_branch .LBB18_1616
.LBB18_1614:
	s_mov_b32 s3, -1
                                        ; implicit-def: $vgpr1
	s_branch .LBB18_1619
.LBB18_1615:
	s_mov_b32 s3, -1
                                        ; implicit-def: $vgpr1
.LBB18_1616:
	s_andn2_b32 vcc_lo, exec_lo, s3
	s_cbranch_vccnz .LBB18_1618
; %bb.1617:
	global_load_ushort v1, v[5:6], off
	s_waitcnt vmcnt(0)
	v_cvt_f32_u32_e32 v1, v1
.LBB18_1618:
	s_mov_b32 s3, 0
.LBB18_1619:
	s_andn2_b32 vcc_lo, exec_lo, s3
	s_cbranch_vccnz .LBB18_1627
; %bb.1620:
	global_load_ubyte v3, v[5:6], off
	s_mov_b32 s3, 0
	s_mov_b32 s10, exec_lo
	s_waitcnt vmcnt(0)
	v_cmpx_lt_i16_e32 0x7f, v3
	s_xor_b32 s10, exec_lo, s10
	s_cbranch_execz .LBB18_1641
; %bb.1621:
	s_mov_b32 s3, -1
	s_mov_b32 s11, exec_lo
	v_cmpx_eq_u16_e32 0x80, v3
; %bb.1622:
	s_xor_b32 s3, exec_lo, -1
; %bb.1623:
	s_or_b32 exec_lo, exec_lo, s11
	s_and_b32 s3, s3, exec_lo
	s_or_saveexec_b32 s10, s10
	v_mov_b32_e32 v1, 0x7f800001
	s_xor_b32 exec_lo, exec_lo, s10
	s_cbranch_execnz .LBB18_1642
.LBB18_1624:
	s_or_b32 exec_lo, exec_lo, s10
	s_and_saveexec_b32 s10, s3
	s_cbranch_execz .LBB18_1626
.LBB18_1625:
	v_and_b32_e32 v1, 0xffff, v3
	v_lshlrev_b32_e32 v3, 24, v3
	v_and_b32_e32 v7, 7, v1
	v_bfe_u32 v10, v1, 3, 4
	v_and_b32_e32 v3, 0x80000000, v3
	v_ffbh_u32_e32 v8, v7
	v_cmp_eq_u32_e32 vcc_lo, 0, v10
	v_min_u32_e32 v8, 32, v8
	v_subrev_nc_u32_e32 v9, 28, v8
	v_sub_nc_u32_e32 v8, 29, v8
	v_lshlrev_b32_e32 v1, v9, v1
	v_cndmask_b32_e32 v8, v10, v8, vcc_lo
	v_and_b32_e32 v1, 7, v1
	v_cndmask_b32_e32 v1, v7, v1, vcc_lo
	v_lshl_add_u32 v7, v8, 23, 0x3b800000
	v_lshlrev_b32_e32 v1, 20, v1
	v_or3_b32 v1, v3, v7, v1
.LBB18_1626:
	s_or_b32 exec_lo, exec_lo, s10
.LBB18_1627:
	s_mov_b32 s3, -1
.LBB18_1628:
	s_mov_b32 s10, 0
.LBB18_1629:
	s_and_b32 vcc_lo, exec_lo, s10
	s_cbranch_vccz .LBB18_1662
; %bb.1630:
	s_cmp_gt_i32 s6, 22
	s_cbranch_scc0 .LBB18_1640
; %bb.1631:
	s_cmp_lt_i32 s6, 24
	s_cbranch_scc1 .LBB18_1643
; %bb.1632:
	s_cmp_gt_i32 s6, 24
	s_cbranch_scc0 .LBB18_1644
; %bb.1633:
	global_load_ubyte v3, v[5:6], off
	s_mov_b32 s3, exec_lo
	s_waitcnt vmcnt(0)
	v_cmpx_lt_i16_e32 0x7f, v3
	s_xor_b32 s3, exec_lo, s3
	s_cbranch_execz .LBB18_1656
; %bb.1634:
	s_mov_b32 s1, -1
	s_mov_b32 s10, exec_lo
	v_cmpx_eq_u16_e32 0x80, v3
; %bb.1635:
	s_xor_b32 s1, exec_lo, -1
; %bb.1636:
	s_or_b32 exec_lo, exec_lo, s10
	s_and_b32 s1, s1, exec_lo
	s_or_saveexec_b32 s3, s3
	v_mov_b32_e32 v1, 0x7f800001
	s_xor_b32 exec_lo, exec_lo, s3
	s_cbranch_execnz .LBB18_1657
.LBB18_1637:
	s_or_b32 exec_lo, exec_lo, s3
	s_and_saveexec_b32 s3, s1
	s_cbranch_execz .LBB18_1639
.LBB18_1638:
	v_and_b32_e32 v1, 0xffff, v3
	v_lshlrev_b32_e32 v3, 24, v3
	v_and_b32_e32 v7, 3, v1
	v_bfe_u32 v10, v1, 2, 5
	v_and_b32_e32 v3, 0x80000000, v3
	v_ffbh_u32_e32 v8, v7
	v_cmp_eq_u32_e32 vcc_lo, 0, v10
	v_min_u32_e32 v8, 32, v8
	v_subrev_nc_u32_e32 v9, 29, v8
	v_sub_nc_u32_e32 v8, 30, v8
	v_lshlrev_b32_e32 v1, v9, v1
	v_cndmask_b32_e32 v8, v10, v8, vcc_lo
	v_and_b32_e32 v1, 3, v1
	v_cndmask_b32_e32 v1, v7, v1, vcc_lo
	v_lshl_add_u32 v7, v8, 23, 0x37800000
	v_lshlrev_b32_e32 v1, 21, v1
	v_or3_b32 v1, v3, v7, v1
.LBB18_1639:
	s_or_b32 exec_lo, exec_lo, s3
	s_mov_b32 s1, 0
	s_branch .LBB18_1645
.LBB18_1640:
	s_mov_b32 s1, -1
                                        ; implicit-def: $vgpr1
	s_branch .LBB18_1651
.LBB18_1641:
	s_or_saveexec_b32 s10, s10
	v_mov_b32_e32 v1, 0x7f800001
	s_xor_b32 exec_lo, exec_lo, s10
	s_cbranch_execz .LBB18_1624
.LBB18_1642:
	v_cmp_ne_u16_e32 vcc_lo, 0, v3
	v_mov_b32_e32 v1, 0
	s_andn2_b32 s3, s3, exec_lo
	s_and_b32 s11, vcc_lo, exec_lo
	s_or_b32 s3, s3, s11
	s_or_b32 exec_lo, exec_lo, s10
	s_and_saveexec_b32 s10, s3
	s_cbranch_execnz .LBB18_1625
	s_branch .LBB18_1626
.LBB18_1643:
	s_mov_b32 s1, -1
                                        ; implicit-def: $vgpr1
	s_branch .LBB18_1648
.LBB18_1644:
	s_mov_b32 s1, -1
                                        ; implicit-def: $vgpr1
.LBB18_1645:
	s_and_b32 vcc_lo, exec_lo, s1
	s_cbranch_vccz .LBB18_1647
; %bb.1646:
	global_load_ubyte v1, v[5:6], off
	s_waitcnt vmcnt(0)
	v_lshlrev_b32_e32 v1, 24, v1
	v_and_b32_e32 v3, 0x7f000000, v1
	v_ffbh_u32_e32 v7, v3
	v_add_nc_u32_e32 v9, 0x1000000, v3
	v_cmp_ne_u32_e32 vcc_lo, 0, v3
	v_min_u32_e32 v7, 32, v7
	v_sub_nc_u32_e64 v7, v7, 4 clamp
	v_lshlrev_b32_e32 v8, v7, v3
	v_lshlrev_b32_e32 v7, 23, v7
	v_lshrrev_b32_e32 v8, 4, v8
	v_sub_nc_u32_e32 v7, v8, v7
	v_ashrrev_i32_e32 v8, 8, v9
	v_add_nc_u32_e32 v7, 0x3c000000, v7
	v_and_or_b32 v7, 0x7f800000, v8, v7
	v_cndmask_b32_e32 v3, 0, v7, vcc_lo
	v_and_or_b32 v1, 0x80000000, v1, v3
.LBB18_1647:
	s_mov_b32 s1, 0
.LBB18_1648:
	s_andn2_b32 vcc_lo, exec_lo, s1
	s_cbranch_vccnz .LBB18_1650
; %bb.1649:
	global_load_ubyte v1, v[5:6], off
	s_waitcnt vmcnt(0)
	v_lshlrev_b32_e32 v3, 25, v1
	v_lshlrev_b16 v1, 8, v1
	v_lshrrev_b32_e32 v7, 4, v3
	v_and_or_b32 v8, 0x7f00, v1, 0.5
	v_cmp_gt_u32_e32 vcc_lo, 0x8000000, v3
	v_bfe_i32 v1, v1, 0, 16
	v_or_b32_e32 v7, 0x70000000, v7
	v_add_f32_e32 v8, -0.5, v8
	v_mul_f32_e32 v7, 0x7800000, v7
	v_cndmask_b32_e32 v3, v7, v8, vcc_lo
	v_and_or_b32 v1, 0x80000000, v1, v3
.LBB18_1650:
	s_mov_b32 s1, 0
	s_mov_b32 s3, -1
.LBB18_1651:
	s_andn2_b32 vcc_lo, exec_lo, s1
	s_mov_b32 s1, 0
	s_cbranch_vccnz .LBB18_1662
; %bb.1652:
	s_cmp_gt_i32 s6, 14
	s_cbranch_scc0 .LBB18_1655
; %bb.1653:
	s_cmp_eq_u32 s6, 15
	s_cbranch_scc0 .LBB18_1658
; %bb.1654:
	global_load_ushort v1, v[5:6], off
	s_mov_b32 s0, 0
	s_mov_b32 s3, -1
	s_waitcnt vmcnt(0)
	v_lshlrev_b32_e32 v1, 16, v1
	s_branch .LBB18_1660
.LBB18_1655:
	s_mov_b32 s1, -1
	s_branch .LBB18_1659
.LBB18_1656:
	s_or_saveexec_b32 s3, s3
	v_mov_b32_e32 v1, 0x7f800001
	s_xor_b32 exec_lo, exec_lo, s3
	s_cbranch_execz .LBB18_1637
.LBB18_1657:
	v_cmp_ne_u16_e32 vcc_lo, 0, v3
	v_mov_b32_e32 v1, 0
	s_andn2_b32 s1, s1, exec_lo
	s_and_b32 s10, vcc_lo, exec_lo
	s_or_b32 s1, s1, s10
	s_or_b32 exec_lo, exec_lo, s3
	s_and_saveexec_b32 s3, s1
	s_cbranch_execnz .LBB18_1638
	s_branch .LBB18_1639
.LBB18_1658:
	s_mov_b32 s0, -1
.LBB18_1659:
                                        ; implicit-def: $vgpr1
.LBB18_1660:
	s_and_b32 vcc_lo, exec_lo, s1
	s_mov_b32 s1, 0
	s_cbranch_vccz .LBB18_1662
; %bb.1661:
	s_cmp_lg_u32 s6, 11
	s_mov_b32 s1, -1
	s_cselect_b32 s0, -1, 0
.LBB18_1662:
	s_and_b32 vcc_lo, exec_lo, s0
	s_cbranch_vccnz .LBB18_2220
; %bb.1663:
	s_andn2_b32 vcc_lo, exec_lo, s1
	s_cbranch_vccnz .LBB18_1665
.LBB18_1664:
	global_load_ubyte v1, v[5:6], off
	s_mov_b32 s3, -1
	s_waitcnt vmcnt(0)
	v_cmp_ne_u16_e32 vcc_lo, 0, v1
	v_cndmask_b32_e64 v1, 0, 1.0, vcc_lo
.LBB18_1665:
	s_mov_b32 s0, 0
.LBB18_1666:
	s_and_b32 vcc_lo, exec_lo, s0
	s_cbranch_vccz .LBB18_1715
; %bb.1667:
	s_cmp_lt_i32 s6, 5
	s_cbranch_scc1 .LBB18_1672
; %bb.1668:
	s_cmp_lt_i32 s6, 8
	s_cbranch_scc1 .LBB18_1673
; %bb.1669:
	s_cmp_lt_i32 s6, 9
	s_cbranch_scc1 .LBB18_1674
; %bb.1670:
	s_cmp_gt_i32 s6, 9
	s_cbranch_scc0 .LBB18_1675
; %bb.1671:
	global_load_dwordx2 v[7:8], v[5:6], off
	s_mov_b32 s0, 0
	s_waitcnt vmcnt(0)
	v_cvt_f32_f64_e32 v1, v[7:8]
	s_branch .LBB18_1676
.LBB18_1672:
	s_mov_b32 s0, -1
                                        ; implicit-def: $vgpr1
	s_branch .LBB18_1694
.LBB18_1673:
	s_mov_b32 s0, -1
                                        ; implicit-def: $vgpr1
	s_branch .LBB18_1682
.LBB18_1674:
	s_mov_b32 s0, -1
                                        ; implicit-def: $vgpr1
	s_branch .LBB18_1679
.LBB18_1675:
	s_mov_b32 s0, -1
                                        ; implicit-def: $vgpr1
.LBB18_1676:
	s_andn2_b32 vcc_lo, exec_lo, s0
	s_cbranch_vccnz .LBB18_1678
; %bb.1677:
	global_load_dword v1, v[5:6], off
.LBB18_1678:
	s_mov_b32 s0, 0
.LBB18_1679:
	s_andn2_b32 vcc_lo, exec_lo, s0
	s_cbranch_vccnz .LBB18_1681
; %bb.1680:
	global_load_dword v1, v[5:6], off
	s_waitcnt vmcnt(0)
	v_cvt_f32_f16_e32 v1, v1
.LBB18_1681:
	s_mov_b32 s0, 0
.LBB18_1682:
	s_andn2_b32 vcc_lo, exec_lo, s0
	s_cbranch_vccnz .LBB18_1693
; %bb.1683:
	s_cmp_lt_i32 s6, 6
	s_cbranch_scc1 .LBB18_1686
; %bb.1684:
	s_cmp_gt_i32 s6, 6
	s_cbranch_scc0 .LBB18_1687
; %bb.1685:
	global_load_dwordx2 v[7:8], v[5:6], off
	s_mov_b32 s0, 0
	s_waitcnt vmcnt(0)
	v_cvt_f32_f64_e32 v1, v[7:8]
	s_branch .LBB18_1688
.LBB18_1686:
	s_mov_b32 s0, -1
                                        ; implicit-def: $vgpr1
	s_branch .LBB18_1691
.LBB18_1687:
	s_mov_b32 s0, -1
                                        ; implicit-def: $vgpr1
.LBB18_1688:
	s_andn2_b32 vcc_lo, exec_lo, s0
	s_cbranch_vccnz .LBB18_1690
; %bb.1689:
	global_load_dword v1, v[5:6], off
.LBB18_1690:
	s_mov_b32 s0, 0
.LBB18_1691:
	s_andn2_b32 vcc_lo, exec_lo, s0
	s_cbranch_vccnz .LBB18_1693
; %bb.1692:
	global_load_ushort v1, v[5:6], off
	s_waitcnt vmcnt(0)
	v_cvt_f32_f16_e32 v1, v1
.LBB18_1693:
	s_mov_b32 s0, 0
.LBB18_1694:
	s_andn2_b32 vcc_lo, exec_lo, s0
	s_cbranch_vccnz .LBB18_1714
; %bb.1695:
	s_cmp_lt_i32 s6, 2
	s_cbranch_scc1 .LBB18_1699
; %bb.1696:
	s_cmp_lt_i32 s6, 3
	s_cbranch_scc1 .LBB18_1700
; %bb.1697:
	s_cmp_gt_i32 s6, 3
	s_cbranch_scc0 .LBB18_1701
; %bb.1698:
	global_load_dwordx2 v[7:8], v[5:6], off
	s_mov_b32 s0, 0
	s_waitcnt vmcnt(0)
	v_xor_b32_e32 v1, v7, v8
	v_ffbh_i32_e32 v3, v8
	v_ashrrev_i32_e32 v1, 31, v1
	v_add_nc_u32_e32 v3, -1, v3
	v_add_nc_u32_e32 v1, 32, v1
	v_min_u32_e32 v1, v3, v1
	v_lshlrev_b64 v[7:8], v1, v[7:8]
	v_sub_nc_u32_e32 v1, 32, v1
	v_min_u32_e32 v3, 1, v7
	v_or_b32_e32 v3, v8, v3
	v_cvt_f32_i32_e32 v3, v3
	v_ldexp_f32 v1, v3, v1
	s_branch .LBB18_1702
.LBB18_1699:
	s_mov_b32 s0, -1
                                        ; implicit-def: $vgpr1
	s_branch .LBB18_1708
.LBB18_1700:
	s_mov_b32 s0, -1
                                        ; implicit-def: $vgpr1
	s_branch .LBB18_1705
.LBB18_1701:
	s_mov_b32 s0, -1
                                        ; implicit-def: $vgpr1
.LBB18_1702:
	s_andn2_b32 vcc_lo, exec_lo, s0
	s_cbranch_vccnz .LBB18_1704
; %bb.1703:
	global_load_dword v1, v[5:6], off
	s_waitcnt vmcnt(0)
	v_cvt_f32_i32_e32 v1, v1
.LBB18_1704:
	s_mov_b32 s0, 0
.LBB18_1705:
	s_andn2_b32 vcc_lo, exec_lo, s0
	s_cbranch_vccnz .LBB18_1707
; %bb.1706:
	global_load_sshort v1, v[5:6], off
	s_waitcnt vmcnt(0)
	v_cvt_f32_i32_e32 v1, v1
.LBB18_1707:
	s_mov_b32 s0, 0
.LBB18_1708:
	s_andn2_b32 vcc_lo, exec_lo, s0
	s_cbranch_vccnz .LBB18_1714
; %bb.1709:
	s_cmp_gt_i32 s6, 0
	s_mov_b32 s0, 0
	s_cbranch_scc0 .LBB18_1711
; %bb.1710:
	global_load_sbyte v1, v[5:6], off
	s_waitcnt vmcnt(0)
	v_cvt_f32_i32_e32 v1, v1
	s_branch .LBB18_1712
.LBB18_1711:
	s_mov_b32 s0, -1
                                        ; implicit-def: $vgpr1
.LBB18_1712:
	s_andn2_b32 vcc_lo, exec_lo, s0
	s_cbranch_vccnz .LBB18_1714
; %bb.1713:
	global_load_ubyte v1, v[5:6], off
	s_waitcnt vmcnt(0)
	v_cvt_f32_ubyte0_e32 v1, v1
.LBB18_1714:
	s_mov_b32 s3, -1
.LBB18_1715:
	s_andn2_b32 vcc_lo, exec_lo, s3
	s_cbranch_vccnz .LBB18_1818
; %bb.1716:
                                        ; implicit-def: $vgpr6
	s_mov_b32 s0, exec_lo
	s_waitcnt vmcnt(0)
	v_cmpx_neq_f32_e32 0, v1
	s_xor_b32 s3, exec_lo, s0
	s_cbranch_execz .LBB18_1738
; %bb.1717:
	v_mov_b32_e32 v3, 0
	s_mov_b32 s0, -1
	s_mov_b32 s6, exec_lo
	v_cmpx_gt_f32_e32 0, v1
	s_cbranch_execz .LBB18_1725
; %bb.1718:
	v_trunc_f32_e32 v3, v1
	s_mov_b32 s1, 0
	v_cmp_neq_f32_e32 vcc_lo, v1, v3
	v_mov_b32_e32 v3, 0
	s_and_saveexec_b32 s10, vcc_lo
	s_cbranch_execz .LBB18_1724
; %bb.1719:
	v_cvt_f64_f32_e32 v[5:6], v1
	s_mov_b32 s1, 0xc00921fb
	s_mov_b32 s0, 0x54442d18
	s_mov_b32 s11, exec_lo
                                        ; implicit-def: $vgpr3
                                        ; implicit-def: $vgpr9_vgpr10
	v_trunc_f64_e32 v[7:8], v[5:6]
	v_cmp_neq_f64_e64 vcc_lo, 0x7ff00000, |v[5:6]|
	v_add_f64 v[7:8], v[5:6], -v[7:8]
	v_mul_f64 v[7:8], |v[7:8]|, s[0:1]
	v_cndmask_b32_e32 v6, 0x80000000, v8, vcc_lo
	v_cndmask_b32_e32 v5, 0, v7, vcc_lo
                                        ; implicit-def: $vgpr7_vgpr8
	v_cmpx_ngt_f64_e64 0x41d00000, |v[5:6]|
	s_xor_b32 s11, exec_lo, s11
	s_cbranch_execz .LBB18_1721
; %bb.1720:
	v_ldexp_f64 v[7:8], |v[5:6]|, 0xffffff80
	v_cmp_le_f64_e64 vcc_lo, 0x7b000000, |v[5:6]|
	v_trig_preop_f64 v[9:10], |v[5:6]|, 0
	v_and_b32_e32 v3, 0x7fffffff, v6
	v_trig_preop_f64 v[12:13], |v[5:6]|, 1
	v_trig_preop_f64 v[22:23], |v[5:6]|, 2
	v_mov_b32_e32 v30, 0
	s_mov_b32 s1, 0x3ff921fb
	s_mov_b32 s14, 0x33145c07
	;; [unrolled: 1-line block ×3, first 2 shown]
	v_cndmask_b32_e32 v8, v3, v8, vcc_lo
	v_cndmask_b32_e32 v7, v5, v7, vcc_lo
	v_mul_f64 v[14:15], v[9:10], v[7:8]
	v_mul_f64 v[16:17], v[12:13], v[7:8]
	;; [unrolled: 1-line block ×3, first 2 shown]
	v_fma_f64 v[9:10], v[9:10], v[7:8], -v[14:15]
	v_fma_f64 v[12:13], v[12:13], v[7:8], -v[16:17]
	v_fma_f64 v[7:8], v[22:23], v[7:8], -v[28:29]
	v_add_f64 v[18:19], v[16:17], v[9:10]
	v_add_f64 v[20:21], v[18:19], -v[16:17]
	v_add_f64 v[26:27], v[14:15], v[18:19]
	v_add_f64 v[24:25], v[18:19], -v[20:21]
	v_add_f64 v[9:10], v[9:10], -v[20:21]
	v_ldexp_f64 v[20:21], v[26:27], -2
	v_add_f64 v[14:15], v[26:27], -v[14:15]
	v_add_f64 v[16:17], v[16:17], -v[24:25]
	v_add_f64 v[24:25], v[28:29], v[12:13]
	v_cmp_neq_f64_e64 vcc_lo, 0x7ff00000, |v[20:21]|
	v_add_f64 v[14:15], v[18:19], -v[14:15]
	v_add_f64 v[9:10], v[9:10], v[16:17]
	v_fract_f64_e32 v[16:17], v[20:21]
	v_add_f64 v[18:19], v[24:25], v[9:10]
	v_ldexp_f64 v[16:17], v[16:17], 2
	v_add_f64 v[20:21], v[14:15], v[18:19]
	v_cndmask_b32_e32 v17, 0, v17, vcc_lo
	v_cndmask_b32_e32 v16, 0, v16, vcc_lo
	v_add_f64 v[26:27], v[20:21], v[16:17]
	v_add_f64 v[14:15], v[20:21], -v[14:15]
	v_cmp_gt_f64_e32 vcc_lo, 0, v[26:27]
	v_add_f64 v[26:27], v[24:25], -v[28:29]
	v_add_f64 v[14:15], v[18:19], -v[14:15]
	v_cndmask_b32_e64 v31, 0, 0x40100000, vcc_lo
	v_add_f64 v[35:36], v[24:25], -v[26:27]
	v_add_f64 v[12:13], v[12:13], -v[26:27]
	v_add_f64 v[16:17], v[16:17], v[30:31]
	v_add_f64 v[31:32], v[18:19], -v[24:25]
	v_add_f64 v[26:27], v[28:29], -v[35:36]
	v_add_f64 v[33:34], v[20:21], v[16:17]
	;; [unrolled: 3-line block ×3, first 2 shown]
	v_cvt_i32_f64_e32 v3, v[33:34]
	v_add_f64 v[24:25], v[24:25], -v[37:38]
	v_cvt_f64_i32_e32 v[31:32], v3
	v_add_f64 v[9:10], v[9:10], v[24:25]
	v_add_f64 v[16:17], v[16:17], -v[31:32]
	v_add_f64 v[9:10], v[12:13], v[9:10]
	v_add_f64 v[12:13], v[20:21], v[16:17]
	;; [unrolled: 1-line block ×3, first 2 shown]
	v_add_f64 v[9:10], v[12:13], -v[16:17]
	v_cmp_le_f64_e32 vcc_lo, 0.5, v[12:13]
	v_add_f64 v[7:8], v[14:15], v[7:8]
	v_add_f64 v[9:10], v[20:21], -v[9:10]
	v_cndmask_b32_e64 v31, 0, 0x3ff00000, vcc_lo
	v_add_co_ci_u32_e64 v3, null, 0, v3, vcc_lo
	v_add_f64 v[7:8], v[7:8], v[9:10]
	v_add_f64 v[9:10], v[12:13], -v[30:31]
	v_add_f64 v[12:13], v[9:10], v[7:8]
	v_mul_f64 v[14:15], v[12:13], s[0:1]
	v_add_f64 v[9:10], v[12:13], -v[9:10]
	v_fma_f64 v[16:17], v[12:13], s[0:1], -v[14:15]
	v_add_f64 v[7:8], v[7:8], -v[9:10]
	v_fma_f64 v[9:10], v[12:13], s[14:15], v[16:17]
	v_fma_f64 v[9:10], v[7:8], s[0:1], v[9:10]
	v_add_f64 v[7:8], v[14:15], v[9:10]
	v_add_f64 v[12:13], v[7:8], -v[14:15]
	v_add_f64 v[9:10], v[9:10], -v[12:13]
.LBB18_1721:
	s_andn2_saveexec_b32 s0, s11
	s_cbranch_execz .LBB18_1723
; %bb.1722:
	s_mov_b32 s14, 0x6dc9c883
	s_mov_b32 s15, 0x3fe45f30
	;; [unrolled: 1-line block ×3, first 2 shown]
	v_mul_f64 v[7:8], |v[5:6]|, s[14:15]
	s_mov_b32 s14, 0x54442d18
	s_mov_b32 s15, 0xbff921fb
	;; [unrolled: 1-line block ×3, first 2 shown]
	v_rndne_f64_e32 v[12:13], v[7:8]
	v_fma_f64 v[7:8], v[12:13], s[14:15], |v[5:6]|
	v_mul_f64 v[9:10], v[12:13], s[16:17]
	s_mov_b32 s14, 0x252049c0
	s_mov_b32 s15, 0xb97b839a
	v_cvt_i32_f64_e32 v3, v[12:13]
	v_fma_f64 v[16:17], v[12:13], s[16:17], v[7:8]
	v_add_f64 v[14:15], v[7:8], v[9:10]
	s_mov_b32 s17, 0x3c91a626
	v_add_f64 v[7:8], v[7:8], -v[14:15]
	v_add_f64 v[14:15], v[14:15], -v[16:17]
	v_add_f64 v[7:8], v[7:8], v[9:10]
	v_fma_f64 v[9:10], v[12:13], s[16:17], v[9:10]
	v_add_f64 v[7:8], v[14:15], v[7:8]
	v_add_f64 v[7:8], v[7:8], -v[9:10]
	v_fma_f64 v[9:10], v[12:13], s[14:15], v[7:8]
	v_add_f64 v[7:8], v[16:17], v[9:10]
	v_add_f64 v[14:15], v[7:8], -v[16:17]
	v_add_f64 v[9:10], v[9:10], -v[14:15]
.LBB18_1723:
	s_or_b32 exec_lo, exec_lo, s0
	v_mul_f64 v[12:13], v[7:8], v[7:8]
	v_add_f64 v[14:15], v[9:10], v[9:10]
	s_mov_b32 s14, 0xa9a29f71
	s_mov_b32 s16, 0xc751c08c
	;; [unrolled: 1-line block ×4, first 2 shown]
	v_cmp_class_f64_e64 s0, v[5:6], 0x1f8
	v_and_b32_e32 v3, 1, v3
	v_and_b32_e32 v6, 0x80000000, v6
	v_sub_f32_e32 v1, 1.0, v1
	s_mov_b32 s1, exec_lo
	v_cmp_eq_u32_e32 vcc_lo, 0, v3
	v_fma_f64 v[16:17], v[7:8], v[7:8], -v[12:13]
	v_fma_f64 v[14:15], v[7:8], v[14:15], v[16:17]
	v_add_f64 v[12:13], v[12:13], v[14:15]
	v_fma_f64 v[14:15], v[12:13], s[16:17], s[14:15]
	s_mov_b32 s14, 0x90a8aae0
	s_mov_b32 s15, 0x3f17746f
	v_fma_f64 v[14:15], v[12:13], v[14:15], s[14:15]
	s_mov_b32 s14, 0xa6fbf144
	s_mov_b32 s15, 0xbefbb44d
	;; [unrolled: 3-line block ×13, first 2 shown]
	v_mul_f64 v[12:13], v[12:13], v[14:15]
	v_mul_f64 v[14:15], v[7:8], v[12:13]
	v_add_f64 v[16:17], v[7:8], v[14:15]
	v_fma_f64 v[12:13], v[7:8], v[12:13], -v[14:15]
	v_add_f64 v[7:8], v[16:17], -v[7:8]
	v_add_f64 v[9:10], v[9:10], v[12:13]
	v_add_f64 v[7:8], v[14:15], -v[7:8]
	v_add_f64 v[7:8], v[9:10], v[7:8]
	v_add_f64 v[9:10], v[16:17], v[7:8]
	v_rcp_f64_e32 v[12:13], v[9:10]
	v_fma_f64 v[14:15], -v[9:10], v[12:13], 1.0
	v_fma_f64 v[12:13], v[14:15], v[12:13], v[12:13]
	v_fma_f64 v[14:15], -v[9:10], v[12:13], 1.0
	v_fma_f64 v[12:13], v[14:15], v[12:13], v[12:13]
	v_add_f64 v[14:15], v[9:10], -v[16:17]
	v_mul_f64 v[16:17], v[9:10], v[12:13]
	v_add_f64 v[7:8], v[7:8], -v[14:15]
	v_fma_f64 v[14:15], v[12:13], v[9:10], -v[16:17]
	v_fma_f64 v[7:8], v[12:13], v[7:8], v[14:15]
	v_add_f64 v[14:15], v[16:17], v[7:8]
	v_add_f64 v[18:19], -v[14:15], 1.0
	v_add_f64 v[16:17], v[14:15], -v[16:17]
	v_add_f64 v[20:21], -v[18:19], 1.0
	v_add_f64 v[7:8], v[16:17], -v[7:8]
	v_add_f64 v[14:15], v[20:21], -v[14:15]
	v_add_f64 v[7:8], v[7:8], v[14:15]
	v_add_f64 v[7:8], v[18:19], v[7:8]
	v_mul_f64 v[7:8], v[12:13], v[7:8]
	v_add_f64 v[7:8], v[12:13], v[7:8]
	v_xor_b32_e32 v5, 0x80000000, v8
	v_cndmask_b32_e32 v3, v7, v9, vcc_lo
	v_cndmask_b32_e32 v5, v5, v10, vcc_lo
	v_xor_b32_e32 v6, v5, v6
	v_cndmask_b32_e64 v5, 0, v3, s0
	v_cndmask_b32_e64 v6, 0x7ff80000, v6, s0
	v_div_scale_f64 v[7:8], null, v[5:6], v[5:6], s[14:15]
	v_rcp_f64_e32 v[9:10], v[7:8]
	v_fma_f64 v[12:13], -v[7:8], v[9:10], 1.0
	v_fma_f64 v[9:10], v[9:10], v[12:13], v[9:10]
	v_fma_f64 v[12:13], -v[7:8], v[9:10], 1.0
	v_fma_f64 v[9:10], v[9:10], v[12:13], v[9:10]
	v_div_scale_f64 v[12:13], vcc_lo, s[14:15], v[5:6], s[14:15]
	v_mul_f64 v[14:15], v[12:13], v[9:10]
	v_fma_f64 v[7:8], -v[7:8], v[14:15], v[12:13]
	v_div_fmas_f64 v[7:8], v[7:8], v[9:10], v[14:15]
	v_div_fixup_f64 v[5:6], v[7:8], v[5:6], s[14:15]
	v_cvt_f32_f64_e32 v3, v[5:6]
.LBB18_1724:
	s_or_b32 exec_lo, exec_lo, s10
	s_orn2_b32 s0, s1, exec_lo
.LBB18_1725:
	s_or_b32 exec_lo, exec_lo, s6
	v_mov_b32_e32 v6, 0x7fc00000
	s_and_saveexec_b32 s6, s0
	s_cbranch_execz .LBB18_1737
; %bb.1726:
	s_mov_b32 s0, exec_lo
	v_cmpx_gt_f32_e32 0x41200000, v1
	s_cbranch_execz .LBB18_1730
; %bb.1727:
	s_mov_b32 s1, 0
.LBB18_1728:                            ; =>This Inner Loop Header: Depth=1
	v_div_scale_f32 v5, null, v1, v1, 1.0
	v_div_scale_f32 v8, vcc_lo, 1.0, v1, 1.0
	v_rcp_f32_e32 v6, v5
	v_fma_f32 v7, -v5, v6, 1.0
	v_fmac_f32_e32 v6, v7, v6
	v_mul_f32_e32 v7, v8, v6
	v_fma_f32 v9, -v5, v7, v8
	v_fmac_f32_e32 v7, v9, v6
	v_fma_f32 v5, -v5, v7, v8
	v_div_fmas_f32 v5, v5, v6, v7
	v_div_fixup_f32 v5, v5, v1, 1.0
	v_add_f32_e32 v1, 1.0, v1
	v_sub_f32_e32 v3, v3, v5
	v_cmp_ngt_f32_e32 vcc_lo, 0x41200000, v1
	s_or_b32 s1, vcc_lo, s1
	s_andn2_b32 exec_lo, exec_lo, s1
	s_cbranch_execnz .LBB18_1728
; %bb.1729:
	s_or_b32 exec_lo, exec_lo, s1
.LBB18_1730:
	s_or_b32 exec_lo, exec_lo, s0
                                        ; implicit-def: $vgpr6
	s_mov_b32 s0, exec_lo
	v_cmpx_neq_f32_e32 0x41200000, v1
	s_xor_b32 s10, exec_lo, s0
	s_cbranch_execz .LBB18_1734
; %bb.1731:
	v_cvt_f64_f32_e32 v[5:6], v1
	s_mov_b32 s0, 0x85d8a000
	s_mov_b32 s1, 0x43763457
	v_cmp_gt_f64_e32 vcc_lo, s[0:1], v[5:6]
	v_mov_b32_e32 v5, 0
	s_and_saveexec_b32 s0, vcc_lo
	s_cbranch_execz .LBB18_1733
; %bb.1732:
	v_mul_f32_e32 v5, v1, v1
	v_div_scale_f32 v6, null, v5, v5, 1.0
	v_rcp_f32_e32 v7, v6
	v_fma_f32 v8, -v6, v7, 1.0
	v_fmac_f32_e32 v7, v8, v7
	v_div_scale_f32 v8, vcc_lo, 1.0, v5, 1.0
	v_mul_f32_e32 v9, v8, v7
	v_fma_f32 v10, -v6, v9, v8
	v_fmac_f32_e32 v9, v10, v7
	v_fma_f32 v6, -v6, v9, v8
	v_div_fmas_f32 v6, v6, v7, v9
	v_div_fixup_f32 v5, v6, v5, 1.0
	v_fmaak_f32 v6, 0, v5, 0x3daaaaab
	v_fmaak_f32 v6, v5, v6, 0xbcaccacd
	;; [unrolled: 1-line block ×7, first 2 shown]
	v_mul_f32_e32 v5, v5, v6
.LBB18_1733:
	s_or_b32 exec_lo, exec_lo, s0
	v_cmp_gt_f32_e32 vcc_lo, 0x800000, v1
	v_div_scale_f32 v6, null, v1, v1, -0.5
	v_div_scale_f32 v10, s0, -0.5, v1, -0.5
	v_cndmask_b32_e64 v7, 0, 32, vcc_lo
	v_rcp_f32_e32 v8, v6
	v_ldexp_f32 v7, v1, v7
	v_log_f32_e32 v7, v7
	v_fma_f32 v9, -v6, v8, 1.0
	v_fmac_f32_e32 v8, v9, v8
	v_mul_f32_e32 v9, 0x3f317217, v7
	v_mul_f32_e32 v12, v10, v8
	v_cmp_gt_f32_e64 s1, 0x7f800000, |v7|
	v_fma_f32 v9, 0x3f317217, v7, -v9
	v_fma_f32 v13, -v6, v12, v10
	v_fmamk_f32 v9, v7, 0x3377d1cf, v9
	v_fmac_f32_e32 v12, v13, v8
	v_fmac_f32_e32 v9, 0x3f317217, v7
	v_fma_f32 v6, -v6, v12, v10
	v_cndmask_b32_e64 v7, v7, v9, s1
	v_cndmask_b32_e64 v9, 0, 0x41b17218, vcc_lo
	s_mov_b32 vcc_lo, s0
	v_div_fmas_f32 v6, v6, v8, v12
	v_sub_f32_e32 v7, v7, v9
	v_div_fixup_f32 v1, v6, v1, -0.5
	v_add_f32_e32 v1, v7, v1
	v_sub_f32_e32 v1, v1, v5
	v_add_f32_e32 v6, v3, v1
                                        ; implicit-def: $vgpr3
.LBB18_1734:
	s_andn2_saveexec_b32 s0, s10
; %bb.1735:
	v_add_f32_e32 v6, 0x40101cb7, v3
; %bb.1736:
	s_or_b32 exec_lo, exec_lo, s0
.LBB18_1737:
	s_or_b32 exec_lo, exec_lo, s6
                                        ; implicit-def: $vgpr1
.LBB18_1738:
	s_andn2_saveexec_b32 s0, s3
; %bb.1739:
	v_xor_b32_e32 v1, 0x80000000, v1
	s_mov_b32 s1, 0x7f800000
	v_bfi_b32 v6, 0x7fffffff, s1, v1
; %bb.1740:
	s_or_b32 exec_lo, exec_lo, s0
	v_mul_lo_u32 v3, s2, v11
	s_and_b32 s1, s4, 0xff
	s_cmp_lt_i32 s1, 11
	v_ashrrev_i32_e32 v1, 31, v3
	v_add_co_u32 v7, vcc_lo, s8, v3
	v_add_co_ci_u32_e64 v8, null, s9, v1, vcc_lo
	s_cbranch_scc1 .LBB18_1863
; %bb.1741:
	s_and_b32 s3, 0xffff, s1
	s_mov_b32 s10, -1
	s_mov_b32 s4, 0
	s_cmp_gt_i32 s3, 25
	s_mov_b32 s6, 0
	s_mov_b32 s0, 0
	s_cbranch_scc0 .LBB18_1774
; %bb.1742:
	s_cmp_gt_i32 s3, 28
	s_cbranch_scc0 .LBB18_1757
; %bb.1743:
	s_cmp_gt_i32 s3, 43
	;; [unrolled: 3-line block ×3, first 2 shown]
	s_cbranch_scc0 .LBB18_1747
; %bb.1745:
	s_mov_b32 s0, -1
	s_mov_b32 s10, 0
	s_cmp_eq_u32 s3, 46
	s_cbranch_scc0 .LBB18_1747
; %bb.1746:
	v_bfe_u32 v1, v0, 16, 1
	v_cmp_o_f32_e32 vcc_lo, v0, v0
	v_mov_b32_e32 v5, 0x7fc0
	s_mov_b32 s0, 0
	s_mov_b32 s6, -1
	v_add3_u32 v1, v0, v1, 0x7fff
	v_cndmask_b32_sdwa v1, v5, v1, vcc_lo dst_sel:DWORD dst_unused:UNUSED_PAD src0_sel:DWORD src1_sel:WORD_1
	global_store_dword v[7:8], v1, off
.LBB18_1747:
	s_and_b32 vcc_lo, exec_lo, s10
	s_cbranch_vccz .LBB18_1752
; %bb.1748:
	s_cmp_eq_u32 s3, 44
	s_mov_b32 s0, -1
	s_cbranch_scc0 .LBB18_1752
; %bb.1749:
	v_bfe_u32 v5, v0, 23, 8
	v_mov_b32_e32 v1, 0xff
	s_mov_b32 s6, exec_lo
	v_cmpx_ne_u32_e32 0xff, v5
	s_cbranch_execz .LBB18_1751
; %bb.1750:
	v_and_b32_e32 v1, 0x400000, v0
	v_and_or_b32 v5, 0x3fffff, v0, v5
	v_cmp_ne_u32_e32 vcc_lo, 0, v1
	v_cmp_ne_u32_e64 s0, 0, v5
	v_lshrrev_b32_e32 v1, 23, v0
	s_and_b32 s0, vcc_lo, s0
	v_cndmask_b32_e64 v5, 0, 1, s0
	v_add_nc_u32_e32 v1, v1, v5
.LBB18_1751:
	s_or_b32 exec_lo, exec_lo, s6
	s_mov_b32 s0, 0
	s_mov_b32 s6, -1
	global_store_byte v[7:8], v1, off
.LBB18_1752:
	s_mov_b32 s10, 0
.LBB18_1753:
	s_and_b32 vcc_lo, exec_lo, s10
	s_cbranch_vccz .LBB18_1756
; %bb.1754:
	s_cmp_eq_u32 s3, 29
	s_mov_b32 s0, -1
	s_cbranch_scc0 .LBB18_1756
; %bb.1755:
	v_trunc_f32_e32 v1, v0
	s_mov_b32 s0, 0
	s_mov_b32 s6, -1
	v_mul_f32_e32 v5, 0x2f800000, v1
	v_floor_f32_e32 v5, v5
	v_fmamk_f32 v1, v5, 0xcf800000, v1
	v_cvt_u32_f32_e32 v10, v5
	v_cvt_u32_f32_e32 v9, v1
	global_store_dwordx2 v[7:8], v[9:10], off
.LBB18_1756:
	s_mov_b32 s10, 0
.LBB18_1757:
	s_and_b32 vcc_lo, exec_lo, s10
	s_cbranch_vccz .LBB18_1773
; %bb.1758:
	s_cmp_lt_i32 s3, 27
	s_mov_b32 s6, -1
	s_cbranch_scc1 .LBB18_1764
; %bb.1759:
	v_cvt_u32_f32_e32 v1, v0
	s_cmp_gt_i32 s3, 27
	s_cbranch_scc0 .LBB18_1761
; %bb.1760:
	s_mov_b32 s6, 0
	global_store_dword v[7:8], v1, off
.LBB18_1761:
	s_andn2_b32 vcc_lo, exec_lo, s6
	s_cbranch_vccnz .LBB18_1763
; %bb.1762:
	global_store_short v[7:8], v1, off
.LBB18_1763:
	s_mov_b32 s6, 0
.LBB18_1764:
	s_andn2_b32 vcc_lo, exec_lo, s6
	s_cbranch_vccnz .LBB18_1772
; %bb.1765:
	v_and_b32_e32 v1, 0x7fffffff, v0
	v_mov_b32_e32 v5, 0x80
	s_mov_b32 s6, exec_lo
	v_cmpx_gt_u32_e32 0x43800000, v1
	s_cbranch_execz .LBB18_1771
; %bb.1766:
	v_cmp_lt_u32_e32 vcc_lo, 0x3bffffff, v1
	s_mov_b32 s10, 0
                                        ; implicit-def: $vgpr1
	s_and_saveexec_b32 s11, vcc_lo
	s_xor_b32 s11, exec_lo, s11
	s_cbranch_execz .LBB18_2221
; %bb.1767:
	v_bfe_u32 v1, v0, 20, 1
	s_mov_b32 s10, exec_lo
	v_add3_u32 v1, v0, v1, 0x487ffff
	v_lshrrev_b32_e32 v1, 20, v1
	s_andn2_saveexec_b32 s11, s11
	s_cbranch_execnz .LBB18_2222
.LBB18_1768:
	s_or_b32 exec_lo, exec_lo, s11
	v_mov_b32_e32 v5, 0
	s_and_saveexec_b32 s11, s10
.LBB18_1769:
	v_lshrrev_b32_e32 v5, 24, v0
	v_and_or_b32 v5, 0x80, v5, v1
.LBB18_1770:
	s_or_b32 exec_lo, exec_lo, s11
.LBB18_1771:
	s_or_b32 exec_lo, exec_lo, s6
	global_store_byte v[7:8], v5, off
.LBB18_1772:
	s_mov_b32 s6, -1
.LBB18_1773:
	s_mov_b32 s10, 0
.LBB18_1774:
	s_and_b32 vcc_lo, exec_lo, s10
	s_cbranch_vccz .LBB18_1814
; %bb.1775:
	s_cmp_gt_i32 s3, 22
	s_mov_b32 s4, -1
	s_cbranch_scc0 .LBB18_1807
; %bb.1776:
	s_cmp_lt_i32 s3, 24
	s_cbranch_scc1 .LBB18_1796
; %bb.1777:
	s_cmp_gt_i32 s3, 24
	s_cbranch_scc0 .LBB18_1785
; %bb.1778:
	v_and_b32_e32 v1, 0x7fffffff, v0
	v_mov_b32_e32 v5, 0x80
	s_mov_b32 s4, exec_lo
	v_cmpx_gt_u32_e32 0x47800000, v1
	s_cbranch_execz .LBB18_1784
; %bb.1779:
	v_cmp_lt_u32_e32 vcc_lo, 0x37ffffff, v1
	s_mov_b32 s6, 0
                                        ; implicit-def: $vgpr1
	s_and_saveexec_b32 s10, vcc_lo
	s_xor_b32 s10, exec_lo, s10
	s_cbranch_execz .LBB18_2224
; %bb.1780:
	v_bfe_u32 v1, v0, 21, 1
	s_mov_b32 s6, exec_lo
	v_add3_u32 v1, v0, v1, 0x88fffff
	v_lshrrev_b32_e32 v1, 21, v1
	s_andn2_saveexec_b32 s10, s10
	s_cbranch_execnz .LBB18_2225
.LBB18_1781:
	s_or_b32 exec_lo, exec_lo, s10
	v_mov_b32_e32 v5, 0
	s_and_saveexec_b32 s10, s6
.LBB18_1782:
	v_lshrrev_b32_e32 v5, 24, v0
	v_and_or_b32 v5, 0x80, v5, v1
.LBB18_1783:
	s_or_b32 exec_lo, exec_lo, s10
.LBB18_1784:
	s_or_b32 exec_lo, exec_lo, s4
	s_mov_b32 s4, 0
	global_store_byte v[7:8], v5, off
.LBB18_1785:
	s_and_b32 vcc_lo, exec_lo, s4
	s_cbranch_vccz .LBB18_1795
; %bb.1786:
	v_and_b32_e32 v5, 0x7fffffff, v0
	s_mov_b32 s4, exec_lo
                                        ; implicit-def: $vgpr1
	v_cmpx_gt_u32_e32 0x43f00000, v5
	s_xor_b32 s4, exec_lo, s4
	s_cbranch_execz .LBB18_1792
; %bb.1787:
	s_mov_b32 s6, exec_lo
                                        ; implicit-def: $vgpr1
	v_cmpx_lt_u32_e32 0x3c7fffff, v5
	s_xor_b32 s6, exec_lo, s6
; %bb.1788:
	v_bfe_u32 v1, v0, 20, 1
	v_add3_u32 v1, v0, v1, 0x407ffff
	v_and_b32_e32 v5, 0xff00000, v1
	v_lshrrev_b32_e32 v1, 20, v1
	v_cmp_ne_u32_e32 vcc_lo, 0x7f00000, v5
	v_cndmask_b32_e32 v1, 0x7e, v1, vcc_lo
; %bb.1789:
	s_andn2_saveexec_b32 s6, s6
; %bb.1790:
	v_add_f32_e64 v1, 0x46800000, |v0|
; %bb.1791:
	s_or_b32 exec_lo, exec_lo, s6
                                        ; implicit-def: $vgpr5
.LBB18_1792:
	s_andn2_saveexec_b32 s4, s4
; %bb.1793:
	v_mov_b32_e32 v1, 0x7f
	v_cmp_lt_u32_e32 vcc_lo, 0x7f800000, v5
	v_cndmask_b32_e32 v1, 0x7e, v1, vcc_lo
; %bb.1794:
	s_or_b32 exec_lo, exec_lo, s4
	v_lshrrev_b32_e32 v5, 24, v0
	v_and_or_b32 v1, 0x80, v5, v1
	global_store_byte v[7:8], v1, off
.LBB18_1795:
	s_mov_b32 s4, 0
.LBB18_1796:
	s_andn2_b32 vcc_lo, exec_lo, s4
	s_cbranch_vccnz .LBB18_1806
; %bb.1797:
	v_and_b32_e32 v5, 0x7fffffff, v0
	s_mov_b32 s4, exec_lo
                                        ; implicit-def: $vgpr1
	v_cmpx_gt_u32_e32 0x47800000, v5
	s_xor_b32 s4, exec_lo, s4
	s_cbranch_execz .LBB18_1803
; %bb.1798:
	s_mov_b32 s6, exec_lo
                                        ; implicit-def: $vgpr1
	v_cmpx_lt_u32_e32 0x387fffff, v5
	s_xor_b32 s6, exec_lo, s6
; %bb.1799:
	v_bfe_u32 v1, v0, 21, 1
	v_add3_u32 v1, v0, v1, 0x80fffff
	v_lshrrev_b32_e32 v1, 21, v1
; %bb.1800:
	s_andn2_saveexec_b32 s6, s6
; %bb.1801:
	v_add_f32_e64 v1, 0x43000000, |v0|
; %bb.1802:
	s_or_b32 exec_lo, exec_lo, s6
                                        ; implicit-def: $vgpr5
.LBB18_1803:
	s_andn2_saveexec_b32 s4, s4
; %bb.1804:
	v_mov_b32_e32 v1, 0x7f
	v_cmp_lt_u32_e32 vcc_lo, 0x7f800000, v5
	v_cndmask_b32_e32 v1, 0x7c, v1, vcc_lo
; %bb.1805:
	s_or_b32 exec_lo, exec_lo, s4
	v_lshrrev_b32_e32 v5, 24, v0
	v_and_or_b32 v1, 0x80, v5, v1
	global_store_byte v[7:8], v1, off
.LBB18_1806:
	s_mov_b32 s4, 0
	s_mov_b32 s6, -1
.LBB18_1807:
	s_andn2_b32 vcc_lo, exec_lo, s4
	s_mov_b32 s4, 0
	s_cbranch_vccnz .LBB18_1814
; %bb.1808:
	s_cmp_gt_i32 s3, 14
	s_mov_b32 s4, -1
	s_cbranch_scc0 .LBB18_1812
; %bb.1809:
	s_cmp_eq_u32 s3, 15
	s_mov_b32 s0, -1
	s_cbranch_scc0 .LBB18_1811
; %bb.1810:
	v_bfe_u32 v1, v0, 16, 1
	v_cmp_o_f32_e32 vcc_lo, v0, v0
	v_mov_b32_e32 v5, 0x7fc0
	s_mov_b32 s0, 0
	s_mov_b32 s6, -1
	v_add3_u32 v1, v0, v1, 0x7fff
	v_cndmask_b32_sdwa v1, v5, v1, vcc_lo dst_sel:DWORD dst_unused:UNUSED_PAD src0_sel:DWORD src1_sel:WORD_1
	global_store_short v[7:8], v1, off
.LBB18_1811:
	s_mov_b32 s4, 0
.LBB18_1812:
	s_and_b32 vcc_lo, exec_lo, s4
	s_mov_b32 s4, 0
	s_cbranch_vccz .LBB18_1814
; %bb.1813:
	s_cmp_lg_u32 s3, 11
	s_mov_b32 s4, -1
	s_cselect_b32 s0, -1, 0
.LBB18_1814:
	s_and_b32 vcc_lo, exec_lo, s0
	s_cbranch_vccnz .LBB18_2223
; %bb.1815:
	s_andn2_b32 vcc_lo, exec_lo, s4
	s_cbranch_vccnz .LBB18_1817
.LBB18_1816:
	v_cmp_neq_f32_e32 vcc_lo, 0, v0
	s_mov_b32 s6, -1
	v_cndmask_b32_e64 v1, 0, 1, vcc_lo
	global_store_byte v[7:8], v1, off
.LBB18_1817:
	s_mov_b32 s0, 0
	s_branch .LBB18_1864
.LBB18_1818:
	s_mov_b32 s0, 0
	s_mov_b32 s3, 0
                                        ; implicit-def: $sgpr1
                                        ; implicit-def: $vgpr0_vgpr1
                                        ; implicit-def: $vgpr6
.LBB18_1819:
	s_andn2_b32 s2, s12, exec_lo
	s_and_b32 s4, s5, exec_lo
	s_and_b32 s0, s0, exec_lo
	s_and_b32 s5, s3, exec_lo
	s_or_b32 s12, s2, s4
.LBB18_1820:
	s_or_b32 exec_lo, exec_lo, s7
	s_and_saveexec_b32 s2, s12
	s_cbranch_execz .LBB18_1823
; %bb.1821:
	; divergent unreachable
	s_or_b32 exec_lo, exec_lo, s2
	s_and_saveexec_b32 s2, s5
	s_xor_b32 s2, exec_lo, s2
	s_cbranch_execnz .LBB18_1824
.LBB18_1822:
	s_or_b32 exec_lo, exec_lo, s2
	s_and_saveexec_b32 s2, s0
	s_cbranch_execnz .LBB18_1825
	s_branch .LBB18_1862
.LBB18_1823:
	s_or_b32 exec_lo, exec_lo, s2
	s_and_saveexec_b32 s2, s5
	s_xor_b32 s2, exec_lo, s2
	s_cbranch_execz .LBB18_1822
.LBB18_1824:
	s_waitcnt vmcnt(0)
	v_cmp_neq_f32_e32 vcc_lo, 0, v6
	v_cndmask_b32_e64 v2, 0, 1, vcc_lo
	global_store_byte v[0:1], v2, off
	s_or_b32 exec_lo, exec_lo, s2
	s_and_saveexec_b32 s2, s0
	s_cbranch_execz .LBB18_1862
.LBB18_1825:
	s_sext_i32_i16 s2, s1
	s_mov_b32 s0, -1
	s_cmp_lt_i32 s2, 5
	s_cbranch_scc1 .LBB18_1846
; %bb.1826:
	s_cmp_lt_i32 s2, 8
	s_cbranch_scc1 .LBB18_1836
; %bb.1827:
	;; [unrolled: 3-line block ×3, first 2 shown]
	s_cmp_gt_i32 s2, 9
	s_cbranch_scc0 .LBB18_1830
; %bb.1829:
	s_waitcnt vmcnt(0)
	v_cvt_f64_f32_e32 v[2:3], v6
	v_mov_b32_e32 v4, 0
	s_mov_b32 s0, 0
	v_mov_b32_e32 v5, v4
	global_store_dwordx4 v[0:1], v[2:5], off
.LBB18_1830:
	s_andn2_b32 vcc_lo, exec_lo, s0
	s_cbranch_vccnz .LBB18_1832
; %bb.1831:
	s_waitcnt vmcnt(0)
	v_mov_b32_e32 v7, 0
	global_store_dwordx2 v[0:1], v[6:7], off
.LBB18_1832:
	s_mov_b32 s0, 0
.LBB18_1833:
	s_andn2_b32 vcc_lo, exec_lo, s0
	s_cbranch_vccnz .LBB18_1835
; %bb.1834:
	s_waitcnt vmcnt(0)
	v_cvt_f16_f32_e32 v2, v6
	v_and_b32_e32 v2, 0xffff, v2
	global_store_dword v[0:1], v2, off
.LBB18_1835:
	s_mov_b32 s0, 0
.LBB18_1836:
	s_andn2_b32 vcc_lo, exec_lo, s0
	s_cbranch_vccnz .LBB18_1845
; %bb.1837:
	s_sext_i32_i16 s2, s1
	s_mov_b32 s0, -1
	s_cmp_lt_i32 s2, 6
	s_cbranch_scc1 .LBB18_1843
; %bb.1838:
	s_cmp_gt_i32 s2, 6
	s_cbranch_scc0 .LBB18_1840
; %bb.1839:
	s_waitcnt vmcnt(0)
	v_cvt_f64_f32_e32 v[2:3], v6
	s_mov_b32 s0, 0
	global_store_dwordx2 v[0:1], v[2:3], off
.LBB18_1840:
	s_andn2_b32 vcc_lo, exec_lo, s0
	s_cbranch_vccnz .LBB18_1842
; %bb.1841:
	s_waitcnt vmcnt(0)
	global_store_dword v[0:1], v6, off
.LBB18_1842:
	s_mov_b32 s0, 0
.LBB18_1843:
	s_andn2_b32 vcc_lo, exec_lo, s0
	s_cbranch_vccnz .LBB18_1845
; %bb.1844:
	s_waitcnt vmcnt(0)
	v_cvt_f16_f32_e32 v2, v6
	global_store_short v[0:1], v2, off
.LBB18_1845:
	s_mov_b32 s0, 0
.LBB18_1846:
	s_andn2_b32 vcc_lo, exec_lo, s0
	s_cbranch_vccnz .LBB18_1862
; %bb.1847:
	s_sext_i32_i16 s2, s1
	s_mov_b32 s0, -1
	s_cmp_lt_i32 s2, 2
	s_cbranch_scc1 .LBB18_1857
; %bb.1848:
	s_cmp_lt_i32 s2, 3
	s_cbranch_scc1 .LBB18_1854
; %bb.1849:
	s_cmp_gt_i32 s2, 3
	s_cbranch_scc0 .LBB18_1851
; %bb.1850:
	s_waitcnt vmcnt(0)
	v_trunc_f32_e32 v2, v6
	s_mov_b32 s0, 0
	v_mul_f32_e64 v3, 0x2f800000, |v2|
	v_ashrrev_i32_e32 v5, 31, v2
	v_floor_f32_e32 v3, v3
	v_fma_f32 v4, 0xcf800000, v3, |v2|
	v_cvt_u32_f32_e32 v3, v3
	v_cvt_u32_f32_e32 v2, v4
	v_xor_b32_e32 v3, v3, v5
	v_xor_b32_e32 v2, v2, v5
	v_sub_co_u32 v2, vcc_lo, v2, v5
	v_sub_co_ci_u32_e64 v3, null, v3, v5, vcc_lo
	global_store_dwordx2 v[0:1], v[2:3], off
.LBB18_1851:
	s_andn2_b32 vcc_lo, exec_lo, s0
	s_cbranch_vccnz .LBB18_1853
; %bb.1852:
	s_waitcnt vmcnt(0)
	v_cvt_i32_f32_e32 v2, v6
	global_store_dword v[0:1], v2, off
.LBB18_1853:
	s_mov_b32 s0, 0
.LBB18_1854:
	s_andn2_b32 vcc_lo, exec_lo, s0
	s_cbranch_vccnz .LBB18_1856
; %bb.1855:
	s_waitcnt vmcnt(0)
	v_cvt_i32_f32_e32 v2, v6
	global_store_short v[0:1], v2, off
.LBB18_1856:
	s_mov_b32 s0, 0
.LBB18_1857:
	s_andn2_b32 vcc_lo, exec_lo, s0
	s_cbranch_vccnz .LBB18_1862
; %bb.1858:
	s_sext_i32_i16 s0, s1
	s_cmp_gt_i32 s0, 0
	s_mov_b32 s0, -1
	s_cbranch_scc0 .LBB18_1860
; %bb.1859:
	s_waitcnt vmcnt(0)
	v_cvt_i32_f32_e32 v2, v6
	s_mov_b32 s0, 0
	global_store_byte v[0:1], v2, off
.LBB18_1860:
	s_andn2_b32 vcc_lo, exec_lo, s0
	s_cbranch_vccnz .LBB18_1862
; %bb.1861:
	s_waitcnt vmcnt(0)
	v_trunc_f32_e32 v2, v6
	v_mul_f32_e64 v3, 0x2f800000, |v2|
	v_floor_f32_e32 v3, v3
	v_fma_f32 v3, 0xcf800000, v3, |v2|
	v_ashrrev_i32_e32 v2, 31, v2
	v_cvt_u32_f32_e32 v3, v3
	v_xor_b32_e32 v3, v3, v2
	v_sub_nc_u32_e32 v2, v3, v2
	global_store_byte v[0:1], v2, off
	s_endpgm
.LBB18_1862:
	s_endpgm
.LBB18_1863:
	s_mov_b32 s0, -1
	s_mov_b32 s6, 0
.LBB18_1864:
	s_and_b32 vcc_lo, exec_lo, s0
	s_cbranch_vccz .LBB18_1903
; %bb.1865:
	s_and_b32 s0, 0xffff, s1
	s_mov_b32 s3, -1
	s_cmp_lt_i32 s0, 5
	s_cbranch_scc1 .LBB18_1886
; %bb.1866:
	s_cmp_lt_i32 s0, 8
	s_cbranch_scc1 .LBB18_1876
; %bb.1867:
	s_cmp_lt_i32 s0, 9
	s_cbranch_scc1 .LBB18_1873
; %bb.1868:
	s_cmp_gt_i32 s0, 9
	s_cbranch_scc0 .LBB18_1870
; %bb.1869:
	v_cvt_f64_f32_e32 v[9:10], v0
	v_mov_b32_e32 v11, 0
	s_mov_b32 s3, 0
	v_mov_b32_e32 v12, v11
	global_store_dwordx4 v[7:8], v[9:12], off
.LBB18_1870:
	s_andn2_b32 vcc_lo, exec_lo, s3
	s_cbranch_vccnz .LBB18_1872
; %bb.1871:
	v_mov_b32_e32 v1, 0
	global_store_dwordx2 v[7:8], v[0:1], off
.LBB18_1872:
	s_mov_b32 s3, 0
.LBB18_1873:
	s_andn2_b32 vcc_lo, exec_lo, s3
	s_cbranch_vccnz .LBB18_1875
; %bb.1874:
	v_cvt_f16_f32_e32 v1, v0
	v_and_b32_e32 v1, 0xffff, v1
	global_store_dword v[7:8], v1, off
.LBB18_1875:
	s_mov_b32 s3, 0
.LBB18_1876:
	s_andn2_b32 vcc_lo, exec_lo, s3
	s_cbranch_vccnz .LBB18_1885
; %bb.1877:
	s_cmp_lt_i32 s0, 6
	s_mov_b32 s3, -1
	s_cbranch_scc1 .LBB18_1883
; %bb.1878:
	s_cmp_gt_i32 s0, 6
	s_cbranch_scc0 .LBB18_1880
; %bb.1879:
	v_cvt_f64_f32_e32 v[9:10], v0
	s_mov_b32 s3, 0
	global_store_dwordx2 v[7:8], v[9:10], off
.LBB18_1880:
	s_andn2_b32 vcc_lo, exec_lo, s3
	s_cbranch_vccnz .LBB18_1882
; %bb.1881:
	global_store_dword v[7:8], v0, off
.LBB18_1882:
	s_mov_b32 s3, 0
.LBB18_1883:
	s_andn2_b32 vcc_lo, exec_lo, s3
	s_cbranch_vccnz .LBB18_1885
; %bb.1884:
	v_cvt_f16_f32_e32 v1, v0
	global_store_short v[7:8], v1, off
.LBB18_1885:
	s_mov_b32 s3, 0
.LBB18_1886:
	s_andn2_b32 vcc_lo, exec_lo, s3
	s_cbranch_vccnz .LBB18_1902
; %bb.1887:
	s_cmp_lt_i32 s0, 2
	s_mov_b32 s3, -1
	s_cbranch_scc1 .LBB18_1897
; %bb.1888:
	s_cmp_lt_i32 s0, 3
	s_cbranch_scc1 .LBB18_1894
; %bb.1889:
	s_cmp_gt_i32 s0, 3
	s_cbranch_scc0 .LBB18_1891
; %bb.1890:
	v_trunc_f32_e32 v1, v0
	s_mov_b32 s3, 0
	v_mul_f32_e64 v5, 0x2f800000, |v1|
	v_floor_f32_e32 v5, v5
	v_fma_f32 v9, 0xcf800000, v5, |v1|
	v_ashrrev_i32_e32 v1, 31, v1
	v_cvt_u32_f32_e32 v5, v5
	v_cvt_u32_f32_e32 v9, v9
	v_xor_b32_e32 v5, v5, v1
	v_xor_b32_e32 v9, v9, v1
	v_sub_co_u32 v9, vcc_lo, v9, v1
	v_sub_co_ci_u32_e64 v10, null, v5, v1, vcc_lo
	global_store_dwordx2 v[7:8], v[9:10], off
.LBB18_1891:
	s_andn2_b32 vcc_lo, exec_lo, s3
	s_cbranch_vccnz .LBB18_1893
; %bb.1892:
	v_cvt_i32_f32_e32 v1, v0
	global_store_dword v[7:8], v1, off
.LBB18_1893:
	s_mov_b32 s3, 0
.LBB18_1894:
	s_andn2_b32 vcc_lo, exec_lo, s3
	s_cbranch_vccnz .LBB18_1896
; %bb.1895:
	v_cvt_i32_f32_e32 v1, v0
	global_store_short v[7:8], v1, off
.LBB18_1896:
	s_mov_b32 s3, 0
.LBB18_1897:
	s_andn2_b32 vcc_lo, exec_lo, s3
	s_cbranch_vccnz .LBB18_1902
; %bb.1898:
	s_cmp_gt_i32 s0, 0
	s_mov_b32 s0, -1
	s_cbranch_scc0 .LBB18_1900
; %bb.1899:
	v_cvt_i32_f32_e32 v1, v0
	s_mov_b32 s0, 0
	global_store_byte v[7:8], v1, off
.LBB18_1900:
	s_andn2_b32 vcc_lo, exec_lo, s0
	s_cbranch_vccnz .LBB18_1902
; %bb.1901:
	v_trunc_f32_e32 v0, v0
	v_mul_f32_e64 v1, 0x2f800000, |v0|
	v_floor_f32_e32 v1, v1
	v_fma_f32 v1, 0xcf800000, v1, |v0|
	v_ashrrev_i32_e32 v0, 31, v0
	v_cvt_u32_f32_e32 v1, v1
	v_xor_b32_e32 v1, v1, v0
	v_sub_nc_u32_e32 v0, v1, v0
	global_store_byte v[7:8], v0, off
.LBB18_1902:
	s_mov_b32 s6, -1
.LBB18_1903:
	s_andn2_b32 vcc_lo, exec_lo, s6
	s_cbranch_vccnz .LBB18_2218
; %bb.1904:
	s_lshl_b32 s2, s2, 7
	s_cmp_lt_i32 s1, 11
	v_add_nc_u32_e32 v5, s2, v3
	v_ashrrev_i32_e32 v1, 31, v5
	v_add_co_u32 v0, vcc_lo, s8, v5
	v_add_co_ci_u32_e64 v1, null, s9, v1, vcc_lo
	s_cbranch_scc1 .LBB18_1982
; %bb.1905:
	s_and_b32 s3, 0xffff, s1
	s_mov_b32 s10, -1
	s_mov_b32 s4, 0
	s_cmp_gt_i32 s3, 25
	s_mov_b32 s6, 0
	s_mov_b32 s0, 0
	s_cbranch_scc0 .LBB18_1938
; %bb.1906:
	s_cmp_gt_i32 s3, 28
	s_cbranch_scc0 .LBB18_1921
; %bb.1907:
	s_cmp_gt_i32 s3, 43
	;; [unrolled: 3-line block ×3, first 2 shown]
	s_cbranch_scc0 .LBB18_1911
; %bb.1909:
	s_mov_b32 s0, -1
	s_mov_b32 s10, 0
	s_cmp_eq_u32 s3, 46
	s_cbranch_scc0 .LBB18_1911
; %bb.1910:
	v_bfe_u32 v3, v2, 16, 1
	v_cmp_o_f32_e32 vcc_lo, v2, v2
	v_mov_b32_e32 v7, 0x7fc0
	s_mov_b32 s0, 0
	s_mov_b32 s6, -1
	v_add3_u32 v3, v2, v3, 0x7fff
	v_cndmask_b32_sdwa v3, v7, v3, vcc_lo dst_sel:DWORD dst_unused:UNUSED_PAD src0_sel:DWORD src1_sel:WORD_1
	global_store_dword v[0:1], v3, off
.LBB18_1911:
	s_and_b32 vcc_lo, exec_lo, s10
	s_cbranch_vccz .LBB18_1916
; %bb.1912:
	s_cmp_eq_u32 s3, 44
	s_mov_b32 s0, -1
	s_cbranch_scc0 .LBB18_1916
; %bb.1913:
	v_bfe_u32 v7, v2, 23, 8
	v_mov_b32_e32 v3, 0xff
	s_mov_b32 s6, exec_lo
	v_cmpx_ne_u32_e32 0xff, v7
	s_cbranch_execz .LBB18_1915
; %bb.1914:
	v_and_b32_e32 v3, 0x400000, v2
	v_and_or_b32 v7, 0x3fffff, v2, v7
	v_cmp_ne_u32_e32 vcc_lo, 0, v3
	v_cmp_ne_u32_e64 s0, 0, v7
	v_lshrrev_b32_e32 v3, 23, v2
	s_and_b32 s0, vcc_lo, s0
	v_cndmask_b32_e64 v7, 0, 1, s0
	v_add_nc_u32_e32 v3, v3, v7
.LBB18_1915:
	s_or_b32 exec_lo, exec_lo, s6
	s_mov_b32 s0, 0
	s_mov_b32 s6, -1
	global_store_byte v[0:1], v3, off
.LBB18_1916:
	s_mov_b32 s10, 0
.LBB18_1917:
	s_and_b32 vcc_lo, exec_lo, s10
	s_cbranch_vccz .LBB18_1920
; %bb.1918:
	s_cmp_eq_u32 s3, 29
	s_mov_b32 s0, -1
	s_cbranch_scc0 .LBB18_1920
; %bb.1919:
	v_trunc_f32_e32 v3, v2
	s_mov_b32 s0, 0
	s_mov_b32 s6, -1
	v_mul_f32_e32 v7, 0x2f800000, v3
	v_floor_f32_e32 v7, v7
	v_fmamk_f32 v3, v7, 0xcf800000, v3
	v_cvt_u32_f32_e32 v8, v7
	v_cvt_u32_f32_e32 v7, v3
	global_store_dwordx2 v[0:1], v[7:8], off
.LBB18_1920:
	s_mov_b32 s10, 0
.LBB18_1921:
	s_and_b32 vcc_lo, exec_lo, s10
	s_cbranch_vccz .LBB18_1937
; %bb.1922:
	s_cmp_lt_i32 s3, 27
	s_mov_b32 s6, -1
	s_cbranch_scc1 .LBB18_1928
; %bb.1923:
	v_cvt_u32_f32_e32 v3, v2
	s_cmp_gt_i32 s3, 27
	s_cbranch_scc0 .LBB18_1925
; %bb.1924:
	s_mov_b32 s6, 0
	global_store_dword v[0:1], v3, off
.LBB18_1925:
	s_andn2_b32 vcc_lo, exec_lo, s6
	s_cbranch_vccnz .LBB18_1927
; %bb.1926:
	global_store_short v[0:1], v3, off
.LBB18_1927:
	s_mov_b32 s6, 0
.LBB18_1928:
	s_andn2_b32 vcc_lo, exec_lo, s6
	s_cbranch_vccnz .LBB18_1936
; %bb.1929:
	v_and_b32_e32 v3, 0x7fffffff, v2
	v_mov_b32_e32 v7, 0x80
	s_mov_b32 s6, exec_lo
	v_cmpx_gt_u32_e32 0x43800000, v3
	s_cbranch_execz .LBB18_1935
; %bb.1930:
	v_cmp_lt_u32_e32 vcc_lo, 0x3bffffff, v3
	s_mov_b32 s10, 0
                                        ; implicit-def: $vgpr3
	s_and_saveexec_b32 s11, vcc_lo
	s_xor_b32 s11, exec_lo, s11
	s_cbranch_execz .LBB18_2226
; %bb.1931:
	v_bfe_u32 v3, v2, 20, 1
	s_mov_b32 s10, exec_lo
	v_add3_u32 v3, v2, v3, 0x487ffff
	v_lshrrev_b32_e32 v3, 20, v3
	s_andn2_saveexec_b32 s11, s11
	s_cbranch_execnz .LBB18_2227
.LBB18_1932:
	s_or_b32 exec_lo, exec_lo, s11
	v_mov_b32_e32 v7, 0
	s_and_saveexec_b32 s11, s10
.LBB18_1933:
	v_lshrrev_b32_e32 v7, 24, v2
	v_and_or_b32 v7, 0x80, v7, v3
.LBB18_1934:
	s_or_b32 exec_lo, exec_lo, s11
.LBB18_1935:
	s_or_b32 exec_lo, exec_lo, s6
	global_store_byte v[0:1], v7, off
.LBB18_1936:
	s_mov_b32 s6, -1
.LBB18_1937:
	s_mov_b32 s10, 0
.LBB18_1938:
	s_and_b32 vcc_lo, exec_lo, s10
	s_cbranch_vccz .LBB18_1978
; %bb.1939:
	s_cmp_gt_i32 s3, 22
	s_mov_b32 s4, -1
	s_cbranch_scc0 .LBB18_1971
; %bb.1940:
	s_cmp_lt_i32 s3, 24
	s_cbranch_scc1 .LBB18_1960
; %bb.1941:
	s_cmp_gt_i32 s3, 24
	s_cbranch_scc0 .LBB18_1949
; %bb.1942:
	v_and_b32_e32 v3, 0x7fffffff, v2
	v_mov_b32_e32 v7, 0x80
	s_mov_b32 s4, exec_lo
	v_cmpx_gt_u32_e32 0x47800000, v3
	s_cbranch_execz .LBB18_1948
; %bb.1943:
	v_cmp_lt_u32_e32 vcc_lo, 0x37ffffff, v3
	s_mov_b32 s6, 0
                                        ; implicit-def: $vgpr3
	s_and_saveexec_b32 s10, vcc_lo
	s_xor_b32 s10, exec_lo, s10
	s_cbranch_execz .LBB18_2229
; %bb.1944:
	v_bfe_u32 v3, v2, 21, 1
	s_mov_b32 s6, exec_lo
	v_add3_u32 v3, v2, v3, 0x88fffff
	v_lshrrev_b32_e32 v3, 21, v3
	s_andn2_saveexec_b32 s10, s10
	s_cbranch_execnz .LBB18_2230
.LBB18_1945:
	s_or_b32 exec_lo, exec_lo, s10
	v_mov_b32_e32 v7, 0
	s_and_saveexec_b32 s10, s6
.LBB18_1946:
	v_lshrrev_b32_e32 v7, 24, v2
	v_and_or_b32 v7, 0x80, v7, v3
.LBB18_1947:
	s_or_b32 exec_lo, exec_lo, s10
.LBB18_1948:
	s_or_b32 exec_lo, exec_lo, s4
	s_mov_b32 s4, 0
	global_store_byte v[0:1], v7, off
.LBB18_1949:
	s_and_b32 vcc_lo, exec_lo, s4
	s_cbranch_vccz .LBB18_1959
; %bb.1950:
	v_and_b32_e32 v7, 0x7fffffff, v2
	s_mov_b32 s4, exec_lo
                                        ; implicit-def: $vgpr3
	v_cmpx_gt_u32_e32 0x43f00000, v7
	s_xor_b32 s4, exec_lo, s4
	s_cbranch_execz .LBB18_1956
; %bb.1951:
	s_mov_b32 s6, exec_lo
                                        ; implicit-def: $vgpr3
	v_cmpx_lt_u32_e32 0x3c7fffff, v7
	s_xor_b32 s6, exec_lo, s6
; %bb.1952:
	v_bfe_u32 v3, v2, 20, 1
	v_add3_u32 v3, v2, v3, 0x407ffff
	v_and_b32_e32 v7, 0xff00000, v3
	v_lshrrev_b32_e32 v3, 20, v3
	v_cmp_ne_u32_e32 vcc_lo, 0x7f00000, v7
	v_cndmask_b32_e32 v3, 0x7e, v3, vcc_lo
; %bb.1953:
	s_andn2_saveexec_b32 s6, s6
; %bb.1954:
	v_add_f32_e64 v3, 0x46800000, |v2|
; %bb.1955:
	s_or_b32 exec_lo, exec_lo, s6
                                        ; implicit-def: $vgpr7
.LBB18_1956:
	s_andn2_saveexec_b32 s4, s4
; %bb.1957:
	v_mov_b32_e32 v3, 0x7f
	v_cmp_lt_u32_e32 vcc_lo, 0x7f800000, v7
	v_cndmask_b32_e32 v3, 0x7e, v3, vcc_lo
; %bb.1958:
	s_or_b32 exec_lo, exec_lo, s4
	v_lshrrev_b32_e32 v7, 24, v2
	v_and_or_b32 v3, 0x80, v7, v3
	global_store_byte v[0:1], v3, off
.LBB18_1959:
	s_mov_b32 s4, 0
.LBB18_1960:
	s_andn2_b32 vcc_lo, exec_lo, s4
	s_cbranch_vccnz .LBB18_1970
; %bb.1961:
	v_and_b32_e32 v7, 0x7fffffff, v2
	s_mov_b32 s4, exec_lo
                                        ; implicit-def: $vgpr3
	v_cmpx_gt_u32_e32 0x47800000, v7
	s_xor_b32 s4, exec_lo, s4
	s_cbranch_execz .LBB18_1967
; %bb.1962:
	s_mov_b32 s6, exec_lo
                                        ; implicit-def: $vgpr3
	v_cmpx_lt_u32_e32 0x387fffff, v7
	s_xor_b32 s6, exec_lo, s6
; %bb.1963:
	v_bfe_u32 v3, v2, 21, 1
	v_add3_u32 v3, v2, v3, 0x80fffff
	v_lshrrev_b32_e32 v3, 21, v3
; %bb.1964:
	s_andn2_saveexec_b32 s6, s6
; %bb.1965:
	v_add_f32_e64 v3, 0x43000000, |v2|
; %bb.1966:
	s_or_b32 exec_lo, exec_lo, s6
                                        ; implicit-def: $vgpr7
.LBB18_1967:
	s_andn2_saveexec_b32 s4, s4
; %bb.1968:
	v_mov_b32_e32 v3, 0x7f
	v_cmp_lt_u32_e32 vcc_lo, 0x7f800000, v7
	v_cndmask_b32_e32 v3, 0x7c, v3, vcc_lo
; %bb.1969:
	s_or_b32 exec_lo, exec_lo, s4
	v_lshrrev_b32_e32 v7, 24, v2
	v_and_or_b32 v3, 0x80, v7, v3
	global_store_byte v[0:1], v3, off
.LBB18_1970:
	s_mov_b32 s4, 0
	s_mov_b32 s6, -1
.LBB18_1971:
	s_andn2_b32 vcc_lo, exec_lo, s4
	s_mov_b32 s4, 0
	s_cbranch_vccnz .LBB18_1978
; %bb.1972:
	s_cmp_gt_i32 s3, 14
	s_mov_b32 s4, -1
	s_cbranch_scc0 .LBB18_1976
; %bb.1973:
	s_cmp_eq_u32 s3, 15
	s_mov_b32 s0, -1
	s_cbranch_scc0 .LBB18_1975
; %bb.1974:
	v_bfe_u32 v3, v2, 16, 1
	v_cmp_o_f32_e32 vcc_lo, v2, v2
	v_mov_b32_e32 v7, 0x7fc0
	s_mov_b32 s0, 0
	s_mov_b32 s6, -1
	v_add3_u32 v3, v2, v3, 0x7fff
	v_cndmask_b32_sdwa v3, v7, v3, vcc_lo dst_sel:DWORD dst_unused:UNUSED_PAD src0_sel:DWORD src1_sel:WORD_1
	global_store_short v[0:1], v3, off
.LBB18_1975:
	s_mov_b32 s4, 0
.LBB18_1976:
	s_and_b32 vcc_lo, exec_lo, s4
	s_mov_b32 s4, 0
	s_cbranch_vccz .LBB18_1978
; %bb.1977:
	s_cmp_lg_u32 s3, 11
	s_mov_b32 s4, -1
	s_cselect_b32 s0, -1, 0
.LBB18_1978:
	s_and_b32 vcc_lo, exec_lo, s0
	s_cbranch_vccnz .LBB18_2228
; %bb.1979:
	s_andn2_b32 vcc_lo, exec_lo, s4
	s_cbranch_vccnz .LBB18_1981
.LBB18_1980:
	v_cmp_neq_f32_e32 vcc_lo, 0, v2
	s_mov_b32 s6, -1
	v_cndmask_b32_e64 v3, 0, 1, vcc_lo
	global_store_byte v[0:1], v3, off
.LBB18_1981:
	s_mov_b32 s0, 0
	s_branch .LBB18_1983
.LBB18_1982:
	s_mov_b32 s0, -1
	s_mov_b32 s6, 0
.LBB18_1983:
	s_and_b32 vcc_lo, exec_lo, s0
	s_cbranch_vccz .LBB18_2022
; %bb.1984:
	s_and_b32 s0, 0xffff, s1
	s_mov_b32 s3, -1
	s_cmp_lt_i32 s0, 5
	s_cbranch_scc1 .LBB18_2005
; %bb.1985:
	s_cmp_lt_i32 s0, 8
	s_cbranch_scc1 .LBB18_1995
; %bb.1986:
	s_cmp_lt_i32 s0, 9
	s_cbranch_scc1 .LBB18_1992
; %bb.1987:
	s_cmp_gt_i32 s0, 9
	s_cbranch_scc0 .LBB18_1989
; %bb.1988:
	v_cvt_f64_f32_e32 v[7:8], v2
	v_mov_b32_e32 v9, 0
	s_mov_b32 s3, 0
	v_mov_b32_e32 v10, v9
	global_store_dwordx4 v[0:1], v[7:10], off
.LBB18_1989:
	s_andn2_b32 vcc_lo, exec_lo, s3
	s_cbranch_vccnz .LBB18_1991
; %bb.1990:
	v_mov_b32_e32 v3, 0
	global_store_dwordx2 v[0:1], v[2:3], off
.LBB18_1991:
	s_mov_b32 s3, 0
.LBB18_1992:
	s_andn2_b32 vcc_lo, exec_lo, s3
	s_cbranch_vccnz .LBB18_1994
; %bb.1993:
	v_cvt_f16_f32_e32 v3, v2
	v_and_b32_e32 v3, 0xffff, v3
	global_store_dword v[0:1], v3, off
.LBB18_1994:
	s_mov_b32 s3, 0
.LBB18_1995:
	s_andn2_b32 vcc_lo, exec_lo, s3
	s_cbranch_vccnz .LBB18_2004
; %bb.1996:
	s_cmp_lt_i32 s0, 6
	s_mov_b32 s3, -1
	s_cbranch_scc1 .LBB18_2002
; %bb.1997:
	s_cmp_gt_i32 s0, 6
	s_cbranch_scc0 .LBB18_1999
; %bb.1998:
	v_cvt_f64_f32_e32 v[7:8], v2
	s_mov_b32 s3, 0
	global_store_dwordx2 v[0:1], v[7:8], off
.LBB18_1999:
	s_andn2_b32 vcc_lo, exec_lo, s3
	s_cbranch_vccnz .LBB18_2001
; %bb.2000:
	global_store_dword v[0:1], v2, off
.LBB18_2001:
	s_mov_b32 s3, 0
.LBB18_2002:
	s_andn2_b32 vcc_lo, exec_lo, s3
	s_cbranch_vccnz .LBB18_2004
; %bb.2003:
	v_cvt_f16_f32_e32 v3, v2
	global_store_short v[0:1], v3, off
.LBB18_2004:
	s_mov_b32 s3, 0
.LBB18_2005:
	s_andn2_b32 vcc_lo, exec_lo, s3
	s_cbranch_vccnz .LBB18_2021
; %bb.2006:
	s_cmp_lt_i32 s0, 2
	s_mov_b32 s3, -1
	s_cbranch_scc1 .LBB18_2016
; %bb.2007:
	s_cmp_lt_i32 s0, 3
	s_cbranch_scc1 .LBB18_2013
; %bb.2008:
	s_cmp_gt_i32 s0, 3
	s_cbranch_scc0 .LBB18_2010
; %bb.2009:
	v_trunc_f32_e32 v3, v2
	s_mov_b32 s3, 0
	v_mul_f32_e64 v7, 0x2f800000, |v3|
	v_floor_f32_e32 v7, v7
	v_fma_f32 v8, 0xcf800000, v7, |v3|
	v_ashrrev_i32_e32 v3, 31, v3
	v_cvt_u32_f32_e32 v7, v7
	v_cvt_u32_f32_e32 v8, v8
	v_xor_b32_e32 v9, v7, v3
	v_xor_b32_e32 v8, v8, v3
	v_sub_co_u32 v7, vcc_lo, v8, v3
	v_sub_co_ci_u32_e64 v8, null, v9, v3, vcc_lo
	global_store_dwordx2 v[0:1], v[7:8], off
.LBB18_2010:
	s_andn2_b32 vcc_lo, exec_lo, s3
	s_cbranch_vccnz .LBB18_2012
; %bb.2011:
	v_cvt_i32_f32_e32 v3, v2
	global_store_dword v[0:1], v3, off
.LBB18_2012:
	s_mov_b32 s3, 0
.LBB18_2013:
	s_andn2_b32 vcc_lo, exec_lo, s3
	s_cbranch_vccnz .LBB18_2015
; %bb.2014:
	v_cvt_i32_f32_e32 v3, v2
	global_store_short v[0:1], v3, off
.LBB18_2015:
	s_mov_b32 s3, 0
.LBB18_2016:
	s_andn2_b32 vcc_lo, exec_lo, s3
	s_cbranch_vccnz .LBB18_2021
; %bb.2017:
	s_cmp_gt_i32 s0, 0
	s_mov_b32 s0, -1
	s_cbranch_scc0 .LBB18_2019
; %bb.2018:
	v_cvt_i32_f32_e32 v3, v2
	s_mov_b32 s0, 0
	global_store_byte v[0:1], v3, off
.LBB18_2019:
	s_andn2_b32 vcc_lo, exec_lo, s0
	s_cbranch_vccnz .LBB18_2021
; %bb.2020:
	v_trunc_f32_e32 v2, v2
	v_mul_f32_e64 v3, 0x2f800000, |v2|
	v_floor_f32_e32 v3, v3
	v_fma_f32 v3, 0xcf800000, v3, |v2|
	v_ashrrev_i32_e32 v2, 31, v2
	v_cvt_u32_f32_e32 v3, v3
	v_xor_b32_e32 v3, v3, v2
	v_sub_nc_u32_e32 v2, v3, v2
	global_store_byte v[0:1], v2, off
.LBB18_2021:
	s_mov_b32 s6, -1
.LBB18_2022:
	s_andn2_b32 vcc_lo, exec_lo, s6
	s_cbranch_vccnz .LBB18_2218
; %bb.2023:
	v_add_nc_u32_e32 v2, s2, v5
	s_cmp_lt_i32 s1, 11
	v_ashrrev_i32_e32 v1, 31, v2
	v_add_co_u32 v0, vcc_lo, s8, v2
	v_add_co_ci_u32_e64 v1, null, s9, v1, vcc_lo
	s_cbranch_scc1 .LBB18_2101
; %bb.2024:
	s_and_b32 s3, 0xffff, s1
	s_mov_b32 s10, -1
	s_mov_b32 s4, 0
	s_cmp_gt_i32 s3, 25
	s_mov_b32 s6, 0
	s_mov_b32 s0, 0
	s_cbranch_scc0 .LBB18_2057
; %bb.2025:
	s_cmp_gt_i32 s3, 28
	s_cbranch_scc0 .LBB18_2040
; %bb.2026:
	s_cmp_gt_i32 s3, 43
	s_cbranch_scc0 .LBB18_2036
; %bb.2027:
	s_cmp_gt_i32 s3, 45
	s_cbranch_scc0 .LBB18_2030
; %bb.2028:
	s_mov_b32 s0, -1
	s_mov_b32 s10, 0
	s_cmp_eq_u32 s3, 46
	s_cbranch_scc0 .LBB18_2030
; %bb.2029:
	v_bfe_u32 v3, v4, 16, 1
	v_cmp_o_f32_e32 vcc_lo, v4, v4
	v_mov_b32_e32 v5, 0x7fc0
	s_mov_b32 s0, 0
	s_mov_b32 s6, -1
	v_add3_u32 v3, v4, v3, 0x7fff
	v_cndmask_b32_sdwa v3, v5, v3, vcc_lo dst_sel:DWORD dst_unused:UNUSED_PAD src0_sel:DWORD src1_sel:WORD_1
	global_store_dword v[0:1], v3, off
.LBB18_2030:
	s_and_b32 vcc_lo, exec_lo, s10
	s_cbranch_vccz .LBB18_2035
; %bb.2031:
	s_cmp_eq_u32 s3, 44
	s_mov_b32 s0, -1
	s_cbranch_scc0 .LBB18_2035
; %bb.2032:
	v_bfe_u32 v5, v4, 23, 8
	v_mov_b32_e32 v3, 0xff
	s_mov_b32 s6, exec_lo
	v_cmpx_ne_u32_e32 0xff, v5
	s_cbranch_execz .LBB18_2034
; %bb.2033:
	v_and_b32_e32 v3, 0x400000, v4
	v_and_or_b32 v5, 0x3fffff, v4, v5
	v_cmp_ne_u32_e32 vcc_lo, 0, v3
	v_cmp_ne_u32_e64 s0, 0, v5
	v_lshrrev_b32_e32 v3, 23, v4
	s_and_b32 s0, vcc_lo, s0
	v_cndmask_b32_e64 v5, 0, 1, s0
	v_add_nc_u32_e32 v3, v3, v5
.LBB18_2034:
	s_or_b32 exec_lo, exec_lo, s6
	s_mov_b32 s0, 0
	s_mov_b32 s6, -1
	global_store_byte v[0:1], v3, off
.LBB18_2035:
	s_mov_b32 s10, 0
.LBB18_2036:
	s_and_b32 vcc_lo, exec_lo, s10
	s_cbranch_vccz .LBB18_2039
; %bb.2037:
	s_cmp_eq_u32 s3, 29
	s_mov_b32 s0, -1
	s_cbranch_scc0 .LBB18_2039
; %bb.2038:
	v_trunc_f32_e32 v3, v4
	s_mov_b32 s0, 0
	s_mov_b32 s6, -1
	v_mul_f32_e32 v5, 0x2f800000, v3
	v_floor_f32_e32 v5, v5
	v_fmamk_f32 v3, v5, 0xcf800000, v3
	v_cvt_u32_f32_e32 v8, v5
	v_cvt_u32_f32_e32 v7, v3
	global_store_dwordx2 v[0:1], v[7:8], off
.LBB18_2039:
	s_mov_b32 s10, 0
.LBB18_2040:
	s_and_b32 vcc_lo, exec_lo, s10
	s_cbranch_vccz .LBB18_2056
; %bb.2041:
	s_cmp_lt_i32 s3, 27
	s_mov_b32 s6, -1
	s_cbranch_scc1 .LBB18_2047
; %bb.2042:
	v_cvt_u32_f32_e32 v3, v4
	s_cmp_gt_i32 s3, 27
	s_cbranch_scc0 .LBB18_2044
; %bb.2043:
	s_mov_b32 s6, 0
	global_store_dword v[0:1], v3, off
.LBB18_2044:
	s_andn2_b32 vcc_lo, exec_lo, s6
	s_cbranch_vccnz .LBB18_2046
; %bb.2045:
	global_store_short v[0:1], v3, off
.LBB18_2046:
	s_mov_b32 s6, 0
.LBB18_2047:
	s_andn2_b32 vcc_lo, exec_lo, s6
	s_cbranch_vccnz .LBB18_2055
; %bb.2048:
	v_and_b32_e32 v3, 0x7fffffff, v4
	v_mov_b32_e32 v5, 0x80
	s_mov_b32 s6, exec_lo
	v_cmpx_gt_u32_e32 0x43800000, v3
	s_cbranch_execz .LBB18_2054
; %bb.2049:
	v_cmp_lt_u32_e32 vcc_lo, 0x3bffffff, v3
	s_mov_b32 s10, 0
                                        ; implicit-def: $vgpr3
	s_and_saveexec_b32 s11, vcc_lo
	s_xor_b32 s11, exec_lo, s11
	s_cbranch_execz .LBB18_2231
; %bb.2050:
	v_bfe_u32 v3, v4, 20, 1
	s_mov_b32 s10, exec_lo
	v_add3_u32 v3, v4, v3, 0x487ffff
	v_lshrrev_b32_e32 v3, 20, v3
	s_andn2_saveexec_b32 s11, s11
	s_cbranch_execnz .LBB18_2232
.LBB18_2051:
	s_or_b32 exec_lo, exec_lo, s11
	v_mov_b32_e32 v5, 0
	s_and_saveexec_b32 s11, s10
.LBB18_2052:
	v_lshrrev_b32_e32 v5, 24, v4
	v_and_or_b32 v5, 0x80, v5, v3
.LBB18_2053:
	s_or_b32 exec_lo, exec_lo, s11
.LBB18_2054:
	s_or_b32 exec_lo, exec_lo, s6
	global_store_byte v[0:1], v5, off
.LBB18_2055:
	s_mov_b32 s6, -1
.LBB18_2056:
	s_mov_b32 s10, 0
.LBB18_2057:
	s_and_b32 vcc_lo, exec_lo, s10
	s_cbranch_vccz .LBB18_2097
; %bb.2058:
	s_cmp_gt_i32 s3, 22
	s_mov_b32 s4, -1
	s_cbranch_scc0 .LBB18_2090
; %bb.2059:
	s_cmp_lt_i32 s3, 24
	s_cbranch_scc1 .LBB18_2079
; %bb.2060:
	s_cmp_gt_i32 s3, 24
	s_cbranch_scc0 .LBB18_2068
; %bb.2061:
	v_and_b32_e32 v3, 0x7fffffff, v4
	v_mov_b32_e32 v5, 0x80
	s_mov_b32 s4, exec_lo
	v_cmpx_gt_u32_e32 0x47800000, v3
	s_cbranch_execz .LBB18_2067
; %bb.2062:
	v_cmp_lt_u32_e32 vcc_lo, 0x37ffffff, v3
	s_mov_b32 s6, 0
                                        ; implicit-def: $vgpr3
	s_and_saveexec_b32 s10, vcc_lo
	s_xor_b32 s10, exec_lo, s10
	s_cbranch_execz .LBB18_2234
; %bb.2063:
	v_bfe_u32 v3, v4, 21, 1
	s_mov_b32 s6, exec_lo
	v_add3_u32 v3, v4, v3, 0x88fffff
	v_lshrrev_b32_e32 v3, 21, v3
	s_andn2_saveexec_b32 s10, s10
	s_cbranch_execnz .LBB18_2235
.LBB18_2064:
	s_or_b32 exec_lo, exec_lo, s10
	v_mov_b32_e32 v5, 0
	s_and_saveexec_b32 s10, s6
.LBB18_2065:
	v_lshrrev_b32_e32 v5, 24, v4
	v_and_or_b32 v5, 0x80, v5, v3
.LBB18_2066:
	s_or_b32 exec_lo, exec_lo, s10
.LBB18_2067:
	s_or_b32 exec_lo, exec_lo, s4
	s_mov_b32 s4, 0
	global_store_byte v[0:1], v5, off
.LBB18_2068:
	s_and_b32 vcc_lo, exec_lo, s4
	s_cbranch_vccz .LBB18_2078
; %bb.2069:
	v_and_b32_e32 v5, 0x7fffffff, v4
	s_mov_b32 s4, exec_lo
                                        ; implicit-def: $vgpr3
	v_cmpx_gt_u32_e32 0x43f00000, v5
	s_xor_b32 s4, exec_lo, s4
	s_cbranch_execz .LBB18_2075
; %bb.2070:
	s_mov_b32 s6, exec_lo
                                        ; implicit-def: $vgpr3
	v_cmpx_lt_u32_e32 0x3c7fffff, v5
	s_xor_b32 s6, exec_lo, s6
; %bb.2071:
	v_bfe_u32 v3, v4, 20, 1
	v_add3_u32 v3, v4, v3, 0x407ffff
	v_and_b32_e32 v5, 0xff00000, v3
	v_lshrrev_b32_e32 v3, 20, v3
	v_cmp_ne_u32_e32 vcc_lo, 0x7f00000, v5
	v_cndmask_b32_e32 v3, 0x7e, v3, vcc_lo
; %bb.2072:
	s_andn2_saveexec_b32 s6, s6
; %bb.2073:
	v_add_f32_e64 v3, 0x46800000, |v4|
; %bb.2074:
	s_or_b32 exec_lo, exec_lo, s6
                                        ; implicit-def: $vgpr5
.LBB18_2075:
	s_andn2_saveexec_b32 s4, s4
; %bb.2076:
	v_mov_b32_e32 v3, 0x7f
	v_cmp_lt_u32_e32 vcc_lo, 0x7f800000, v5
	v_cndmask_b32_e32 v3, 0x7e, v3, vcc_lo
; %bb.2077:
	s_or_b32 exec_lo, exec_lo, s4
	v_lshrrev_b32_e32 v5, 24, v4
	v_and_or_b32 v3, 0x80, v5, v3
	global_store_byte v[0:1], v3, off
.LBB18_2078:
	s_mov_b32 s4, 0
.LBB18_2079:
	s_andn2_b32 vcc_lo, exec_lo, s4
	s_cbranch_vccnz .LBB18_2089
; %bb.2080:
	v_and_b32_e32 v5, 0x7fffffff, v4
	s_mov_b32 s4, exec_lo
                                        ; implicit-def: $vgpr3
	v_cmpx_gt_u32_e32 0x47800000, v5
	s_xor_b32 s4, exec_lo, s4
	s_cbranch_execz .LBB18_2086
; %bb.2081:
	s_mov_b32 s6, exec_lo
                                        ; implicit-def: $vgpr3
	v_cmpx_lt_u32_e32 0x387fffff, v5
	s_xor_b32 s6, exec_lo, s6
; %bb.2082:
	v_bfe_u32 v3, v4, 21, 1
	v_add3_u32 v3, v4, v3, 0x80fffff
	v_lshrrev_b32_e32 v3, 21, v3
; %bb.2083:
	s_andn2_saveexec_b32 s6, s6
; %bb.2084:
	v_add_f32_e64 v3, 0x43000000, |v4|
; %bb.2085:
	s_or_b32 exec_lo, exec_lo, s6
                                        ; implicit-def: $vgpr5
.LBB18_2086:
	s_andn2_saveexec_b32 s4, s4
; %bb.2087:
	v_mov_b32_e32 v3, 0x7f
	v_cmp_lt_u32_e32 vcc_lo, 0x7f800000, v5
	v_cndmask_b32_e32 v3, 0x7c, v3, vcc_lo
; %bb.2088:
	s_or_b32 exec_lo, exec_lo, s4
	v_lshrrev_b32_e32 v5, 24, v4
	v_and_or_b32 v3, 0x80, v5, v3
	global_store_byte v[0:1], v3, off
.LBB18_2089:
	s_mov_b32 s4, 0
	s_mov_b32 s6, -1
.LBB18_2090:
	s_andn2_b32 vcc_lo, exec_lo, s4
	s_mov_b32 s4, 0
	s_cbranch_vccnz .LBB18_2097
; %bb.2091:
	s_cmp_gt_i32 s3, 14
	s_mov_b32 s4, -1
	s_cbranch_scc0 .LBB18_2095
; %bb.2092:
	s_cmp_eq_u32 s3, 15
	s_mov_b32 s0, -1
	s_cbranch_scc0 .LBB18_2094
; %bb.2093:
	v_bfe_u32 v3, v4, 16, 1
	v_cmp_o_f32_e32 vcc_lo, v4, v4
	v_mov_b32_e32 v5, 0x7fc0
	s_mov_b32 s0, 0
	s_mov_b32 s6, -1
	v_add3_u32 v3, v4, v3, 0x7fff
	v_cndmask_b32_sdwa v3, v5, v3, vcc_lo dst_sel:DWORD dst_unused:UNUSED_PAD src0_sel:DWORD src1_sel:WORD_1
	global_store_short v[0:1], v3, off
.LBB18_2094:
	s_mov_b32 s4, 0
.LBB18_2095:
	s_and_b32 vcc_lo, exec_lo, s4
	s_mov_b32 s4, 0
	s_cbranch_vccz .LBB18_2097
; %bb.2096:
	s_cmp_lg_u32 s3, 11
	s_mov_b32 s4, -1
	s_cselect_b32 s0, -1, 0
.LBB18_2097:
	s_and_b32 vcc_lo, exec_lo, s0
	s_cbranch_vccnz .LBB18_2233
; %bb.2098:
	s_andn2_b32 vcc_lo, exec_lo, s4
	s_cbranch_vccnz .LBB18_2100
.LBB18_2099:
	v_cmp_neq_f32_e32 vcc_lo, 0, v4
	s_mov_b32 s6, -1
	v_cndmask_b32_e64 v3, 0, 1, vcc_lo
	global_store_byte v[0:1], v3, off
.LBB18_2100:
	s_mov_b32 s0, 0
	s_branch .LBB18_2102
.LBB18_2101:
	s_mov_b32 s0, -1
	s_mov_b32 s6, 0
.LBB18_2102:
	s_and_b32 vcc_lo, exec_lo, s0
	s_cbranch_vccz .LBB18_2141
; %bb.2103:
	s_and_b32 s0, 0xffff, s1
	s_mov_b32 s3, -1
	s_cmp_lt_i32 s0, 5
	s_cbranch_scc1 .LBB18_2124
; %bb.2104:
	s_cmp_lt_i32 s0, 8
	s_cbranch_scc1 .LBB18_2114
; %bb.2105:
	;; [unrolled: 3-line block ×3, first 2 shown]
	s_cmp_gt_i32 s0, 9
	s_cbranch_scc0 .LBB18_2108
; %bb.2107:
	v_cvt_f64_f32_e32 v[7:8], v4
	v_mov_b32_e32 v9, 0
	s_mov_b32 s3, 0
	v_mov_b32_e32 v10, v9
	global_store_dwordx4 v[0:1], v[7:10], off
.LBB18_2108:
	s_andn2_b32 vcc_lo, exec_lo, s3
	s_cbranch_vccnz .LBB18_2110
; %bb.2109:
	v_mov_b32_e32 v5, 0
	global_store_dwordx2 v[0:1], v[4:5], off
.LBB18_2110:
	s_mov_b32 s3, 0
.LBB18_2111:
	s_andn2_b32 vcc_lo, exec_lo, s3
	s_cbranch_vccnz .LBB18_2113
; %bb.2112:
	v_cvt_f16_f32_e32 v3, v4
	v_and_b32_e32 v3, 0xffff, v3
	global_store_dword v[0:1], v3, off
.LBB18_2113:
	s_mov_b32 s3, 0
.LBB18_2114:
	s_andn2_b32 vcc_lo, exec_lo, s3
	s_cbranch_vccnz .LBB18_2123
; %bb.2115:
	s_cmp_lt_i32 s0, 6
	s_mov_b32 s3, -1
	s_cbranch_scc1 .LBB18_2121
; %bb.2116:
	s_cmp_gt_i32 s0, 6
	s_cbranch_scc0 .LBB18_2118
; %bb.2117:
	v_cvt_f64_f32_e32 v[7:8], v4
	s_mov_b32 s3, 0
	global_store_dwordx2 v[0:1], v[7:8], off
.LBB18_2118:
	s_andn2_b32 vcc_lo, exec_lo, s3
	s_cbranch_vccnz .LBB18_2120
; %bb.2119:
	global_store_dword v[0:1], v4, off
.LBB18_2120:
	s_mov_b32 s3, 0
.LBB18_2121:
	s_andn2_b32 vcc_lo, exec_lo, s3
	s_cbranch_vccnz .LBB18_2123
; %bb.2122:
	v_cvt_f16_f32_e32 v3, v4
	global_store_short v[0:1], v3, off
.LBB18_2123:
	s_mov_b32 s3, 0
.LBB18_2124:
	s_andn2_b32 vcc_lo, exec_lo, s3
	s_cbranch_vccnz .LBB18_2140
; %bb.2125:
	s_cmp_lt_i32 s0, 2
	s_mov_b32 s3, -1
	s_cbranch_scc1 .LBB18_2135
; %bb.2126:
	s_cmp_lt_i32 s0, 3
	s_cbranch_scc1 .LBB18_2132
; %bb.2127:
	s_cmp_gt_i32 s0, 3
	s_cbranch_scc0 .LBB18_2129
; %bb.2128:
	v_trunc_f32_e32 v3, v4
	s_mov_b32 s3, 0
	v_mul_f32_e64 v5, 0x2f800000, |v3|
	v_floor_f32_e32 v5, v5
	v_fma_f32 v7, 0xcf800000, v5, |v3|
	v_ashrrev_i32_e32 v3, 31, v3
	v_cvt_u32_f32_e32 v5, v5
	v_cvt_u32_f32_e32 v7, v7
	v_xor_b32_e32 v5, v5, v3
	v_xor_b32_e32 v7, v7, v3
	v_sub_co_u32 v7, vcc_lo, v7, v3
	v_sub_co_ci_u32_e64 v8, null, v5, v3, vcc_lo
	global_store_dwordx2 v[0:1], v[7:8], off
.LBB18_2129:
	s_andn2_b32 vcc_lo, exec_lo, s3
	s_cbranch_vccnz .LBB18_2131
; %bb.2130:
	v_cvt_i32_f32_e32 v3, v4
	global_store_dword v[0:1], v3, off
.LBB18_2131:
	s_mov_b32 s3, 0
.LBB18_2132:
	s_andn2_b32 vcc_lo, exec_lo, s3
	s_cbranch_vccnz .LBB18_2134
; %bb.2133:
	v_cvt_i32_f32_e32 v3, v4
	global_store_short v[0:1], v3, off
.LBB18_2134:
	s_mov_b32 s3, 0
.LBB18_2135:
	s_andn2_b32 vcc_lo, exec_lo, s3
	s_cbranch_vccnz .LBB18_2140
; %bb.2136:
	s_cmp_gt_i32 s0, 0
	s_mov_b32 s0, -1
	s_cbranch_scc0 .LBB18_2138
; %bb.2137:
	v_cvt_i32_f32_e32 v3, v4
	s_mov_b32 s0, 0
	global_store_byte v[0:1], v3, off
.LBB18_2138:
	s_andn2_b32 vcc_lo, exec_lo, s0
	s_cbranch_vccnz .LBB18_2140
; %bb.2139:
	v_trunc_f32_e32 v3, v4
	v_mul_f32_e64 v4, 0x2f800000, |v3|
	v_floor_f32_e32 v4, v4
	v_fma_f32 v4, 0xcf800000, v4, |v3|
	v_ashrrev_i32_e32 v3, 31, v3
	v_cvt_u32_f32_e32 v4, v4
	v_xor_b32_e32 v4, v4, v3
	v_sub_nc_u32_e32 v3, v4, v3
	global_store_byte v[0:1], v3, off
.LBB18_2140:
	s_mov_b32 s6, -1
.LBB18_2141:
	s_andn2_b32 vcc_lo, exec_lo, s6
	s_cbranch_vccnz .LBB18_2218
; %bb.2142:
	v_add_nc_u32_e32 v0, s2, v2
	s_cmp_lt_i32 s1, 11
	v_ashrrev_i32_e32 v1, 31, v0
	v_add_co_u32 v0, vcc_lo, s8, v0
	v_add_co_ci_u32_e64 v1, null, s9, v1, vcc_lo
	s_cbranch_scc1 .LBB18_2219
; %bb.2143:
	s_and_b32 s2, 0xffff, s1
	s_mov_b32 s4, -1
	s_mov_b32 s3, 0
	s_cmp_gt_i32 s2, 25
	s_mov_b32 s0, 0
	s_cbranch_scc0 .LBB18_2176
; %bb.2144:
	s_cmp_gt_i32 s2, 28
	s_cbranch_scc0 .LBB18_2160
; %bb.2145:
	s_cmp_gt_i32 s2, 43
	;; [unrolled: 3-line block ×3, first 2 shown]
	s_cbranch_scc0 .LBB18_2150
; %bb.2147:
	s_cmp_eq_u32 s2, 46
	s_mov_b32 s0, -1
	s_cbranch_scc0 .LBB18_2149
; %bb.2148:
	v_bfe_u32 v2, v6, 16, 1
	v_cmp_o_f32_e32 vcc_lo, v6, v6
	v_mov_b32_e32 v3, 0x7fc0
	s_mov_b32 s0, 0
	v_add3_u32 v2, v6, v2, 0x7fff
	v_cndmask_b32_sdwa v2, v3, v2, vcc_lo dst_sel:DWORD dst_unused:UNUSED_PAD src0_sel:DWORD src1_sel:WORD_1
	global_store_dword v[0:1], v2, off
.LBB18_2149:
	s_mov_b32 s4, 0
.LBB18_2150:
	s_and_b32 vcc_lo, exec_lo, s4
	s_cbranch_vccz .LBB18_2155
; %bb.2151:
	s_cmp_eq_u32 s2, 44
	s_mov_b32 s0, -1
	s_cbranch_scc0 .LBB18_2155
; %bb.2152:
	v_bfe_u32 v3, v6, 23, 8
	v_mov_b32_e32 v2, 0xff
	s_mov_b32 s4, exec_lo
	v_cmpx_ne_u32_e32 0xff, v3
	s_cbranch_execz .LBB18_2154
; %bb.2153:
	v_and_b32_e32 v2, 0x400000, v6
	v_and_or_b32 v3, 0x3fffff, v6, v3
	v_cmp_ne_u32_e32 vcc_lo, 0, v2
	v_cmp_ne_u32_e64 s0, 0, v3
	v_lshrrev_b32_e32 v2, 23, v6
	s_and_b32 s0, vcc_lo, s0
	v_cndmask_b32_e64 v3, 0, 1, s0
	v_add_nc_u32_e32 v2, v2, v3
.LBB18_2154:
	s_or_b32 exec_lo, exec_lo, s4
	s_mov_b32 s0, 0
	global_store_byte v[0:1], v2, off
.LBB18_2155:
	s_mov_b32 s4, 0
.LBB18_2156:
	s_and_b32 vcc_lo, exec_lo, s4
	s_cbranch_vccz .LBB18_2159
; %bb.2157:
	s_cmp_eq_u32 s2, 29
	s_mov_b32 s0, -1
	s_cbranch_scc0 .LBB18_2159
; %bb.2158:
	v_trunc_f32_e32 v2, v6
	s_mov_b32 s0, 0
	v_mul_f32_e32 v3, 0x2f800000, v2
	v_floor_f32_e32 v3, v3
	v_fmamk_f32 v2, v3, 0xcf800000, v2
	v_cvt_u32_f32_e32 v3, v3
	v_cvt_u32_f32_e32 v2, v2
	global_store_dwordx2 v[0:1], v[2:3], off
.LBB18_2159:
	s_mov_b32 s4, 0
.LBB18_2160:
	s_and_b32 vcc_lo, exec_lo, s4
	s_cbranch_vccz .LBB18_2175
; %bb.2161:
	s_cmp_lt_i32 s2, 27
	s_mov_b32 s4, -1
	s_cbranch_scc1 .LBB18_2167
; %bb.2162:
	v_cvt_u32_f32_e32 v2, v6
	s_cmp_gt_i32 s2, 27
	s_cbranch_scc0 .LBB18_2164
; %bb.2163:
	s_mov_b32 s4, 0
	global_store_dword v[0:1], v2, off
.LBB18_2164:
	s_andn2_b32 vcc_lo, exec_lo, s4
	s_cbranch_vccnz .LBB18_2166
; %bb.2165:
	global_store_short v[0:1], v2, off
.LBB18_2166:
	s_mov_b32 s4, 0
.LBB18_2167:
	s_andn2_b32 vcc_lo, exec_lo, s4
	s_cbranch_vccnz .LBB18_2175
; %bb.2168:
	v_and_b32_e32 v2, 0x7fffffff, v6
	v_mov_b32_e32 v3, 0x80
	s_mov_b32 s4, exec_lo
	v_cmpx_gt_u32_e32 0x43800000, v2
	s_cbranch_execz .LBB18_2174
; %bb.2169:
	v_cmp_lt_u32_e32 vcc_lo, 0x3bffffff, v2
	s_mov_b32 s6, 0
                                        ; implicit-def: $vgpr2
	s_and_saveexec_b32 s8, vcc_lo
	s_xor_b32 s8, exec_lo, s8
	s_cbranch_execz .LBB18_2236
; %bb.2170:
	v_bfe_u32 v2, v6, 20, 1
	s_mov_b32 s6, exec_lo
	v_add3_u32 v2, v6, v2, 0x487ffff
	v_lshrrev_b32_e32 v2, 20, v2
	s_andn2_saveexec_b32 s8, s8
	s_cbranch_execnz .LBB18_2237
.LBB18_2171:
	s_or_b32 exec_lo, exec_lo, s8
	v_mov_b32_e32 v3, 0
	s_and_saveexec_b32 s8, s6
.LBB18_2172:
	v_lshrrev_b32_e32 v3, 24, v6
	v_and_or_b32 v3, 0x80, v3, v2
.LBB18_2173:
	s_or_b32 exec_lo, exec_lo, s8
.LBB18_2174:
	s_or_b32 exec_lo, exec_lo, s4
	global_store_byte v[0:1], v3, off
.LBB18_2175:
	s_mov_b32 s4, 0
.LBB18_2176:
	s_and_b32 vcc_lo, exec_lo, s4
	s_cbranch_vccz .LBB18_2216
; %bb.2177:
	s_cmp_gt_i32 s2, 22
	s_mov_b32 s3, -1
	s_cbranch_scc0 .LBB18_2209
; %bb.2178:
	s_cmp_lt_i32 s2, 24
	s_cbranch_scc1 .LBB18_2198
; %bb.2179:
	s_cmp_gt_i32 s2, 24
	s_cbranch_scc0 .LBB18_2187
; %bb.2180:
	v_and_b32_e32 v2, 0x7fffffff, v6
	v_mov_b32_e32 v3, 0x80
	s_mov_b32 s3, exec_lo
	v_cmpx_gt_u32_e32 0x47800000, v2
	s_cbranch_execz .LBB18_2186
; %bb.2181:
	v_cmp_lt_u32_e32 vcc_lo, 0x37ffffff, v2
	s_mov_b32 s4, 0
                                        ; implicit-def: $vgpr2
	s_and_saveexec_b32 s6, vcc_lo
	s_xor_b32 s6, exec_lo, s6
	s_cbranch_execz .LBB18_2239
; %bb.2182:
	v_bfe_u32 v2, v6, 21, 1
	s_mov_b32 s4, exec_lo
	v_add3_u32 v2, v6, v2, 0x88fffff
	v_lshrrev_b32_e32 v2, 21, v2
	s_andn2_saveexec_b32 s6, s6
	s_cbranch_execnz .LBB18_2240
.LBB18_2183:
	s_or_b32 exec_lo, exec_lo, s6
	v_mov_b32_e32 v3, 0
	s_and_saveexec_b32 s6, s4
.LBB18_2184:
	v_lshrrev_b32_e32 v3, 24, v6
	v_and_or_b32 v3, 0x80, v3, v2
.LBB18_2185:
	s_or_b32 exec_lo, exec_lo, s6
.LBB18_2186:
	s_or_b32 exec_lo, exec_lo, s3
	s_mov_b32 s3, 0
	global_store_byte v[0:1], v3, off
.LBB18_2187:
	s_and_b32 vcc_lo, exec_lo, s3
	s_cbranch_vccz .LBB18_2197
; %bb.2188:
	v_and_b32_e32 v3, 0x7fffffff, v6
	s_mov_b32 s3, exec_lo
                                        ; implicit-def: $vgpr2
	v_cmpx_gt_u32_e32 0x43f00000, v3
	s_xor_b32 s3, exec_lo, s3
	s_cbranch_execz .LBB18_2194
; %bb.2189:
	s_mov_b32 s4, exec_lo
                                        ; implicit-def: $vgpr2
	v_cmpx_lt_u32_e32 0x3c7fffff, v3
	s_xor_b32 s4, exec_lo, s4
; %bb.2190:
	v_bfe_u32 v2, v6, 20, 1
	v_add3_u32 v2, v6, v2, 0x407ffff
	v_and_b32_e32 v3, 0xff00000, v2
	v_lshrrev_b32_e32 v2, 20, v2
	v_cmp_ne_u32_e32 vcc_lo, 0x7f00000, v3
	v_cndmask_b32_e32 v2, 0x7e, v2, vcc_lo
; %bb.2191:
	s_andn2_saveexec_b32 s4, s4
; %bb.2192:
	v_add_f32_e64 v2, 0x46800000, |v6|
; %bb.2193:
	s_or_b32 exec_lo, exec_lo, s4
                                        ; implicit-def: $vgpr3
.LBB18_2194:
	s_andn2_saveexec_b32 s3, s3
; %bb.2195:
	v_mov_b32_e32 v2, 0x7f
	v_cmp_lt_u32_e32 vcc_lo, 0x7f800000, v3
	v_cndmask_b32_e32 v2, 0x7e, v2, vcc_lo
; %bb.2196:
	s_or_b32 exec_lo, exec_lo, s3
	v_lshrrev_b32_e32 v3, 24, v6
	v_and_or_b32 v2, 0x80, v3, v2
	global_store_byte v[0:1], v2, off
.LBB18_2197:
	s_mov_b32 s3, 0
.LBB18_2198:
	s_andn2_b32 vcc_lo, exec_lo, s3
	s_cbranch_vccnz .LBB18_2208
; %bb.2199:
	v_and_b32_e32 v3, 0x7fffffff, v6
	s_mov_b32 s3, exec_lo
                                        ; implicit-def: $vgpr2
	v_cmpx_gt_u32_e32 0x47800000, v3
	s_xor_b32 s3, exec_lo, s3
	s_cbranch_execz .LBB18_2205
; %bb.2200:
	s_mov_b32 s4, exec_lo
                                        ; implicit-def: $vgpr2
	v_cmpx_lt_u32_e32 0x387fffff, v3
	s_xor_b32 s4, exec_lo, s4
; %bb.2201:
	v_bfe_u32 v2, v6, 21, 1
	v_add3_u32 v2, v6, v2, 0x80fffff
	v_lshrrev_b32_e32 v2, 21, v2
; %bb.2202:
	s_andn2_saveexec_b32 s4, s4
; %bb.2203:
	v_add_f32_e64 v2, 0x43000000, |v6|
; %bb.2204:
	s_or_b32 exec_lo, exec_lo, s4
                                        ; implicit-def: $vgpr3
.LBB18_2205:
	s_andn2_saveexec_b32 s3, s3
; %bb.2206:
	v_mov_b32_e32 v2, 0x7f
	v_cmp_lt_u32_e32 vcc_lo, 0x7f800000, v3
	v_cndmask_b32_e32 v2, 0x7c, v2, vcc_lo
; %bb.2207:
	s_or_b32 exec_lo, exec_lo, s3
	v_lshrrev_b32_e32 v3, 24, v6
	v_and_or_b32 v2, 0x80, v3, v2
	global_store_byte v[0:1], v2, off
.LBB18_2208:
	s_mov_b32 s3, 0
.LBB18_2209:
	s_andn2_b32 vcc_lo, exec_lo, s3
	s_mov_b32 s3, 0
	s_cbranch_vccnz .LBB18_2216
; %bb.2210:
	s_cmp_gt_i32 s2, 14
	s_mov_b32 s3, -1
	s_cbranch_scc0 .LBB18_2214
; %bb.2211:
	s_cmp_eq_u32 s2, 15
	s_mov_b32 s0, -1
	s_cbranch_scc0 .LBB18_2213
; %bb.2212:
	v_bfe_u32 v2, v6, 16, 1
	v_cmp_o_f32_e32 vcc_lo, v6, v6
	v_mov_b32_e32 v3, 0x7fc0
	s_mov_b32 s0, 0
	v_add3_u32 v2, v6, v2, 0x7fff
	v_cndmask_b32_sdwa v2, v3, v2, vcc_lo dst_sel:DWORD dst_unused:UNUSED_PAD src0_sel:DWORD src1_sel:WORD_1
	global_store_short v[0:1], v2, off
.LBB18_2213:
	s_mov_b32 s3, 0
.LBB18_2214:
	s_and_b32 vcc_lo, exec_lo, s3
	s_mov_b32 s3, 0
	s_cbranch_vccz .LBB18_2216
; %bb.2215:
	s_cmp_lg_u32 s2, 11
	s_mov_b32 s3, -1
	s_cselect_b32 s0, -1, 0
.LBB18_2216:
	s_and_b32 vcc_lo, exec_lo, s0
	s_cbranch_vccnz .LBB18_2238
.LBB18_2217:
	s_mov_b32 s0, 0
	s_branch .LBB18_1819
.LBB18_2218:
	s_mov_b32 s0, 0
	s_mov_b32 s3, 0
                                        ; implicit-def: $sgpr1
                                        ; implicit-def: $vgpr0_vgpr1
	s_branch .LBB18_1819
.LBB18_2219:
	s_mov_b32 s3, 0
	s_mov_b32 s0, -1
	s_branch .LBB18_1819
.LBB18_2220:
	s_or_b32 s5, s5, exec_lo
	s_trap 2
	s_cbranch_execz .LBB18_1664
	s_branch .LBB18_1665
.LBB18_2221:
	s_andn2_saveexec_b32 s11, s11
	s_cbranch_execz .LBB18_1768
.LBB18_2222:
	v_add_f32_e64 v1, 0x46000000, |v0|
	s_andn2_b32 s10, s10, exec_lo
	v_and_b32_e32 v1, 0xff, v1
	v_cmp_ne_u32_e32 vcc_lo, 0, v1
	s_and_b32 s13, vcc_lo, exec_lo
	s_or_b32 s10, s10, s13
	s_or_b32 exec_lo, exec_lo, s11
	v_mov_b32_e32 v5, 0
	s_and_saveexec_b32 s11, s10
	s_cbranch_execnz .LBB18_1769
	s_branch .LBB18_1770
.LBB18_2223:
	s_or_b32 s5, s5, exec_lo
	s_trap 2
	s_cbranch_execz .LBB18_1816
	s_branch .LBB18_1817
.LBB18_2224:
	s_andn2_saveexec_b32 s10, s10
	s_cbranch_execz .LBB18_1781
.LBB18_2225:
	v_add_f32_e64 v1, 0x42800000, |v0|
	s_andn2_b32 s6, s6, exec_lo
	v_and_b32_e32 v1, 0xff, v1
	v_cmp_ne_u32_e32 vcc_lo, 0, v1
	s_and_b32 s11, vcc_lo, exec_lo
	s_or_b32 s6, s6, s11
	s_or_b32 exec_lo, exec_lo, s10
	v_mov_b32_e32 v5, 0
	s_and_saveexec_b32 s10, s6
	s_cbranch_execnz .LBB18_1782
	s_branch .LBB18_1783
.LBB18_2226:
	s_andn2_saveexec_b32 s11, s11
	s_cbranch_execz .LBB18_1932
.LBB18_2227:
	v_add_f32_e64 v3, 0x46000000, |v2|
	s_andn2_b32 s10, s10, exec_lo
	v_and_b32_e32 v3, 0xff, v3
	v_cmp_ne_u32_e32 vcc_lo, 0, v3
	s_and_b32 s13, vcc_lo, exec_lo
	s_or_b32 s10, s10, s13
	s_or_b32 exec_lo, exec_lo, s11
	v_mov_b32_e32 v7, 0
	s_and_saveexec_b32 s11, s10
	s_cbranch_execnz .LBB18_1933
	s_branch .LBB18_1934
.LBB18_2228:
	s_or_b32 s5, s5, exec_lo
	s_trap 2
	s_cbranch_execz .LBB18_1980
	s_branch .LBB18_1981
.LBB18_2229:
	s_andn2_saveexec_b32 s10, s10
	s_cbranch_execz .LBB18_1945
.LBB18_2230:
	v_add_f32_e64 v3, 0x42800000, |v2|
	s_andn2_b32 s6, s6, exec_lo
	v_and_b32_e32 v3, 0xff, v3
	v_cmp_ne_u32_e32 vcc_lo, 0, v3
	s_and_b32 s11, vcc_lo, exec_lo
	s_or_b32 s6, s6, s11
	s_or_b32 exec_lo, exec_lo, s10
	v_mov_b32_e32 v7, 0
	s_and_saveexec_b32 s10, s6
	s_cbranch_execnz .LBB18_1946
	s_branch .LBB18_1947
.LBB18_2231:
	s_andn2_saveexec_b32 s11, s11
	s_cbranch_execz .LBB18_2051
.LBB18_2232:
	v_add_f32_e64 v3, 0x46000000, |v4|
	s_andn2_b32 s10, s10, exec_lo
	v_and_b32_e32 v3, 0xff, v3
	v_cmp_ne_u32_e32 vcc_lo, 0, v3
	s_and_b32 s13, vcc_lo, exec_lo
	s_or_b32 s10, s10, s13
	s_or_b32 exec_lo, exec_lo, s11
	v_mov_b32_e32 v5, 0
	s_and_saveexec_b32 s11, s10
	s_cbranch_execnz .LBB18_2052
	s_branch .LBB18_2053
.LBB18_2233:
	s_or_b32 s5, s5, exec_lo
	s_trap 2
	s_cbranch_execz .LBB18_2099
	s_branch .LBB18_2100
.LBB18_2234:
	s_andn2_saveexec_b32 s10, s10
	s_cbranch_execz .LBB18_2064
.LBB18_2235:
	v_add_f32_e64 v3, 0x42800000, |v4|
	s_andn2_b32 s6, s6, exec_lo
	v_and_b32_e32 v3, 0xff, v3
	v_cmp_ne_u32_e32 vcc_lo, 0, v3
	s_and_b32 s11, vcc_lo, exec_lo
	s_or_b32 s6, s6, s11
	s_or_b32 exec_lo, exec_lo, s10
	v_mov_b32_e32 v5, 0
	s_and_saveexec_b32 s10, s6
	s_cbranch_execnz .LBB18_2065
	s_branch .LBB18_2066
.LBB18_2236:
	s_andn2_saveexec_b32 s8, s8
	s_cbranch_execz .LBB18_2171
.LBB18_2237:
	v_add_f32_e64 v2, 0x46000000, |v6|
	s_andn2_b32 s6, s6, exec_lo
	v_and_b32_e32 v2, 0xff, v2
	v_cmp_ne_u32_e32 vcc_lo, 0, v2
	s_and_b32 s9, vcc_lo, exec_lo
	s_or_b32 s6, s6, s9
	s_or_b32 exec_lo, exec_lo, s8
	v_mov_b32_e32 v3, 0
	s_and_saveexec_b32 s8, s6
	s_cbranch_execnz .LBB18_2172
	s_branch .LBB18_2173
.LBB18_2238:
	s_mov_b32 s3, 0
	s_or_b32 s5, s5, exec_lo
	s_trap 2
	s_branch .LBB18_2217
.LBB18_2239:
	s_andn2_saveexec_b32 s6, s6
	s_cbranch_execz .LBB18_2183
.LBB18_2240:
	v_add_f32_e64 v2, 0x42800000, |v6|
	s_andn2_b32 s4, s4, exec_lo
	v_and_b32_e32 v2, 0xff, v2
	v_cmp_ne_u32_e32 vcc_lo, 0, v2
	s_and_b32 s8, vcc_lo, exec_lo
	s_or_b32 s4, s4, s8
	s_or_b32 exec_lo, exec_lo, s6
	v_mov_b32_e32 v3, 0
	s_and_saveexec_b32 s6, s4
	s_cbranch_execnz .LBB18_2184
	s_branch .LBB18_2185
	.section	.rodata,"a",@progbits
	.p2align	6, 0x0
	.amdhsa_kernel _ZN2at6native32elementwise_kernel_manual_unrollILi128ELi4EZNS0_15gpu_kernel_implIZZZNS0_19digamma_kernel_cudaERNS_18TensorIteratorBaseEENKUlvE_clEvENKUlvE0_clEvEUlfE_EEvS4_RKT_EUlibE_EEviT1_
		.amdhsa_group_segment_fixed_size 0
		.amdhsa_private_segment_fixed_size 0
		.amdhsa_kernarg_size 40
		.amdhsa_user_sgpr_count 6
		.amdhsa_user_sgpr_private_segment_buffer 1
		.amdhsa_user_sgpr_dispatch_ptr 0
		.amdhsa_user_sgpr_queue_ptr 0
		.amdhsa_user_sgpr_kernarg_segment_ptr 1
		.amdhsa_user_sgpr_dispatch_id 0
		.amdhsa_user_sgpr_flat_scratch_init 0
		.amdhsa_user_sgpr_private_segment_size 0
		.amdhsa_wavefront_size32 1
		.amdhsa_uses_dynamic_stack 0
		.amdhsa_system_sgpr_private_segment_wavefront_offset 0
		.amdhsa_system_sgpr_workgroup_id_x 1
		.amdhsa_system_sgpr_workgroup_id_y 0
		.amdhsa_system_sgpr_workgroup_id_z 0
		.amdhsa_system_sgpr_workgroup_info 0
		.amdhsa_system_vgpr_workitem_id 0
		.amdhsa_next_free_vgpr 39
		.amdhsa_next_free_sgpr 28
		.amdhsa_reserve_vcc 1
		.amdhsa_reserve_flat_scratch 0
		.amdhsa_float_round_mode_32 0
		.amdhsa_float_round_mode_16_64 0
		.amdhsa_float_denorm_mode_32 3
		.amdhsa_float_denorm_mode_16_64 3
		.amdhsa_dx10_clamp 1
		.amdhsa_ieee_mode 1
		.amdhsa_fp16_overflow 0
		.amdhsa_workgroup_processor_mode 1
		.amdhsa_memory_ordered 1
		.amdhsa_forward_progress 1
		.amdhsa_shared_vgpr_count 0
		.amdhsa_exception_fp_ieee_invalid_op 0
		.amdhsa_exception_fp_denorm_src 0
		.amdhsa_exception_fp_ieee_div_zero 0
		.amdhsa_exception_fp_ieee_overflow 0
		.amdhsa_exception_fp_ieee_underflow 0
		.amdhsa_exception_fp_ieee_inexact 0
		.amdhsa_exception_int_div_zero 0
	.end_amdhsa_kernel
	.section	.text._ZN2at6native32elementwise_kernel_manual_unrollILi128ELi4EZNS0_15gpu_kernel_implIZZZNS0_19digamma_kernel_cudaERNS_18TensorIteratorBaseEENKUlvE_clEvENKUlvE0_clEvEUlfE_EEvS4_RKT_EUlibE_EEviT1_,"axG",@progbits,_ZN2at6native32elementwise_kernel_manual_unrollILi128ELi4EZNS0_15gpu_kernel_implIZZZNS0_19digamma_kernel_cudaERNS_18TensorIteratorBaseEENKUlvE_clEvENKUlvE0_clEvEUlfE_EEvS4_RKT_EUlibE_EEviT1_,comdat
.Lfunc_end18:
	.size	_ZN2at6native32elementwise_kernel_manual_unrollILi128ELi4EZNS0_15gpu_kernel_implIZZZNS0_19digamma_kernel_cudaERNS_18TensorIteratorBaseEENKUlvE_clEvENKUlvE0_clEvEUlfE_EEvS4_RKT_EUlibE_EEviT1_, .Lfunc_end18-_ZN2at6native32elementwise_kernel_manual_unrollILi128ELi4EZNS0_15gpu_kernel_implIZZZNS0_19digamma_kernel_cudaERNS_18TensorIteratorBaseEENKUlvE_clEvENKUlvE0_clEvEUlfE_EEvS4_RKT_EUlibE_EEviT1_
                                        ; -- End function
	.set _ZN2at6native32elementwise_kernel_manual_unrollILi128ELi4EZNS0_15gpu_kernel_implIZZZNS0_19digamma_kernel_cudaERNS_18TensorIteratorBaseEENKUlvE_clEvENKUlvE0_clEvEUlfE_EEvS4_RKT_EUlibE_EEviT1_.num_vgpr, 39
	.set _ZN2at6native32elementwise_kernel_manual_unrollILi128ELi4EZNS0_15gpu_kernel_implIZZZNS0_19digamma_kernel_cudaERNS_18TensorIteratorBaseEENKUlvE_clEvENKUlvE0_clEvEUlfE_EEvS4_RKT_EUlibE_EEviT1_.num_agpr, 0
	.set _ZN2at6native32elementwise_kernel_manual_unrollILi128ELi4EZNS0_15gpu_kernel_implIZZZNS0_19digamma_kernel_cudaERNS_18TensorIteratorBaseEENKUlvE_clEvENKUlvE0_clEvEUlfE_EEvS4_RKT_EUlibE_EEviT1_.numbered_sgpr, 28
	.set _ZN2at6native32elementwise_kernel_manual_unrollILi128ELi4EZNS0_15gpu_kernel_implIZZZNS0_19digamma_kernel_cudaERNS_18TensorIteratorBaseEENKUlvE_clEvENKUlvE0_clEvEUlfE_EEvS4_RKT_EUlibE_EEviT1_.num_named_barrier, 0
	.set _ZN2at6native32elementwise_kernel_manual_unrollILi128ELi4EZNS0_15gpu_kernel_implIZZZNS0_19digamma_kernel_cudaERNS_18TensorIteratorBaseEENKUlvE_clEvENKUlvE0_clEvEUlfE_EEvS4_RKT_EUlibE_EEviT1_.private_seg_size, 0
	.set _ZN2at6native32elementwise_kernel_manual_unrollILi128ELi4EZNS0_15gpu_kernel_implIZZZNS0_19digamma_kernel_cudaERNS_18TensorIteratorBaseEENKUlvE_clEvENKUlvE0_clEvEUlfE_EEvS4_RKT_EUlibE_EEviT1_.uses_vcc, 1
	.set _ZN2at6native32elementwise_kernel_manual_unrollILi128ELi4EZNS0_15gpu_kernel_implIZZZNS0_19digamma_kernel_cudaERNS_18TensorIteratorBaseEENKUlvE_clEvENKUlvE0_clEvEUlfE_EEvS4_RKT_EUlibE_EEviT1_.uses_flat_scratch, 0
	.set _ZN2at6native32elementwise_kernel_manual_unrollILi128ELi4EZNS0_15gpu_kernel_implIZZZNS0_19digamma_kernel_cudaERNS_18TensorIteratorBaseEENKUlvE_clEvENKUlvE0_clEvEUlfE_EEvS4_RKT_EUlibE_EEviT1_.has_dyn_sized_stack, 0
	.set _ZN2at6native32elementwise_kernel_manual_unrollILi128ELi4EZNS0_15gpu_kernel_implIZZZNS0_19digamma_kernel_cudaERNS_18TensorIteratorBaseEENKUlvE_clEvENKUlvE0_clEvEUlfE_EEvS4_RKT_EUlibE_EEviT1_.has_recursion, 0
	.set _ZN2at6native32elementwise_kernel_manual_unrollILi128ELi4EZNS0_15gpu_kernel_implIZZZNS0_19digamma_kernel_cudaERNS_18TensorIteratorBaseEENKUlvE_clEvENKUlvE0_clEvEUlfE_EEvS4_RKT_EUlibE_EEviT1_.has_indirect_call, 0
	.section	.AMDGPU.csdata,"",@progbits
; Kernel info:
; codeLenInByte = 50212
; TotalNumSgprs: 30
; NumVgprs: 39
; ScratchSize: 0
; MemoryBound: 1
; FloatMode: 240
; IeeeMode: 1
; LDSByteSize: 0 bytes/workgroup (compile time only)
; SGPRBlocks: 0
; VGPRBlocks: 4
; NumSGPRsForWavesPerEU: 30
; NumVGPRsForWavesPerEU: 39
; Occupancy: 16
; WaveLimiterHint : 0
; COMPUTE_PGM_RSRC2:SCRATCH_EN: 0
; COMPUTE_PGM_RSRC2:USER_SGPR: 6
; COMPUTE_PGM_RSRC2:TRAP_HANDLER: 0
; COMPUTE_PGM_RSRC2:TGID_X_EN: 1
; COMPUTE_PGM_RSRC2:TGID_Y_EN: 0
; COMPUTE_PGM_RSRC2:TGID_Z_EN: 0
; COMPUTE_PGM_RSRC2:TIDIG_COMP_CNT: 0
	.section	.text._ZN2at6native32elementwise_kernel_manual_unrollILi128ELi4EZNS0_15gpu_kernel_implIZZZNS0_19digamma_kernel_cudaERNS_18TensorIteratorBaseEENKUlvE_clEvENKUlvE0_clEvEUlfE_EEvS4_RKT_EUlibE0_EEviT1_,"axG",@progbits,_ZN2at6native32elementwise_kernel_manual_unrollILi128ELi4EZNS0_15gpu_kernel_implIZZZNS0_19digamma_kernel_cudaERNS_18TensorIteratorBaseEENKUlvE_clEvENKUlvE0_clEvEUlfE_EEvS4_RKT_EUlibE0_EEviT1_,comdat
	.globl	_ZN2at6native32elementwise_kernel_manual_unrollILi128ELi4EZNS0_15gpu_kernel_implIZZZNS0_19digamma_kernel_cudaERNS_18TensorIteratorBaseEENKUlvE_clEvENKUlvE0_clEvEUlfE_EEvS4_RKT_EUlibE0_EEviT1_ ; -- Begin function _ZN2at6native32elementwise_kernel_manual_unrollILi128ELi4EZNS0_15gpu_kernel_implIZZZNS0_19digamma_kernel_cudaERNS_18TensorIteratorBaseEENKUlvE_clEvENKUlvE0_clEvEUlfE_EEvS4_RKT_EUlibE0_EEviT1_
	.p2align	8
	.type	_ZN2at6native32elementwise_kernel_manual_unrollILi128ELi4EZNS0_15gpu_kernel_implIZZZNS0_19digamma_kernel_cudaERNS_18TensorIteratorBaseEENKUlvE_clEvENKUlvE0_clEvEUlfE_EEvS4_RKT_EUlibE0_EEviT1_,@function
_ZN2at6native32elementwise_kernel_manual_unrollILi128ELi4EZNS0_15gpu_kernel_implIZZZNS0_19digamma_kernel_cudaERNS_18TensorIteratorBaseEENKUlvE_clEvENKUlvE0_clEvEUlfE_EEvS4_RKT_EUlibE0_EEviT1_: ; @_ZN2at6native32elementwise_kernel_manual_unrollILi128ELi4EZNS0_15gpu_kernel_implIZZZNS0_19digamma_kernel_cudaERNS_18TensorIteratorBaseEENKUlvE_clEvENKUlvE0_clEvEUlfE_EEvS4_RKT_EUlibE0_EEviT1_
; %bb.0:
	s_clause 0x1
	s_load_dword s24, s[4:5], 0x8
	s_load_dword s33, s[4:5], 0x0
	v_lshl_or_b32 v8, s6, 9, v0
	s_add_u32 s2, s4, 8
	s_addc_u32 s3, s5, 0
	s_mov_b32 s1, -1
	s_mov_b32 s26, 0
	v_or_b32_e32 v15, 0x180, v8
	s_mov_b32 s12, 0
	s_mov_b32 s0, exec_lo
	s_waitcnt lgkmcnt(0)
	s_add_i32 s25, s24, -1
	s_cmp_gt_u32 s25, 1
	s_cselect_b32 s27, -1, 0
	v_cmpx_le_i32_e64 s33, v15
	s_xor_b32 s28, exec_lo, s0
	s_cbranch_execz .LBB19_1185
; %bb.1:
	v_mov_b32_e32 v0, 0
	s_clause 0x3
	s_load_dwordx4 s[16:19], s[2:3], 0x4
	s_load_dwordx2 s[6:7], s[2:3], 0x14
	s_load_dwordx4 s[12:15], s[2:3], 0xc4
	s_load_dwordx4 s[8:11], s[2:3], 0x148
	s_cmp_lg_u32 s24, 0
	s_mov_b32 s39, 0
	s_cselect_b32 s34, -1, 0
	global_load_ushort v0, v0, s[2:3] offset:345
	s_add_u32 s20, s2, 0xc4
	s_addc_u32 s21, s3, 0
	s_min_u32 s35, s25, 15
	s_cmp_gt_u32 s24, 1
	s_mov_b32 s37, 0
	s_cselect_b32 s31, -1, 0
	s_mov_b32 s36, 0
	s_mov_b32 s38, exec_lo
	s_waitcnt vmcnt(0)
	v_readfirstlane_b32 s29, v0
	s_and_b32 s0, 0xffff, s29
	s_lshr_b32 s30, s0, 8
	v_cmpx_gt_i32_e64 s33, v8
	s_cbranch_execz .LBB19_290
; %bb.2:
	s_andn2_b32 vcc_lo, exec_lo, s27
	s_cbranch_vccnz .LBB19_7
; %bb.3:
	s_andn2_b32 vcc_lo, exec_lo, s34
	s_cbranch_vccnz .LBB19_8
; %bb.4:
	s_add_i32 s37, s35, 1
	s_cmp_eq_u32 s25, 2
	s_cbranch_scc1 .LBB19_9
; %bb.5:
	v_mov_b32_e32 v2, 0
	v_mov_b32_e32 v0, 0
	;; [unrolled: 1-line block ×3, first 2 shown]
	s_and_b32 s36, s37, 28
	s_mov_b32 s40, 0
	s_mov_b64 s[0:1], s[2:3]
	s_mov_b64 s[22:23], s[20:21]
.LBB19_6:                               ; =>This Inner Loop Header: Depth=1
	s_clause 0x1
	s_load_dwordx8 s[44:51], s[0:1], 0x4
	s_load_dwordx4 s[60:63], s[0:1], 0x24
	s_load_dwordx8 s[52:59], s[22:23], 0x0
	s_add_u32 s0, s0, 48
	s_addc_u32 s1, s1, 0
	s_add_i32 s40, s40, 4
	s_add_u32 s22, s22, 32
	s_addc_u32 s23, s23, 0
	s_cmp_lg_u32 s36, s40
	s_waitcnt lgkmcnt(0)
	v_mul_hi_u32 v3, s45, v1
	v_add_nc_u32_e32 v3, v1, v3
	v_lshrrev_b32_e32 v3, s46, v3
	v_mul_hi_u32 v4, s48, v3
	v_mul_lo_u32 v6, v3, s44
	v_add_nc_u32_e32 v4, v3, v4
	v_sub_nc_u32_e32 v1, v1, v6
	v_lshrrev_b32_e32 v4, s49, v4
	v_mul_lo_u32 v6, v1, s52
	v_mul_lo_u32 v9, v1, s53
	v_mul_hi_u32 v5, s51, v4
	v_add_nc_u32_e32 v5, v4, v5
	v_lshrrev_b32_e32 v5, s60, v5
	v_mul_hi_u32 v7, s62, v5
	v_mul_lo_u32 v10, v5, s50
	v_add_nc_u32_e32 v1, v5, v7
	v_mul_lo_u32 v7, v4, s47
	v_sub_nc_u32_e32 v4, v4, v10
	v_lshrrev_b32_e32 v1, s63, v1
	v_mul_lo_u32 v10, v4, s56
	v_mul_lo_u32 v4, v4, s57
	v_sub_nc_u32_e32 v3, v3, v7
	v_mul_lo_u32 v11, v1, s61
	v_mul_lo_u32 v7, v3, s54
	;; [unrolled: 1-line block ×3, first 2 shown]
	v_sub_nc_u32_e32 v5, v5, v11
	v_add3_u32 v0, v6, v0, v7
	v_mul_lo_u32 v11, v5, s58
	v_mul_lo_u32 v5, v5, s59
	v_add3_u32 v2, v9, v2, v3
	v_add3_u32 v0, v10, v0, v11
	v_add3_u32 v2, v4, v2, v5
	s_cbranch_scc1 .LBB19_6
	s_branch .LBB19_10
.LBB19_7:
                                        ; implicit-def: $vgpr0
                                        ; implicit-def: $vgpr2
	s_branch .LBB19_14
.LBB19_8:
	v_mov_b32_e32 v0, 0
	v_mov_b32_e32 v2, 0
	s_branch .LBB19_13
.LBB19_9:
	v_mov_b32_e32 v0, 0
	v_mov_b32_e32 v2, 0
	;; [unrolled: 1-line block ×3, first 2 shown]
.LBB19_10:
	s_and_b32 s37, s37, 3
	s_cmp_eq_u32 s37, 0
	s_cbranch_scc1 .LBB19_13
; %bb.11:
	s_lshl_b32 s0, s36, 3
	s_mul_i32 s22, s36, 12
	s_add_u32 s0, s2, s0
	s_addc_u32 s1, s3, 0
	s_add_u32 s0, s0, 0xc4
	s_addc_u32 s1, s1, 0
	;; [unrolled: 2-line block ×3, first 2 shown]
	.p2align	6
.LBB19_12:                              ; =>This Inner Loop Header: Depth=1
	s_clause 0x1
	s_load_dwordx2 s[40:41], s[22:23], 0x4
	s_load_dword s36, s[22:23], 0xc
	s_load_dwordx2 s[42:43], s[0:1], 0x0
	s_add_u32 s22, s22, 12
	s_addc_u32 s23, s23, 0
	s_add_u32 s0, s0, 8
	s_addc_u32 s1, s1, 0
	s_add_i32 s37, s37, -1
	s_cmp_lg_u32 s37, 0
	s_waitcnt lgkmcnt(0)
	v_mul_hi_u32 v3, s41, v1
	v_add_nc_u32_e32 v3, v1, v3
	v_lshrrev_b32_e32 v4, s36, v3
	v_mul_lo_u32 v3, v4, s40
	v_sub_nc_u32_e32 v3, v1, v3
	v_mad_u64_u32 v[0:1], null, v3, s42, v[0:1]
	v_mad_u64_u32 v[2:3], null, v3, s43, v[2:3]
	v_mov_b32_e32 v1, v4
	s_cbranch_scc1 .LBB19_12
.LBB19_13:
	s_cbranch_execnz .LBB19_16
.LBB19_14:
	s_waitcnt lgkmcnt(0)
	v_mul_hi_u32 v0, s17, v8
	s_andn2_b32 vcc_lo, exec_lo, s31
	v_add_nc_u32_e32 v0, v8, v0
	v_lshrrev_b32_e32 v1, s18, v0
	v_mul_lo_u32 v0, v1, s16
	v_sub_nc_u32_e32 v2, v8, v0
	v_mul_lo_u32 v0, v2, s12
	v_mul_lo_u32 v2, v2, s13
	s_cbranch_vccnz .LBB19_16
; %bb.15:
	v_mul_hi_u32 v3, s6, v1
	v_add_nc_u32_e32 v3, v1, v3
	v_lshrrev_b32_e32 v3, s7, v3
	v_mul_lo_u32 v3, v3, s19
	v_sub_nc_u32_e32 v3, v1, v3
	v_mad_u64_u32 v[0:1], null, v3, s14, v[0:1]
	v_mad_u64_u32 v[2:3], null, v3, s15, v[2:3]
.LBB19_16:
	s_waitcnt lgkmcnt(0)
	v_add_co_u32 v1, s0, s10, v2
	v_add_co_ci_u32_e64 v2, null, s11, 0, s0
	s_and_b32 s0, 0xffff, s30
	s_cmp_lt_i32 s0, 11
	s_cbranch_scc1 .LBB19_23
; %bb.17:
	s_cmp_gt_i32 s0, 25
	s_cbranch_scc0 .LBB19_56
; %bb.18:
	s_cmp_gt_i32 s0, 28
	s_cbranch_scc0 .LBB19_59
	;; [unrolled: 3-line block ×4, first 2 shown]
; %bb.21:
	s_cmp_eq_u32 s0, 46
	s_mov_b32 s23, 0
	s_cbranch_scc0 .LBB19_65
; %bb.22:
	global_load_dword v3, v[1:2], off
	s_mov_b32 s1, -1
	s_mov_b32 s22, 0
	s_waitcnt vmcnt(0)
	v_lshlrev_b32_e32 v7, 16, v3
	s_branch .LBB19_67
.LBB19_23:
	s_mov_b32 s22, 0
	s_mov_b32 s1, 0
                                        ; implicit-def: $vgpr7
	s_cbranch_execnz .LBB19_240
.LBB19_24:
	s_andn2_b32 vcc_lo, exec_lo, s1
	s_cbranch_vccnz .LBB19_287
.LBB19_25:
                                        ; implicit-def: $vgpr1
	s_mov_b32 s0, exec_lo
	s_waitcnt vmcnt(0)
	v_cmpx_neq_f32_e32 0, v7
	s_xor_b32 s23, exec_lo, s0
	s_cbranch_execz .LBB19_47
; %bb.26:
	v_mov_b32_e32 v2, 0
	s_mov_b32 s0, -1
	s_mov_b32 s36, exec_lo
	v_cmpx_gt_f32_e32 0, v7
	s_cbranch_execz .LBB19_34
; %bb.27:
	v_trunc_f32_e32 v1, v7
	v_mov_b32_e32 v2, 0
	s_mov_b32 s1, 0
	s_mov_b32 s37, exec_lo
	v_cmpx_neq_f32_e32 v7, v1
	s_cbranch_execz .LBB19_33
; %bb.28:
	v_cvt_f64_f32_e32 v[1:2], v7
	s_mov_b32 s1, 0xc00921fb
	s_mov_b32 s0, 0x54442d18
	s_mov_b32 s40, exec_lo
                                        ; implicit-def: $vgpr9
                                        ; implicit-def: $vgpr5_vgpr6
	v_trunc_f64_e32 v[3:4], v[1:2]
	v_cmp_neq_f64_e64 vcc_lo, 0x7ff00000, |v[1:2]|
	v_add_f64 v[3:4], v[1:2], -v[3:4]
	v_mul_f64 v[3:4], |v[3:4]|, s[0:1]
	v_cndmask_b32_e32 v2, 0x80000000, v4, vcc_lo
	v_cndmask_b32_e32 v1, 0, v3, vcc_lo
                                        ; implicit-def: $vgpr3_vgpr4
	v_cmpx_ngt_f64_e64 0x41d00000, |v[1:2]|
	s_xor_b32 s40, exec_lo, s40
	s_cbranch_execz .LBB19_30
; %bb.29:
	v_ldexp_f64 v[3:4], |v[1:2]|, 0xffffff80
	v_cmp_le_f64_e64 vcc_lo, 0x7b000000, |v[1:2]|
	v_trig_preop_f64 v[5:6], |v[1:2]|, 0
	v_and_b32_e32 v9, 0x7fffffff, v2
	v_trig_preop_f64 v[19:20], |v[1:2]|, 2
	v_mov_b32_e32 v27, 0
	s_mov_b32 s1, 0x3ff921fb
	s_mov_b32 s42, 0x33145c07
	;; [unrolled: 1-line block ×3, first 2 shown]
	v_cndmask_b32_e32 v4, v9, v4, vcc_lo
	v_cndmask_b32_e32 v3, v1, v3, vcc_lo
	v_trig_preop_f64 v[9:10], |v[1:2]|, 1
	v_mul_f64 v[11:12], v[5:6], v[3:4]
	v_mul_f64 v[25:26], v[19:20], v[3:4]
	;; [unrolled: 1-line block ×3, first 2 shown]
	v_fma_f64 v[5:6], v[5:6], v[3:4], -v[11:12]
	v_fma_f64 v[9:10], v[9:10], v[3:4], -v[13:14]
	;; [unrolled: 1-line block ×3, first 2 shown]
	v_add_f64 v[15:16], v[13:14], v[5:6]
	v_add_f64 v[17:18], v[15:16], -v[13:14]
	v_add_f64 v[23:24], v[11:12], v[15:16]
	v_add_f64 v[21:22], v[15:16], -v[17:18]
	v_add_f64 v[5:6], v[5:6], -v[17:18]
	v_ldexp_f64 v[17:18], v[23:24], -2
	v_add_f64 v[11:12], v[23:24], -v[11:12]
	v_add_f64 v[13:14], v[13:14], -v[21:22]
	v_add_f64 v[21:22], v[25:26], v[9:10]
	v_cmp_neq_f64_e64 vcc_lo, 0x7ff00000, |v[17:18]|
	v_add_f64 v[11:12], v[15:16], -v[11:12]
	v_add_f64 v[5:6], v[5:6], v[13:14]
	v_fract_f64_e32 v[13:14], v[17:18]
	v_add_f64 v[15:16], v[21:22], v[5:6]
	v_ldexp_f64 v[13:14], v[13:14], 2
	v_add_f64 v[17:18], v[11:12], v[15:16]
	v_cndmask_b32_e32 v14, 0, v14, vcc_lo
	v_cndmask_b32_e32 v13, 0, v13, vcc_lo
	v_add_f64 v[23:24], v[17:18], v[13:14]
	v_add_f64 v[11:12], v[17:18], -v[11:12]
	v_cmp_gt_f64_e32 vcc_lo, 0, v[23:24]
	v_add_f64 v[23:24], v[21:22], -v[25:26]
	v_cndmask_b32_e64 v28, 0, 0x40100000, vcc_lo
	v_add_f64 v[32:33], v[21:22], -v[23:24]
	v_add_f64 v[9:10], v[9:10], -v[23:24]
	v_add_f64 v[13:14], v[13:14], v[27:28]
	v_add_f64 v[28:29], v[15:16], -v[21:22]
	v_add_f64 v[23:24], v[25:26], -v[32:33]
	v_add_f64 v[30:31], v[17:18], v[13:14]
	;; [unrolled: 3-line block ×3, first 2 shown]
	v_cvt_i32_f64_e32 v30, v[30:31]
	v_add_f64 v[21:22], v[21:22], -v[34:35]
	v_cvt_f64_i32_e32 v[28:29], v30
	v_add_f64 v[5:6], v[5:6], v[21:22]
	v_add_f64 v[13:14], v[13:14], -v[28:29]
	v_add_f64 v[5:6], v[9:10], v[5:6]
	v_add_f64 v[9:10], v[15:16], -v[11:12]
	v_add_f64 v[19:20], v[17:18], v[13:14]
	v_add_f64 v[3:4], v[3:4], v[5:6]
	v_add_f64 v[5:6], v[19:20], -v[13:14]
	v_cmp_le_f64_e32 vcc_lo, 0.5, v[19:20]
	v_add_f64 v[3:4], v[9:10], v[3:4]
	v_add_f64 v[5:6], v[17:18], -v[5:6]
	v_cndmask_b32_e64 v28, 0, 0x3ff00000, vcc_lo
	v_add_co_ci_u32_e64 v9, null, 0, v30, vcc_lo
	v_add_f64 v[3:4], v[3:4], v[5:6]
	v_add_f64 v[5:6], v[19:20], -v[27:28]
	v_add_f64 v[10:11], v[5:6], v[3:4]
	v_mul_f64 v[12:13], v[10:11], s[0:1]
	v_add_f64 v[5:6], v[10:11], -v[5:6]
	v_fma_f64 v[14:15], v[10:11], s[0:1], -v[12:13]
	v_add_f64 v[3:4], v[3:4], -v[5:6]
	v_fma_f64 v[5:6], v[10:11], s[42:43], v[14:15]
	v_fma_f64 v[5:6], v[3:4], s[0:1], v[5:6]
	v_add_f64 v[3:4], v[12:13], v[5:6]
	v_add_f64 v[10:11], v[3:4], -v[12:13]
	v_add_f64 v[5:6], v[5:6], -v[10:11]
.LBB19_30:
	s_andn2_saveexec_b32 s0, s40
	s_cbranch_execz .LBB19_32
; %bb.31:
	s_mov_b32 s40, 0x6dc9c883
	s_mov_b32 s41, 0x3fe45f30
	;; [unrolled: 1-line block ×3, first 2 shown]
	v_mul_f64 v[3:4], |v[1:2]|, s[40:41]
	s_mov_b32 s40, 0x54442d18
	s_mov_b32 s41, 0xbff921fb
	;; [unrolled: 1-line block ×3, first 2 shown]
	v_rndne_f64_e32 v[9:10], v[3:4]
	v_fma_f64 v[3:4], v[9:10], s[40:41], |v[1:2]|
	v_mul_f64 v[5:6], v[9:10], s[42:43]
	s_mov_b32 s40, 0x252049c0
	s_mov_b32 s41, 0xb97b839a
	v_fma_f64 v[13:14], v[9:10], s[42:43], v[3:4]
	v_add_f64 v[11:12], v[3:4], v[5:6]
	s_mov_b32 s43, 0x3c91a626
	v_add_f64 v[3:4], v[3:4], -v[11:12]
	v_add_f64 v[11:12], v[11:12], -v[13:14]
	v_add_f64 v[3:4], v[3:4], v[5:6]
	v_fma_f64 v[5:6], v[9:10], s[42:43], v[5:6]
	v_add_f64 v[3:4], v[11:12], v[3:4]
	v_add_f64 v[3:4], v[3:4], -v[5:6]
	v_fma_f64 v[5:6], v[9:10], s[40:41], v[3:4]
	v_cvt_i32_f64_e32 v9, v[9:10]
	v_add_f64 v[3:4], v[13:14], v[5:6]
	v_add_f64 v[11:12], v[3:4], -v[13:14]
	v_add_f64 v[5:6], v[5:6], -v[11:12]
.LBB19_32:
	s_or_b32 exec_lo, exec_lo, s0
	v_mul_f64 v[10:11], v[3:4], v[3:4]
	v_add_f64 v[12:13], v[5:6], v[5:6]
	s_mov_b32 s40, 0xa9a29f71
	s_mov_b32 s42, 0xc751c08c
	;; [unrolled: 1-line block ×4, first 2 shown]
	v_cmp_class_f64_e64 s0, v[1:2], 0x1f8
	v_and_b32_e32 v9, 1, v9
	v_and_b32_e32 v2, 0x80000000, v2
	v_sub_f32_e32 v7, 1.0, v7
	s_mov_b32 s1, exec_lo
	v_cmp_eq_u32_e32 vcc_lo, 0, v9
	v_fma_f64 v[14:15], v[3:4], v[3:4], -v[10:11]
	v_fma_f64 v[12:13], v[3:4], v[12:13], v[14:15]
	v_add_f64 v[10:11], v[10:11], v[12:13]
	v_fma_f64 v[12:13], v[10:11], s[42:43], s[40:41]
	s_mov_b32 s40, 0x90a8aae0
	s_mov_b32 s41, 0x3f17746f
	v_fma_f64 v[12:13], v[10:11], v[12:13], s[40:41]
	s_mov_b32 s40, 0xa6fbf144
	s_mov_b32 s41, 0xbefbb44d
	;; [unrolled: 3-line block ×13, first 2 shown]
	v_mul_f64 v[10:11], v[10:11], v[12:13]
	v_mul_f64 v[12:13], v[3:4], v[10:11]
	v_add_f64 v[14:15], v[3:4], v[12:13]
	v_fma_f64 v[10:11], v[3:4], v[10:11], -v[12:13]
	v_add_f64 v[3:4], v[14:15], -v[3:4]
	v_add_f64 v[5:6], v[5:6], v[10:11]
	v_add_f64 v[3:4], v[12:13], -v[3:4]
	v_add_f64 v[3:4], v[5:6], v[3:4]
	v_add_f64 v[5:6], v[14:15], v[3:4]
	v_rcp_f64_e32 v[10:11], v[5:6]
	v_fma_f64 v[12:13], -v[5:6], v[10:11], 1.0
	v_fma_f64 v[10:11], v[12:13], v[10:11], v[10:11]
	v_fma_f64 v[12:13], -v[5:6], v[10:11], 1.0
	v_fma_f64 v[10:11], v[12:13], v[10:11], v[10:11]
	v_add_f64 v[12:13], v[5:6], -v[14:15]
	v_mul_f64 v[14:15], v[5:6], v[10:11]
	v_add_f64 v[3:4], v[3:4], -v[12:13]
	v_fma_f64 v[12:13], v[10:11], v[5:6], -v[14:15]
	v_fma_f64 v[3:4], v[10:11], v[3:4], v[12:13]
	v_add_f64 v[12:13], v[14:15], v[3:4]
	v_add_f64 v[16:17], -v[12:13], 1.0
	v_add_f64 v[14:15], v[12:13], -v[14:15]
	v_add_f64 v[18:19], -v[16:17], 1.0
	v_add_f64 v[3:4], v[14:15], -v[3:4]
	v_add_f64 v[12:13], v[18:19], -v[12:13]
	v_add_f64 v[3:4], v[3:4], v[12:13]
	v_add_f64 v[3:4], v[16:17], v[3:4]
	v_mul_f64 v[3:4], v[10:11], v[3:4]
	v_add_f64 v[3:4], v[10:11], v[3:4]
	v_xor_b32_e32 v1, 0x80000000, v4
	v_cndmask_b32_e32 v3, v3, v5, vcc_lo
	v_cndmask_b32_e32 v1, v1, v6, vcc_lo
	v_xor_b32_e32 v2, v1, v2
	v_cndmask_b32_e64 v1, 0, v3, s0
	v_cndmask_b32_e64 v2, 0x7ff80000, v2, s0
	v_div_scale_f64 v[3:4], null, v[1:2], v[1:2], s[40:41]
	v_rcp_f64_e32 v[5:6], v[3:4]
	v_fma_f64 v[9:10], -v[3:4], v[5:6], 1.0
	v_fma_f64 v[5:6], v[5:6], v[9:10], v[5:6]
	v_fma_f64 v[9:10], -v[3:4], v[5:6], 1.0
	v_fma_f64 v[5:6], v[5:6], v[9:10], v[5:6]
	v_div_scale_f64 v[9:10], vcc_lo, s[40:41], v[1:2], s[40:41]
	v_mul_f64 v[11:12], v[9:10], v[5:6]
	v_fma_f64 v[3:4], -v[3:4], v[11:12], v[9:10]
	v_div_fmas_f64 v[3:4], v[3:4], v[5:6], v[11:12]
	v_div_fixup_f64 v[1:2], v[3:4], v[1:2], s[40:41]
	v_cvt_f32_f64_e32 v2, v[1:2]
.LBB19_33:
	s_or_b32 exec_lo, exec_lo, s37
	s_orn2_b32 s0, s1, exec_lo
.LBB19_34:
	s_or_b32 exec_lo, exec_lo, s36
	v_mov_b32_e32 v1, 0x7fc00000
	s_and_saveexec_b32 s36, s0
	s_cbranch_execz .LBB19_46
; %bb.35:
	s_mov_b32 s0, exec_lo
	v_cmpx_gt_f32_e32 0x41200000, v7
	s_cbranch_execz .LBB19_39
; %bb.36:
	s_mov_b32 s1, 0
	.p2align	6
.LBB19_37:                              ; =>This Inner Loop Header: Depth=1
	v_div_scale_f32 v1, null, v7, v7, 1.0
	v_div_scale_f32 v5, vcc_lo, 1.0, v7, 1.0
	v_rcp_f32_e32 v3, v1
	v_fma_f32 v4, -v1, v3, 1.0
	v_fmac_f32_e32 v3, v4, v3
	v_mul_f32_e32 v4, v5, v3
	v_fma_f32 v6, -v1, v4, v5
	v_fmac_f32_e32 v4, v6, v3
	v_fma_f32 v1, -v1, v4, v5
	v_div_fmas_f32 v1, v1, v3, v4
	v_div_fixup_f32 v1, v1, v7, 1.0
	v_add_f32_e32 v7, 1.0, v7
	v_sub_f32_e32 v2, v2, v1
	v_cmp_ngt_f32_e32 vcc_lo, 0x41200000, v7
	s_or_b32 s1, vcc_lo, s1
	s_andn2_b32 exec_lo, exec_lo, s1
	s_cbranch_execnz .LBB19_37
; %bb.38:
	s_or_b32 exec_lo, exec_lo, s1
.LBB19_39:
	s_or_b32 exec_lo, exec_lo, s0
                                        ; implicit-def: $vgpr1
	s_mov_b32 s0, exec_lo
	v_cmpx_neq_f32_e32 0x41200000, v7
	s_xor_b32 s37, exec_lo, s0
	s_cbranch_execz .LBB19_43
; %bb.40:
	v_cvt_f64_f32_e32 v[3:4], v7
	s_mov_b32 s0, 0x85d8a000
	s_mov_b32 s1, 0x43763457
	v_mov_b32_e32 v1, 0
	v_cmp_gt_f64_e32 vcc_lo, s[0:1], v[3:4]
	s_and_saveexec_b32 s0, vcc_lo
	s_cbranch_execz .LBB19_42
; %bb.41:
	v_mul_f32_e32 v1, v7, v7
	v_div_scale_f32 v3, null, v1, v1, 1.0
	v_rcp_f32_e32 v4, v3
	v_fma_f32 v5, -v3, v4, 1.0
	v_fmac_f32_e32 v4, v5, v4
	v_div_scale_f32 v5, vcc_lo, 1.0, v1, 1.0
	v_mul_f32_e32 v6, v5, v4
	v_fma_f32 v9, -v3, v6, v5
	v_fmac_f32_e32 v6, v9, v4
	v_fma_f32 v3, -v3, v6, v5
	v_div_fmas_f32 v3, v3, v4, v6
	v_div_fixup_f32 v1, v3, v1, 1.0
	v_fmaak_f32 v3, 0, v1, 0x3daaaaab
	v_fmaak_f32 v3, v1, v3, 0xbcaccacd
	;; [unrolled: 1-line block ×7, first 2 shown]
	v_mul_f32_e32 v1, v1, v3
.LBB19_42:
	s_or_b32 exec_lo, exec_lo, s0
	v_cmp_gt_f32_e32 vcc_lo, 0x800000, v7
	v_div_scale_f32 v3, null, v7, v7, -0.5
	v_div_scale_f32 v9, s0, -0.5, v7, -0.5
	v_cndmask_b32_e64 v4, 0, 32, vcc_lo
	v_rcp_f32_e32 v5, v3
	v_ldexp_f32 v4, v7, v4
	v_log_f32_e32 v4, v4
	v_fma_f32 v6, -v3, v5, 1.0
	v_fmac_f32_e32 v5, v6, v5
	v_mul_f32_e32 v6, 0x3f317217, v4
	v_mul_f32_e32 v10, v9, v5
	v_cmp_gt_f32_e64 s1, 0x7f800000, |v4|
	v_fma_f32 v6, 0x3f317217, v4, -v6
	v_fma_f32 v11, -v3, v10, v9
	v_fmamk_f32 v6, v4, 0x3377d1cf, v6
	v_fmac_f32_e32 v10, v11, v5
	v_fmac_f32_e32 v6, 0x3f317217, v4
	v_fma_f32 v3, -v3, v10, v9
	v_cndmask_b32_e64 v4, v4, v6, s1
	v_cndmask_b32_e64 v6, 0, 0x41b17218, vcc_lo
	s_mov_b32 vcc_lo, s0
	v_div_fmas_f32 v3, v3, v5, v10
	v_sub_f32_e32 v4, v4, v6
	v_div_fixup_f32 v3, v3, v7, -0.5
	v_add_f32_e32 v3, v4, v3
	v_sub_f32_e32 v1, v3, v1
	v_add_f32_e32 v1, v2, v1
                                        ; implicit-def: $vgpr2
.LBB19_43:
	s_andn2_saveexec_b32 s0, s37
; %bb.44:
	v_add_f32_e32 v1, 0x40101cb7, v2
; %bb.45:
	s_or_b32 exec_lo, exec_lo, s0
.LBB19_46:
	s_or_b32 exec_lo, exec_lo, s36
                                        ; implicit-def: $vgpr7
.LBB19_47:
	s_andn2_saveexec_b32 s0, s23
; %bb.48:
	v_xor_b32_e32 v1, 0x80000000, v7
	s_mov_b32 s1, 0x7f800000
	v_bfi_b32 v1, 0x7fffffff, s1, v1
; %bb.49:
	s_or_b32 exec_lo, exec_lo, s0
	v_add_co_u32 v3, s0, s8, v0
	v_add_co_ci_u32_e64 v4, null, s9, 0, s0
	s_and_b32 s1, s29, 0xff
	s_cmp_lt_i32 s1, 11
	s_cbranch_scc1 .LBB19_57
; %bb.50:
	s_and_b32 s23, 0xffff, s1
	s_cmp_gt_i32 s23, 25
	s_cbranch_scc0 .LBB19_60
; %bb.51:
	s_cmp_gt_i32 s23, 28
	s_cbranch_scc0 .LBB19_62
; %bb.52:
	s_cmp_gt_i32 s23, 43
	s_cbranch_scc0 .LBB19_64
; %bb.53:
	s_cmp_gt_i32 s23, 45
	s_cbranch_scc0 .LBB19_70
; %bb.54:
	s_mov_b32 s37, 0
	s_mov_b32 s0, -1
	s_cmp_eq_u32 s23, 46
	s_mov_b32 s36, 0
	s_cbranch_scc0 .LBB19_71
; %bb.55:
	v_bfe_u32 v0, v1, 16, 1
	v_cmp_o_f32_e32 vcc_lo, v1, v1
	v_mov_b32_e32 v2, 0x7fc0
	s_mov_b32 s36, -1
	s_mov_b32 s0, 0
	v_add3_u32 v0, v1, v0, 0x7fff
	v_cndmask_b32_sdwa v0, v2, v0, vcc_lo dst_sel:DWORD dst_unused:UNUSED_PAD src0_sel:DWORD src1_sel:WORD_1
	global_store_dword v[3:4], v0, off
	s_branch .LBB19_71
.LBB19_56:
	s_mov_b32 s22, 0
	s_mov_b32 s1, 0
                                        ; implicit-def: $vgpr7
	s_cbranch_execnz .LBB19_205
	s_branch .LBB19_239
.LBB19_57:
	s_mov_b32 s0, 0
	s_mov_b32 s36, 0
	s_cbranch_execnz .LBB19_140
.LBB19_58:
	s_andn2_b32 vcc_lo, exec_lo, s36
	s_cbranch_vccz .LBB19_178
	s_branch .LBB19_288
.LBB19_59:
	s_mov_b32 s23, -1
	s_mov_b32 s22, 0
	s_mov_b32 s1, 0
                                        ; implicit-def: $vgpr7
	s_branch .LBB19_186
.LBB19_60:
	s_mov_b32 s37, -1
	s_mov_b32 s0, 0
	s_mov_b32 s36, 0
	s_branch .LBB19_98
.LBB19_61:
	s_mov_b32 s23, -1
	s_mov_b32 s22, 0
	s_mov_b32 s1, 0
                                        ; implicit-def: $vgpr7
	s_branch .LBB19_181
.LBB19_62:
	s_mov_b32 s37, -1
	s_mov_b32 s0, 0
	s_mov_b32 s36, 0
	s_branch .LBB19_81
.LBB19_63:
	s_mov_b32 s23, -1
	s_mov_b32 s22, 0
	s_branch .LBB19_66
.LBB19_64:
	s_mov_b32 s37, -1
	s_mov_b32 s0, 0
	s_mov_b32 s36, 0
	s_branch .LBB19_77
.LBB19_65:
	s_mov_b32 s22, -1
.LBB19_66:
	s_mov_b32 s1, 0
                                        ; implicit-def: $vgpr7
.LBB19_67:
	s_and_b32 vcc_lo, exec_lo, s23
	s_cbranch_vccz .LBB19_180
; %bb.68:
	s_cmp_eq_u32 s0, 44
	s_cbranch_scc0 .LBB19_179
; %bb.69:
	global_load_ubyte v3, v[1:2], off
	s_mov_b32 s22, 0
	s_mov_b32 s1, -1
	s_waitcnt vmcnt(0)
	v_lshlrev_b32_e32 v4, 23, v3
	v_cmp_ne_u32_e32 vcc_lo, 0xff, v3
	v_cndmask_b32_e32 v4, 0x7f800001, v4, vcc_lo
	v_cmp_ne_u32_e32 vcc_lo, 0, v3
	v_cndmask_b32_e32 v7, 0x400000, v4, vcc_lo
	s_branch .LBB19_180
.LBB19_70:
	s_mov_b32 s37, -1
	s_mov_b32 s0, 0
	s_mov_b32 s36, 0
.LBB19_71:
	s_and_b32 vcc_lo, exec_lo, s37
	s_cbranch_vccz .LBB19_76
; %bb.72:
	s_cmp_eq_u32 s23, 44
	s_mov_b32 s0, -1
	s_cbranch_scc0 .LBB19_76
; %bb.73:
	v_bfe_u32 v2, v1, 23, 8
	v_mov_b32_e32 v0, 0xff
	s_mov_b32 s36, exec_lo
	v_cmpx_ne_u32_e32 0xff, v2
	s_cbranch_execz .LBB19_75
; %bb.74:
	v_and_b32_e32 v0, 0x400000, v1
	v_and_or_b32 v2, 0x3fffff, v1, v2
	v_cmp_ne_u32_e32 vcc_lo, 0, v0
	v_cmp_ne_u32_e64 s0, 0, v2
	v_lshrrev_b32_e32 v0, 23, v1
	s_and_b32 s0, vcc_lo, s0
	v_cndmask_b32_e64 v2, 0, 1, s0
	v_add_nc_u32_e32 v0, v0, v2
.LBB19_75:
	s_or_b32 exec_lo, exec_lo, s36
	s_mov_b32 s36, -1
	s_mov_b32 s0, 0
	global_store_byte v[3:4], v0, off
.LBB19_76:
	s_mov_b32 s37, 0
.LBB19_77:
	s_and_b32 vcc_lo, exec_lo, s37
	s_cbranch_vccz .LBB19_80
; %bb.78:
	s_cmp_eq_u32 s23, 29
	s_mov_b32 s0, -1
	s_cbranch_scc0 .LBB19_80
; %bb.79:
	v_trunc_f32_e32 v0, v1
	s_mov_b32 s36, -1
	s_mov_b32 s0, 0
	s_mov_b32 s37, 0
	v_mul_f32_e32 v2, 0x2f800000, v0
	v_floor_f32_e32 v2, v2
	v_fmamk_f32 v0, v2, 0xcf800000, v0
	v_cvt_u32_f32_e32 v6, v2
	v_cvt_u32_f32_e32 v5, v0
	global_store_dwordx2 v[3:4], v[5:6], off
	s_branch .LBB19_81
.LBB19_80:
	s_mov_b32 s37, 0
.LBB19_81:
	s_and_b32 vcc_lo, exec_lo, s37
	s_cbranch_vccz .LBB19_97
; %bb.82:
	s_cmp_lt_i32 s23, 27
	s_mov_b32 s36, -1
	s_cbranch_scc1 .LBB19_88
; %bb.83:
	v_cvt_u32_f32_e32 v0, v1
	s_cmp_gt_i32 s23, 27
	s_cbranch_scc0 .LBB19_85
; %bb.84:
	s_mov_b32 s36, 0
	global_store_dword v[3:4], v0, off
.LBB19_85:
	s_andn2_b32 vcc_lo, exec_lo, s36
	s_cbranch_vccnz .LBB19_87
; %bb.86:
	global_store_short v[3:4], v0, off
.LBB19_87:
	s_mov_b32 s36, 0
.LBB19_88:
	s_andn2_b32 vcc_lo, exec_lo, s36
	s_cbranch_vccnz .LBB19_96
; %bb.89:
	v_and_b32_e32 v0, 0x7fffffff, v1
	v_mov_b32_e32 v2, 0x80
	s_mov_b32 s36, exec_lo
	v_cmpx_gt_u32_e32 0x43800000, v0
	s_cbranch_execz .LBB19_95
; %bb.90:
	v_cmp_lt_u32_e32 vcc_lo, 0x3bffffff, v0
	s_mov_b32 s37, 0
                                        ; implicit-def: $vgpr0
	s_and_saveexec_b32 s40, vcc_lo
	s_xor_b32 s40, exec_lo, s40
	s_cbranch_execz .LBB19_355
; %bb.91:
	v_bfe_u32 v0, v1, 20, 1
	s_mov_b32 s37, exec_lo
	v_add3_u32 v0, v1, v0, 0x487ffff
	v_lshrrev_b32_e32 v0, 20, v0
	s_andn2_saveexec_b32 s40, s40
	s_cbranch_execnz .LBB19_356
.LBB19_92:
	s_or_b32 exec_lo, exec_lo, s40
	v_mov_b32_e32 v2, 0
	s_and_saveexec_b32 s40, s37
.LBB19_93:
	v_lshrrev_b32_e32 v2, 24, v1
	v_and_or_b32 v2, 0x80, v2, v0
.LBB19_94:
	s_or_b32 exec_lo, exec_lo, s40
.LBB19_95:
	s_or_b32 exec_lo, exec_lo, s36
	global_store_byte v[3:4], v2, off
.LBB19_96:
	s_mov_b32 s36, -1
.LBB19_97:
	s_mov_b32 s37, 0
.LBB19_98:
	s_and_b32 vcc_lo, exec_lo, s37
	s_cbranch_vccz .LBB19_139
; %bb.99:
	s_cmp_gt_i32 s23, 22
	s_mov_b32 s37, -1
	s_cbranch_scc0 .LBB19_131
; %bb.100:
	s_cmp_lt_i32 s23, 24
	s_mov_b32 s36, -1
	s_cbranch_scc1 .LBB19_120
; %bb.101:
	s_cmp_gt_i32 s23, 24
	s_cbranch_scc0 .LBB19_109
; %bb.102:
	v_and_b32_e32 v0, 0x7fffffff, v1
	v_mov_b32_e32 v2, 0x80
	s_mov_b32 s36, exec_lo
	v_cmpx_gt_u32_e32 0x47800000, v0
	s_cbranch_execz .LBB19_108
; %bb.103:
	v_cmp_lt_u32_e32 vcc_lo, 0x37ffffff, v0
	s_mov_b32 s37, 0
                                        ; implicit-def: $vgpr0
	s_and_saveexec_b32 s40, vcc_lo
	s_xor_b32 s40, exec_lo, s40
	s_cbranch_execz .LBB19_359
; %bb.104:
	v_bfe_u32 v0, v1, 21, 1
	s_mov_b32 s37, exec_lo
	v_add3_u32 v0, v1, v0, 0x88fffff
	v_lshrrev_b32_e32 v0, 21, v0
	s_andn2_saveexec_b32 s40, s40
	s_cbranch_execnz .LBB19_360
.LBB19_105:
	s_or_b32 exec_lo, exec_lo, s40
	v_mov_b32_e32 v2, 0
	s_and_saveexec_b32 s40, s37
.LBB19_106:
	v_lshrrev_b32_e32 v2, 24, v1
	v_and_or_b32 v2, 0x80, v2, v0
.LBB19_107:
	s_or_b32 exec_lo, exec_lo, s40
.LBB19_108:
	s_or_b32 exec_lo, exec_lo, s36
	s_mov_b32 s36, 0
	global_store_byte v[3:4], v2, off
.LBB19_109:
	s_and_b32 vcc_lo, exec_lo, s36
	s_cbranch_vccz .LBB19_119
; %bb.110:
	v_and_b32_e32 v2, 0x7fffffff, v1
	s_mov_b32 s36, exec_lo
                                        ; implicit-def: $vgpr0
	v_cmpx_gt_u32_e32 0x43f00000, v2
	s_xor_b32 s36, exec_lo, s36
	s_cbranch_execz .LBB19_116
; %bb.111:
	s_mov_b32 s37, exec_lo
                                        ; implicit-def: $vgpr0
	v_cmpx_lt_u32_e32 0x3c7fffff, v2
	s_xor_b32 s37, exec_lo, s37
; %bb.112:
	v_bfe_u32 v0, v1, 20, 1
	v_add3_u32 v0, v1, v0, 0x407ffff
	v_and_b32_e32 v2, 0xff00000, v0
	v_lshrrev_b32_e32 v0, 20, v0
	v_cmp_ne_u32_e32 vcc_lo, 0x7f00000, v2
	v_cndmask_b32_e32 v0, 0x7e, v0, vcc_lo
; %bb.113:
	s_andn2_saveexec_b32 s37, s37
; %bb.114:
	v_add_f32_e64 v0, 0x46800000, |v1|
; %bb.115:
	s_or_b32 exec_lo, exec_lo, s37
                                        ; implicit-def: $vgpr2
.LBB19_116:
	s_andn2_saveexec_b32 s36, s36
; %bb.117:
	v_mov_b32_e32 v0, 0x7f
	v_cmp_lt_u32_e32 vcc_lo, 0x7f800000, v2
	v_cndmask_b32_e32 v0, 0x7e, v0, vcc_lo
; %bb.118:
	s_or_b32 exec_lo, exec_lo, s36
	v_lshrrev_b32_e32 v2, 24, v1
	v_and_or_b32 v0, 0x80, v2, v0
	global_store_byte v[3:4], v0, off
.LBB19_119:
	s_mov_b32 s36, 0
.LBB19_120:
	s_andn2_b32 vcc_lo, exec_lo, s36
	s_cbranch_vccnz .LBB19_130
; %bb.121:
	v_and_b32_e32 v2, 0x7fffffff, v1
	s_mov_b32 s36, exec_lo
                                        ; implicit-def: $vgpr0
	v_cmpx_gt_u32_e32 0x47800000, v2
	s_xor_b32 s36, exec_lo, s36
	s_cbranch_execz .LBB19_127
; %bb.122:
	s_mov_b32 s37, exec_lo
                                        ; implicit-def: $vgpr0
	v_cmpx_lt_u32_e32 0x387fffff, v2
	s_xor_b32 s37, exec_lo, s37
; %bb.123:
	v_bfe_u32 v0, v1, 21, 1
	v_add3_u32 v0, v1, v0, 0x80fffff
	v_lshrrev_b32_e32 v0, 21, v0
; %bb.124:
	s_andn2_saveexec_b32 s37, s37
; %bb.125:
	v_add_f32_e64 v0, 0x43000000, |v1|
; %bb.126:
	s_or_b32 exec_lo, exec_lo, s37
                                        ; implicit-def: $vgpr2
.LBB19_127:
	s_andn2_saveexec_b32 s36, s36
; %bb.128:
	v_mov_b32_e32 v0, 0x7f
	v_cmp_lt_u32_e32 vcc_lo, 0x7f800000, v2
	v_cndmask_b32_e32 v0, 0x7c, v0, vcc_lo
; %bb.129:
	s_or_b32 exec_lo, exec_lo, s36
	v_lshrrev_b32_e32 v2, 24, v1
	v_and_or_b32 v0, 0x80, v2, v0
	global_store_byte v[3:4], v0, off
.LBB19_130:
	s_mov_b32 s37, 0
	s_mov_b32 s36, -1
.LBB19_131:
	s_andn2_b32 vcc_lo, exec_lo, s37
	s_cbranch_vccnz .LBB19_139
; %bb.132:
	s_cmp_gt_i32 s23, 14
	s_mov_b32 s37, -1
	s_cbranch_scc0 .LBB19_136
; %bb.133:
	s_cmp_eq_u32 s23, 15
	s_mov_b32 s0, -1
	s_cbranch_scc0 .LBB19_135
; %bb.134:
	v_bfe_u32 v0, v1, 16, 1
	v_cmp_o_f32_e32 vcc_lo, v1, v1
	v_mov_b32_e32 v2, 0x7fc0
	s_mov_b32 s36, -1
	s_mov_b32 s0, 0
	v_add3_u32 v0, v1, v0, 0x7fff
	v_cndmask_b32_sdwa v0, v2, v0, vcc_lo dst_sel:DWORD dst_unused:UNUSED_PAD src0_sel:DWORD src1_sel:WORD_1
	global_store_short v[3:4], v0, off
.LBB19_135:
	s_mov_b32 s37, 0
.LBB19_136:
	s_and_b32 vcc_lo, exec_lo, s37
	s_cbranch_vccz .LBB19_139
; %bb.137:
	s_cmp_eq_u32 s23, 11
	s_mov_b32 s0, -1
	s_cbranch_scc0 .LBB19_139
; %bb.138:
	v_cmp_neq_f32_e32 vcc_lo, 0, v1
	s_mov_b32 s0, 0
	s_mov_b32 s36, -1
	v_cndmask_b32_e64 v0, 0, 1, vcc_lo
	global_store_byte v[3:4], v0, off
.LBB19_139:
	s_branch .LBB19_58
.LBB19_140:
	s_and_b32 s1, 0xffff, s1
	s_mov_b32 s23, -1
	s_cmp_lt_i32 s1, 5
	s_cbranch_scc1 .LBB19_161
; %bb.141:
	s_cmp_lt_i32 s1, 8
	s_cbranch_scc1 .LBB19_151
; %bb.142:
	;; [unrolled: 3-line block ×3, first 2 shown]
	s_cmp_gt_i32 s1, 9
	s_cbranch_scc0 .LBB19_145
; %bb.144:
	v_cvt_f64_f32_e32 v[9:10], v1
	v_mov_b32_e32 v11, 0
	s_mov_b32 s23, 0
	v_mov_b32_e32 v12, v11
	global_store_dwordx4 v[3:4], v[9:12], off
.LBB19_145:
	s_andn2_b32 vcc_lo, exec_lo, s23
	s_cbranch_vccnz .LBB19_147
; %bb.146:
	v_mov_b32_e32 v2, 0
	global_store_dwordx2 v[3:4], v[1:2], off
.LBB19_147:
	s_mov_b32 s23, 0
.LBB19_148:
	s_andn2_b32 vcc_lo, exec_lo, s23
	s_cbranch_vccnz .LBB19_150
; %bb.149:
	v_cvt_f16_f32_e32 v0, v1
	v_and_b32_e32 v0, 0xffff, v0
	global_store_dword v[3:4], v0, off
.LBB19_150:
	s_mov_b32 s23, 0
.LBB19_151:
	s_andn2_b32 vcc_lo, exec_lo, s23
	s_cbranch_vccnz .LBB19_160
; %bb.152:
	s_cmp_lt_i32 s1, 6
	s_mov_b32 s23, -1
	s_cbranch_scc1 .LBB19_158
; %bb.153:
	s_cmp_gt_i32 s1, 6
	s_cbranch_scc0 .LBB19_155
; %bb.154:
	v_cvt_f64_f32_e32 v[5:6], v1
	s_mov_b32 s23, 0
	global_store_dwordx2 v[3:4], v[5:6], off
.LBB19_155:
	s_andn2_b32 vcc_lo, exec_lo, s23
	s_cbranch_vccnz .LBB19_157
; %bb.156:
	global_store_dword v[3:4], v1, off
.LBB19_157:
	s_mov_b32 s23, 0
.LBB19_158:
	s_andn2_b32 vcc_lo, exec_lo, s23
	s_cbranch_vccnz .LBB19_160
; %bb.159:
	v_cvt_f16_f32_e32 v0, v1
	global_store_short v[3:4], v0, off
.LBB19_160:
	s_mov_b32 s23, 0
.LBB19_161:
	s_andn2_b32 vcc_lo, exec_lo, s23
	s_cbranch_vccnz .LBB19_177
; %bb.162:
	s_cmp_lt_i32 s1, 2
	s_mov_b32 s23, -1
	s_cbranch_scc1 .LBB19_172
; %bb.163:
	s_cmp_lt_i32 s1, 3
	s_cbranch_scc1 .LBB19_169
; %bb.164:
	s_cmp_gt_i32 s1, 3
	s_cbranch_scc0 .LBB19_166
; %bb.165:
	v_trunc_f32_e32 v0, v1
	s_mov_b32 s23, 0
	v_mul_f32_e64 v2, 0x2f800000, |v0|
	v_floor_f32_e32 v2, v2
	v_fma_f32 v5, 0xcf800000, v2, |v0|
	v_ashrrev_i32_e32 v0, 31, v0
	v_cvt_u32_f32_e32 v2, v2
	v_cvt_u32_f32_e32 v5, v5
	v_xor_b32_e32 v2, v2, v0
	v_xor_b32_e32 v5, v5, v0
	v_sub_co_u32 v5, vcc_lo, v5, v0
	v_sub_co_ci_u32_e64 v6, null, v2, v0, vcc_lo
	global_store_dwordx2 v[3:4], v[5:6], off
.LBB19_166:
	s_andn2_b32 vcc_lo, exec_lo, s23
	s_cbranch_vccnz .LBB19_168
; %bb.167:
	v_cvt_i32_f32_e32 v0, v1
	global_store_dword v[3:4], v0, off
.LBB19_168:
	s_mov_b32 s23, 0
.LBB19_169:
	s_andn2_b32 vcc_lo, exec_lo, s23
	s_cbranch_vccnz .LBB19_171
; %bb.170:
	v_cvt_i32_f32_e32 v0, v1
	global_store_short v[3:4], v0, off
.LBB19_171:
	s_mov_b32 s23, 0
.LBB19_172:
	s_andn2_b32 vcc_lo, exec_lo, s23
	s_cbranch_vccnz .LBB19_177
; %bb.173:
	s_cmp_gt_i32 s1, 0
	s_mov_b32 s1, -1
	s_cbranch_scc0 .LBB19_175
; %bb.174:
	v_cvt_i32_f32_e32 v0, v1
	s_mov_b32 s1, 0
	global_store_byte v[3:4], v0, off
.LBB19_175:
	s_andn2_b32 vcc_lo, exec_lo, s1
	s_cbranch_vccnz .LBB19_177
; %bb.176:
	v_trunc_f32_e32 v0, v1
	v_mul_f32_e64 v1, 0x2f800000, |v0|
	v_floor_f32_e32 v1, v1
	v_fma_f32 v1, 0xcf800000, v1, |v0|
	v_ashrrev_i32_e32 v0, 31, v0
	v_cvt_u32_f32_e32 v1, v1
	v_xor_b32_e32 v1, v1, v0
	v_sub_nc_u32_e32 v0, v1, v0
	global_store_byte v[3:4], v0, off
.LBB19_177:
.LBB19_178:
	v_add_nc_u32_e32 v8, 0x80, v8
	s_mov_b32 s1, -1
	s_branch .LBB19_289
.LBB19_179:
	s_mov_b32 s22, -1
                                        ; implicit-def: $vgpr7
.LBB19_180:
	s_mov_b32 s23, 0
.LBB19_181:
	s_and_b32 vcc_lo, exec_lo, s23
	s_cbranch_vccz .LBB19_185
; %bb.182:
	s_cmp_eq_u32 s0, 29
	s_cbranch_scc0 .LBB19_184
; %bb.183:
	global_load_dwordx2 v[3:4], v[1:2], off
	s_mov_b32 s1, -1
	s_mov_b32 s22, 0
	s_mov_b32 s23, 0
	s_waitcnt vmcnt(0)
	v_ffbh_u32_e32 v5, v4
	v_min_u32_e32 v5, 32, v5
	v_lshlrev_b64 v[3:4], v5, v[3:4]
	v_min_u32_e32 v3, 1, v3
	v_or_b32_e32 v3, v4, v3
	v_sub_nc_u32_e32 v4, 32, v5
	v_cvt_f32_u32_e32 v3, v3
	v_ldexp_f32 v7, v3, v4
	s_branch .LBB19_186
.LBB19_184:
	s_mov_b32 s22, -1
                                        ; implicit-def: $vgpr7
.LBB19_185:
	s_mov_b32 s23, 0
.LBB19_186:
	s_and_b32 vcc_lo, exec_lo, s23
	s_cbranch_vccz .LBB19_204
; %bb.187:
	s_cmp_lt_i32 s0, 27
	s_cbranch_scc1 .LBB19_190
; %bb.188:
	s_cmp_gt_i32 s0, 27
	s_cbranch_scc0 .LBB19_191
; %bb.189:
	global_load_dword v3, v[1:2], off
	s_mov_b32 s1, 0
	s_waitcnt vmcnt(0)
	v_cvt_f32_u32_e32 v7, v3
	s_branch .LBB19_192
.LBB19_190:
	s_mov_b32 s1, -1
                                        ; implicit-def: $vgpr7
	s_branch .LBB19_195
.LBB19_191:
	s_mov_b32 s1, -1
                                        ; implicit-def: $vgpr7
.LBB19_192:
	s_andn2_b32 vcc_lo, exec_lo, s1
	s_cbranch_vccnz .LBB19_194
; %bb.193:
	global_load_ushort v3, v[1:2], off
	s_waitcnt vmcnt(0)
	v_cvt_f32_u32_e32 v7, v3
.LBB19_194:
	s_mov_b32 s1, 0
.LBB19_195:
	s_andn2_b32 vcc_lo, exec_lo, s1
	s_cbranch_vccnz .LBB19_203
; %bb.196:
	global_load_ubyte v3, v[1:2], off
	s_mov_b32 s1, 0
	s_mov_b32 s23, exec_lo
	s_waitcnt vmcnt(0)
	v_cmpx_lt_i16_e32 0x7f, v3
	s_xor_b32 s23, exec_lo, s23
	s_cbranch_execz .LBB19_216
; %bb.197:
	s_mov_b32 s1, -1
	s_mov_b32 s36, exec_lo
	v_cmpx_eq_u16_e32 0x80, v3
; %bb.198:
	s_xor_b32 s1, exec_lo, -1
; %bb.199:
	s_or_b32 exec_lo, exec_lo, s36
	s_and_b32 s1, s1, exec_lo
	s_or_saveexec_b32 s23, s23
	v_mov_b32_e32 v7, 0x7f800001
	s_xor_b32 exec_lo, exec_lo, s23
	s_cbranch_execnz .LBB19_217
.LBB19_200:
	s_or_b32 exec_lo, exec_lo, s23
	s_and_saveexec_b32 s23, s1
	s_cbranch_execz .LBB19_202
.LBB19_201:
	v_and_b32_e32 v4, 0xffff, v3
	v_lshlrev_b32_e32 v3, 24, v3
	v_and_b32_e32 v5, 7, v4
	v_bfe_u32 v9, v4, 3, 4
	v_and_b32_e32 v3, 0x80000000, v3
	v_ffbh_u32_e32 v6, v5
	v_cmp_eq_u32_e32 vcc_lo, 0, v9
	v_min_u32_e32 v6, 32, v6
	v_subrev_nc_u32_e32 v7, 28, v6
	v_sub_nc_u32_e32 v6, 29, v6
	v_lshlrev_b32_e32 v4, v7, v4
	v_cndmask_b32_e32 v6, v9, v6, vcc_lo
	v_and_b32_e32 v4, 7, v4
	v_cndmask_b32_e32 v4, v5, v4, vcc_lo
	v_lshl_add_u32 v5, v6, 23, 0x3b800000
	v_lshlrev_b32_e32 v4, 20, v4
	v_or3_b32 v7, v3, v5, v4
.LBB19_202:
	s_or_b32 exec_lo, exec_lo, s23
.LBB19_203:
	s_mov_b32 s1, -1
.LBB19_204:
	s_branch .LBB19_239
.LBB19_205:
	s_cmp_gt_i32 s0, 22
	s_cbranch_scc0 .LBB19_215
; %bb.206:
	s_cmp_lt_i32 s0, 24
	s_cbranch_scc1 .LBB19_218
; %bb.207:
	s_cmp_gt_i32 s0, 24
	s_cbranch_scc0 .LBB19_219
; %bb.208:
	global_load_ubyte v3, v[1:2], off
	s_mov_b32 s1, 0
	s_mov_b32 s23, exec_lo
	s_waitcnt vmcnt(0)
	v_cmpx_lt_i16_e32 0x7f, v3
	s_xor_b32 s23, exec_lo, s23
	s_cbranch_execz .LBB19_231
; %bb.209:
	s_mov_b32 s1, -1
	s_mov_b32 s36, exec_lo
	v_cmpx_eq_u16_e32 0x80, v3
; %bb.210:
	s_xor_b32 s1, exec_lo, -1
; %bb.211:
	s_or_b32 exec_lo, exec_lo, s36
	s_and_b32 s1, s1, exec_lo
	s_or_saveexec_b32 s23, s23
	v_mov_b32_e32 v7, 0x7f800001
	s_xor_b32 exec_lo, exec_lo, s23
	s_cbranch_execnz .LBB19_232
.LBB19_212:
	s_or_b32 exec_lo, exec_lo, s23
	s_and_saveexec_b32 s23, s1
	s_cbranch_execz .LBB19_214
.LBB19_213:
	v_and_b32_e32 v4, 0xffff, v3
	v_lshlrev_b32_e32 v3, 24, v3
	v_and_b32_e32 v5, 3, v4
	v_bfe_u32 v9, v4, 2, 5
	v_and_b32_e32 v3, 0x80000000, v3
	v_ffbh_u32_e32 v6, v5
	v_cmp_eq_u32_e32 vcc_lo, 0, v9
	v_min_u32_e32 v6, 32, v6
	v_subrev_nc_u32_e32 v7, 29, v6
	v_sub_nc_u32_e32 v6, 30, v6
	v_lshlrev_b32_e32 v4, v7, v4
	v_cndmask_b32_e32 v6, v9, v6, vcc_lo
	v_and_b32_e32 v4, 3, v4
	v_cndmask_b32_e32 v4, v5, v4, vcc_lo
	v_lshl_add_u32 v5, v6, 23, 0x37800000
	v_lshlrev_b32_e32 v4, 21, v4
	v_or3_b32 v7, v3, v5, v4
.LBB19_214:
	s_or_b32 exec_lo, exec_lo, s23
	s_mov_b32 s1, 0
	s_branch .LBB19_220
.LBB19_215:
	s_mov_b32 s23, -1
                                        ; implicit-def: $vgpr7
	s_branch .LBB19_226
.LBB19_216:
	s_or_saveexec_b32 s23, s23
	v_mov_b32_e32 v7, 0x7f800001
	s_xor_b32 exec_lo, exec_lo, s23
	s_cbranch_execz .LBB19_200
.LBB19_217:
	v_cmp_ne_u16_e32 vcc_lo, 0, v3
	v_mov_b32_e32 v7, 0
	s_andn2_b32 s1, s1, exec_lo
	s_and_b32 s36, vcc_lo, exec_lo
	s_or_b32 s1, s1, s36
	s_or_b32 exec_lo, exec_lo, s23
	s_and_saveexec_b32 s23, s1
	s_cbranch_execnz .LBB19_201
	s_branch .LBB19_202
.LBB19_218:
	s_mov_b32 s1, -1
                                        ; implicit-def: $vgpr7
	s_branch .LBB19_223
.LBB19_219:
	s_mov_b32 s1, -1
                                        ; implicit-def: $vgpr7
.LBB19_220:
	s_and_b32 vcc_lo, exec_lo, s1
	s_cbranch_vccz .LBB19_222
; %bb.221:
	global_load_ubyte v3, v[1:2], off
	s_waitcnt vmcnt(0)
	v_lshlrev_b32_e32 v3, 24, v3
	v_and_b32_e32 v4, 0x7f000000, v3
	v_ffbh_u32_e32 v5, v4
	v_add_nc_u32_e32 v7, 0x1000000, v4
	v_cmp_ne_u32_e32 vcc_lo, 0, v4
	v_min_u32_e32 v5, 32, v5
	v_sub_nc_u32_e64 v5, v5, 4 clamp
	v_lshlrev_b32_e32 v6, v5, v4
	v_lshlrev_b32_e32 v5, 23, v5
	v_lshrrev_b32_e32 v6, 4, v6
	v_sub_nc_u32_e32 v5, v6, v5
	v_ashrrev_i32_e32 v6, 8, v7
	v_add_nc_u32_e32 v5, 0x3c000000, v5
	v_and_or_b32 v5, 0x7f800000, v6, v5
	v_cndmask_b32_e32 v4, 0, v5, vcc_lo
	v_and_or_b32 v7, 0x80000000, v3, v4
.LBB19_222:
	s_mov_b32 s1, 0
.LBB19_223:
	s_andn2_b32 vcc_lo, exec_lo, s1
	s_cbranch_vccnz .LBB19_225
; %bb.224:
	global_load_ubyte v3, v[1:2], off
	s_waitcnt vmcnt(0)
	v_lshlrev_b32_e32 v4, 25, v3
	v_lshlrev_b16 v3, 8, v3
	v_lshrrev_b32_e32 v5, 4, v4
	v_and_or_b32 v6, 0x7f00, v3, 0.5
	v_cmp_gt_u32_e32 vcc_lo, 0x8000000, v4
	v_bfe_i32 v3, v3, 0, 16
	v_or_b32_e32 v5, 0x70000000, v5
	v_add_f32_e32 v6, -0.5, v6
	v_mul_f32_e32 v5, 0x7800000, v5
	v_cndmask_b32_e32 v4, v5, v6, vcc_lo
	v_and_or_b32 v7, 0x80000000, v3, v4
.LBB19_225:
	s_mov_b32 s23, 0
	s_mov_b32 s1, -1
.LBB19_226:
	s_andn2_b32 vcc_lo, exec_lo, s23
	s_cbranch_vccnz .LBB19_239
; %bb.227:
	s_cmp_gt_i32 s0, 14
	s_cbranch_scc0 .LBB19_230
; %bb.228:
	s_cmp_eq_u32 s0, 15
	s_cbranch_scc0 .LBB19_233
; %bb.229:
	global_load_ushort v3, v[1:2], off
	s_mov_b32 s1, -1
	s_mov_b32 s22, 0
	s_waitcnt vmcnt(0)
	v_lshlrev_b32_e32 v7, 16, v3
	s_branch .LBB19_234
.LBB19_230:
	s_mov_b32 s23, -1
                                        ; implicit-def: $vgpr7
	s_branch .LBB19_235
.LBB19_231:
	s_or_saveexec_b32 s23, s23
	v_mov_b32_e32 v7, 0x7f800001
	s_xor_b32 exec_lo, exec_lo, s23
	s_cbranch_execz .LBB19_212
.LBB19_232:
	v_cmp_ne_u16_e32 vcc_lo, 0, v3
	v_mov_b32_e32 v7, 0
	s_andn2_b32 s1, s1, exec_lo
	s_and_b32 s36, vcc_lo, exec_lo
	s_or_b32 s1, s1, s36
	s_or_b32 exec_lo, exec_lo, s23
	s_and_saveexec_b32 s23, s1
	s_cbranch_execnz .LBB19_213
	s_branch .LBB19_214
.LBB19_233:
	s_mov_b32 s22, -1
                                        ; implicit-def: $vgpr7
.LBB19_234:
	s_mov_b32 s23, 0
.LBB19_235:
	s_and_b32 vcc_lo, exec_lo, s23
	s_cbranch_vccz .LBB19_239
; %bb.236:
	s_cmp_eq_u32 s0, 11
	s_cbranch_scc0 .LBB19_238
; %bb.237:
	global_load_ubyte v3, v[1:2], off
	s_mov_b32 s22, 0
	s_mov_b32 s1, -1
	s_waitcnt vmcnt(0)
	v_cmp_ne_u16_e32 vcc_lo, 0, v3
	v_cndmask_b32_e64 v7, 0, 1.0, vcc_lo
	s_branch .LBB19_239
.LBB19_238:
	s_mov_b32 s22, -1
                                        ; implicit-def: $vgpr7
.LBB19_239:
	s_branch .LBB19_24
.LBB19_240:
	s_cmp_lt_i32 s0, 5
	s_cbranch_scc1 .LBB19_245
; %bb.241:
	s_cmp_lt_i32 s0, 8
	s_cbranch_scc1 .LBB19_246
; %bb.242:
	;; [unrolled: 3-line block ×3, first 2 shown]
	s_cmp_gt_i32 s0, 9
	s_cbranch_scc0 .LBB19_248
; %bb.244:
	global_load_dwordx2 v[3:4], v[1:2], off
	s_mov_b32 s1, 0
	s_waitcnt vmcnt(0)
	v_cvt_f32_f64_e32 v7, v[3:4]
	s_branch .LBB19_249
.LBB19_245:
                                        ; implicit-def: $vgpr7
	s_branch .LBB19_267
.LBB19_246:
	s_mov_b32 s1, -1
                                        ; implicit-def: $vgpr7
	s_branch .LBB19_255
.LBB19_247:
	s_mov_b32 s1, -1
                                        ; implicit-def: $vgpr7
	s_branch .LBB19_252
.LBB19_248:
	s_mov_b32 s1, -1
                                        ; implicit-def: $vgpr7
.LBB19_249:
	s_andn2_b32 vcc_lo, exec_lo, s1
	s_cbranch_vccnz .LBB19_251
; %bb.250:
	global_load_dword v7, v[1:2], off
.LBB19_251:
	s_mov_b32 s1, 0
.LBB19_252:
	s_andn2_b32 vcc_lo, exec_lo, s1
	s_cbranch_vccnz .LBB19_254
; %bb.253:
	global_load_dword v3, v[1:2], off
	s_waitcnt vmcnt(0)
	v_cvt_f32_f16_e32 v7, v3
.LBB19_254:
	s_mov_b32 s1, 0
.LBB19_255:
	s_andn2_b32 vcc_lo, exec_lo, s1
	s_cbranch_vccnz .LBB19_266
; %bb.256:
	s_cmp_lt_i32 s0, 6
	s_cbranch_scc1 .LBB19_259
; %bb.257:
	s_cmp_gt_i32 s0, 6
	s_cbranch_scc0 .LBB19_260
; %bb.258:
	global_load_dwordx2 v[3:4], v[1:2], off
	s_mov_b32 s1, 0
	s_waitcnt vmcnt(0)
	v_cvt_f32_f64_e32 v7, v[3:4]
	s_branch .LBB19_261
.LBB19_259:
	s_mov_b32 s1, -1
                                        ; implicit-def: $vgpr7
	s_branch .LBB19_264
.LBB19_260:
	s_mov_b32 s1, -1
                                        ; implicit-def: $vgpr7
.LBB19_261:
	s_andn2_b32 vcc_lo, exec_lo, s1
	s_cbranch_vccnz .LBB19_263
; %bb.262:
	global_load_dword v7, v[1:2], off
.LBB19_263:
	s_mov_b32 s1, 0
.LBB19_264:
	s_andn2_b32 vcc_lo, exec_lo, s1
	s_cbranch_vccnz .LBB19_266
; %bb.265:
	global_load_ushort v3, v[1:2], off
	s_waitcnt vmcnt(0)
	v_cvt_f32_f16_e32 v7, v3
.LBB19_266:
	s_cbranch_execnz .LBB19_286
.LBB19_267:
	s_cmp_lt_i32 s0, 2
	s_cbranch_scc1 .LBB19_271
; %bb.268:
	s_cmp_lt_i32 s0, 3
	s_cbranch_scc1 .LBB19_272
; %bb.269:
	s_cmp_gt_i32 s0, 3
	s_cbranch_scc0 .LBB19_273
; %bb.270:
	global_load_dwordx2 v[3:4], v[1:2], off
	s_mov_b32 s1, 0
	s_waitcnt vmcnt(0)
	v_xor_b32_e32 v5, v3, v4
	v_ffbh_i32_e32 v6, v4
	v_ashrrev_i32_e32 v5, 31, v5
	v_add_nc_u32_e32 v6, -1, v6
	v_add_nc_u32_e32 v5, 32, v5
	v_min_u32_e32 v5, v6, v5
	v_lshlrev_b64 v[3:4], v5, v[3:4]
	v_min_u32_e32 v3, 1, v3
	v_or_b32_e32 v3, v4, v3
	v_sub_nc_u32_e32 v4, 32, v5
	v_cvt_f32_i32_e32 v3, v3
	v_ldexp_f32 v7, v3, v4
	s_branch .LBB19_274
.LBB19_271:
	s_mov_b32 s1, -1
                                        ; implicit-def: $vgpr7
	s_branch .LBB19_280
.LBB19_272:
	s_mov_b32 s1, -1
                                        ; implicit-def: $vgpr7
	s_branch .LBB19_277
.LBB19_273:
	s_mov_b32 s1, -1
                                        ; implicit-def: $vgpr7
.LBB19_274:
	s_andn2_b32 vcc_lo, exec_lo, s1
	s_cbranch_vccnz .LBB19_276
; %bb.275:
	global_load_dword v3, v[1:2], off
	s_waitcnt vmcnt(0)
	v_cvt_f32_i32_e32 v7, v3
.LBB19_276:
	s_mov_b32 s1, 0
.LBB19_277:
	s_andn2_b32 vcc_lo, exec_lo, s1
	s_cbranch_vccnz .LBB19_279
; %bb.278:
	global_load_sshort v3, v[1:2], off
	s_waitcnt vmcnt(0)
	v_cvt_f32_i32_e32 v7, v3
.LBB19_279:
	s_mov_b32 s1, 0
.LBB19_280:
	s_andn2_b32 vcc_lo, exec_lo, s1
	s_cbranch_vccnz .LBB19_286
; %bb.281:
	s_cmp_gt_i32 s0, 0
	s_mov_b32 s0, 0
	s_cbranch_scc0 .LBB19_283
; %bb.282:
	global_load_sbyte v3, v[1:2], off
	s_waitcnt vmcnt(0)
	v_cvt_f32_i32_e32 v7, v3
	s_branch .LBB19_284
.LBB19_283:
	s_mov_b32 s0, -1
                                        ; implicit-def: $vgpr7
.LBB19_284:
	s_andn2_b32 vcc_lo, exec_lo, s0
	s_cbranch_vccnz .LBB19_286
; %bb.285:
	global_load_ubyte v1, v[1:2], off
	s_waitcnt vmcnt(0)
	v_cvt_f32_ubyte0_e32 v7, v1
.LBB19_286:
	s_branch .LBB19_25
.LBB19_287:
	s_mov_b32 s0, 0
.LBB19_288:
	s_mov_b32 s1, 0
                                        ; implicit-def: $vgpr8
.LBB19_289:
	s_and_b32 s36, s0, exec_lo
	s_and_b32 s37, s22, exec_lo
	s_orn2_b32 s1, s1, exec_lo
.LBB19_290:
	s_or_b32 exec_lo, exec_lo, s38
	s_mov_b32 s22, 0
	s_mov_b32 s0, 0
                                        ; implicit-def: $vgpr1_vgpr2
                                        ; implicit-def: $vgpr0
                                        ; implicit-def: $vgpr7
	s_and_saveexec_b32 s38, s1
	s_cbranch_execz .LBB19_297
; %bb.291:
	s_mov_b32 s0, -1
	s_mov_b32 s39, s37
	s_mov_b32 s40, s36
	s_mov_b32 s41, exec_lo
	v_cmpx_gt_i32_e64 s33, v8
	s_cbranch_execz .LBB19_591
; %bb.292:
	s_andn2_b32 vcc_lo, exec_lo, s27
	s_cbranch_vccnz .LBB19_300
; %bb.293:
	s_andn2_b32 vcc_lo, exec_lo, s34
	s_cbranch_vccnz .LBB19_301
; %bb.294:
	s_add_i32 s40, s35, 1
	s_cmp_eq_u32 s25, 2
	s_cbranch_scc1 .LBB19_302
; %bb.295:
	v_mov_b32_e32 v2, 0
	v_mov_b32_e32 v0, 0
	;; [unrolled: 1-line block ×3, first 2 shown]
	s_and_b32 s39, s40, 28
	s_mov_b32 s42, 0
	s_mov_b64 s[0:1], s[2:3]
	s_mov_b64 s[22:23], s[20:21]
.LBB19_296:                             ; =>This Inner Loop Header: Depth=1
	s_clause 0x1
	s_load_dwordx8 s[44:51], s[0:1], 0x4
	s_load_dwordx4 s[60:63], s[0:1], 0x24
	s_load_dwordx8 s[52:59], s[22:23], 0x0
	s_add_u32 s0, s0, 48
	s_addc_u32 s1, s1, 0
	s_add_i32 s42, s42, 4
	s_add_u32 s22, s22, 32
	s_addc_u32 s23, s23, 0
	s_cmp_eq_u32 s39, s42
	s_waitcnt lgkmcnt(0)
	v_mul_hi_u32 v3, s45, v1
	v_add_nc_u32_e32 v3, v1, v3
	v_lshrrev_b32_e32 v3, s46, v3
	v_mul_hi_u32 v4, s48, v3
	v_mul_lo_u32 v6, v3, s44
	v_add_nc_u32_e32 v4, v3, v4
	v_sub_nc_u32_e32 v1, v1, v6
	v_lshrrev_b32_e32 v4, s49, v4
	v_mul_lo_u32 v6, v1, s52
	v_mul_lo_u32 v9, v1, s53
	v_mul_hi_u32 v5, s51, v4
	v_add_nc_u32_e32 v5, v4, v5
	v_lshrrev_b32_e32 v5, s60, v5
	s_waitcnt vmcnt(0)
	v_mul_hi_u32 v7, s62, v5
	v_mul_lo_u32 v10, v5, s50
	v_add_nc_u32_e32 v1, v5, v7
	v_mul_lo_u32 v7, v4, s47
	v_sub_nc_u32_e32 v4, v4, v10
	v_lshrrev_b32_e32 v1, s63, v1
	v_mul_lo_u32 v10, v4, s56
	v_mul_lo_u32 v4, v4, s57
	v_sub_nc_u32_e32 v3, v3, v7
	v_mul_lo_u32 v11, v1, s61
	v_mul_lo_u32 v7, v3, s54
	;; [unrolled: 1-line block ×3, first 2 shown]
	v_sub_nc_u32_e32 v5, v5, v11
	v_add3_u32 v0, v6, v0, v7
	v_mul_lo_u32 v11, v5, s58
	v_mul_lo_u32 v5, v5, s59
	v_add3_u32 v2, v9, v2, v3
	v_add3_u32 v0, v10, v0, v11
	;; [unrolled: 1-line block ×3, first 2 shown]
	s_cbranch_scc0 .LBB19_296
	s_branch .LBB19_303
.LBB19_297:
	s_or_b32 exec_lo, exec_lo, s38
	s_waitcnt lgkmcnt(0)
	s_mov_b32 s6, 0
	s_and_saveexec_b32 s1, s37
	s_cbranch_execnz .LBB19_993
.LBB19_298:
	s_or_b32 exec_lo, exec_lo, s1
	s_and_saveexec_b32 s1, s39
	s_xor_b32 s1, exec_lo, s1
	s_cbranch_execz .LBB19_994
.LBB19_299:
	global_load_ubyte v3, v[1:2], off
	s_or_b32 s0, s0, exec_lo
	s_waitcnt vmcnt(0)
	v_cmp_ne_u16_e32 vcc_lo, 0, v3
	v_cndmask_b32_e64 v7, 0, 1.0, vcc_lo
	s_or_b32 exec_lo, exec_lo, s1
	s_and_saveexec_b32 s1, s22
	s_cbranch_execz .LBB19_1040
	s_branch .LBB19_995
.LBB19_300:
                                        ; implicit-def: $vgpr0
                                        ; implicit-def: $vgpr2
	s_andn2_b32 vcc_lo, exec_lo, s0
	s_cbranch_vccz .LBB19_307
	s_branch .LBB19_309
.LBB19_301:
	v_mov_b32_e32 v0, 0
	v_mov_b32_e32 v2, 0
	s_branch .LBB19_306
.LBB19_302:
	v_mov_b32_e32 v0, 0
	v_mov_b32_e32 v2, 0
	;; [unrolled: 1-line block ×3, first 2 shown]
	s_mov_b32 s39, 0
.LBB19_303:
	s_and_b32 s40, s40, 3
	s_cmp_eq_u32 s40, 0
	s_cbranch_scc1 .LBB19_306
; %bb.304:
	s_lshl_b32 s0, s39, 3
	s_mul_i32 s22, s39, 12
	s_add_u32 s0, s2, s0
	s_addc_u32 s1, s3, 0
	s_add_u32 s0, s0, 0xc4
	s_addc_u32 s1, s1, 0
	s_add_u32 s22, s2, s22
	s_addc_u32 s23, s3, 0
	.p2align	6
.LBB19_305:                             ; =>This Inner Loop Header: Depth=1
	s_clause 0x1
	s_load_dwordx2 s[42:43], s[22:23], 0x4
	s_load_dword s39, s[22:23], 0xc
	s_load_dwordx2 s[44:45], s[0:1], 0x0
	s_add_u32 s22, s22, 12
	s_addc_u32 s23, s23, 0
	s_add_u32 s0, s0, 8
	s_addc_u32 s1, s1, 0
	s_add_i32 s40, s40, -1
	s_cmp_lg_u32 s40, 0
	s_waitcnt lgkmcnt(0)
	v_mul_hi_u32 v3, s43, v1
	v_add_nc_u32_e32 v3, v1, v3
	v_lshrrev_b32_e32 v4, s39, v3
	v_mul_lo_u32 v3, v4, s42
	v_sub_nc_u32_e32 v3, v1, v3
	v_mad_u64_u32 v[0:1], null, v3, s44, v[0:1]
	v_mad_u64_u32 v[2:3], null, v3, s45, v[2:3]
	v_mov_b32_e32 v1, v4
	s_cbranch_scc1 .LBB19_305
.LBB19_306:
	s_cbranch_execnz .LBB19_309
.LBB19_307:
	s_waitcnt lgkmcnt(0)
	v_mul_hi_u32 v0, s17, v8
	s_andn2_b32 vcc_lo, exec_lo, s31
	v_add_nc_u32_e32 v0, v8, v0
	v_lshrrev_b32_e32 v1, s18, v0
	v_mul_lo_u32 v0, v1, s16
	v_sub_nc_u32_e32 v2, v8, v0
	v_mul_lo_u32 v0, v2, s12
	v_mul_lo_u32 v2, v2, s13
	s_cbranch_vccnz .LBB19_309
; %bb.308:
	v_mul_hi_u32 v3, s6, v1
	v_add_nc_u32_e32 v3, v1, v3
	v_lshrrev_b32_e32 v3, s7, v3
	v_mul_lo_u32 v3, v3, s19
	v_sub_nc_u32_e32 v3, v1, v3
	v_mad_u64_u32 v[0:1], null, v3, s14, v[0:1]
	v_mad_u64_u32 v[2:3], null, v3, s15, v[2:3]
.LBB19_309:
	s_waitcnt lgkmcnt(0)
	v_add_co_u32 v1, s0, s10, v2
	v_add_co_ci_u32_e64 v2, null, s11, 0, s0
	s_and_b32 s0, 0xffff, s30
	s_cmp_lt_i32 s0, 11
	s_cbranch_scc1 .LBB19_316
; %bb.310:
	s_cmp_gt_i32 s0, 25
	s_cbranch_scc0 .LBB19_349
; %bb.311:
	s_cmp_gt_i32 s0, 28
	s_cbranch_scc0 .LBB19_351
	;; [unrolled: 3-line block ×4, first 2 shown]
; %bb.314:
	s_cmp_eq_u32 s0, 46
	s_mov_b32 s23, 0
	s_cbranch_scc0 .LBB19_361
; %bb.315:
	global_load_dword v3, v[1:2], off
	s_mov_b32 s1, -1
	s_mov_b32 s22, 0
	s_waitcnt vmcnt(0)
	v_lshlrev_b32_e32 v7, 16, v3
	s_branch .LBB19_363
.LBB19_316:
	s_mov_b32 s1, 0
	s_mov_b32 s22, s37
                                        ; implicit-def: $vgpr7
	s_cbranch_execnz .LBB19_540
.LBB19_317:
	s_andn2_b32 vcc_lo, exec_lo, s1
	s_cbranch_vccnz .LBB19_588
.LBB19_318:
                                        ; implicit-def: $vgpr1
	s_mov_b32 s0, exec_lo
	s_waitcnt vmcnt(0)
	v_cmpx_neq_f32_e32 0, v7
	s_xor_b32 s23, exec_lo, s0
	s_cbranch_execz .LBB19_340
; %bb.319:
	v_mov_b32_e32 v2, 0
	s_mov_b32 s0, -1
	s_mov_b32 s39, exec_lo
	v_cmpx_gt_f32_e32 0, v7
	s_cbranch_execz .LBB19_327
; %bb.320:
	v_trunc_f32_e32 v1, v7
	v_mov_b32_e32 v2, 0
	s_mov_b32 s1, 0
	s_mov_b32 s40, exec_lo
	v_cmpx_neq_f32_e32 v7, v1
	s_cbranch_execz .LBB19_326
; %bb.321:
	v_cvt_f64_f32_e32 v[1:2], v7
	s_mov_b32 s1, 0xc00921fb
	s_mov_b32 s0, 0x54442d18
	s_mov_b32 s42, exec_lo
                                        ; implicit-def: $vgpr9
                                        ; implicit-def: $vgpr5_vgpr6
	v_trunc_f64_e32 v[3:4], v[1:2]
	v_cmp_neq_f64_e64 vcc_lo, 0x7ff00000, |v[1:2]|
	v_add_f64 v[3:4], v[1:2], -v[3:4]
	v_mul_f64 v[3:4], |v[3:4]|, s[0:1]
	v_cndmask_b32_e32 v2, 0x80000000, v4, vcc_lo
	v_cndmask_b32_e32 v1, 0, v3, vcc_lo
                                        ; implicit-def: $vgpr3_vgpr4
	v_cmpx_ngt_f64_e64 0x41d00000, |v[1:2]|
	s_xor_b32 s42, exec_lo, s42
	s_cbranch_execz .LBB19_323
; %bb.322:
	v_ldexp_f64 v[3:4], |v[1:2]|, 0xffffff80
	v_cmp_le_f64_e64 vcc_lo, 0x7b000000, |v[1:2]|
	v_trig_preop_f64 v[5:6], |v[1:2]|, 0
	v_and_b32_e32 v9, 0x7fffffff, v2
	v_trig_preop_f64 v[19:20], |v[1:2]|, 2
	v_mov_b32_e32 v27, 0
	s_mov_b32 s1, 0x3ff921fb
	s_mov_b32 s44, 0x33145c07
	s_mov_b32 s45, 0x3c91a626
	v_cndmask_b32_e32 v4, v9, v4, vcc_lo
	v_cndmask_b32_e32 v3, v1, v3, vcc_lo
	v_trig_preop_f64 v[9:10], |v[1:2]|, 1
	v_mul_f64 v[11:12], v[5:6], v[3:4]
	v_mul_f64 v[25:26], v[19:20], v[3:4]
	;; [unrolled: 1-line block ×3, first 2 shown]
	v_fma_f64 v[5:6], v[5:6], v[3:4], -v[11:12]
	v_fma_f64 v[9:10], v[9:10], v[3:4], -v[13:14]
	;; [unrolled: 1-line block ×3, first 2 shown]
	v_add_f64 v[15:16], v[13:14], v[5:6]
	v_add_f64 v[17:18], v[15:16], -v[13:14]
	v_add_f64 v[23:24], v[11:12], v[15:16]
	v_add_f64 v[21:22], v[15:16], -v[17:18]
	v_add_f64 v[5:6], v[5:6], -v[17:18]
	v_ldexp_f64 v[17:18], v[23:24], -2
	v_add_f64 v[11:12], v[23:24], -v[11:12]
	v_add_f64 v[13:14], v[13:14], -v[21:22]
	v_add_f64 v[21:22], v[25:26], v[9:10]
	v_cmp_neq_f64_e64 vcc_lo, 0x7ff00000, |v[17:18]|
	v_add_f64 v[11:12], v[15:16], -v[11:12]
	v_add_f64 v[5:6], v[5:6], v[13:14]
	v_fract_f64_e32 v[13:14], v[17:18]
	v_add_f64 v[15:16], v[21:22], v[5:6]
	v_ldexp_f64 v[13:14], v[13:14], 2
	v_add_f64 v[17:18], v[11:12], v[15:16]
	v_cndmask_b32_e32 v14, 0, v14, vcc_lo
	v_cndmask_b32_e32 v13, 0, v13, vcc_lo
	v_add_f64 v[23:24], v[17:18], v[13:14]
	v_add_f64 v[11:12], v[17:18], -v[11:12]
	v_cmp_gt_f64_e32 vcc_lo, 0, v[23:24]
	v_add_f64 v[23:24], v[21:22], -v[25:26]
	v_cndmask_b32_e64 v28, 0, 0x40100000, vcc_lo
	v_add_f64 v[32:33], v[21:22], -v[23:24]
	v_add_f64 v[9:10], v[9:10], -v[23:24]
	v_add_f64 v[13:14], v[13:14], v[27:28]
	v_add_f64 v[28:29], v[15:16], -v[21:22]
	v_add_f64 v[23:24], v[25:26], -v[32:33]
	v_add_f64 v[30:31], v[17:18], v[13:14]
	;; [unrolled: 3-line block ×3, first 2 shown]
	v_cvt_i32_f64_e32 v30, v[30:31]
	v_add_f64 v[21:22], v[21:22], -v[34:35]
	v_cvt_f64_i32_e32 v[28:29], v30
	v_add_f64 v[5:6], v[5:6], v[21:22]
	v_add_f64 v[13:14], v[13:14], -v[28:29]
	v_add_f64 v[5:6], v[9:10], v[5:6]
	v_add_f64 v[9:10], v[15:16], -v[11:12]
	v_add_f64 v[19:20], v[17:18], v[13:14]
	v_add_f64 v[3:4], v[3:4], v[5:6]
	v_add_f64 v[5:6], v[19:20], -v[13:14]
	v_cmp_le_f64_e32 vcc_lo, 0.5, v[19:20]
	v_add_f64 v[3:4], v[9:10], v[3:4]
	v_add_f64 v[5:6], v[17:18], -v[5:6]
	v_cndmask_b32_e64 v28, 0, 0x3ff00000, vcc_lo
	v_add_co_ci_u32_e64 v9, null, 0, v30, vcc_lo
	v_add_f64 v[3:4], v[3:4], v[5:6]
	v_add_f64 v[5:6], v[19:20], -v[27:28]
	v_add_f64 v[10:11], v[5:6], v[3:4]
	v_mul_f64 v[12:13], v[10:11], s[0:1]
	v_add_f64 v[5:6], v[10:11], -v[5:6]
	v_fma_f64 v[14:15], v[10:11], s[0:1], -v[12:13]
	v_add_f64 v[3:4], v[3:4], -v[5:6]
	v_fma_f64 v[5:6], v[10:11], s[44:45], v[14:15]
	v_fma_f64 v[5:6], v[3:4], s[0:1], v[5:6]
	v_add_f64 v[3:4], v[12:13], v[5:6]
	v_add_f64 v[10:11], v[3:4], -v[12:13]
	v_add_f64 v[5:6], v[5:6], -v[10:11]
.LBB19_323:
	s_andn2_saveexec_b32 s0, s42
	s_cbranch_execz .LBB19_325
; %bb.324:
	s_mov_b32 s42, 0x6dc9c883
	s_mov_b32 s43, 0x3fe45f30
	;; [unrolled: 1-line block ×3, first 2 shown]
	v_mul_f64 v[3:4], |v[1:2]|, s[42:43]
	s_mov_b32 s42, 0x54442d18
	s_mov_b32 s43, 0xbff921fb
	;; [unrolled: 1-line block ×3, first 2 shown]
	v_rndne_f64_e32 v[9:10], v[3:4]
	v_fma_f64 v[3:4], v[9:10], s[42:43], |v[1:2]|
	v_mul_f64 v[5:6], v[9:10], s[44:45]
	s_mov_b32 s42, 0x252049c0
	s_mov_b32 s43, 0xb97b839a
	v_fma_f64 v[13:14], v[9:10], s[44:45], v[3:4]
	v_add_f64 v[11:12], v[3:4], v[5:6]
	s_mov_b32 s45, 0x3c91a626
	v_add_f64 v[3:4], v[3:4], -v[11:12]
	v_add_f64 v[11:12], v[11:12], -v[13:14]
	v_add_f64 v[3:4], v[3:4], v[5:6]
	v_fma_f64 v[5:6], v[9:10], s[44:45], v[5:6]
	v_add_f64 v[3:4], v[11:12], v[3:4]
	v_add_f64 v[3:4], v[3:4], -v[5:6]
	v_fma_f64 v[5:6], v[9:10], s[42:43], v[3:4]
	v_cvt_i32_f64_e32 v9, v[9:10]
	v_add_f64 v[3:4], v[13:14], v[5:6]
	v_add_f64 v[11:12], v[3:4], -v[13:14]
	v_add_f64 v[5:6], v[5:6], -v[11:12]
.LBB19_325:
	s_or_b32 exec_lo, exec_lo, s0
	v_mul_f64 v[10:11], v[3:4], v[3:4]
	v_add_f64 v[12:13], v[5:6], v[5:6]
	s_mov_b32 s42, 0xa9a29f71
	s_mov_b32 s44, 0xc751c08c
	;; [unrolled: 1-line block ×4, first 2 shown]
	v_cmp_class_f64_e64 s0, v[1:2], 0x1f8
	v_and_b32_e32 v9, 1, v9
	v_and_b32_e32 v2, 0x80000000, v2
	v_sub_f32_e32 v7, 1.0, v7
	s_mov_b32 s1, exec_lo
	v_cmp_eq_u32_e32 vcc_lo, 0, v9
	v_fma_f64 v[14:15], v[3:4], v[3:4], -v[10:11]
	v_fma_f64 v[12:13], v[3:4], v[12:13], v[14:15]
	v_add_f64 v[10:11], v[10:11], v[12:13]
	v_fma_f64 v[12:13], v[10:11], s[44:45], s[42:43]
	s_mov_b32 s42, 0x90a8aae0
	s_mov_b32 s43, 0x3f17746f
	v_fma_f64 v[12:13], v[10:11], v[12:13], s[42:43]
	s_mov_b32 s42, 0xa6fbf144
	s_mov_b32 s43, 0xbefbb44d
	;; [unrolled: 3-line block ×13, first 2 shown]
	v_mul_f64 v[10:11], v[10:11], v[12:13]
	v_mul_f64 v[12:13], v[3:4], v[10:11]
	v_add_f64 v[14:15], v[3:4], v[12:13]
	v_fma_f64 v[10:11], v[3:4], v[10:11], -v[12:13]
	v_add_f64 v[3:4], v[14:15], -v[3:4]
	v_add_f64 v[5:6], v[5:6], v[10:11]
	v_add_f64 v[3:4], v[12:13], -v[3:4]
	v_add_f64 v[3:4], v[5:6], v[3:4]
	v_add_f64 v[5:6], v[14:15], v[3:4]
	v_rcp_f64_e32 v[10:11], v[5:6]
	v_fma_f64 v[12:13], -v[5:6], v[10:11], 1.0
	v_fma_f64 v[10:11], v[12:13], v[10:11], v[10:11]
	v_fma_f64 v[12:13], -v[5:6], v[10:11], 1.0
	v_fma_f64 v[10:11], v[12:13], v[10:11], v[10:11]
	v_add_f64 v[12:13], v[5:6], -v[14:15]
	v_mul_f64 v[14:15], v[5:6], v[10:11]
	v_add_f64 v[3:4], v[3:4], -v[12:13]
	v_fma_f64 v[12:13], v[10:11], v[5:6], -v[14:15]
	v_fma_f64 v[3:4], v[10:11], v[3:4], v[12:13]
	v_add_f64 v[12:13], v[14:15], v[3:4]
	v_add_f64 v[16:17], -v[12:13], 1.0
	v_add_f64 v[14:15], v[12:13], -v[14:15]
	v_add_f64 v[18:19], -v[16:17], 1.0
	v_add_f64 v[3:4], v[14:15], -v[3:4]
	v_add_f64 v[12:13], v[18:19], -v[12:13]
	v_add_f64 v[3:4], v[3:4], v[12:13]
	v_add_f64 v[3:4], v[16:17], v[3:4]
	v_mul_f64 v[3:4], v[10:11], v[3:4]
	v_add_f64 v[3:4], v[10:11], v[3:4]
	v_xor_b32_e32 v1, 0x80000000, v4
	v_cndmask_b32_e32 v3, v3, v5, vcc_lo
	v_cndmask_b32_e32 v1, v1, v6, vcc_lo
	v_xor_b32_e32 v2, v1, v2
	v_cndmask_b32_e64 v1, 0, v3, s0
	v_cndmask_b32_e64 v2, 0x7ff80000, v2, s0
	v_div_scale_f64 v[3:4], null, v[1:2], v[1:2], s[42:43]
	v_rcp_f64_e32 v[5:6], v[3:4]
	v_fma_f64 v[9:10], -v[3:4], v[5:6], 1.0
	v_fma_f64 v[5:6], v[5:6], v[9:10], v[5:6]
	v_fma_f64 v[9:10], -v[3:4], v[5:6], 1.0
	v_fma_f64 v[5:6], v[5:6], v[9:10], v[5:6]
	v_div_scale_f64 v[9:10], vcc_lo, s[42:43], v[1:2], s[42:43]
	v_mul_f64 v[11:12], v[9:10], v[5:6]
	v_fma_f64 v[3:4], -v[3:4], v[11:12], v[9:10]
	v_div_fmas_f64 v[3:4], v[3:4], v[5:6], v[11:12]
	v_div_fixup_f64 v[1:2], v[3:4], v[1:2], s[42:43]
	v_cvt_f32_f64_e32 v2, v[1:2]
.LBB19_326:
	s_or_b32 exec_lo, exec_lo, s40
	s_orn2_b32 s0, s1, exec_lo
.LBB19_327:
	s_or_b32 exec_lo, exec_lo, s39
	v_mov_b32_e32 v1, 0x7fc00000
	s_and_saveexec_b32 s39, s0
	s_cbranch_execz .LBB19_339
; %bb.328:
	s_mov_b32 s0, exec_lo
	v_cmpx_gt_f32_e32 0x41200000, v7
	s_cbranch_execz .LBB19_332
; %bb.329:
	s_mov_b32 s1, 0
	.p2align	6
.LBB19_330:                             ; =>This Inner Loop Header: Depth=1
	v_div_scale_f32 v1, null, v7, v7, 1.0
	v_div_scale_f32 v5, vcc_lo, 1.0, v7, 1.0
	v_rcp_f32_e32 v3, v1
	v_fma_f32 v4, -v1, v3, 1.0
	v_fmac_f32_e32 v3, v4, v3
	v_mul_f32_e32 v4, v5, v3
	v_fma_f32 v6, -v1, v4, v5
	v_fmac_f32_e32 v4, v6, v3
	v_fma_f32 v1, -v1, v4, v5
	v_div_fmas_f32 v1, v1, v3, v4
	v_div_fixup_f32 v1, v1, v7, 1.0
	v_add_f32_e32 v7, 1.0, v7
	v_sub_f32_e32 v2, v2, v1
	v_cmp_ngt_f32_e32 vcc_lo, 0x41200000, v7
	s_or_b32 s1, vcc_lo, s1
	s_andn2_b32 exec_lo, exec_lo, s1
	s_cbranch_execnz .LBB19_330
; %bb.331:
	s_or_b32 exec_lo, exec_lo, s1
.LBB19_332:
	s_or_b32 exec_lo, exec_lo, s0
                                        ; implicit-def: $vgpr1
	s_mov_b32 s0, exec_lo
	v_cmpx_neq_f32_e32 0x41200000, v7
	s_xor_b32 s40, exec_lo, s0
	s_cbranch_execz .LBB19_336
; %bb.333:
	v_cvt_f64_f32_e32 v[3:4], v7
	s_mov_b32 s0, 0x85d8a000
	s_mov_b32 s1, 0x43763457
	v_mov_b32_e32 v1, 0
	v_cmp_gt_f64_e32 vcc_lo, s[0:1], v[3:4]
	s_and_saveexec_b32 s0, vcc_lo
	s_cbranch_execz .LBB19_335
; %bb.334:
	v_mul_f32_e32 v1, v7, v7
	v_div_scale_f32 v3, null, v1, v1, 1.0
	v_rcp_f32_e32 v4, v3
	v_fma_f32 v5, -v3, v4, 1.0
	v_fmac_f32_e32 v4, v5, v4
	v_div_scale_f32 v5, vcc_lo, 1.0, v1, 1.0
	v_mul_f32_e32 v6, v5, v4
	v_fma_f32 v9, -v3, v6, v5
	v_fmac_f32_e32 v6, v9, v4
	v_fma_f32 v3, -v3, v6, v5
	v_div_fmas_f32 v3, v3, v4, v6
	v_div_fixup_f32 v1, v3, v1, 1.0
	v_fmaak_f32 v3, 0, v1, 0x3daaaaab
	v_fmaak_f32 v3, v1, v3, 0xbcaccacd
	;; [unrolled: 1-line block ×7, first 2 shown]
	v_mul_f32_e32 v1, v1, v3
.LBB19_335:
	s_or_b32 exec_lo, exec_lo, s0
	v_cmp_gt_f32_e32 vcc_lo, 0x800000, v7
	v_div_scale_f32 v3, null, v7, v7, -0.5
	v_div_scale_f32 v9, s0, -0.5, v7, -0.5
	v_cndmask_b32_e64 v4, 0, 32, vcc_lo
	v_rcp_f32_e32 v5, v3
	v_ldexp_f32 v4, v7, v4
	v_log_f32_e32 v4, v4
	v_fma_f32 v6, -v3, v5, 1.0
	v_fmac_f32_e32 v5, v6, v5
	v_mul_f32_e32 v6, 0x3f317217, v4
	v_mul_f32_e32 v10, v9, v5
	v_cmp_gt_f32_e64 s1, 0x7f800000, |v4|
	v_fma_f32 v6, 0x3f317217, v4, -v6
	v_fma_f32 v11, -v3, v10, v9
	v_fmamk_f32 v6, v4, 0x3377d1cf, v6
	v_fmac_f32_e32 v10, v11, v5
	v_fmac_f32_e32 v6, 0x3f317217, v4
	v_fma_f32 v3, -v3, v10, v9
	v_cndmask_b32_e64 v4, v4, v6, s1
	v_cndmask_b32_e64 v6, 0, 0x41b17218, vcc_lo
	s_mov_b32 vcc_lo, s0
	v_div_fmas_f32 v3, v3, v5, v10
	v_sub_f32_e32 v4, v4, v6
	v_div_fixup_f32 v3, v3, v7, -0.5
	v_add_f32_e32 v3, v4, v3
	v_sub_f32_e32 v1, v3, v1
	v_add_f32_e32 v1, v2, v1
                                        ; implicit-def: $vgpr2
.LBB19_336:
	s_andn2_saveexec_b32 s0, s40
; %bb.337:
	v_add_f32_e32 v1, 0x40101cb7, v2
; %bb.338:
	s_or_b32 exec_lo, exec_lo, s0
.LBB19_339:
	s_or_b32 exec_lo, exec_lo, s39
                                        ; implicit-def: $vgpr7
.LBB19_340:
	s_andn2_saveexec_b32 s0, s23
; %bb.341:
	v_xor_b32_e32 v1, 0x80000000, v7
	s_mov_b32 s1, 0x7f800000
	v_bfi_b32 v1, 0x7fffffff, s1, v1
; %bb.342:
	s_or_b32 exec_lo, exec_lo, s0
	v_add_co_u32 v3, s0, s8, v0
	v_add_co_ci_u32_e64 v4, null, s9, 0, s0
	s_and_b32 s1, s29, 0xff
	s_cmp_lt_i32 s1, 11
	s_cbranch_scc1 .LBB19_350
; %bb.343:
	s_and_b32 s23, 0xffff, s1
	s_cmp_gt_i32 s23, 25
	s_cbranch_scc0 .LBB19_352
; %bb.344:
	s_cmp_gt_i32 s23, 28
	s_cbranch_scc0 .LBB19_354
; %bb.345:
	;; [unrolled: 3-line block ×4, first 2 shown]
	s_mov_b32 s40, 0
	s_mov_b32 s0, -1
	s_cmp_eq_u32 s23, 46
	s_mov_b32 s39, 0
	s_cbranch_scc0 .LBB19_367
; %bb.348:
	v_bfe_u32 v0, v1, 16, 1
	v_cmp_o_f32_e32 vcc_lo, v1, v1
	v_mov_b32_e32 v2, 0x7fc0
	s_mov_b32 s39, -1
	s_mov_b32 s0, 0
	v_add3_u32 v0, v1, v0, 0x7fff
	v_cndmask_b32_sdwa v0, v2, v0, vcc_lo dst_sel:DWORD dst_unused:UNUSED_PAD src0_sel:DWORD src1_sel:WORD_1
	global_store_dword v[3:4], v0, off
	s_branch .LBB19_367
.LBB19_349:
	s_mov_b32 s23, -1
	s_mov_b32 s1, 0
	s_mov_b32 s22, s37
                                        ; implicit-def: $vgpr7
	s_branch .LBB19_504
.LBB19_350:
	s_mov_b32 s23, -1
	s_mov_b32 s39, 0
	s_mov_b32 s0, s36
	s_branch .LBB19_436
.LBB19_351:
	s_mov_b32 s23, -1
	s_mov_b32 s1, 0
	s_mov_b32 s22, s37
                                        ; implicit-def: $vgpr7
	s_branch .LBB19_485
.LBB19_352:
	s_mov_b32 s40, -1
	s_mov_b32 s39, 0
	s_mov_b32 s0, s36
	s_branch .LBB19_394
.LBB19_353:
	s_mov_b32 s23, -1
	s_mov_b32 s1, 0
	s_mov_b32 s22, s37
                                        ; implicit-def: $vgpr7
	s_branch .LBB19_480
.LBB19_354:
	s_mov_b32 s40, -1
	s_mov_b32 s39, 0
	s_mov_b32 s0, s36
	s_branch .LBB19_377
.LBB19_355:
	s_andn2_saveexec_b32 s40, s40
	s_cbranch_execz .LBB19_92
.LBB19_356:
	v_add_f32_e64 v0, 0x46000000, |v1|
	s_andn2_b32 s37, s37, exec_lo
	v_and_b32_e32 v0, 0xff, v0
	v_cmp_ne_u32_e32 vcc_lo, 0, v0
	s_and_b32 s41, vcc_lo, exec_lo
	s_or_b32 s37, s37, s41
	s_or_b32 exec_lo, exec_lo, s40
	v_mov_b32_e32 v2, 0
	s_and_saveexec_b32 s40, s37
	s_cbranch_execnz .LBB19_93
	s_branch .LBB19_94
.LBB19_357:
	s_mov_b32 s23, -1
	s_mov_b32 s1, 0
	s_mov_b32 s22, s37
	s_branch .LBB19_362
.LBB19_358:
	s_mov_b32 s40, -1
	s_mov_b32 s39, 0
	s_mov_b32 s0, s36
	s_branch .LBB19_373
.LBB19_359:
	s_andn2_saveexec_b32 s40, s40
	s_cbranch_execz .LBB19_105
.LBB19_360:
	v_add_f32_e64 v0, 0x42800000, |v1|
	s_andn2_b32 s37, s37, exec_lo
	v_and_b32_e32 v0, 0xff, v0
	v_cmp_ne_u32_e32 vcc_lo, 0, v0
	s_and_b32 s41, vcc_lo, exec_lo
	s_or_b32 s37, s37, s41
	s_or_b32 exec_lo, exec_lo, s40
	v_mov_b32_e32 v2, 0
	s_and_saveexec_b32 s40, s37
	s_cbranch_execnz .LBB19_106
	s_branch .LBB19_107
.LBB19_361:
	s_mov_b32 s22, -1
	s_mov_b32 s1, 0
.LBB19_362:
                                        ; implicit-def: $vgpr7
.LBB19_363:
	s_and_b32 vcc_lo, exec_lo, s23
	s_cbranch_vccz .LBB19_479
; %bb.364:
	s_cmp_eq_u32 s0, 44
	s_cbranch_scc0 .LBB19_478
; %bb.365:
	global_load_ubyte v3, v[1:2], off
	s_mov_b32 s22, 0
	s_mov_b32 s1, -1
	s_waitcnt vmcnt(0)
	v_lshlrev_b32_e32 v4, 23, v3
	v_cmp_ne_u32_e32 vcc_lo, 0xff, v3
	v_cndmask_b32_e32 v4, 0x7f800001, v4, vcc_lo
	v_cmp_ne_u32_e32 vcc_lo, 0, v3
	v_cndmask_b32_e32 v7, 0x400000, v4, vcc_lo
	s_branch .LBB19_479
.LBB19_366:
	s_mov_b32 s40, -1
	s_mov_b32 s39, 0
	s_mov_b32 s0, s36
.LBB19_367:
	s_and_b32 vcc_lo, exec_lo, s40
	s_cbranch_vccz .LBB19_372
; %bb.368:
	s_cmp_eq_u32 s23, 44
	s_mov_b32 s0, -1
	s_cbranch_scc0 .LBB19_372
; %bb.369:
	v_bfe_u32 v2, v1, 23, 8
	v_mov_b32_e32 v0, 0xff
	s_mov_b32 s39, exec_lo
	v_cmpx_ne_u32_e32 0xff, v2
	s_cbranch_execz .LBB19_371
; %bb.370:
	v_and_b32_e32 v0, 0x400000, v1
	v_and_or_b32 v2, 0x3fffff, v1, v2
	v_cmp_ne_u32_e32 vcc_lo, 0, v0
	v_cmp_ne_u32_e64 s0, 0, v2
	v_lshrrev_b32_e32 v0, 23, v1
	s_and_b32 s0, vcc_lo, s0
	v_cndmask_b32_e64 v2, 0, 1, s0
	v_add_nc_u32_e32 v0, v0, v2
.LBB19_371:
	s_or_b32 exec_lo, exec_lo, s39
	s_mov_b32 s39, -1
	s_mov_b32 s0, 0
	global_store_byte v[3:4], v0, off
.LBB19_372:
	s_mov_b32 s40, 0
.LBB19_373:
	s_and_b32 vcc_lo, exec_lo, s40
	s_cbranch_vccz .LBB19_376
; %bb.374:
	s_cmp_eq_u32 s23, 29
	s_mov_b32 s0, -1
	s_cbranch_scc0 .LBB19_376
; %bb.375:
	v_trunc_f32_e32 v0, v1
	s_mov_b32 s39, -1
	s_mov_b32 s0, 0
	s_mov_b32 s40, 0
	v_mul_f32_e32 v2, 0x2f800000, v0
	v_floor_f32_e32 v2, v2
	v_fmamk_f32 v0, v2, 0xcf800000, v0
	v_cvt_u32_f32_e32 v6, v2
	v_cvt_u32_f32_e32 v5, v0
	global_store_dwordx2 v[3:4], v[5:6], off
	s_branch .LBB19_377
.LBB19_376:
	s_mov_b32 s40, 0
.LBB19_377:
	s_and_b32 vcc_lo, exec_lo, s40
	s_cbranch_vccz .LBB19_393
; %bb.378:
	s_cmp_lt_i32 s23, 27
	s_mov_b32 s39, -1
	s_cbranch_scc1 .LBB19_384
; %bb.379:
	v_cvt_u32_f32_e32 v0, v1
	s_cmp_gt_i32 s23, 27
	s_cbranch_scc0 .LBB19_381
; %bb.380:
	s_mov_b32 s39, 0
	global_store_dword v[3:4], v0, off
.LBB19_381:
	s_andn2_b32 vcc_lo, exec_lo, s39
	s_cbranch_vccnz .LBB19_383
; %bb.382:
	global_store_short v[3:4], v0, off
.LBB19_383:
	s_mov_b32 s39, 0
.LBB19_384:
	s_andn2_b32 vcc_lo, exec_lo, s39
	s_cbranch_vccnz .LBB19_392
; %bb.385:
	v_and_b32_e32 v0, 0x7fffffff, v1
	v_mov_b32_e32 v2, 0x80
	s_mov_b32 s39, exec_lo
	v_cmpx_gt_u32_e32 0x43800000, v0
	s_cbranch_execz .LBB19_391
; %bb.386:
	v_cmp_lt_u32_e32 vcc_lo, 0x3bffffff, v0
	s_mov_b32 s40, 0
                                        ; implicit-def: $vgpr0
	s_and_saveexec_b32 s42, vcc_lo
	s_xor_b32 s42, exec_lo, s42
	s_cbranch_execz .LBB19_619
; %bb.387:
	v_bfe_u32 v0, v1, 20, 1
	s_mov_b32 s40, exec_lo
	v_add3_u32 v0, v1, v0, 0x487ffff
	v_lshrrev_b32_e32 v0, 20, v0
	s_andn2_saveexec_b32 s42, s42
	s_cbranch_execnz .LBB19_620
.LBB19_388:
	s_or_b32 exec_lo, exec_lo, s42
	v_mov_b32_e32 v2, 0
	s_and_saveexec_b32 s42, s40
.LBB19_389:
	v_lshrrev_b32_e32 v2, 24, v1
	v_and_or_b32 v2, 0x80, v2, v0
.LBB19_390:
	s_or_b32 exec_lo, exec_lo, s42
.LBB19_391:
	s_or_b32 exec_lo, exec_lo, s39
	global_store_byte v[3:4], v2, off
.LBB19_392:
	s_mov_b32 s39, -1
.LBB19_393:
	s_mov_b32 s40, 0
.LBB19_394:
	s_and_b32 vcc_lo, exec_lo, s40
	s_cbranch_vccz .LBB19_435
; %bb.395:
	s_cmp_gt_i32 s23, 22
	s_mov_b32 s40, -1
	s_cbranch_scc0 .LBB19_427
; %bb.396:
	s_cmp_lt_i32 s23, 24
	s_mov_b32 s39, -1
	s_cbranch_scc1 .LBB19_416
; %bb.397:
	s_cmp_gt_i32 s23, 24
	s_cbranch_scc0 .LBB19_405
; %bb.398:
	v_and_b32_e32 v0, 0x7fffffff, v1
	v_mov_b32_e32 v2, 0x80
	s_mov_b32 s39, exec_lo
	v_cmpx_gt_u32_e32 0x47800000, v0
	s_cbranch_execz .LBB19_404
; %bb.399:
	v_cmp_lt_u32_e32 vcc_lo, 0x37ffffff, v0
	s_mov_b32 s40, 0
                                        ; implicit-def: $vgpr0
	s_and_saveexec_b32 s42, vcc_lo
	s_xor_b32 s42, exec_lo, s42
	s_cbranch_execz .LBB19_622
; %bb.400:
	v_bfe_u32 v0, v1, 21, 1
	s_mov_b32 s40, exec_lo
	v_add3_u32 v0, v1, v0, 0x88fffff
	v_lshrrev_b32_e32 v0, 21, v0
	s_andn2_saveexec_b32 s42, s42
	s_cbranch_execnz .LBB19_623
.LBB19_401:
	s_or_b32 exec_lo, exec_lo, s42
	v_mov_b32_e32 v2, 0
	s_and_saveexec_b32 s42, s40
.LBB19_402:
	v_lshrrev_b32_e32 v2, 24, v1
	v_and_or_b32 v2, 0x80, v2, v0
.LBB19_403:
	s_or_b32 exec_lo, exec_lo, s42
.LBB19_404:
	s_or_b32 exec_lo, exec_lo, s39
	s_mov_b32 s39, 0
	global_store_byte v[3:4], v2, off
.LBB19_405:
	s_and_b32 vcc_lo, exec_lo, s39
	s_cbranch_vccz .LBB19_415
; %bb.406:
	v_and_b32_e32 v2, 0x7fffffff, v1
	s_mov_b32 s39, exec_lo
                                        ; implicit-def: $vgpr0
	v_cmpx_gt_u32_e32 0x43f00000, v2
	s_xor_b32 s39, exec_lo, s39
	s_cbranch_execz .LBB19_412
; %bb.407:
	s_mov_b32 s40, exec_lo
                                        ; implicit-def: $vgpr0
	v_cmpx_lt_u32_e32 0x3c7fffff, v2
	s_xor_b32 s40, exec_lo, s40
; %bb.408:
	v_bfe_u32 v0, v1, 20, 1
	v_add3_u32 v0, v1, v0, 0x407ffff
	v_and_b32_e32 v2, 0xff00000, v0
	v_lshrrev_b32_e32 v0, 20, v0
	v_cmp_ne_u32_e32 vcc_lo, 0x7f00000, v2
	v_cndmask_b32_e32 v0, 0x7e, v0, vcc_lo
; %bb.409:
	s_andn2_saveexec_b32 s40, s40
; %bb.410:
	v_add_f32_e64 v0, 0x46800000, |v1|
; %bb.411:
	s_or_b32 exec_lo, exec_lo, s40
                                        ; implicit-def: $vgpr2
.LBB19_412:
	s_andn2_saveexec_b32 s39, s39
; %bb.413:
	v_mov_b32_e32 v0, 0x7f
	v_cmp_lt_u32_e32 vcc_lo, 0x7f800000, v2
	v_cndmask_b32_e32 v0, 0x7e, v0, vcc_lo
; %bb.414:
	s_or_b32 exec_lo, exec_lo, s39
	v_lshrrev_b32_e32 v2, 24, v1
	v_and_or_b32 v0, 0x80, v2, v0
	global_store_byte v[3:4], v0, off
.LBB19_415:
	s_mov_b32 s39, 0
.LBB19_416:
	s_andn2_b32 vcc_lo, exec_lo, s39
	s_cbranch_vccnz .LBB19_426
; %bb.417:
	v_and_b32_e32 v2, 0x7fffffff, v1
	s_mov_b32 s39, exec_lo
                                        ; implicit-def: $vgpr0
	v_cmpx_gt_u32_e32 0x47800000, v2
	s_xor_b32 s39, exec_lo, s39
	s_cbranch_execz .LBB19_423
; %bb.418:
	s_mov_b32 s40, exec_lo
                                        ; implicit-def: $vgpr0
	v_cmpx_lt_u32_e32 0x387fffff, v2
	s_xor_b32 s40, exec_lo, s40
; %bb.419:
	v_bfe_u32 v0, v1, 21, 1
	v_add3_u32 v0, v1, v0, 0x80fffff
	v_lshrrev_b32_e32 v0, 21, v0
; %bb.420:
	s_andn2_saveexec_b32 s40, s40
; %bb.421:
	v_add_f32_e64 v0, 0x43000000, |v1|
; %bb.422:
	s_or_b32 exec_lo, exec_lo, s40
                                        ; implicit-def: $vgpr2
.LBB19_423:
	s_andn2_saveexec_b32 s39, s39
; %bb.424:
	v_mov_b32_e32 v0, 0x7f
	v_cmp_lt_u32_e32 vcc_lo, 0x7f800000, v2
	v_cndmask_b32_e32 v0, 0x7c, v0, vcc_lo
; %bb.425:
	s_or_b32 exec_lo, exec_lo, s39
	v_lshrrev_b32_e32 v2, 24, v1
	v_and_or_b32 v0, 0x80, v2, v0
	global_store_byte v[3:4], v0, off
.LBB19_426:
	s_mov_b32 s40, 0
	s_mov_b32 s39, -1
.LBB19_427:
	s_andn2_b32 vcc_lo, exec_lo, s40
	s_cbranch_vccnz .LBB19_435
; %bb.428:
	s_cmp_gt_i32 s23, 14
	s_mov_b32 s40, -1
	s_cbranch_scc0 .LBB19_432
; %bb.429:
	s_cmp_eq_u32 s23, 15
	s_mov_b32 s0, -1
	s_cbranch_scc0 .LBB19_431
; %bb.430:
	v_bfe_u32 v0, v1, 16, 1
	v_cmp_o_f32_e32 vcc_lo, v1, v1
	v_mov_b32_e32 v2, 0x7fc0
	s_mov_b32 s39, -1
	s_mov_b32 s0, 0
	v_add3_u32 v0, v1, v0, 0x7fff
	v_cndmask_b32_sdwa v0, v2, v0, vcc_lo dst_sel:DWORD dst_unused:UNUSED_PAD src0_sel:DWORD src1_sel:WORD_1
	global_store_short v[3:4], v0, off
.LBB19_431:
	s_mov_b32 s40, 0
.LBB19_432:
	s_and_b32 vcc_lo, exec_lo, s40
	s_cbranch_vccz .LBB19_435
; %bb.433:
	s_cmp_eq_u32 s23, 11
	s_mov_b32 s0, -1
	s_cbranch_scc0 .LBB19_435
; %bb.434:
	v_cmp_neq_f32_e32 vcc_lo, 0, v1
	s_mov_b32 s0, 0
	s_mov_b32 s39, -1
	v_cndmask_b32_e64 v0, 0, 1, vcc_lo
	global_store_byte v[3:4], v0, off
.LBB19_435:
	s_mov_b32 s23, 0
.LBB19_436:
	s_and_b32 vcc_lo, exec_lo, s23
	s_cbranch_vccz .LBB19_475
; %bb.437:
	s_and_b32 s1, 0xffff, s1
	s_mov_b32 s23, -1
	s_cmp_lt_i32 s1, 5
	s_cbranch_scc1 .LBB19_458
; %bb.438:
	s_cmp_lt_i32 s1, 8
	s_cbranch_scc1 .LBB19_448
; %bb.439:
	;; [unrolled: 3-line block ×3, first 2 shown]
	s_cmp_gt_i32 s1, 9
	s_cbranch_scc0 .LBB19_442
; %bb.441:
	v_cvt_f64_f32_e32 v[9:10], v1
	v_mov_b32_e32 v11, 0
	s_mov_b32 s23, 0
	v_mov_b32_e32 v12, v11
	global_store_dwordx4 v[3:4], v[9:12], off
.LBB19_442:
	s_andn2_b32 vcc_lo, exec_lo, s23
	s_cbranch_vccnz .LBB19_444
; %bb.443:
	v_mov_b32_e32 v2, 0
	global_store_dwordx2 v[3:4], v[1:2], off
.LBB19_444:
	s_mov_b32 s23, 0
.LBB19_445:
	s_andn2_b32 vcc_lo, exec_lo, s23
	s_cbranch_vccnz .LBB19_447
; %bb.446:
	v_cvt_f16_f32_e32 v0, v1
	v_and_b32_e32 v0, 0xffff, v0
	global_store_dword v[3:4], v0, off
.LBB19_447:
	s_mov_b32 s23, 0
.LBB19_448:
	s_andn2_b32 vcc_lo, exec_lo, s23
	s_cbranch_vccnz .LBB19_457
; %bb.449:
	s_cmp_lt_i32 s1, 6
	s_mov_b32 s23, -1
	s_cbranch_scc1 .LBB19_455
; %bb.450:
	s_cmp_gt_i32 s1, 6
	s_cbranch_scc0 .LBB19_452
; %bb.451:
	v_cvt_f64_f32_e32 v[5:6], v1
	s_mov_b32 s23, 0
	global_store_dwordx2 v[3:4], v[5:6], off
.LBB19_452:
	s_andn2_b32 vcc_lo, exec_lo, s23
	s_cbranch_vccnz .LBB19_454
; %bb.453:
	global_store_dword v[3:4], v1, off
.LBB19_454:
	s_mov_b32 s23, 0
.LBB19_455:
	s_andn2_b32 vcc_lo, exec_lo, s23
	s_cbranch_vccnz .LBB19_457
; %bb.456:
	v_cvt_f16_f32_e32 v0, v1
	global_store_short v[3:4], v0, off
.LBB19_457:
	s_mov_b32 s23, 0
.LBB19_458:
	s_andn2_b32 vcc_lo, exec_lo, s23
	s_cbranch_vccnz .LBB19_474
; %bb.459:
	s_cmp_lt_i32 s1, 2
	s_mov_b32 s23, -1
	s_cbranch_scc1 .LBB19_469
; %bb.460:
	s_cmp_lt_i32 s1, 3
	s_cbranch_scc1 .LBB19_466
; %bb.461:
	s_cmp_gt_i32 s1, 3
	s_cbranch_scc0 .LBB19_463
; %bb.462:
	v_trunc_f32_e32 v0, v1
	s_mov_b32 s23, 0
	v_mul_f32_e64 v2, 0x2f800000, |v0|
	v_floor_f32_e32 v2, v2
	v_fma_f32 v5, 0xcf800000, v2, |v0|
	v_ashrrev_i32_e32 v0, 31, v0
	v_cvt_u32_f32_e32 v2, v2
	v_cvt_u32_f32_e32 v5, v5
	v_xor_b32_e32 v2, v2, v0
	v_xor_b32_e32 v5, v5, v0
	v_sub_co_u32 v5, vcc_lo, v5, v0
	v_sub_co_ci_u32_e64 v6, null, v2, v0, vcc_lo
	global_store_dwordx2 v[3:4], v[5:6], off
.LBB19_463:
	s_andn2_b32 vcc_lo, exec_lo, s23
	s_cbranch_vccnz .LBB19_465
; %bb.464:
	v_cvt_i32_f32_e32 v0, v1
	global_store_dword v[3:4], v0, off
.LBB19_465:
	s_mov_b32 s23, 0
.LBB19_466:
	s_andn2_b32 vcc_lo, exec_lo, s23
	s_cbranch_vccnz .LBB19_468
; %bb.467:
	v_cvt_i32_f32_e32 v0, v1
	global_store_short v[3:4], v0, off
.LBB19_468:
	s_mov_b32 s23, 0
.LBB19_469:
	s_andn2_b32 vcc_lo, exec_lo, s23
	s_cbranch_vccnz .LBB19_474
; %bb.470:
	s_cmp_gt_i32 s1, 0
	s_mov_b32 s1, -1
	s_cbranch_scc0 .LBB19_472
; %bb.471:
	v_cvt_i32_f32_e32 v0, v1
	s_mov_b32 s1, 0
	global_store_byte v[3:4], v0, off
.LBB19_472:
	s_andn2_b32 vcc_lo, exec_lo, s1
	s_cbranch_vccnz .LBB19_474
; %bb.473:
	v_trunc_f32_e32 v0, v1
	v_mul_f32_e64 v1, 0x2f800000, |v0|
	v_floor_f32_e32 v1, v1
	v_fma_f32 v1, 0xcf800000, v1, |v0|
	v_ashrrev_i32_e32 v0, 31, v0
	v_cvt_u32_f32_e32 v1, v1
	v_xor_b32_e32 v1, v1, v0
	v_sub_nc_u32_e32 v0, v1, v0
	global_store_byte v[3:4], v0, off
.LBB19_474:
	s_mov_b32 s39, -1
.LBB19_475:
	s_andn2_b32 vcc_lo, exec_lo, s39
	s_cbranch_vccnz .LBB19_477
; %bb.476:
	v_add_nc_u32_e32 v8, 0x80, v8
	s_mov_b32 s1, -1
	s_branch .LBB19_590
.LBB19_477:
	s_mov_b32 s1, 0
	s_branch .LBB19_589
.LBB19_478:
	s_mov_b32 s22, -1
                                        ; implicit-def: $vgpr7
.LBB19_479:
	s_mov_b32 s23, 0
.LBB19_480:
	s_and_b32 vcc_lo, exec_lo, s23
	s_cbranch_vccz .LBB19_484
; %bb.481:
	s_cmp_eq_u32 s0, 29
	s_cbranch_scc0 .LBB19_483
; %bb.482:
	global_load_dwordx2 v[3:4], v[1:2], off
	s_mov_b32 s1, -1
	s_mov_b32 s22, 0
	s_mov_b32 s23, 0
	s_waitcnt vmcnt(0)
	v_ffbh_u32_e32 v5, v4
	v_min_u32_e32 v5, 32, v5
	v_lshlrev_b64 v[3:4], v5, v[3:4]
	v_min_u32_e32 v3, 1, v3
	v_or_b32_e32 v3, v4, v3
	v_sub_nc_u32_e32 v4, 32, v5
	v_cvt_f32_u32_e32 v3, v3
	v_ldexp_f32 v7, v3, v4
	s_branch .LBB19_485
.LBB19_483:
	s_mov_b32 s22, -1
                                        ; implicit-def: $vgpr7
.LBB19_484:
	s_mov_b32 s23, 0
.LBB19_485:
	s_and_b32 vcc_lo, exec_lo, s23
	s_cbranch_vccz .LBB19_503
; %bb.486:
	s_cmp_lt_i32 s0, 27
	s_cbranch_scc1 .LBB19_489
; %bb.487:
	s_cmp_gt_i32 s0, 27
	s_cbranch_scc0 .LBB19_490
; %bb.488:
	global_load_dword v3, v[1:2], off
	s_mov_b32 s1, 0
	s_waitcnt vmcnt(0)
	v_cvt_f32_u32_e32 v7, v3
	s_branch .LBB19_491
.LBB19_489:
	s_mov_b32 s1, -1
                                        ; implicit-def: $vgpr7
	s_branch .LBB19_494
.LBB19_490:
	s_mov_b32 s1, -1
                                        ; implicit-def: $vgpr7
.LBB19_491:
	s_andn2_b32 vcc_lo, exec_lo, s1
	s_cbranch_vccnz .LBB19_493
; %bb.492:
	global_load_ushort v3, v[1:2], off
	s_waitcnt vmcnt(0)
	v_cvt_f32_u32_e32 v7, v3
.LBB19_493:
	s_mov_b32 s1, 0
.LBB19_494:
	s_andn2_b32 vcc_lo, exec_lo, s1
	s_cbranch_vccnz .LBB19_502
; %bb.495:
	global_load_ubyte v3, v[1:2], off
	s_mov_b32 s1, 0
	s_mov_b32 s23, exec_lo
	s_waitcnt vmcnt(0)
	v_cmpx_lt_i16_e32 0x7f, v3
	s_xor_b32 s23, exec_lo, s23
	s_cbranch_execz .LBB19_516
; %bb.496:
	s_mov_b32 s1, -1
	s_mov_b32 s39, exec_lo
	v_cmpx_eq_u16_e32 0x80, v3
; %bb.497:
	s_xor_b32 s1, exec_lo, -1
; %bb.498:
	s_or_b32 exec_lo, exec_lo, s39
	s_and_b32 s1, s1, exec_lo
	s_or_saveexec_b32 s23, s23
	v_mov_b32_e32 v7, 0x7f800001
	s_xor_b32 exec_lo, exec_lo, s23
	s_cbranch_execnz .LBB19_517
.LBB19_499:
	s_or_b32 exec_lo, exec_lo, s23
	s_and_saveexec_b32 s23, s1
	s_cbranch_execz .LBB19_501
.LBB19_500:
	v_and_b32_e32 v4, 0xffff, v3
	v_lshlrev_b32_e32 v3, 24, v3
	v_and_b32_e32 v5, 7, v4
	v_bfe_u32 v9, v4, 3, 4
	v_and_b32_e32 v3, 0x80000000, v3
	v_ffbh_u32_e32 v6, v5
	v_cmp_eq_u32_e32 vcc_lo, 0, v9
	v_min_u32_e32 v6, 32, v6
	v_subrev_nc_u32_e32 v7, 28, v6
	v_sub_nc_u32_e32 v6, 29, v6
	v_lshlrev_b32_e32 v4, v7, v4
	v_cndmask_b32_e32 v6, v9, v6, vcc_lo
	v_and_b32_e32 v4, 7, v4
	v_cndmask_b32_e32 v4, v5, v4, vcc_lo
	v_lshl_add_u32 v5, v6, 23, 0x3b800000
	v_lshlrev_b32_e32 v4, 20, v4
	v_or3_b32 v7, v3, v5, v4
.LBB19_501:
	s_or_b32 exec_lo, exec_lo, s23
.LBB19_502:
	s_mov_b32 s1, -1
.LBB19_503:
	s_mov_b32 s23, 0
.LBB19_504:
	s_and_b32 vcc_lo, exec_lo, s23
	s_cbranch_vccz .LBB19_539
; %bb.505:
	s_cmp_gt_i32 s0, 22
	s_cbranch_scc0 .LBB19_515
; %bb.506:
	s_cmp_lt_i32 s0, 24
	s_cbranch_scc1 .LBB19_518
; %bb.507:
	s_cmp_gt_i32 s0, 24
	s_cbranch_scc0 .LBB19_519
; %bb.508:
	global_load_ubyte v3, v[1:2], off
	s_mov_b32 s1, 0
	s_mov_b32 s23, exec_lo
	s_waitcnt vmcnt(0)
	v_cmpx_lt_i16_e32 0x7f, v3
	s_xor_b32 s23, exec_lo, s23
	s_cbranch_execz .LBB19_531
; %bb.509:
	s_mov_b32 s1, -1
	s_mov_b32 s39, exec_lo
	v_cmpx_eq_u16_e32 0x80, v3
; %bb.510:
	s_xor_b32 s1, exec_lo, -1
; %bb.511:
	s_or_b32 exec_lo, exec_lo, s39
	s_and_b32 s1, s1, exec_lo
	s_or_saveexec_b32 s23, s23
	v_mov_b32_e32 v7, 0x7f800001
	s_xor_b32 exec_lo, exec_lo, s23
	s_cbranch_execnz .LBB19_532
.LBB19_512:
	s_or_b32 exec_lo, exec_lo, s23
	s_and_saveexec_b32 s23, s1
	s_cbranch_execz .LBB19_514
.LBB19_513:
	v_and_b32_e32 v4, 0xffff, v3
	v_lshlrev_b32_e32 v3, 24, v3
	v_and_b32_e32 v5, 3, v4
	v_bfe_u32 v9, v4, 2, 5
	v_and_b32_e32 v3, 0x80000000, v3
	v_ffbh_u32_e32 v6, v5
	v_cmp_eq_u32_e32 vcc_lo, 0, v9
	v_min_u32_e32 v6, 32, v6
	v_subrev_nc_u32_e32 v7, 29, v6
	v_sub_nc_u32_e32 v6, 30, v6
	v_lshlrev_b32_e32 v4, v7, v4
	v_cndmask_b32_e32 v6, v9, v6, vcc_lo
	v_and_b32_e32 v4, 3, v4
	v_cndmask_b32_e32 v4, v5, v4, vcc_lo
	v_lshl_add_u32 v5, v6, 23, 0x37800000
	v_lshlrev_b32_e32 v4, 21, v4
	v_or3_b32 v7, v3, v5, v4
.LBB19_514:
	s_or_b32 exec_lo, exec_lo, s23
	s_mov_b32 s1, 0
	s_branch .LBB19_520
.LBB19_515:
	s_mov_b32 s23, -1
                                        ; implicit-def: $vgpr7
	s_branch .LBB19_526
.LBB19_516:
	s_or_saveexec_b32 s23, s23
	v_mov_b32_e32 v7, 0x7f800001
	s_xor_b32 exec_lo, exec_lo, s23
	s_cbranch_execz .LBB19_499
.LBB19_517:
	v_cmp_ne_u16_e32 vcc_lo, 0, v3
	v_mov_b32_e32 v7, 0
	s_andn2_b32 s1, s1, exec_lo
	s_and_b32 s39, vcc_lo, exec_lo
	s_or_b32 s1, s1, s39
	s_or_b32 exec_lo, exec_lo, s23
	s_and_saveexec_b32 s23, s1
	s_cbranch_execnz .LBB19_500
	s_branch .LBB19_501
.LBB19_518:
	s_mov_b32 s1, -1
                                        ; implicit-def: $vgpr7
	s_branch .LBB19_523
.LBB19_519:
	s_mov_b32 s1, -1
                                        ; implicit-def: $vgpr7
.LBB19_520:
	s_and_b32 vcc_lo, exec_lo, s1
	s_cbranch_vccz .LBB19_522
; %bb.521:
	global_load_ubyte v3, v[1:2], off
	s_waitcnt vmcnt(0)
	v_lshlrev_b32_e32 v3, 24, v3
	v_and_b32_e32 v4, 0x7f000000, v3
	v_ffbh_u32_e32 v5, v4
	v_add_nc_u32_e32 v7, 0x1000000, v4
	v_cmp_ne_u32_e32 vcc_lo, 0, v4
	v_min_u32_e32 v5, 32, v5
	v_sub_nc_u32_e64 v5, v5, 4 clamp
	v_lshlrev_b32_e32 v6, v5, v4
	v_lshlrev_b32_e32 v5, 23, v5
	v_lshrrev_b32_e32 v6, 4, v6
	v_sub_nc_u32_e32 v5, v6, v5
	v_ashrrev_i32_e32 v6, 8, v7
	v_add_nc_u32_e32 v5, 0x3c000000, v5
	v_and_or_b32 v5, 0x7f800000, v6, v5
	v_cndmask_b32_e32 v4, 0, v5, vcc_lo
	v_and_or_b32 v7, 0x80000000, v3, v4
.LBB19_522:
	s_mov_b32 s1, 0
.LBB19_523:
	s_andn2_b32 vcc_lo, exec_lo, s1
	s_cbranch_vccnz .LBB19_525
; %bb.524:
	global_load_ubyte v3, v[1:2], off
	s_waitcnt vmcnt(0)
	v_lshlrev_b32_e32 v4, 25, v3
	v_lshlrev_b16 v3, 8, v3
	v_lshrrev_b32_e32 v5, 4, v4
	v_and_or_b32 v6, 0x7f00, v3, 0.5
	v_cmp_gt_u32_e32 vcc_lo, 0x8000000, v4
	v_bfe_i32 v3, v3, 0, 16
	v_or_b32_e32 v5, 0x70000000, v5
	v_add_f32_e32 v6, -0.5, v6
	v_mul_f32_e32 v5, 0x7800000, v5
	v_cndmask_b32_e32 v4, v5, v6, vcc_lo
	v_and_or_b32 v7, 0x80000000, v3, v4
.LBB19_525:
	s_mov_b32 s23, 0
	s_mov_b32 s1, -1
.LBB19_526:
	s_andn2_b32 vcc_lo, exec_lo, s23
	s_cbranch_vccnz .LBB19_539
; %bb.527:
	s_cmp_gt_i32 s0, 14
	s_cbranch_scc0 .LBB19_530
; %bb.528:
	s_cmp_eq_u32 s0, 15
	s_cbranch_scc0 .LBB19_533
; %bb.529:
	global_load_ushort v3, v[1:2], off
	s_mov_b32 s1, -1
	s_mov_b32 s22, 0
	s_waitcnt vmcnt(0)
	v_lshlrev_b32_e32 v7, 16, v3
	s_branch .LBB19_534
.LBB19_530:
	s_mov_b32 s23, -1
                                        ; implicit-def: $vgpr7
	s_branch .LBB19_535
.LBB19_531:
	s_or_saveexec_b32 s23, s23
	v_mov_b32_e32 v7, 0x7f800001
	s_xor_b32 exec_lo, exec_lo, s23
	s_cbranch_execz .LBB19_512
.LBB19_532:
	v_cmp_ne_u16_e32 vcc_lo, 0, v3
	v_mov_b32_e32 v7, 0
	s_andn2_b32 s1, s1, exec_lo
	s_and_b32 s39, vcc_lo, exec_lo
	s_or_b32 s1, s1, s39
	s_or_b32 exec_lo, exec_lo, s23
	s_and_saveexec_b32 s23, s1
	s_cbranch_execnz .LBB19_513
	s_branch .LBB19_514
.LBB19_533:
	s_mov_b32 s22, -1
                                        ; implicit-def: $vgpr7
.LBB19_534:
	s_mov_b32 s23, 0
.LBB19_535:
	s_and_b32 vcc_lo, exec_lo, s23
	s_cbranch_vccz .LBB19_539
; %bb.536:
	s_cmp_eq_u32 s0, 11
	s_cbranch_scc0 .LBB19_538
; %bb.537:
	global_load_ubyte v3, v[1:2], off
	s_mov_b32 s22, 0
	s_mov_b32 s1, -1
	s_waitcnt vmcnt(0)
	v_cmp_ne_u16_e32 vcc_lo, 0, v3
	v_cndmask_b32_e64 v7, 0, 1.0, vcc_lo
	s_branch .LBB19_539
.LBB19_538:
	s_mov_b32 s22, -1
                                        ; implicit-def: $vgpr7
.LBB19_539:
	s_branch .LBB19_317
.LBB19_540:
	s_cmp_lt_i32 s0, 5
	s_cbranch_scc1 .LBB19_545
; %bb.541:
	s_cmp_lt_i32 s0, 8
	s_cbranch_scc1 .LBB19_546
; %bb.542:
	s_cmp_lt_i32 s0, 9
	s_cbranch_scc1 .LBB19_547
; %bb.543:
	s_cmp_gt_i32 s0, 9
	s_cbranch_scc0 .LBB19_548
; %bb.544:
	global_load_dwordx2 v[3:4], v[1:2], off
	s_mov_b32 s1, 0
	s_waitcnt vmcnt(0)
	v_cvt_f32_f64_e32 v7, v[3:4]
	s_branch .LBB19_549
.LBB19_545:
	s_mov_b32 s1, -1
                                        ; implicit-def: $vgpr7
	s_branch .LBB19_567
.LBB19_546:
	s_mov_b32 s1, -1
                                        ; implicit-def: $vgpr7
	s_branch .LBB19_555
.LBB19_547:
	s_mov_b32 s1, -1
                                        ; implicit-def: $vgpr7
	s_branch .LBB19_552
.LBB19_548:
	s_mov_b32 s1, -1
                                        ; implicit-def: $vgpr7
.LBB19_549:
	s_andn2_b32 vcc_lo, exec_lo, s1
	s_cbranch_vccnz .LBB19_551
; %bb.550:
	global_load_dword v7, v[1:2], off
.LBB19_551:
	s_mov_b32 s1, 0
.LBB19_552:
	s_andn2_b32 vcc_lo, exec_lo, s1
	s_cbranch_vccnz .LBB19_554
; %bb.553:
	global_load_dword v3, v[1:2], off
	s_waitcnt vmcnt(0)
	v_cvt_f32_f16_e32 v7, v3
.LBB19_554:
	s_mov_b32 s1, 0
.LBB19_555:
	s_andn2_b32 vcc_lo, exec_lo, s1
	s_cbranch_vccnz .LBB19_566
; %bb.556:
	s_cmp_lt_i32 s0, 6
	s_cbranch_scc1 .LBB19_559
; %bb.557:
	s_cmp_gt_i32 s0, 6
	s_cbranch_scc0 .LBB19_560
; %bb.558:
	global_load_dwordx2 v[3:4], v[1:2], off
	s_mov_b32 s1, 0
	s_waitcnt vmcnt(0)
	v_cvt_f32_f64_e32 v7, v[3:4]
	s_branch .LBB19_561
.LBB19_559:
	s_mov_b32 s1, -1
                                        ; implicit-def: $vgpr7
	s_branch .LBB19_564
.LBB19_560:
	s_mov_b32 s1, -1
                                        ; implicit-def: $vgpr7
.LBB19_561:
	s_andn2_b32 vcc_lo, exec_lo, s1
	s_cbranch_vccnz .LBB19_563
; %bb.562:
	global_load_dword v7, v[1:2], off
.LBB19_563:
	s_mov_b32 s1, 0
.LBB19_564:
	s_andn2_b32 vcc_lo, exec_lo, s1
	s_cbranch_vccnz .LBB19_566
; %bb.565:
	global_load_ushort v3, v[1:2], off
	s_waitcnt vmcnt(0)
	v_cvt_f32_f16_e32 v7, v3
.LBB19_566:
	s_mov_b32 s1, 0
.LBB19_567:
	s_andn2_b32 vcc_lo, exec_lo, s1
	s_cbranch_vccnz .LBB19_587
; %bb.568:
	s_cmp_lt_i32 s0, 2
	s_cbranch_scc1 .LBB19_572
; %bb.569:
	s_cmp_lt_i32 s0, 3
	s_cbranch_scc1 .LBB19_573
; %bb.570:
	s_cmp_gt_i32 s0, 3
	s_cbranch_scc0 .LBB19_574
; %bb.571:
	global_load_dwordx2 v[3:4], v[1:2], off
	s_mov_b32 s1, 0
	s_waitcnt vmcnt(0)
	v_xor_b32_e32 v5, v3, v4
	v_ffbh_i32_e32 v6, v4
	v_ashrrev_i32_e32 v5, 31, v5
	v_add_nc_u32_e32 v6, -1, v6
	v_add_nc_u32_e32 v5, 32, v5
	v_min_u32_e32 v5, v6, v5
	v_lshlrev_b64 v[3:4], v5, v[3:4]
	v_min_u32_e32 v3, 1, v3
	v_or_b32_e32 v3, v4, v3
	v_sub_nc_u32_e32 v4, 32, v5
	v_cvt_f32_i32_e32 v3, v3
	v_ldexp_f32 v7, v3, v4
	s_branch .LBB19_575
.LBB19_572:
	s_mov_b32 s1, -1
                                        ; implicit-def: $vgpr7
	s_branch .LBB19_581
.LBB19_573:
	s_mov_b32 s1, -1
                                        ; implicit-def: $vgpr7
	s_branch .LBB19_578
.LBB19_574:
	s_mov_b32 s1, -1
                                        ; implicit-def: $vgpr7
.LBB19_575:
	s_andn2_b32 vcc_lo, exec_lo, s1
	s_cbranch_vccnz .LBB19_577
; %bb.576:
	global_load_dword v3, v[1:2], off
	s_waitcnt vmcnt(0)
	v_cvt_f32_i32_e32 v7, v3
.LBB19_577:
	s_mov_b32 s1, 0
.LBB19_578:
	s_andn2_b32 vcc_lo, exec_lo, s1
	s_cbranch_vccnz .LBB19_580
; %bb.579:
	global_load_sshort v3, v[1:2], off
	s_waitcnt vmcnt(0)
	v_cvt_f32_i32_e32 v7, v3
.LBB19_580:
	s_mov_b32 s1, 0
.LBB19_581:
	s_andn2_b32 vcc_lo, exec_lo, s1
	s_cbranch_vccnz .LBB19_587
; %bb.582:
	s_cmp_gt_i32 s0, 0
	s_mov_b32 s0, 0
	s_cbranch_scc0 .LBB19_584
; %bb.583:
	global_load_sbyte v3, v[1:2], off
	s_waitcnt vmcnt(0)
	v_cvt_f32_i32_e32 v7, v3
	s_branch .LBB19_585
.LBB19_584:
	s_mov_b32 s0, -1
                                        ; implicit-def: $vgpr7
.LBB19_585:
	s_andn2_b32 vcc_lo, exec_lo, s0
	s_cbranch_vccnz .LBB19_587
; %bb.586:
	global_load_ubyte v1, v[1:2], off
	s_waitcnt vmcnt(0)
	v_cvt_f32_ubyte0_e32 v7, v1
.LBB19_587:
	s_branch .LBB19_318
.LBB19_588:
	s_mov_b32 s1, 0
	s_mov_b32 s0, s36
.LBB19_589:
                                        ; implicit-def: $vgpr8
.LBB19_590:
	s_andn2_b32 s23, s36, exec_lo
	s_and_b32 s0, s0, exec_lo
	s_andn2_b32 s39, s37, exec_lo
	s_and_b32 s22, s22, exec_lo
	s_or_b32 s40, s23, s0
	s_or_b32 s39, s39, s22
	s_orn2_b32 s0, s1, exec_lo
.LBB19_591:
	s_or_b32 exec_lo, exec_lo, s41
	s_mov_b32 s1, 0
	s_mov_b32 s23, 0
	;; [unrolled: 1-line block ×3, first 2 shown]
                                        ; implicit-def: $vgpr1_vgpr2
                                        ; implicit-def: $vgpr0
                                        ; implicit-def: $vgpr7
	s_and_saveexec_b32 s41, s0
	s_cbranch_execz .LBB19_992
; %bb.592:
	s_mov_b32 s44, -1
	s_mov_b32 s22, s39
	s_mov_b32 s23, s40
	s_mov_b32 s42, exec_lo
	v_cmpx_gt_i32_e64 s33, v8
	s_cbranch_execz .LBB19_891
; %bb.593:
	s_andn2_b32 vcc_lo, exec_lo, s27
	s_cbranch_vccnz .LBB19_598
; %bb.594:
	s_andn2_b32 vcc_lo, exec_lo, s34
	s_cbranch_vccnz .LBB19_599
; %bb.595:
	s_add_i32 s44, s35, 1
	s_cmp_eq_u32 s25, 2
	s_cbranch_scc1 .LBB19_600
; %bb.596:
	v_mov_b32_e32 v2, 0
	v_mov_b32_e32 v0, 0
	;; [unrolled: 1-line block ×3, first 2 shown]
	s_and_b32 s43, s44, 28
	s_mov_b32 s45, 0
	s_mov_b64 s[0:1], s[2:3]
	s_mov_b64 s[22:23], s[20:21]
.LBB19_597:                             ; =>This Inner Loop Header: Depth=1
	s_clause 0x1
	s_load_dwordx8 s[48:55], s[0:1], 0x4
	s_load_dwordx4 s[64:67], s[0:1], 0x24
	s_load_dwordx8 s[56:63], s[22:23], 0x0
	s_add_u32 s0, s0, 48
	s_addc_u32 s1, s1, 0
	s_add_i32 s45, s45, 4
	s_add_u32 s22, s22, 32
	s_addc_u32 s23, s23, 0
	s_cmp_eq_u32 s43, s45
	s_waitcnt lgkmcnt(0)
	v_mul_hi_u32 v3, s49, v1
	v_add_nc_u32_e32 v3, v1, v3
	v_lshrrev_b32_e32 v3, s50, v3
	v_mul_hi_u32 v4, s52, v3
	v_mul_lo_u32 v6, v3, s48
	v_add_nc_u32_e32 v4, v3, v4
	v_sub_nc_u32_e32 v1, v1, v6
	v_lshrrev_b32_e32 v4, s53, v4
	v_mul_lo_u32 v6, v1, s56
	v_mul_lo_u32 v9, v1, s57
	v_mul_hi_u32 v5, s55, v4
	v_add_nc_u32_e32 v5, v4, v5
	v_lshrrev_b32_e32 v5, s64, v5
	s_waitcnt vmcnt(0)
	v_mul_hi_u32 v7, s66, v5
	v_mul_lo_u32 v10, v5, s54
	v_add_nc_u32_e32 v1, v5, v7
	v_mul_lo_u32 v7, v4, s51
	v_sub_nc_u32_e32 v4, v4, v10
	v_lshrrev_b32_e32 v1, s67, v1
	v_mul_lo_u32 v10, v4, s60
	v_mul_lo_u32 v4, v4, s61
	v_sub_nc_u32_e32 v3, v3, v7
	v_mul_lo_u32 v11, v1, s65
	v_mul_lo_u32 v7, v3, s58
	;; [unrolled: 1-line block ×3, first 2 shown]
	v_sub_nc_u32_e32 v5, v5, v11
	v_add3_u32 v0, v6, v0, v7
	v_mul_lo_u32 v11, v5, s62
	v_mul_lo_u32 v5, v5, s63
	v_add3_u32 v2, v9, v2, v3
	v_add3_u32 v0, v10, v0, v11
	;; [unrolled: 1-line block ×3, first 2 shown]
	s_cbranch_scc0 .LBB19_597
	s_branch .LBB19_601
.LBB19_598:
	s_mov_b32 s0, -1
                                        ; implicit-def: $vgpr0
                                        ; implicit-def: $vgpr2
	s_branch .LBB19_605
.LBB19_599:
	v_mov_b32_e32 v0, 0
	v_mov_b32_e32 v2, 0
	s_branch .LBB19_604
.LBB19_600:
	v_mov_b32_e32 v0, 0
	v_mov_b32_e32 v2, 0
	;; [unrolled: 1-line block ×3, first 2 shown]
	s_mov_b32 s43, 0
.LBB19_601:
	s_and_b32 s44, s44, 3
	s_cmp_eq_u32 s44, 0
	s_cbranch_scc1 .LBB19_604
; %bb.602:
	s_lshl_b32 s0, s43, 3
	s_mul_i32 s22, s43, 12
	s_add_u32 s0, s2, s0
	s_addc_u32 s1, s3, 0
	s_add_u32 s0, s0, 0xc4
	s_addc_u32 s1, s1, 0
	;; [unrolled: 2-line block ×3, first 2 shown]
	.p2align	6
.LBB19_603:                             ; =>This Inner Loop Header: Depth=1
	s_clause 0x1
	s_load_dwordx2 s[46:47], s[22:23], 0x4
	s_load_dword s43, s[22:23], 0xc
	s_load_dwordx2 s[48:49], s[0:1], 0x0
	s_add_u32 s22, s22, 12
	s_addc_u32 s23, s23, 0
	s_add_u32 s0, s0, 8
	s_addc_u32 s1, s1, 0
	s_add_i32 s44, s44, -1
	s_cmp_lg_u32 s44, 0
	s_waitcnt lgkmcnt(0)
	v_mul_hi_u32 v3, s47, v1
	v_add_nc_u32_e32 v3, v1, v3
	v_lshrrev_b32_e32 v4, s43, v3
	v_mul_lo_u32 v3, v4, s46
	v_sub_nc_u32_e32 v3, v1, v3
	v_mad_u64_u32 v[0:1], null, v3, s48, v[0:1]
	v_mad_u64_u32 v[2:3], null, v3, s49, v[2:3]
	v_mov_b32_e32 v1, v4
	s_cbranch_scc1 .LBB19_603
.LBB19_604:
	s_mov_b32 s0, 0
.LBB19_605:
	s_andn2_b32 vcc_lo, exec_lo, s0
	s_cbranch_vccnz .LBB19_608
; %bb.606:
	s_waitcnt lgkmcnt(0)
	v_mul_hi_u32 v0, s17, v8
	s_andn2_b32 vcc_lo, exec_lo, s31
	v_add_nc_u32_e32 v0, v8, v0
	v_lshrrev_b32_e32 v1, s18, v0
	v_mul_lo_u32 v0, v1, s16
	v_sub_nc_u32_e32 v2, v8, v0
	v_mul_lo_u32 v0, v2, s12
	v_mul_lo_u32 v2, v2, s13
	s_cbranch_vccnz .LBB19_608
; %bb.607:
	v_mul_hi_u32 v3, s6, v1
	v_add_nc_u32_e32 v3, v1, v3
	v_lshrrev_b32_e32 v3, s7, v3
	v_mul_lo_u32 v3, v3, s19
	v_sub_nc_u32_e32 v3, v1, v3
	v_mad_u64_u32 v[0:1], null, v3, s14, v[0:1]
	v_mad_u64_u32 v[2:3], null, v3, s15, v[2:3]
.LBB19_608:
	s_waitcnt lgkmcnt(0)
	v_add_co_u32 v1, s0, s10, v2
	v_add_co_ci_u32_e64 v2, null, s11, 0, s0
	s_and_b32 s0, 0xffff, s30
	s_cmp_lt_i32 s0, 11
	s_cbranch_scc1 .LBB19_615
; %bb.609:
	s_cmp_gt_i32 s0, 25
	s_cbranch_scc0 .LBB19_616
; %bb.610:
	s_cmp_gt_i32 s0, 28
	s_cbranch_scc0 .LBB19_617
	;; [unrolled: 3-line block ×4, first 2 shown]
; %bb.613:
	s_cmp_eq_u32 s0, 46
	s_mov_b32 s23, 0
	s_cbranch_scc0 .LBB19_624
; %bb.614:
	global_load_dword v3, v[1:2], off
	s_mov_b32 s1, -1
	s_mov_b32 s22, 0
	s_waitcnt vmcnt(0)
	v_lshlrev_b32_e32 v7, 16, v3
	s_branch .LBB19_626
.LBB19_615:
	s_mov_b32 s23, -1
	s_mov_b32 s1, 0
	s_mov_b32 s22, s39
                                        ; implicit-def: $vgpr7
	s_branch .LBB19_691
.LBB19_616:
	s_mov_b32 s23, -1
	s_mov_b32 s1, 0
	s_mov_b32 s22, s39
                                        ; implicit-def: $vgpr7
	s_branch .LBB19_655
.LBB19_617:
	s_mov_b32 s23, -1
	s_mov_b32 s1, 0
	s_mov_b32 s22, s39
                                        ; implicit-def: $vgpr7
	s_branch .LBB19_636
.LBB19_618:
	s_mov_b32 s23, -1
	s_mov_b32 s1, 0
	s_mov_b32 s22, s39
                                        ; implicit-def: $vgpr7
	s_branch .LBB19_631
.LBB19_619:
	s_andn2_saveexec_b32 s42, s42
	s_cbranch_execz .LBB19_388
.LBB19_620:
	v_add_f32_e64 v0, 0x46000000, |v1|
	s_andn2_b32 s40, s40, exec_lo
	v_and_b32_e32 v0, 0xff, v0
	v_cmp_ne_u32_e32 vcc_lo, 0, v0
	s_and_b32 s43, vcc_lo, exec_lo
	s_or_b32 s40, s40, s43
	s_or_b32 exec_lo, exec_lo, s42
	v_mov_b32_e32 v2, 0
	s_and_saveexec_b32 s42, s40
	s_cbranch_execnz .LBB19_389
	s_branch .LBB19_390
.LBB19_621:
	s_mov_b32 s23, -1
	s_mov_b32 s1, 0
	s_mov_b32 s22, s39
	s_branch .LBB19_625
.LBB19_622:
	s_andn2_saveexec_b32 s42, s42
	s_cbranch_execz .LBB19_401
.LBB19_623:
	v_add_f32_e64 v0, 0x42800000, |v1|
	s_andn2_b32 s40, s40, exec_lo
	v_and_b32_e32 v0, 0xff, v0
	v_cmp_ne_u32_e32 vcc_lo, 0, v0
	s_and_b32 s43, vcc_lo, exec_lo
	s_or_b32 s40, s40, s43
	s_or_b32 exec_lo, exec_lo, s42
	v_mov_b32_e32 v2, 0
	s_and_saveexec_b32 s42, s40
	s_cbranch_execnz .LBB19_402
	s_branch .LBB19_403
.LBB19_624:
	s_mov_b32 s22, -1
	s_mov_b32 s1, 0
.LBB19_625:
                                        ; implicit-def: $vgpr7
.LBB19_626:
	s_and_b32 vcc_lo, exec_lo, s23
	s_cbranch_vccz .LBB19_630
; %bb.627:
	s_cmp_eq_u32 s0, 44
	s_cbranch_scc0 .LBB19_629
; %bb.628:
	global_load_ubyte v3, v[1:2], off
	s_mov_b32 s22, 0
	s_mov_b32 s1, -1
	s_waitcnt vmcnt(0)
	v_lshlrev_b32_e32 v4, 23, v3
	v_cmp_ne_u32_e32 vcc_lo, 0xff, v3
	v_cndmask_b32_e32 v4, 0x7f800001, v4, vcc_lo
	v_cmp_ne_u32_e32 vcc_lo, 0, v3
	v_cndmask_b32_e32 v7, 0x400000, v4, vcc_lo
	s_branch .LBB19_630
.LBB19_629:
	s_mov_b32 s22, -1
                                        ; implicit-def: $vgpr7
.LBB19_630:
	s_mov_b32 s23, 0
.LBB19_631:
	s_and_b32 vcc_lo, exec_lo, s23
	s_cbranch_vccz .LBB19_635
; %bb.632:
	s_cmp_eq_u32 s0, 29
	s_cbranch_scc0 .LBB19_634
; %bb.633:
	global_load_dwordx2 v[3:4], v[1:2], off
	s_mov_b32 s1, -1
	s_mov_b32 s22, 0
	s_mov_b32 s23, 0
	s_waitcnt vmcnt(0)
	v_ffbh_u32_e32 v5, v4
	v_min_u32_e32 v5, 32, v5
	v_lshlrev_b64 v[3:4], v5, v[3:4]
	v_min_u32_e32 v3, 1, v3
	v_or_b32_e32 v3, v4, v3
	v_sub_nc_u32_e32 v4, 32, v5
	v_cvt_f32_u32_e32 v3, v3
	v_ldexp_f32 v7, v3, v4
	s_branch .LBB19_636
.LBB19_634:
	s_mov_b32 s22, -1
                                        ; implicit-def: $vgpr7
.LBB19_635:
	s_mov_b32 s23, 0
.LBB19_636:
	s_and_b32 vcc_lo, exec_lo, s23
	s_cbranch_vccz .LBB19_654
; %bb.637:
	s_cmp_lt_i32 s0, 27
	s_cbranch_scc1 .LBB19_640
; %bb.638:
	s_cmp_gt_i32 s0, 27
	s_cbranch_scc0 .LBB19_641
; %bb.639:
	global_load_dword v3, v[1:2], off
	s_mov_b32 s1, 0
	s_waitcnt vmcnt(0)
	v_cvt_f32_u32_e32 v7, v3
	s_branch .LBB19_642
.LBB19_640:
	s_mov_b32 s1, -1
                                        ; implicit-def: $vgpr7
	s_branch .LBB19_645
.LBB19_641:
	s_mov_b32 s1, -1
                                        ; implicit-def: $vgpr7
.LBB19_642:
	s_andn2_b32 vcc_lo, exec_lo, s1
	s_cbranch_vccnz .LBB19_644
; %bb.643:
	global_load_ushort v3, v[1:2], off
	s_waitcnt vmcnt(0)
	v_cvt_f32_u32_e32 v7, v3
.LBB19_644:
	s_mov_b32 s1, 0
.LBB19_645:
	s_andn2_b32 vcc_lo, exec_lo, s1
	s_cbranch_vccnz .LBB19_653
; %bb.646:
	global_load_ubyte v3, v[1:2], off
	s_mov_b32 s1, 0
	s_mov_b32 s23, exec_lo
	s_waitcnt vmcnt(0)
	v_cmpx_lt_i16_e32 0x7f, v3
	s_xor_b32 s23, exec_lo, s23
	s_cbranch_execz .LBB19_667
; %bb.647:
	s_mov_b32 s1, -1
	s_mov_b32 s43, exec_lo
	v_cmpx_eq_u16_e32 0x80, v3
; %bb.648:
	s_xor_b32 s1, exec_lo, -1
; %bb.649:
	s_or_b32 exec_lo, exec_lo, s43
	s_and_b32 s1, s1, exec_lo
	s_or_saveexec_b32 s23, s23
	v_mov_b32_e32 v7, 0x7f800001
	s_xor_b32 exec_lo, exec_lo, s23
	s_cbranch_execnz .LBB19_668
.LBB19_650:
	s_or_b32 exec_lo, exec_lo, s23
	s_and_saveexec_b32 s23, s1
	s_cbranch_execz .LBB19_652
.LBB19_651:
	v_and_b32_e32 v4, 0xffff, v3
	v_lshlrev_b32_e32 v3, 24, v3
	v_and_b32_e32 v5, 7, v4
	v_bfe_u32 v9, v4, 3, 4
	v_and_b32_e32 v3, 0x80000000, v3
	v_ffbh_u32_e32 v6, v5
	v_cmp_eq_u32_e32 vcc_lo, 0, v9
	v_min_u32_e32 v6, 32, v6
	v_subrev_nc_u32_e32 v7, 28, v6
	v_sub_nc_u32_e32 v6, 29, v6
	v_lshlrev_b32_e32 v4, v7, v4
	v_cndmask_b32_e32 v6, v9, v6, vcc_lo
	v_and_b32_e32 v4, 7, v4
	v_cndmask_b32_e32 v4, v5, v4, vcc_lo
	v_lshl_add_u32 v5, v6, 23, 0x3b800000
	v_lshlrev_b32_e32 v4, 20, v4
	v_or3_b32 v7, v3, v5, v4
.LBB19_652:
	s_or_b32 exec_lo, exec_lo, s23
.LBB19_653:
	s_mov_b32 s1, -1
.LBB19_654:
	s_mov_b32 s23, 0
.LBB19_655:
	s_and_b32 vcc_lo, exec_lo, s23
	s_cbranch_vccz .LBB19_690
; %bb.656:
	s_cmp_gt_i32 s0, 22
	s_cbranch_scc0 .LBB19_666
; %bb.657:
	s_cmp_lt_i32 s0, 24
	s_cbranch_scc1 .LBB19_669
; %bb.658:
	s_cmp_gt_i32 s0, 24
	s_cbranch_scc0 .LBB19_670
; %bb.659:
	global_load_ubyte v3, v[1:2], off
	s_mov_b32 s1, 0
	s_mov_b32 s23, exec_lo
	s_waitcnt vmcnt(0)
	v_cmpx_lt_i16_e32 0x7f, v3
	s_xor_b32 s23, exec_lo, s23
	s_cbranch_execz .LBB19_682
; %bb.660:
	s_mov_b32 s1, -1
	s_mov_b32 s43, exec_lo
	v_cmpx_eq_u16_e32 0x80, v3
; %bb.661:
	s_xor_b32 s1, exec_lo, -1
; %bb.662:
	s_or_b32 exec_lo, exec_lo, s43
	s_and_b32 s1, s1, exec_lo
	s_or_saveexec_b32 s23, s23
	v_mov_b32_e32 v7, 0x7f800001
	s_xor_b32 exec_lo, exec_lo, s23
	s_cbranch_execnz .LBB19_683
.LBB19_663:
	s_or_b32 exec_lo, exec_lo, s23
	s_and_saveexec_b32 s23, s1
	s_cbranch_execz .LBB19_665
.LBB19_664:
	v_and_b32_e32 v4, 0xffff, v3
	v_lshlrev_b32_e32 v3, 24, v3
	v_and_b32_e32 v5, 3, v4
	v_bfe_u32 v9, v4, 2, 5
	v_and_b32_e32 v3, 0x80000000, v3
	v_ffbh_u32_e32 v6, v5
	v_cmp_eq_u32_e32 vcc_lo, 0, v9
	v_min_u32_e32 v6, 32, v6
	v_subrev_nc_u32_e32 v7, 29, v6
	v_sub_nc_u32_e32 v6, 30, v6
	v_lshlrev_b32_e32 v4, v7, v4
	v_cndmask_b32_e32 v6, v9, v6, vcc_lo
	v_and_b32_e32 v4, 3, v4
	v_cndmask_b32_e32 v4, v5, v4, vcc_lo
	v_lshl_add_u32 v5, v6, 23, 0x37800000
	v_lshlrev_b32_e32 v4, 21, v4
	v_or3_b32 v7, v3, v5, v4
.LBB19_665:
	s_or_b32 exec_lo, exec_lo, s23
	s_mov_b32 s1, 0
	s_branch .LBB19_671
.LBB19_666:
	s_mov_b32 s23, -1
                                        ; implicit-def: $vgpr7
	s_branch .LBB19_677
.LBB19_667:
	s_or_saveexec_b32 s23, s23
	v_mov_b32_e32 v7, 0x7f800001
	s_xor_b32 exec_lo, exec_lo, s23
	s_cbranch_execz .LBB19_650
.LBB19_668:
	v_cmp_ne_u16_e32 vcc_lo, 0, v3
	v_mov_b32_e32 v7, 0
	s_andn2_b32 s1, s1, exec_lo
	s_and_b32 s43, vcc_lo, exec_lo
	s_or_b32 s1, s1, s43
	s_or_b32 exec_lo, exec_lo, s23
	s_and_saveexec_b32 s23, s1
	s_cbranch_execnz .LBB19_651
	s_branch .LBB19_652
.LBB19_669:
	s_mov_b32 s1, -1
                                        ; implicit-def: $vgpr7
	s_branch .LBB19_674
.LBB19_670:
	s_mov_b32 s1, -1
                                        ; implicit-def: $vgpr7
.LBB19_671:
	s_and_b32 vcc_lo, exec_lo, s1
	s_cbranch_vccz .LBB19_673
; %bb.672:
	global_load_ubyte v3, v[1:2], off
	s_waitcnt vmcnt(0)
	v_lshlrev_b32_e32 v3, 24, v3
	v_and_b32_e32 v4, 0x7f000000, v3
	v_ffbh_u32_e32 v5, v4
	v_add_nc_u32_e32 v7, 0x1000000, v4
	v_cmp_ne_u32_e32 vcc_lo, 0, v4
	v_min_u32_e32 v5, 32, v5
	v_sub_nc_u32_e64 v5, v5, 4 clamp
	v_lshlrev_b32_e32 v6, v5, v4
	v_lshlrev_b32_e32 v5, 23, v5
	v_lshrrev_b32_e32 v6, 4, v6
	v_sub_nc_u32_e32 v5, v6, v5
	v_ashrrev_i32_e32 v6, 8, v7
	v_add_nc_u32_e32 v5, 0x3c000000, v5
	v_and_or_b32 v5, 0x7f800000, v6, v5
	v_cndmask_b32_e32 v4, 0, v5, vcc_lo
	v_and_or_b32 v7, 0x80000000, v3, v4
.LBB19_673:
	s_mov_b32 s1, 0
.LBB19_674:
	s_andn2_b32 vcc_lo, exec_lo, s1
	s_cbranch_vccnz .LBB19_676
; %bb.675:
	global_load_ubyte v3, v[1:2], off
	s_waitcnt vmcnt(0)
	v_lshlrev_b32_e32 v4, 25, v3
	v_lshlrev_b16 v3, 8, v3
	v_lshrrev_b32_e32 v5, 4, v4
	v_and_or_b32 v6, 0x7f00, v3, 0.5
	v_cmp_gt_u32_e32 vcc_lo, 0x8000000, v4
	v_bfe_i32 v3, v3, 0, 16
	v_or_b32_e32 v5, 0x70000000, v5
	v_add_f32_e32 v6, -0.5, v6
	v_mul_f32_e32 v5, 0x7800000, v5
	v_cndmask_b32_e32 v4, v5, v6, vcc_lo
	v_and_or_b32 v7, 0x80000000, v3, v4
.LBB19_676:
	s_mov_b32 s23, 0
	s_mov_b32 s1, -1
.LBB19_677:
	s_andn2_b32 vcc_lo, exec_lo, s23
	s_cbranch_vccnz .LBB19_690
; %bb.678:
	s_cmp_gt_i32 s0, 14
	s_cbranch_scc0 .LBB19_681
; %bb.679:
	s_cmp_eq_u32 s0, 15
	s_cbranch_scc0 .LBB19_684
; %bb.680:
	global_load_ushort v3, v[1:2], off
	s_mov_b32 s1, -1
	s_mov_b32 s22, 0
	s_waitcnt vmcnt(0)
	v_lshlrev_b32_e32 v7, 16, v3
	s_branch .LBB19_685
.LBB19_681:
	s_mov_b32 s23, -1
                                        ; implicit-def: $vgpr7
	s_branch .LBB19_686
.LBB19_682:
	s_or_saveexec_b32 s23, s23
	v_mov_b32_e32 v7, 0x7f800001
	s_xor_b32 exec_lo, exec_lo, s23
	s_cbranch_execz .LBB19_663
.LBB19_683:
	v_cmp_ne_u16_e32 vcc_lo, 0, v3
	v_mov_b32_e32 v7, 0
	s_andn2_b32 s1, s1, exec_lo
	s_and_b32 s43, vcc_lo, exec_lo
	s_or_b32 s1, s1, s43
	s_or_b32 exec_lo, exec_lo, s23
	s_and_saveexec_b32 s23, s1
	s_cbranch_execnz .LBB19_664
	s_branch .LBB19_665
.LBB19_684:
	s_mov_b32 s22, -1
                                        ; implicit-def: $vgpr7
.LBB19_685:
	s_mov_b32 s23, 0
.LBB19_686:
	s_and_b32 vcc_lo, exec_lo, s23
	s_cbranch_vccz .LBB19_690
; %bb.687:
	s_cmp_eq_u32 s0, 11
	s_cbranch_scc0 .LBB19_689
; %bb.688:
	global_load_ubyte v3, v[1:2], off
	s_mov_b32 s22, 0
	s_mov_b32 s1, -1
	s_waitcnt vmcnt(0)
	v_cmp_ne_u16_e32 vcc_lo, 0, v3
	v_cndmask_b32_e64 v7, 0, 1.0, vcc_lo
	s_branch .LBB19_690
.LBB19_689:
	s_mov_b32 s22, -1
                                        ; implicit-def: $vgpr7
.LBB19_690:
	s_mov_b32 s23, 0
.LBB19_691:
	s_and_b32 vcc_lo, exec_lo, s23
	s_cbranch_vccz .LBB19_740
; %bb.692:
	s_cmp_lt_i32 s0, 5
	s_cbranch_scc1 .LBB19_697
; %bb.693:
	s_cmp_lt_i32 s0, 8
	s_cbranch_scc1 .LBB19_698
	;; [unrolled: 3-line block ×3, first 2 shown]
; %bb.695:
	s_cmp_gt_i32 s0, 9
	s_cbranch_scc0 .LBB19_700
; %bb.696:
	global_load_dwordx2 v[3:4], v[1:2], off
	s_mov_b32 s1, 0
	s_waitcnt vmcnt(0)
	v_cvt_f32_f64_e32 v7, v[3:4]
	s_branch .LBB19_701
.LBB19_697:
	s_mov_b32 s1, -1
                                        ; implicit-def: $vgpr7
	s_branch .LBB19_719
.LBB19_698:
	s_mov_b32 s1, -1
                                        ; implicit-def: $vgpr7
	s_branch .LBB19_707
.LBB19_699:
	s_mov_b32 s1, -1
                                        ; implicit-def: $vgpr7
	s_branch .LBB19_704
.LBB19_700:
	s_mov_b32 s1, -1
                                        ; implicit-def: $vgpr7
.LBB19_701:
	s_andn2_b32 vcc_lo, exec_lo, s1
	s_cbranch_vccnz .LBB19_703
; %bb.702:
	global_load_dword v7, v[1:2], off
.LBB19_703:
	s_mov_b32 s1, 0
.LBB19_704:
	s_andn2_b32 vcc_lo, exec_lo, s1
	s_cbranch_vccnz .LBB19_706
; %bb.705:
	global_load_dword v3, v[1:2], off
	s_waitcnt vmcnt(0)
	v_cvt_f32_f16_e32 v7, v3
.LBB19_706:
	s_mov_b32 s1, 0
.LBB19_707:
	s_andn2_b32 vcc_lo, exec_lo, s1
	s_cbranch_vccnz .LBB19_718
; %bb.708:
	s_cmp_lt_i32 s0, 6
	s_cbranch_scc1 .LBB19_711
; %bb.709:
	s_cmp_gt_i32 s0, 6
	s_cbranch_scc0 .LBB19_712
; %bb.710:
	global_load_dwordx2 v[3:4], v[1:2], off
	s_mov_b32 s1, 0
	s_waitcnt vmcnt(0)
	v_cvt_f32_f64_e32 v7, v[3:4]
	s_branch .LBB19_713
.LBB19_711:
	s_mov_b32 s1, -1
                                        ; implicit-def: $vgpr7
	s_branch .LBB19_716
.LBB19_712:
	s_mov_b32 s1, -1
                                        ; implicit-def: $vgpr7
.LBB19_713:
	s_andn2_b32 vcc_lo, exec_lo, s1
	s_cbranch_vccnz .LBB19_715
; %bb.714:
	global_load_dword v7, v[1:2], off
.LBB19_715:
	s_mov_b32 s1, 0
.LBB19_716:
	s_andn2_b32 vcc_lo, exec_lo, s1
	s_cbranch_vccnz .LBB19_718
; %bb.717:
	global_load_ushort v3, v[1:2], off
	s_waitcnt vmcnt(0)
	v_cvt_f32_f16_e32 v7, v3
.LBB19_718:
	s_mov_b32 s1, 0
.LBB19_719:
	s_andn2_b32 vcc_lo, exec_lo, s1
	s_cbranch_vccnz .LBB19_739
; %bb.720:
	s_cmp_lt_i32 s0, 2
	s_cbranch_scc1 .LBB19_724
; %bb.721:
	s_cmp_lt_i32 s0, 3
	s_cbranch_scc1 .LBB19_725
; %bb.722:
	s_cmp_gt_i32 s0, 3
	s_cbranch_scc0 .LBB19_726
; %bb.723:
	global_load_dwordx2 v[3:4], v[1:2], off
	s_mov_b32 s1, 0
	s_waitcnt vmcnt(0)
	v_xor_b32_e32 v5, v3, v4
	v_ffbh_i32_e32 v6, v4
	v_ashrrev_i32_e32 v5, 31, v5
	v_add_nc_u32_e32 v6, -1, v6
	v_add_nc_u32_e32 v5, 32, v5
	v_min_u32_e32 v5, v6, v5
	v_lshlrev_b64 v[3:4], v5, v[3:4]
	v_min_u32_e32 v3, 1, v3
	v_or_b32_e32 v3, v4, v3
	v_sub_nc_u32_e32 v4, 32, v5
	v_cvt_f32_i32_e32 v3, v3
	v_ldexp_f32 v7, v3, v4
	s_branch .LBB19_727
.LBB19_724:
	s_mov_b32 s1, -1
                                        ; implicit-def: $vgpr7
	s_branch .LBB19_733
.LBB19_725:
	s_mov_b32 s1, -1
                                        ; implicit-def: $vgpr7
	s_branch .LBB19_730
.LBB19_726:
	s_mov_b32 s1, -1
                                        ; implicit-def: $vgpr7
.LBB19_727:
	s_andn2_b32 vcc_lo, exec_lo, s1
	s_cbranch_vccnz .LBB19_729
; %bb.728:
	global_load_dword v3, v[1:2], off
	s_waitcnt vmcnt(0)
	v_cvt_f32_i32_e32 v7, v3
.LBB19_729:
	s_mov_b32 s1, 0
.LBB19_730:
	s_andn2_b32 vcc_lo, exec_lo, s1
	s_cbranch_vccnz .LBB19_732
; %bb.731:
	global_load_sshort v3, v[1:2], off
	s_waitcnt vmcnt(0)
	v_cvt_f32_i32_e32 v7, v3
.LBB19_732:
	s_mov_b32 s1, 0
.LBB19_733:
	s_andn2_b32 vcc_lo, exec_lo, s1
	s_cbranch_vccnz .LBB19_739
; %bb.734:
	s_cmp_gt_i32 s0, 0
	s_mov_b32 s0, 0
	s_cbranch_scc0 .LBB19_736
; %bb.735:
	global_load_sbyte v3, v[1:2], off
	s_waitcnt vmcnt(0)
	v_cvt_f32_i32_e32 v7, v3
	s_branch .LBB19_737
.LBB19_736:
	s_mov_b32 s0, -1
                                        ; implicit-def: $vgpr7
.LBB19_737:
	s_andn2_b32 vcc_lo, exec_lo, s0
	s_cbranch_vccnz .LBB19_739
; %bb.738:
	global_load_ubyte v1, v[1:2], off
	s_waitcnt vmcnt(0)
	v_cvt_f32_ubyte0_e32 v7, v1
.LBB19_739:
	s_mov_b32 s1, -1
.LBB19_740:
	s_andn2_b32 vcc_lo, exec_lo, s1
	s_cbranch_vccnz .LBB19_772
; %bb.741:
                                        ; implicit-def: $vgpr1
	s_mov_b32 s0, exec_lo
	s_waitcnt vmcnt(0)
	v_cmpx_neq_f32_e32 0, v7
	s_xor_b32 s23, exec_lo, s0
	s_cbranch_execz .LBB19_763
; %bb.742:
	v_mov_b32_e32 v2, 0
	s_mov_b32 s0, -1
	s_mov_b32 s43, exec_lo
	v_cmpx_gt_f32_e32 0, v7
	s_cbranch_execz .LBB19_750
; %bb.743:
	v_trunc_f32_e32 v1, v7
	v_mov_b32_e32 v2, 0
	s_mov_b32 s1, 0
	s_mov_b32 s44, exec_lo
	v_cmpx_neq_f32_e32 v7, v1
	s_cbranch_execz .LBB19_749
; %bb.744:
	v_cvt_f64_f32_e32 v[1:2], v7
	s_mov_b32 s1, 0xc00921fb
	s_mov_b32 s0, 0x54442d18
	s_mov_b32 s45, exec_lo
                                        ; implicit-def: $vgpr9
                                        ; implicit-def: $vgpr5_vgpr6
	v_trunc_f64_e32 v[3:4], v[1:2]
	v_cmp_neq_f64_e64 vcc_lo, 0x7ff00000, |v[1:2]|
	v_add_f64 v[3:4], v[1:2], -v[3:4]
	v_mul_f64 v[3:4], |v[3:4]|, s[0:1]
	v_cndmask_b32_e32 v2, 0x80000000, v4, vcc_lo
	v_cndmask_b32_e32 v1, 0, v3, vcc_lo
                                        ; implicit-def: $vgpr3_vgpr4
	v_cmpx_ngt_f64_e64 0x41d00000, |v[1:2]|
	s_xor_b32 s45, exec_lo, s45
	s_cbranch_execz .LBB19_746
; %bb.745:
	v_ldexp_f64 v[3:4], |v[1:2]|, 0xffffff80
	v_cmp_le_f64_e64 vcc_lo, 0x7b000000, |v[1:2]|
	v_trig_preop_f64 v[5:6], |v[1:2]|, 0
	v_and_b32_e32 v9, 0x7fffffff, v2
	v_trig_preop_f64 v[19:20], |v[1:2]|, 2
	v_mov_b32_e32 v27, 0
	s_mov_b32 s1, 0x3ff921fb
	s_mov_b32 s46, 0x33145c07
	;; [unrolled: 1-line block ×3, first 2 shown]
	v_cndmask_b32_e32 v4, v9, v4, vcc_lo
	v_cndmask_b32_e32 v3, v1, v3, vcc_lo
	v_trig_preop_f64 v[9:10], |v[1:2]|, 1
	v_mul_f64 v[11:12], v[5:6], v[3:4]
	v_mul_f64 v[25:26], v[19:20], v[3:4]
	;; [unrolled: 1-line block ×3, first 2 shown]
	v_fma_f64 v[5:6], v[5:6], v[3:4], -v[11:12]
	v_fma_f64 v[9:10], v[9:10], v[3:4], -v[13:14]
	;; [unrolled: 1-line block ×3, first 2 shown]
	v_add_f64 v[15:16], v[13:14], v[5:6]
	v_add_f64 v[17:18], v[15:16], -v[13:14]
	v_add_f64 v[23:24], v[11:12], v[15:16]
	v_add_f64 v[21:22], v[15:16], -v[17:18]
	v_add_f64 v[5:6], v[5:6], -v[17:18]
	v_ldexp_f64 v[17:18], v[23:24], -2
	v_add_f64 v[11:12], v[23:24], -v[11:12]
	v_add_f64 v[13:14], v[13:14], -v[21:22]
	v_add_f64 v[21:22], v[25:26], v[9:10]
	v_cmp_neq_f64_e64 vcc_lo, 0x7ff00000, |v[17:18]|
	v_add_f64 v[11:12], v[15:16], -v[11:12]
	v_add_f64 v[5:6], v[5:6], v[13:14]
	v_fract_f64_e32 v[13:14], v[17:18]
	v_add_f64 v[15:16], v[21:22], v[5:6]
	v_ldexp_f64 v[13:14], v[13:14], 2
	v_add_f64 v[17:18], v[11:12], v[15:16]
	v_cndmask_b32_e32 v14, 0, v14, vcc_lo
	v_cndmask_b32_e32 v13, 0, v13, vcc_lo
	v_add_f64 v[23:24], v[17:18], v[13:14]
	v_add_f64 v[11:12], v[17:18], -v[11:12]
	v_cmp_gt_f64_e32 vcc_lo, 0, v[23:24]
	v_add_f64 v[23:24], v[21:22], -v[25:26]
	v_cndmask_b32_e64 v28, 0, 0x40100000, vcc_lo
	v_add_f64 v[32:33], v[21:22], -v[23:24]
	v_add_f64 v[9:10], v[9:10], -v[23:24]
	v_add_f64 v[13:14], v[13:14], v[27:28]
	v_add_f64 v[28:29], v[15:16], -v[21:22]
	v_add_f64 v[23:24], v[25:26], -v[32:33]
	v_add_f64 v[30:31], v[17:18], v[13:14]
	v_add_f64 v[34:35], v[15:16], -v[28:29]
	v_add_f64 v[5:6], v[5:6], -v[28:29]
	v_add_f64 v[9:10], v[9:10], v[23:24]
	v_cvt_i32_f64_e32 v30, v[30:31]
	v_add_f64 v[21:22], v[21:22], -v[34:35]
	v_cvt_f64_i32_e32 v[28:29], v30
	v_add_f64 v[5:6], v[5:6], v[21:22]
	v_add_f64 v[13:14], v[13:14], -v[28:29]
	v_add_f64 v[5:6], v[9:10], v[5:6]
	v_add_f64 v[9:10], v[15:16], -v[11:12]
	v_add_f64 v[19:20], v[17:18], v[13:14]
	v_add_f64 v[3:4], v[3:4], v[5:6]
	v_add_f64 v[5:6], v[19:20], -v[13:14]
	v_cmp_le_f64_e32 vcc_lo, 0.5, v[19:20]
	v_add_f64 v[3:4], v[9:10], v[3:4]
	v_add_f64 v[5:6], v[17:18], -v[5:6]
	v_cndmask_b32_e64 v28, 0, 0x3ff00000, vcc_lo
	v_add_co_ci_u32_e64 v9, null, 0, v30, vcc_lo
	v_add_f64 v[3:4], v[3:4], v[5:6]
	v_add_f64 v[5:6], v[19:20], -v[27:28]
	v_add_f64 v[10:11], v[5:6], v[3:4]
	v_mul_f64 v[12:13], v[10:11], s[0:1]
	v_add_f64 v[5:6], v[10:11], -v[5:6]
	v_fma_f64 v[14:15], v[10:11], s[0:1], -v[12:13]
	v_add_f64 v[3:4], v[3:4], -v[5:6]
	v_fma_f64 v[5:6], v[10:11], s[46:47], v[14:15]
	v_fma_f64 v[5:6], v[3:4], s[0:1], v[5:6]
	v_add_f64 v[3:4], v[12:13], v[5:6]
	v_add_f64 v[10:11], v[3:4], -v[12:13]
	v_add_f64 v[5:6], v[5:6], -v[10:11]
.LBB19_746:
	s_andn2_saveexec_b32 s0, s45
	s_cbranch_execz .LBB19_748
; %bb.747:
	s_mov_b32 s46, 0x6dc9c883
	s_mov_b32 s47, 0x3fe45f30
	;; [unrolled: 1-line block ×3, first 2 shown]
	v_mul_f64 v[3:4], |v[1:2]|, s[46:47]
	s_mov_b32 s46, 0x54442d18
	s_mov_b32 s47, 0xbff921fb
	;; [unrolled: 1-line block ×3, first 2 shown]
	v_rndne_f64_e32 v[9:10], v[3:4]
	v_fma_f64 v[3:4], v[9:10], s[46:47], |v[1:2]|
	v_mul_f64 v[5:6], v[9:10], s[48:49]
	s_mov_b32 s46, 0x252049c0
	s_mov_b32 s47, 0xb97b839a
	v_fma_f64 v[13:14], v[9:10], s[48:49], v[3:4]
	v_add_f64 v[11:12], v[3:4], v[5:6]
	s_mov_b32 s49, 0x3c91a626
	v_add_f64 v[3:4], v[3:4], -v[11:12]
	v_add_f64 v[11:12], v[11:12], -v[13:14]
	v_add_f64 v[3:4], v[3:4], v[5:6]
	v_fma_f64 v[5:6], v[9:10], s[48:49], v[5:6]
	v_add_f64 v[3:4], v[11:12], v[3:4]
	v_add_f64 v[3:4], v[3:4], -v[5:6]
	v_fma_f64 v[5:6], v[9:10], s[46:47], v[3:4]
	v_cvt_i32_f64_e32 v9, v[9:10]
	v_add_f64 v[3:4], v[13:14], v[5:6]
	v_add_f64 v[11:12], v[3:4], -v[13:14]
	v_add_f64 v[5:6], v[5:6], -v[11:12]
.LBB19_748:
	s_or_b32 exec_lo, exec_lo, s0
	v_mul_f64 v[10:11], v[3:4], v[3:4]
	v_add_f64 v[12:13], v[5:6], v[5:6]
	s_mov_b32 s46, 0xa9a29f71
	s_mov_b32 s48, 0xc751c08c
	;; [unrolled: 1-line block ×4, first 2 shown]
	v_cmp_class_f64_e64 s0, v[1:2], 0x1f8
	v_and_b32_e32 v9, 1, v9
	v_and_b32_e32 v2, 0x80000000, v2
	v_sub_f32_e32 v7, 1.0, v7
	s_mov_b32 s1, exec_lo
	v_cmp_eq_u32_e32 vcc_lo, 0, v9
	v_fma_f64 v[14:15], v[3:4], v[3:4], -v[10:11]
	v_fma_f64 v[12:13], v[3:4], v[12:13], v[14:15]
	v_add_f64 v[10:11], v[10:11], v[12:13]
	v_fma_f64 v[12:13], v[10:11], s[48:49], s[46:47]
	s_mov_b32 s46, 0x90a8aae0
	s_mov_b32 s47, 0x3f17746f
	v_fma_f64 v[12:13], v[10:11], v[12:13], s[46:47]
	s_mov_b32 s46, 0xa6fbf144
	s_mov_b32 s47, 0xbefbb44d
	;; [unrolled: 3-line block ×13, first 2 shown]
	v_mul_f64 v[10:11], v[10:11], v[12:13]
	v_mul_f64 v[12:13], v[3:4], v[10:11]
	v_add_f64 v[14:15], v[3:4], v[12:13]
	v_fma_f64 v[10:11], v[3:4], v[10:11], -v[12:13]
	v_add_f64 v[3:4], v[14:15], -v[3:4]
	v_add_f64 v[5:6], v[5:6], v[10:11]
	v_add_f64 v[3:4], v[12:13], -v[3:4]
	v_add_f64 v[3:4], v[5:6], v[3:4]
	v_add_f64 v[5:6], v[14:15], v[3:4]
	v_rcp_f64_e32 v[10:11], v[5:6]
	v_fma_f64 v[12:13], -v[5:6], v[10:11], 1.0
	v_fma_f64 v[10:11], v[12:13], v[10:11], v[10:11]
	v_fma_f64 v[12:13], -v[5:6], v[10:11], 1.0
	v_fma_f64 v[10:11], v[12:13], v[10:11], v[10:11]
	v_add_f64 v[12:13], v[5:6], -v[14:15]
	v_mul_f64 v[14:15], v[5:6], v[10:11]
	v_add_f64 v[3:4], v[3:4], -v[12:13]
	v_fma_f64 v[12:13], v[10:11], v[5:6], -v[14:15]
	v_fma_f64 v[3:4], v[10:11], v[3:4], v[12:13]
	v_add_f64 v[12:13], v[14:15], v[3:4]
	v_add_f64 v[16:17], -v[12:13], 1.0
	v_add_f64 v[14:15], v[12:13], -v[14:15]
	v_add_f64 v[18:19], -v[16:17], 1.0
	v_add_f64 v[3:4], v[14:15], -v[3:4]
	v_add_f64 v[12:13], v[18:19], -v[12:13]
	v_add_f64 v[3:4], v[3:4], v[12:13]
	v_add_f64 v[3:4], v[16:17], v[3:4]
	v_mul_f64 v[3:4], v[10:11], v[3:4]
	v_add_f64 v[3:4], v[10:11], v[3:4]
	v_xor_b32_e32 v1, 0x80000000, v4
	v_cndmask_b32_e32 v3, v3, v5, vcc_lo
	v_cndmask_b32_e32 v1, v1, v6, vcc_lo
	v_xor_b32_e32 v2, v1, v2
	v_cndmask_b32_e64 v1, 0, v3, s0
	v_cndmask_b32_e64 v2, 0x7ff80000, v2, s0
	v_div_scale_f64 v[3:4], null, v[1:2], v[1:2], s[46:47]
	v_rcp_f64_e32 v[5:6], v[3:4]
	v_fma_f64 v[9:10], -v[3:4], v[5:6], 1.0
	v_fma_f64 v[5:6], v[5:6], v[9:10], v[5:6]
	v_fma_f64 v[9:10], -v[3:4], v[5:6], 1.0
	v_fma_f64 v[5:6], v[5:6], v[9:10], v[5:6]
	v_div_scale_f64 v[9:10], vcc_lo, s[46:47], v[1:2], s[46:47]
	v_mul_f64 v[11:12], v[9:10], v[5:6]
	v_fma_f64 v[3:4], -v[3:4], v[11:12], v[9:10]
	v_div_fmas_f64 v[3:4], v[3:4], v[5:6], v[11:12]
	v_div_fixup_f64 v[1:2], v[3:4], v[1:2], s[46:47]
	v_cvt_f32_f64_e32 v2, v[1:2]
.LBB19_749:
	s_or_b32 exec_lo, exec_lo, s44
	s_orn2_b32 s0, s1, exec_lo
.LBB19_750:
	s_or_b32 exec_lo, exec_lo, s43
	v_mov_b32_e32 v1, 0x7fc00000
	s_and_saveexec_b32 s43, s0
	s_cbranch_execz .LBB19_762
; %bb.751:
	s_mov_b32 s0, exec_lo
	v_cmpx_gt_f32_e32 0x41200000, v7
	s_cbranch_execz .LBB19_755
; %bb.752:
	s_mov_b32 s1, 0
.LBB19_753:                             ; =>This Inner Loop Header: Depth=1
	v_div_scale_f32 v1, null, v7, v7, 1.0
	v_div_scale_f32 v5, vcc_lo, 1.0, v7, 1.0
	v_rcp_f32_e32 v3, v1
	v_fma_f32 v4, -v1, v3, 1.0
	v_fmac_f32_e32 v3, v4, v3
	v_mul_f32_e32 v4, v5, v3
	v_fma_f32 v6, -v1, v4, v5
	v_fmac_f32_e32 v4, v6, v3
	v_fma_f32 v1, -v1, v4, v5
	v_div_fmas_f32 v1, v1, v3, v4
	v_div_fixup_f32 v1, v1, v7, 1.0
	v_add_f32_e32 v7, 1.0, v7
	v_sub_f32_e32 v2, v2, v1
	v_cmp_ngt_f32_e32 vcc_lo, 0x41200000, v7
	s_or_b32 s1, vcc_lo, s1
	s_andn2_b32 exec_lo, exec_lo, s1
	s_cbranch_execnz .LBB19_753
; %bb.754:
	s_or_b32 exec_lo, exec_lo, s1
.LBB19_755:
	s_or_b32 exec_lo, exec_lo, s0
                                        ; implicit-def: $vgpr1
	s_mov_b32 s0, exec_lo
	v_cmpx_neq_f32_e32 0x41200000, v7
	s_xor_b32 s44, exec_lo, s0
	s_cbranch_execz .LBB19_759
; %bb.756:
	v_cvt_f64_f32_e32 v[3:4], v7
	s_mov_b32 s0, 0x85d8a000
	s_mov_b32 s1, 0x43763457
	v_mov_b32_e32 v1, 0
	v_cmp_gt_f64_e32 vcc_lo, s[0:1], v[3:4]
	s_and_saveexec_b32 s0, vcc_lo
	s_cbranch_execz .LBB19_758
; %bb.757:
	v_mul_f32_e32 v1, v7, v7
	v_div_scale_f32 v3, null, v1, v1, 1.0
	v_rcp_f32_e32 v4, v3
	v_fma_f32 v5, -v3, v4, 1.0
	v_fmac_f32_e32 v4, v5, v4
	v_div_scale_f32 v5, vcc_lo, 1.0, v1, 1.0
	v_mul_f32_e32 v6, v5, v4
	v_fma_f32 v9, -v3, v6, v5
	v_fmac_f32_e32 v6, v9, v4
	v_fma_f32 v3, -v3, v6, v5
	v_div_fmas_f32 v3, v3, v4, v6
	v_div_fixup_f32 v1, v3, v1, 1.0
	v_fmaak_f32 v3, 0, v1, 0x3daaaaab
	v_fmaak_f32 v3, v1, v3, 0xbcaccacd
	;; [unrolled: 1-line block ×7, first 2 shown]
	v_mul_f32_e32 v1, v1, v3
.LBB19_758:
	s_or_b32 exec_lo, exec_lo, s0
	v_cmp_gt_f32_e32 vcc_lo, 0x800000, v7
	v_div_scale_f32 v3, null, v7, v7, -0.5
	v_div_scale_f32 v9, s0, -0.5, v7, -0.5
	v_cndmask_b32_e64 v4, 0, 32, vcc_lo
	v_rcp_f32_e32 v5, v3
	v_ldexp_f32 v4, v7, v4
	v_log_f32_e32 v4, v4
	v_fma_f32 v6, -v3, v5, 1.0
	v_fmac_f32_e32 v5, v6, v5
	v_mul_f32_e32 v6, 0x3f317217, v4
	v_mul_f32_e32 v10, v9, v5
	v_cmp_gt_f32_e64 s1, 0x7f800000, |v4|
	v_fma_f32 v6, 0x3f317217, v4, -v6
	v_fma_f32 v11, -v3, v10, v9
	v_fmamk_f32 v6, v4, 0x3377d1cf, v6
	v_fmac_f32_e32 v10, v11, v5
	v_fmac_f32_e32 v6, 0x3f317217, v4
	v_fma_f32 v3, -v3, v10, v9
	v_cndmask_b32_e64 v4, v4, v6, s1
	v_cndmask_b32_e64 v6, 0, 0x41b17218, vcc_lo
	s_mov_b32 vcc_lo, s0
	v_div_fmas_f32 v3, v3, v5, v10
	v_sub_f32_e32 v4, v4, v6
	v_div_fixup_f32 v3, v3, v7, -0.5
	v_add_f32_e32 v3, v4, v3
	v_sub_f32_e32 v1, v3, v1
	v_add_f32_e32 v1, v2, v1
                                        ; implicit-def: $vgpr2
.LBB19_759:
	s_andn2_saveexec_b32 s0, s44
; %bb.760:
	v_add_f32_e32 v1, 0x40101cb7, v2
; %bb.761:
	s_or_b32 exec_lo, exec_lo, s0
.LBB19_762:
	s_or_b32 exec_lo, exec_lo, s43
                                        ; implicit-def: $vgpr7
.LBB19_763:
	s_andn2_saveexec_b32 s0, s23
; %bb.764:
	v_xor_b32_e32 v1, 0x80000000, v7
	s_mov_b32 s1, 0x7f800000
	v_bfi_b32 v1, 0x7fffffff, s1, v1
; %bb.765:
	s_or_b32 exec_lo, exec_lo, s0
	v_add_co_u32 v3, s0, s8, v0
	v_add_co_ci_u32_e64 v4, null, s9, 0, s0
	s_and_b32 s1, s29, 0xff
	s_cmp_lt_i32 s1, 11
	s_cbranch_scc1 .LBB19_773
; %bb.766:
	s_and_b32 s23, 0xffff, s1
	s_cmp_gt_i32 s23, 25
	s_cbranch_scc0 .LBB19_774
; %bb.767:
	s_cmp_gt_i32 s23, 28
	s_cbranch_scc0 .LBB19_775
; %bb.768:
	;; [unrolled: 3-line block ×4, first 2 shown]
	s_mov_b32 s44, 0
	s_mov_b32 s0, -1
	s_cmp_eq_u32 s23, 46
	s_mov_b32 s43, 0
	s_cbranch_scc0 .LBB19_778
; %bb.771:
	v_bfe_u32 v0, v1, 16, 1
	v_cmp_o_f32_e32 vcc_lo, v1, v1
	v_mov_b32_e32 v2, 0x7fc0
	s_mov_b32 s43, -1
	s_mov_b32 s0, 0
	v_add3_u32 v0, v1, v0, 0x7fff
	v_cndmask_b32_sdwa v0, v2, v0, vcc_lo dst_sel:DWORD dst_unused:UNUSED_PAD src0_sel:DWORD src1_sel:WORD_1
	global_store_dword v[3:4], v0, off
	s_branch .LBB19_778
.LBB19_772:
	s_mov_b32 s1, 0
	s_mov_b32 s0, s40
	s_branch .LBB19_889
.LBB19_773:
	s_mov_b32 s23, -1
	s_mov_b32 s43, 0
	s_mov_b32 s0, s40
	s_branch .LBB19_847
.LBB19_774:
	s_mov_b32 s44, -1
	s_mov_b32 s43, 0
	s_mov_b32 s0, s40
	s_branch .LBB19_805
.LBB19_775:
	s_mov_b32 s44, -1
	s_mov_b32 s43, 0
	s_mov_b32 s0, s40
	s_branch .LBB19_788
.LBB19_776:
	s_mov_b32 s44, -1
	s_mov_b32 s43, 0
	s_mov_b32 s0, s40
	s_branch .LBB19_784
.LBB19_777:
	s_mov_b32 s44, -1
	s_mov_b32 s43, 0
	s_mov_b32 s0, s40
.LBB19_778:
	s_and_b32 vcc_lo, exec_lo, s44
	s_cbranch_vccz .LBB19_783
; %bb.779:
	s_cmp_eq_u32 s23, 44
	s_mov_b32 s0, -1
	s_cbranch_scc0 .LBB19_783
; %bb.780:
	v_bfe_u32 v2, v1, 23, 8
	v_mov_b32_e32 v0, 0xff
	s_mov_b32 s43, exec_lo
	v_cmpx_ne_u32_e32 0xff, v2
	s_cbranch_execz .LBB19_782
; %bb.781:
	v_and_b32_e32 v0, 0x400000, v1
	v_and_or_b32 v2, 0x3fffff, v1, v2
	v_cmp_ne_u32_e32 vcc_lo, 0, v0
	v_cmp_ne_u32_e64 s0, 0, v2
	v_lshrrev_b32_e32 v0, 23, v1
	s_and_b32 s0, vcc_lo, s0
	v_cndmask_b32_e64 v2, 0, 1, s0
	v_add_nc_u32_e32 v0, v0, v2
.LBB19_782:
	s_or_b32 exec_lo, exec_lo, s43
	s_mov_b32 s43, -1
	s_mov_b32 s0, 0
	global_store_byte v[3:4], v0, off
.LBB19_783:
	s_mov_b32 s44, 0
.LBB19_784:
	s_and_b32 vcc_lo, exec_lo, s44
	s_cbranch_vccz .LBB19_787
; %bb.785:
	s_cmp_eq_u32 s23, 29
	s_mov_b32 s0, -1
	s_cbranch_scc0 .LBB19_787
; %bb.786:
	v_trunc_f32_e32 v0, v1
	s_mov_b32 s43, -1
	s_mov_b32 s0, 0
	s_mov_b32 s44, 0
	v_mul_f32_e32 v2, 0x2f800000, v0
	v_floor_f32_e32 v2, v2
	v_fmamk_f32 v0, v2, 0xcf800000, v0
	v_cvt_u32_f32_e32 v6, v2
	v_cvt_u32_f32_e32 v5, v0
	global_store_dwordx2 v[3:4], v[5:6], off
	s_branch .LBB19_788
.LBB19_787:
	s_mov_b32 s44, 0
.LBB19_788:
	s_and_b32 vcc_lo, exec_lo, s44
	s_cbranch_vccz .LBB19_804
; %bb.789:
	s_cmp_lt_i32 s23, 27
	s_mov_b32 s43, -1
	s_cbranch_scc1 .LBB19_795
; %bb.790:
	v_cvt_u32_f32_e32 v0, v1
	s_cmp_gt_i32 s23, 27
	s_cbranch_scc0 .LBB19_792
; %bb.791:
	s_mov_b32 s43, 0
	global_store_dword v[3:4], v0, off
.LBB19_792:
	s_andn2_b32 vcc_lo, exec_lo, s43
	s_cbranch_vccnz .LBB19_794
; %bb.793:
	global_store_short v[3:4], v0, off
.LBB19_794:
	s_mov_b32 s43, 0
.LBB19_795:
	s_andn2_b32 vcc_lo, exec_lo, s43
	s_cbranch_vccnz .LBB19_803
; %bb.796:
	v_and_b32_e32 v0, 0x7fffffff, v1
	v_mov_b32_e32 v2, 0x80
	s_mov_b32 s43, exec_lo
	v_cmpx_gt_u32_e32 0x43800000, v0
	s_cbranch_execz .LBB19_802
; %bb.797:
	v_cmp_lt_u32_e32 vcc_lo, 0x3bffffff, v0
	s_mov_b32 s44, 0
                                        ; implicit-def: $vgpr0
	s_and_saveexec_b32 s45, vcc_lo
	s_xor_b32 s45, exec_lo, s45
	s_cbranch_execz .LBB19_919
; %bb.798:
	v_bfe_u32 v0, v1, 20, 1
	s_mov_b32 s44, exec_lo
	v_add3_u32 v0, v1, v0, 0x487ffff
	v_lshrrev_b32_e32 v0, 20, v0
	s_andn2_saveexec_b32 s45, s45
	s_cbranch_execnz .LBB19_920
.LBB19_799:
	s_or_b32 exec_lo, exec_lo, s45
	v_mov_b32_e32 v2, 0
	s_and_saveexec_b32 s45, s44
.LBB19_800:
	v_lshrrev_b32_e32 v2, 24, v1
	v_and_or_b32 v2, 0x80, v2, v0
.LBB19_801:
	s_or_b32 exec_lo, exec_lo, s45
.LBB19_802:
	s_or_b32 exec_lo, exec_lo, s43
	global_store_byte v[3:4], v2, off
.LBB19_803:
	s_mov_b32 s43, -1
.LBB19_804:
	s_mov_b32 s44, 0
.LBB19_805:
	s_and_b32 vcc_lo, exec_lo, s44
	s_cbranch_vccz .LBB19_846
; %bb.806:
	s_cmp_gt_i32 s23, 22
	s_mov_b32 s44, -1
	s_cbranch_scc0 .LBB19_838
; %bb.807:
	s_cmp_lt_i32 s23, 24
	s_mov_b32 s43, -1
	s_cbranch_scc1 .LBB19_827
; %bb.808:
	s_cmp_gt_i32 s23, 24
	s_cbranch_scc0 .LBB19_816
; %bb.809:
	v_and_b32_e32 v0, 0x7fffffff, v1
	v_mov_b32_e32 v2, 0x80
	s_mov_b32 s43, exec_lo
	v_cmpx_gt_u32_e32 0x47800000, v0
	s_cbranch_execz .LBB19_815
; %bb.810:
	v_cmp_lt_u32_e32 vcc_lo, 0x37ffffff, v0
	s_mov_b32 s44, 0
                                        ; implicit-def: $vgpr0
	s_and_saveexec_b32 s45, vcc_lo
	s_xor_b32 s45, exec_lo, s45
	s_cbranch_execz .LBB19_922
; %bb.811:
	v_bfe_u32 v0, v1, 21, 1
	s_mov_b32 s44, exec_lo
	v_add3_u32 v0, v1, v0, 0x88fffff
	v_lshrrev_b32_e32 v0, 21, v0
	s_andn2_saveexec_b32 s45, s45
	s_cbranch_execnz .LBB19_923
.LBB19_812:
	s_or_b32 exec_lo, exec_lo, s45
	v_mov_b32_e32 v2, 0
	s_and_saveexec_b32 s45, s44
.LBB19_813:
	v_lshrrev_b32_e32 v2, 24, v1
	v_and_or_b32 v2, 0x80, v2, v0
.LBB19_814:
	s_or_b32 exec_lo, exec_lo, s45
.LBB19_815:
	s_or_b32 exec_lo, exec_lo, s43
	s_mov_b32 s43, 0
	global_store_byte v[3:4], v2, off
.LBB19_816:
	s_and_b32 vcc_lo, exec_lo, s43
	s_cbranch_vccz .LBB19_826
; %bb.817:
	v_and_b32_e32 v2, 0x7fffffff, v1
	s_mov_b32 s43, exec_lo
                                        ; implicit-def: $vgpr0
	v_cmpx_gt_u32_e32 0x43f00000, v2
	s_xor_b32 s43, exec_lo, s43
	s_cbranch_execz .LBB19_823
; %bb.818:
	s_mov_b32 s44, exec_lo
                                        ; implicit-def: $vgpr0
	v_cmpx_lt_u32_e32 0x3c7fffff, v2
	s_xor_b32 s44, exec_lo, s44
; %bb.819:
	v_bfe_u32 v0, v1, 20, 1
	v_add3_u32 v0, v1, v0, 0x407ffff
	v_and_b32_e32 v2, 0xff00000, v0
	v_lshrrev_b32_e32 v0, 20, v0
	v_cmp_ne_u32_e32 vcc_lo, 0x7f00000, v2
	v_cndmask_b32_e32 v0, 0x7e, v0, vcc_lo
; %bb.820:
	s_andn2_saveexec_b32 s44, s44
; %bb.821:
	v_add_f32_e64 v0, 0x46800000, |v1|
; %bb.822:
	s_or_b32 exec_lo, exec_lo, s44
                                        ; implicit-def: $vgpr2
.LBB19_823:
	s_andn2_saveexec_b32 s43, s43
; %bb.824:
	v_mov_b32_e32 v0, 0x7f
	v_cmp_lt_u32_e32 vcc_lo, 0x7f800000, v2
	v_cndmask_b32_e32 v0, 0x7e, v0, vcc_lo
; %bb.825:
	s_or_b32 exec_lo, exec_lo, s43
	v_lshrrev_b32_e32 v2, 24, v1
	v_and_or_b32 v0, 0x80, v2, v0
	global_store_byte v[3:4], v0, off
.LBB19_826:
	s_mov_b32 s43, 0
.LBB19_827:
	s_andn2_b32 vcc_lo, exec_lo, s43
	s_cbranch_vccnz .LBB19_837
; %bb.828:
	v_and_b32_e32 v2, 0x7fffffff, v1
	s_mov_b32 s43, exec_lo
                                        ; implicit-def: $vgpr0
	v_cmpx_gt_u32_e32 0x47800000, v2
	s_xor_b32 s43, exec_lo, s43
	s_cbranch_execz .LBB19_834
; %bb.829:
	s_mov_b32 s44, exec_lo
                                        ; implicit-def: $vgpr0
	v_cmpx_lt_u32_e32 0x387fffff, v2
	s_xor_b32 s44, exec_lo, s44
; %bb.830:
	v_bfe_u32 v0, v1, 21, 1
	v_add3_u32 v0, v1, v0, 0x80fffff
	v_lshrrev_b32_e32 v0, 21, v0
; %bb.831:
	s_andn2_saveexec_b32 s44, s44
; %bb.832:
	v_add_f32_e64 v0, 0x43000000, |v1|
; %bb.833:
	s_or_b32 exec_lo, exec_lo, s44
                                        ; implicit-def: $vgpr2
.LBB19_834:
	s_andn2_saveexec_b32 s43, s43
; %bb.835:
	v_mov_b32_e32 v0, 0x7f
	v_cmp_lt_u32_e32 vcc_lo, 0x7f800000, v2
	v_cndmask_b32_e32 v0, 0x7c, v0, vcc_lo
; %bb.836:
	s_or_b32 exec_lo, exec_lo, s43
	v_lshrrev_b32_e32 v2, 24, v1
	v_and_or_b32 v0, 0x80, v2, v0
	global_store_byte v[3:4], v0, off
.LBB19_837:
	s_mov_b32 s44, 0
	s_mov_b32 s43, -1
.LBB19_838:
	s_andn2_b32 vcc_lo, exec_lo, s44
	s_cbranch_vccnz .LBB19_846
; %bb.839:
	s_cmp_gt_i32 s23, 14
	s_mov_b32 s44, -1
	s_cbranch_scc0 .LBB19_843
; %bb.840:
	s_cmp_eq_u32 s23, 15
	s_mov_b32 s0, -1
	s_cbranch_scc0 .LBB19_842
; %bb.841:
	v_bfe_u32 v0, v1, 16, 1
	v_cmp_o_f32_e32 vcc_lo, v1, v1
	v_mov_b32_e32 v2, 0x7fc0
	s_mov_b32 s43, -1
	s_mov_b32 s0, 0
	v_add3_u32 v0, v1, v0, 0x7fff
	v_cndmask_b32_sdwa v0, v2, v0, vcc_lo dst_sel:DWORD dst_unused:UNUSED_PAD src0_sel:DWORD src1_sel:WORD_1
	global_store_short v[3:4], v0, off
.LBB19_842:
	s_mov_b32 s44, 0
.LBB19_843:
	s_and_b32 vcc_lo, exec_lo, s44
	s_cbranch_vccz .LBB19_846
; %bb.844:
	s_cmp_eq_u32 s23, 11
	s_mov_b32 s0, -1
	s_cbranch_scc0 .LBB19_846
; %bb.845:
	v_cmp_neq_f32_e32 vcc_lo, 0, v1
	s_mov_b32 s0, 0
	s_mov_b32 s43, -1
	v_cndmask_b32_e64 v0, 0, 1, vcc_lo
	global_store_byte v[3:4], v0, off
.LBB19_846:
	s_mov_b32 s23, 0
.LBB19_847:
	s_and_b32 vcc_lo, exec_lo, s23
	s_cbranch_vccz .LBB19_886
; %bb.848:
	s_and_b32 s1, 0xffff, s1
	s_mov_b32 s23, -1
	s_cmp_lt_i32 s1, 5
	s_cbranch_scc1 .LBB19_869
; %bb.849:
	s_cmp_lt_i32 s1, 8
	s_cbranch_scc1 .LBB19_859
; %bb.850:
	;; [unrolled: 3-line block ×3, first 2 shown]
	s_cmp_gt_i32 s1, 9
	s_cbranch_scc0 .LBB19_853
; %bb.852:
	v_cvt_f64_f32_e32 v[9:10], v1
	v_mov_b32_e32 v11, 0
	s_mov_b32 s23, 0
	v_mov_b32_e32 v12, v11
	global_store_dwordx4 v[3:4], v[9:12], off
.LBB19_853:
	s_andn2_b32 vcc_lo, exec_lo, s23
	s_cbranch_vccnz .LBB19_855
; %bb.854:
	v_mov_b32_e32 v2, 0
	global_store_dwordx2 v[3:4], v[1:2], off
.LBB19_855:
	s_mov_b32 s23, 0
.LBB19_856:
	s_andn2_b32 vcc_lo, exec_lo, s23
	s_cbranch_vccnz .LBB19_858
; %bb.857:
	v_cvt_f16_f32_e32 v0, v1
	v_and_b32_e32 v0, 0xffff, v0
	global_store_dword v[3:4], v0, off
.LBB19_858:
	s_mov_b32 s23, 0
.LBB19_859:
	s_andn2_b32 vcc_lo, exec_lo, s23
	s_cbranch_vccnz .LBB19_868
; %bb.860:
	s_cmp_lt_i32 s1, 6
	s_mov_b32 s23, -1
	s_cbranch_scc1 .LBB19_866
; %bb.861:
	s_cmp_gt_i32 s1, 6
	s_cbranch_scc0 .LBB19_863
; %bb.862:
	v_cvt_f64_f32_e32 v[5:6], v1
	s_mov_b32 s23, 0
	global_store_dwordx2 v[3:4], v[5:6], off
.LBB19_863:
	s_andn2_b32 vcc_lo, exec_lo, s23
	s_cbranch_vccnz .LBB19_865
; %bb.864:
	global_store_dword v[3:4], v1, off
.LBB19_865:
	s_mov_b32 s23, 0
.LBB19_866:
	s_andn2_b32 vcc_lo, exec_lo, s23
	s_cbranch_vccnz .LBB19_868
; %bb.867:
	v_cvt_f16_f32_e32 v0, v1
	global_store_short v[3:4], v0, off
.LBB19_868:
	s_mov_b32 s23, 0
.LBB19_869:
	s_andn2_b32 vcc_lo, exec_lo, s23
	s_cbranch_vccnz .LBB19_885
; %bb.870:
	s_cmp_lt_i32 s1, 2
	s_mov_b32 s23, -1
	s_cbranch_scc1 .LBB19_880
; %bb.871:
	s_cmp_lt_i32 s1, 3
	s_cbranch_scc1 .LBB19_877
; %bb.872:
	s_cmp_gt_i32 s1, 3
	s_cbranch_scc0 .LBB19_874
; %bb.873:
	v_trunc_f32_e32 v0, v1
	s_mov_b32 s23, 0
	v_mul_f32_e64 v2, 0x2f800000, |v0|
	v_floor_f32_e32 v2, v2
	v_fma_f32 v5, 0xcf800000, v2, |v0|
	v_ashrrev_i32_e32 v0, 31, v0
	v_cvt_u32_f32_e32 v2, v2
	v_cvt_u32_f32_e32 v5, v5
	v_xor_b32_e32 v2, v2, v0
	v_xor_b32_e32 v5, v5, v0
	v_sub_co_u32 v5, vcc_lo, v5, v0
	v_sub_co_ci_u32_e64 v6, null, v2, v0, vcc_lo
	global_store_dwordx2 v[3:4], v[5:6], off
.LBB19_874:
	s_andn2_b32 vcc_lo, exec_lo, s23
	s_cbranch_vccnz .LBB19_876
; %bb.875:
	v_cvt_i32_f32_e32 v0, v1
	global_store_dword v[3:4], v0, off
.LBB19_876:
	s_mov_b32 s23, 0
.LBB19_877:
	s_andn2_b32 vcc_lo, exec_lo, s23
	s_cbranch_vccnz .LBB19_879
; %bb.878:
	v_cvt_i32_f32_e32 v0, v1
	global_store_short v[3:4], v0, off
.LBB19_879:
	s_mov_b32 s23, 0
.LBB19_880:
	s_andn2_b32 vcc_lo, exec_lo, s23
	s_cbranch_vccnz .LBB19_885
; %bb.881:
	s_cmp_gt_i32 s1, 0
	s_mov_b32 s1, -1
	s_cbranch_scc0 .LBB19_883
; %bb.882:
	v_cvt_i32_f32_e32 v0, v1
	s_mov_b32 s1, 0
	global_store_byte v[3:4], v0, off
.LBB19_883:
	s_andn2_b32 vcc_lo, exec_lo, s1
	s_cbranch_vccnz .LBB19_885
; %bb.884:
	v_trunc_f32_e32 v0, v1
	v_mul_f32_e64 v1, 0x2f800000, |v0|
	v_floor_f32_e32 v1, v1
	v_fma_f32 v1, 0xcf800000, v1, |v0|
	v_ashrrev_i32_e32 v0, 31, v0
	v_cvt_u32_f32_e32 v1, v1
	v_xor_b32_e32 v1, v1, v0
	v_sub_nc_u32_e32 v0, v1, v0
	global_store_byte v[3:4], v0, off
.LBB19_885:
	s_mov_b32 s43, -1
.LBB19_886:
	s_andn2_b32 vcc_lo, exec_lo, s43
	s_cbranch_vccnz .LBB19_888
; %bb.887:
	v_add_nc_u32_e32 v8, 0x80, v8
	s_mov_b32 s1, -1
	s_branch .LBB19_890
.LBB19_888:
	s_mov_b32 s1, 0
.LBB19_889:
                                        ; implicit-def: $vgpr8
.LBB19_890:
	s_andn2_b32 s23, s40, exec_lo
	s_and_b32 s0, s0, exec_lo
	s_andn2_b32 s43, s39, exec_lo
	s_and_b32 s22, s22, exec_lo
	s_or_b32 s23, s23, s0
	s_or_b32 s22, s43, s22
	s_orn2_b32 s44, s1, exec_lo
.LBB19_891:
	s_or_b32 exec_lo, exec_lo, s42
	s_mov_b32 s0, 0
	s_mov_b32 s1, 0
	;; [unrolled: 1-line block ×3, first 2 shown]
                                        ; implicit-def: $vgpr1_vgpr2
                                        ; implicit-def: $vgpr0
                                        ; implicit-def: $vgpr7
	s_and_saveexec_b32 s42, s44
	s_cbranch_execz .LBB19_991
; %bb.892:
	v_cmp_gt_i32_e32 vcc_lo, s33, v8
	s_mov_b32 s45, s22
	s_mov_b32 s44, 0
                                        ; implicit-def: $vgpr1_vgpr2
                                        ; implicit-def: $vgpr0
                                        ; implicit-def: $vgpr7
	s_and_saveexec_b32 s33, vcc_lo
	s_cbranch_execz .LBB19_990
; %bb.893:
	s_andn2_b32 vcc_lo, exec_lo, s27
	s_cbranch_vccnz .LBB19_898
; %bb.894:
	s_andn2_b32 vcc_lo, exec_lo, s34
	s_cbranch_vccnz .LBB19_899
; %bb.895:
	s_add_i32 s35, s35, 1
	s_cmp_eq_u32 s25, 2
	s_cbranch_scc1 .LBB19_900
; %bb.896:
	v_mov_b32_e32 v2, 0
	v_mov_b32_e32 v0, 0
	;; [unrolled: 1-line block ×3, first 2 shown]
	s_and_b32 s34, s35, 28
	s_mov_b64 s[0:1], s[2:3]
.LBB19_897:                             ; =>This Inner Loop Header: Depth=1
	s_clause 0x1
	s_load_dwordx8 s[44:51], s[0:1], 0x4
	s_load_dwordx4 s[60:63], s[0:1], 0x24
	s_load_dwordx8 s[52:59], s[20:21], 0x0
	s_add_u32 s0, s0, 48
	s_addc_u32 s1, s1, 0
	s_add_i32 s43, s43, 4
	s_add_u32 s20, s20, 32
	s_addc_u32 s21, s21, 0
	s_cmp_eq_u32 s34, s43
	s_waitcnt lgkmcnt(0)
	v_mul_hi_u32 v3, s45, v1
	v_add_nc_u32_e32 v3, v1, v3
	v_lshrrev_b32_e32 v3, s46, v3
	v_mul_hi_u32 v4, s48, v3
	v_mul_lo_u32 v6, v3, s44
	v_add_nc_u32_e32 v4, v3, v4
	v_sub_nc_u32_e32 v1, v1, v6
	v_lshrrev_b32_e32 v4, s49, v4
	v_mul_lo_u32 v6, v1, s52
	v_mul_lo_u32 v9, v1, s53
	v_mul_hi_u32 v5, s51, v4
	v_add_nc_u32_e32 v5, v4, v5
	v_lshrrev_b32_e32 v5, s60, v5
	s_waitcnt vmcnt(0)
	v_mul_hi_u32 v7, s62, v5
	v_mul_lo_u32 v10, v5, s50
	v_add_nc_u32_e32 v1, v5, v7
	v_mul_lo_u32 v7, v4, s47
	v_sub_nc_u32_e32 v4, v4, v10
	v_lshrrev_b32_e32 v1, s63, v1
	v_mul_lo_u32 v10, v4, s56
	v_mul_lo_u32 v4, v4, s57
	v_sub_nc_u32_e32 v3, v3, v7
	v_mul_lo_u32 v11, v1, s61
	v_mul_lo_u32 v7, v3, s54
	;; [unrolled: 1-line block ×3, first 2 shown]
	v_sub_nc_u32_e32 v5, v5, v11
	v_add3_u32 v0, v6, v0, v7
	v_mul_lo_u32 v11, v5, s58
	v_mul_lo_u32 v5, v5, s59
	v_add3_u32 v2, v9, v2, v3
	v_add3_u32 v0, v10, v0, v11
	;; [unrolled: 1-line block ×3, first 2 shown]
	s_cbranch_scc0 .LBB19_897
	s_branch .LBB19_901
.LBB19_898:
	s_mov_b32 s0, -1
                                        ; implicit-def: $vgpr0
                                        ; implicit-def: $vgpr2
	s_branch .LBB19_905
.LBB19_899:
	v_mov_b32_e32 v0, 0
	v_mov_b32_e32 v2, 0
	s_branch .LBB19_904
.LBB19_900:
	v_mov_b32_e32 v0, 0
	v_mov_b32_e32 v2, 0
	v_mov_b32_e32 v1, v8
	s_mov_b32 s34, 0
.LBB19_901:
	s_and_b32 s35, s35, 3
	s_cmp_eq_u32 s35, 0
	s_cbranch_scc1 .LBB19_904
; %bb.902:
	s_lshl_b32 s0, s34, 3
	s_mul_i32 s20, s34, 12
	s_add_u32 s0, s2, s0
	s_addc_u32 s1, s3, 0
	s_add_u32 s0, s0, 0xc4
	s_addc_u32 s1, s1, 0
	;; [unrolled: 2-line block ×3, first 2 shown]
.LBB19_903:                             ; =>This Inner Loop Header: Depth=1
	s_clause 0x1
	s_load_dwordx2 s[44:45], s[20:21], 0x4
	s_load_dword s34, s[20:21], 0xc
	s_load_dwordx2 s[46:47], s[0:1], 0x0
	s_add_u32 s20, s20, 12
	s_addc_u32 s21, s21, 0
	s_add_u32 s0, s0, 8
	s_addc_u32 s1, s1, 0
	s_add_i32 s35, s35, -1
	s_cmp_lg_u32 s35, 0
	s_waitcnt lgkmcnt(0)
	v_mul_hi_u32 v3, s45, v1
	v_add_nc_u32_e32 v3, v1, v3
	v_lshrrev_b32_e32 v4, s34, v3
	v_mul_lo_u32 v3, v4, s44
	v_sub_nc_u32_e32 v3, v1, v3
	v_mad_u64_u32 v[0:1], null, v3, s46, v[0:1]
	v_mad_u64_u32 v[2:3], null, v3, s47, v[2:3]
	v_mov_b32_e32 v1, v4
	s_cbranch_scc1 .LBB19_903
.LBB19_904:
	s_mov_b32 s0, 0
.LBB19_905:
	s_andn2_b32 vcc_lo, exec_lo, s0
	s_cbranch_vccnz .LBB19_908
; %bb.906:
	s_waitcnt lgkmcnt(0)
	v_mul_hi_u32 v0, s17, v8
	s_andn2_b32 vcc_lo, exec_lo, s31
	v_add_nc_u32_e32 v0, v8, v0
	v_lshrrev_b32_e32 v1, s18, v0
	v_mul_lo_u32 v0, v1, s16
	v_sub_nc_u32_e32 v2, v8, v0
	v_mul_lo_u32 v0, v2, s12
	v_mul_lo_u32 v2, v2, s13
	s_cbranch_vccnz .LBB19_908
; %bb.907:
	v_mul_hi_u32 v3, s6, v1
	v_add_nc_u32_e32 v3, v1, v3
	v_lshrrev_b32_e32 v3, s7, v3
	v_mul_lo_u32 v3, v3, s19
	v_sub_nc_u32_e32 v3, v1, v3
	v_mad_u64_u32 v[0:1], null, v3, s14, v[0:1]
	v_mad_u64_u32 v[2:3], null, v3, s15, v[2:3]
.LBB19_908:
	s_waitcnt lgkmcnt(0)
	v_add_co_u32 v1, s0, s10, v2
	v_add_co_ci_u32_e64 v2, null, s11, 0, s0
	s_and_b32 s0, 0xffff, s30
	s_cmp_lt_i32 s0, 11
	s_cbranch_scc1 .LBB19_915
; %bb.909:
	s_cmp_gt_i32 s0, 25
	s_mov_b32 s6, 0
	s_cbranch_scc0 .LBB19_916
; %bb.910:
	s_cmp_gt_i32 s0, 28
	s_cbranch_scc0 .LBB19_917
; %bb.911:
	s_cmp_gt_i32 s0, 43
	;; [unrolled: 3-line block ×3, first 2 shown]
	s_cbranch_scc0 .LBB19_921
; %bb.913:
	s_cmp_eq_u32 s0, 46
	s_mov_b32 s10, 0
	s_cbranch_scc0 .LBB19_924
; %bb.914:
	global_load_dword v3, v[1:2], off
	s_mov_b32 s1, 0
	s_mov_b32 s7, -1
	s_waitcnt vmcnt(0)
	v_lshlrev_b32_e32 v7, 16, v3
	s_branch .LBB19_926
.LBB19_915:
	s_mov_b32 s0, -1
	s_mov_b32 s7, 0
	s_mov_b32 s6, 0
	;; [unrolled: 1-line block ×3, first 2 shown]
                                        ; implicit-def: $vgpr7
	s_branch .LBB19_989
.LBB19_916:
	s_mov_b32 s10, -1
	s_mov_b32 s7, 0
	s_mov_b32 s1, s22
                                        ; implicit-def: $vgpr7
	s_branch .LBB19_955
.LBB19_917:
	s_mov_b32 s10, -1
	s_mov_b32 s7, 0
	s_mov_b32 s1, s22
                                        ; implicit-def: $vgpr7
	s_branch .LBB19_936
.LBB19_918:
	s_mov_b32 s10, -1
	s_mov_b32 s7, 0
	s_mov_b32 s1, s22
                                        ; implicit-def: $vgpr7
	s_branch .LBB19_931
.LBB19_919:
	s_andn2_saveexec_b32 s45, s45
	s_cbranch_execz .LBB19_799
.LBB19_920:
	v_add_f32_e64 v0, 0x46000000, |v1|
	s_andn2_b32 s44, s44, exec_lo
	v_and_b32_e32 v0, 0xff, v0
	v_cmp_ne_u32_e32 vcc_lo, 0, v0
	s_and_b32 s46, vcc_lo, exec_lo
	s_or_b32 s44, s44, s46
	s_or_b32 exec_lo, exec_lo, s45
	v_mov_b32_e32 v2, 0
	s_and_saveexec_b32 s45, s44
	s_cbranch_execnz .LBB19_800
	s_branch .LBB19_801
.LBB19_921:
	s_mov_b32 s10, -1
	s_mov_b32 s7, 0
	s_mov_b32 s1, s22
	s_branch .LBB19_925
.LBB19_922:
	s_andn2_saveexec_b32 s45, s45
	s_cbranch_execz .LBB19_812
.LBB19_923:
	v_add_f32_e64 v0, 0x42800000, |v1|
	s_andn2_b32 s44, s44, exec_lo
	v_and_b32_e32 v0, 0xff, v0
	v_cmp_ne_u32_e32 vcc_lo, 0, v0
	s_and_b32 s46, vcc_lo, exec_lo
	s_or_b32 s44, s44, s46
	s_or_b32 exec_lo, exec_lo, s45
	v_mov_b32_e32 v2, 0
	s_and_saveexec_b32 s45, s44
	s_cbranch_execnz .LBB19_813
	s_branch .LBB19_814
.LBB19_924:
	s_mov_b32 s1, -1
	s_mov_b32 s7, 0
.LBB19_925:
                                        ; implicit-def: $vgpr7
.LBB19_926:
	s_and_b32 vcc_lo, exec_lo, s10
	s_cbranch_vccz .LBB19_930
; %bb.927:
	s_cmp_eq_u32 s0, 44
	s_cbranch_scc0 .LBB19_929
; %bb.928:
	global_load_ubyte v3, v[1:2], off
	s_mov_b32 s1, 0
	s_mov_b32 s7, -1
	s_waitcnt vmcnt(0)
	v_lshlrev_b32_e32 v4, 23, v3
	v_cmp_ne_u32_e32 vcc_lo, 0xff, v3
	v_cndmask_b32_e32 v4, 0x7f800001, v4, vcc_lo
	v_cmp_ne_u32_e32 vcc_lo, 0, v3
	v_cndmask_b32_e32 v7, 0x400000, v4, vcc_lo
	s_branch .LBB19_930
.LBB19_929:
	s_mov_b32 s1, -1
                                        ; implicit-def: $vgpr7
.LBB19_930:
	s_mov_b32 s10, 0
.LBB19_931:
	s_and_b32 vcc_lo, exec_lo, s10
	s_cbranch_vccz .LBB19_935
; %bb.932:
	s_cmp_eq_u32 s0, 29
	s_cbranch_scc0 .LBB19_934
; %bb.933:
	global_load_dwordx2 v[3:4], v[1:2], off
	s_mov_b32 s1, 0
	s_mov_b32 s7, -1
	s_mov_b32 s10, 0
	s_waitcnt vmcnt(0)
	v_ffbh_u32_e32 v5, v4
	v_min_u32_e32 v5, 32, v5
	v_lshlrev_b64 v[3:4], v5, v[3:4]
	v_min_u32_e32 v3, 1, v3
	v_or_b32_e32 v3, v4, v3
	v_sub_nc_u32_e32 v4, 32, v5
	v_cvt_f32_u32_e32 v3, v3
	v_ldexp_f32 v7, v3, v4
	s_branch .LBB19_936
.LBB19_934:
	s_mov_b32 s1, -1
                                        ; implicit-def: $vgpr7
.LBB19_935:
	s_mov_b32 s10, 0
.LBB19_936:
	s_and_b32 vcc_lo, exec_lo, s10
	s_cbranch_vccz .LBB19_954
; %bb.937:
	s_cmp_lt_i32 s0, 27
	s_cbranch_scc1 .LBB19_940
; %bb.938:
	s_cmp_gt_i32 s0, 27
	s_cbranch_scc0 .LBB19_941
; %bb.939:
	global_load_dword v3, v[1:2], off
	s_mov_b32 s7, 0
	s_waitcnt vmcnt(0)
	v_cvt_f32_u32_e32 v7, v3
	s_branch .LBB19_942
.LBB19_940:
	s_mov_b32 s7, -1
                                        ; implicit-def: $vgpr7
	s_branch .LBB19_945
.LBB19_941:
	s_mov_b32 s7, -1
                                        ; implicit-def: $vgpr7
.LBB19_942:
	s_andn2_b32 vcc_lo, exec_lo, s7
	s_cbranch_vccnz .LBB19_944
; %bb.943:
	global_load_ushort v3, v[1:2], off
	s_waitcnt vmcnt(0)
	v_cvt_f32_u32_e32 v7, v3
.LBB19_944:
	s_mov_b32 s7, 0
.LBB19_945:
	s_andn2_b32 vcc_lo, exec_lo, s7
	s_cbranch_vccnz .LBB19_953
; %bb.946:
	global_load_ubyte v3, v[1:2], off
	s_mov_b32 s7, 0
	s_mov_b32 s10, exec_lo
	s_waitcnt vmcnt(0)
	v_cmpx_lt_i16_e32 0x7f, v3
	s_xor_b32 s10, exec_lo, s10
	s_cbranch_execz .LBB19_967
; %bb.947:
	s_mov_b32 s7, -1
	s_mov_b32 s11, exec_lo
	v_cmpx_eq_u16_e32 0x80, v3
; %bb.948:
	s_xor_b32 s7, exec_lo, -1
; %bb.949:
	s_or_b32 exec_lo, exec_lo, s11
	s_and_b32 s7, s7, exec_lo
	s_or_saveexec_b32 s10, s10
	v_mov_b32_e32 v7, 0x7f800001
	s_xor_b32 exec_lo, exec_lo, s10
	s_cbranch_execnz .LBB19_968
.LBB19_950:
	s_or_b32 exec_lo, exec_lo, s10
	s_and_saveexec_b32 s10, s7
	s_cbranch_execz .LBB19_952
.LBB19_951:
	v_and_b32_e32 v4, 0xffff, v3
	v_lshlrev_b32_e32 v3, 24, v3
	v_and_b32_e32 v5, 7, v4
	v_bfe_u32 v8, v4, 3, 4
	v_and_b32_e32 v3, 0x80000000, v3
	v_ffbh_u32_e32 v6, v5
	v_cmp_eq_u32_e32 vcc_lo, 0, v8
	v_min_u32_e32 v6, 32, v6
	v_subrev_nc_u32_e32 v7, 28, v6
	v_sub_nc_u32_e32 v6, 29, v6
	v_lshlrev_b32_e32 v4, v7, v4
	v_cndmask_b32_e32 v6, v8, v6, vcc_lo
	v_and_b32_e32 v4, 7, v4
	v_cndmask_b32_e32 v4, v5, v4, vcc_lo
	v_lshl_add_u32 v5, v6, 23, 0x3b800000
	v_lshlrev_b32_e32 v4, 20, v4
	v_or3_b32 v7, v3, v5, v4
.LBB19_952:
	s_or_b32 exec_lo, exec_lo, s10
.LBB19_953:
	s_mov_b32 s7, -1
.LBB19_954:
	s_mov_b32 s10, 0
.LBB19_955:
	s_and_b32 vcc_lo, exec_lo, s10
	s_cbranch_vccz .LBB19_988
; %bb.956:
	s_cmp_gt_i32 s0, 22
	s_cbranch_scc0 .LBB19_966
; %bb.957:
	s_cmp_lt_i32 s0, 24
	s_cbranch_scc1 .LBB19_969
; %bb.958:
	s_cmp_gt_i32 s0, 24
	s_cbranch_scc0 .LBB19_970
; %bb.959:
	global_load_ubyte v3, v[1:2], off
	s_mov_b32 s7, exec_lo
	s_waitcnt vmcnt(0)
	v_cmpx_lt_i16_e32 0x7f, v3
	s_xor_b32 s7, exec_lo, s7
	s_cbranch_execz .LBB19_982
; %bb.960:
	s_mov_b32 s6, -1
	s_mov_b32 s10, exec_lo
	v_cmpx_eq_u16_e32 0x80, v3
; %bb.961:
	s_xor_b32 s6, exec_lo, -1
; %bb.962:
	s_or_b32 exec_lo, exec_lo, s10
	s_and_b32 s6, s6, exec_lo
	s_or_saveexec_b32 s7, s7
	v_mov_b32_e32 v7, 0x7f800001
	s_xor_b32 exec_lo, exec_lo, s7
	s_cbranch_execnz .LBB19_983
.LBB19_963:
	s_or_b32 exec_lo, exec_lo, s7
	s_and_saveexec_b32 s7, s6
	s_cbranch_execz .LBB19_965
.LBB19_964:
	v_and_b32_e32 v4, 0xffff, v3
	v_lshlrev_b32_e32 v3, 24, v3
	v_and_b32_e32 v5, 3, v4
	v_bfe_u32 v8, v4, 2, 5
	v_and_b32_e32 v3, 0x80000000, v3
	v_ffbh_u32_e32 v6, v5
	v_cmp_eq_u32_e32 vcc_lo, 0, v8
	v_min_u32_e32 v6, 32, v6
	v_subrev_nc_u32_e32 v7, 29, v6
	v_sub_nc_u32_e32 v6, 30, v6
	v_lshlrev_b32_e32 v4, v7, v4
	v_cndmask_b32_e32 v6, v8, v6, vcc_lo
	v_and_b32_e32 v4, 3, v4
	v_cndmask_b32_e32 v4, v5, v4, vcc_lo
	v_lshl_add_u32 v5, v6, 23, 0x37800000
	v_lshlrev_b32_e32 v4, 21, v4
	v_or3_b32 v7, v3, v5, v4
.LBB19_965:
	s_or_b32 exec_lo, exec_lo, s7
	s_mov_b32 s6, 0
	s_branch .LBB19_971
.LBB19_966:
	s_mov_b32 s6, -1
                                        ; implicit-def: $vgpr7
	s_branch .LBB19_977
.LBB19_967:
	s_or_saveexec_b32 s10, s10
	v_mov_b32_e32 v7, 0x7f800001
	s_xor_b32 exec_lo, exec_lo, s10
	s_cbranch_execz .LBB19_950
.LBB19_968:
	v_cmp_ne_u16_e32 vcc_lo, 0, v3
	v_mov_b32_e32 v7, 0
	s_andn2_b32 s7, s7, exec_lo
	s_and_b32 s11, vcc_lo, exec_lo
	s_or_b32 s7, s7, s11
	s_or_b32 exec_lo, exec_lo, s10
	s_and_saveexec_b32 s10, s7
	s_cbranch_execnz .LBB19_951
	s_branch .LBB19_952
.LBB19_969:
	s_mov_b32 s6, -1
                                        ; implicit-def: $vgpr7
	s_branch .LBB19_974
.LBB19_970:
	s_mov_b32 s6, -1
                                        ; implicit-def: $vgpr7
.LBB19_971:
	s_and_b32 vcc_lo, exec_lo, s6
	s_cbranch_vccz .LBB19_973
; %bb.972:
	global_load_ubyte v3, v[1:2], off
	s_waitcnt vmcnt(0)
	v_lshlrev_b32_e32 v3, 24, v3
	v_and_b32_e32 v4, 0x7f000000, v3
	v_ffbh_u32_e32 v5, v4
	v_add_nc_u32_e32 v7, 0x1000000, v4
	v_cmp_ne_u32_e32 vcc_lo, 0, v4
	v_min_u32_e32 v5, 32, v5
	v_sub_nc_u32_e64 v5, v5, 4 clamp
	v_lshlrev_b32_e32 v6, v5, v4
	v_lshlrev_b32_e32 v5, 23, v5
	v_lshrrev_b32_e32 v6, 4, v6
	v_sub_nc_u32_e32 v5, v6, v5
	v_ashrrev_i32_e32 v6, 8, v7
	v_add_nc_u32_e32 v5, 0x3c000000, v5
	v_and_or_b32 v5, 0x7f800000, v6, v5
	v_cndmask_b32_e32 v4, 0, v5, vcc_lo
	v_and_or_b32 v7, 0x80000000, v3, v4
.LBB19_973:
	s_mov_b32 s6, 0
.LBB19_974:
	s_andn2_b32 vcc_lo, exec_lo, s6
	s_cbranch_vccnz .LBB19_976
; %bb.975:
	global_load_ubyte v3, v[1:2], off
	s_waitcnt vmcnt(0)
	v_lshlrev_b32_e32 v4, 25, v3
	v_lshlrev_b16 v3, 8, v3
	v_lshrrev_b32_e32 v5, 4, v4
	v_and_or_b32 v6, 0x7f00, v3, 0.5
	v_cmp_gt_u32_e32 vcc_lo, 0x8000000, v4
	v_bfe_i32 v3, v3, 0, 16
	v_or_b32_e32 v5, 0x70000000, v5
	v_add_f32_e32 v6, -0.5, v6
	v_mul_f32_e32 v5, 0x7800000, v5
	v_cndmask_b32_e32 v4, v5, v6, vcc_lo
	v_and_or_b32 v7, 0x80000000, v3, v4
.LBB19_976:
	s_mov_b32 s6, 0
	s_mov_b32 s7, -1
.LBB19_977:
	s_andn2_b32 vcc_lo, exec_lo, s6
	s_mov_b32 s6, 0
	s_cbranch_vccnz .LBB19_988
; %bb.978:
	s_cmp_gt_i32 s0, 14
	s_cbranch_scc0 .LBB19_981
; %bb.979:
	s_cmp_eq_u32 s0, 15
	s_cbranch_scc0 .LBB19_984
; %bb.980:
	global_load_ushort v3, v[1:2], off
	s_mov_b32 s1, 0
	s_mov_b32 s7, -1
	s_waitcnt vmcnt(0)
	v_lshlrev_b32_e32 v7, 16, v3
	s_branch .LBB19_986
.LBB19_981:
	s_mov_b32 s6, -1
	s_branch .LBB19_985
.LBB19_982:
	s_or_saveexec_b32 s7, s7
	v_mov_b32_e32 v7, 0x7f800001
	s_xor_b32 exec_lo, exec_lo, s7
	s_cbranch_execz .LBB19_963
.LBB19_983:
	v_cmp_ne_u16_e32 vcc_lo, 0, v3
	v_mov_b32_e32 v7, 0
	s_andn2_b32 s6, s6, exec_lo
	s_and_b32 s10, vcc_lo, exec_lo
	s_or_b32 s6, s6, s10
	s_or_b32 exec_lo, exec_lo, s7
	s_and_saveexec_b32 s7, s6
	s_cbranch_execnz .LBB19_964
	s_branch .LBB19_965
.LBB19_984:
	s_mov_b32 s1, -1
.LBB19_985:
                                        ; implicit-def: $vgpr7
.LBB19_986:
	s_and_b32 vcc_lo, exec_lo, s6
	s_mov_b32 s6, 0
	s_cbranch_vccz .LBB19_988
; %bb.987:
	s_cmp_lg_u32 s0, 11
	s_mov_b32 s6, -1
	s_cselect_b32 s0, -1, 0
	s_andn2_b32 s1, s1, exec_lo
	s_and_b32 s0, s0, exec_lo
	s_or_b32 s1, s1, s0
.LBB19_988:
	s_mov_b32 s0, 0
.LBB19_989:
	s_and_b32 s43, s7, exec_lo
	s_andn2_b32 s7, s22, exec_lo
	s_and_b32 s1, s1, exec_lo
	s_and_b32 s44, s0, exec_lo
	;; [unrolled: 1-line block ×3, first 2 shown]
	s_or_b32 s45, s7, s1
.LBB19_990:
	s_or_b32 exec_lo, exec_lo, s33
	s_waitcnt lgkmcnt(0)
	s_andn2_b32 s6, s22, exec_lo
	s_and_b32 s7, s45, exec_lo
	s_and_b32 s43, s43, exec_lo
	;; [unrolled: 1-line block ×4, first 2 shown]
	s_or_b32 s22, s6, s7
.LBB19_991:
	s_or_b32 exec_lo, exec_lo, s42
	s_waitcnt lgkmcnt(0)
	s_andn2_b32 s6, s40, exec_lo
	s_and_b32 s7, s23, exec_lo
	s_and_b32 s42, s43, exec_lo
	s_or_b32 s40, s6, s7
	s_andn2_b32 s6, s39, exec_lo
	s_and_b32 s7, s22, exec_lo
	s_and_b32 s23, s1, exec_lo
	s_and_b32 s1, s0, exec_lo
	s_or_b32 s39, s6, s7
.LBB19_992:
	s_or_b32 exec_lo, exec_lo, s41
	s_andn2_b32 s0, s36, exec_lo
	s_waitcnt lgkmcnt(0)
	s_and_b32 s6, s40, exec_lo
	s_and_b32 s7, s39, exec_lo
	s_or_b32 s36, s0, s6
	s_andn2_b32 s6, s37, exec_lo
	s_and_b32 s0, s42, exec_lo
	s_and_b32 s22, s23, exec_lo
	;; [unrolled: 1-line block ×3, first 2 shown]
	s_or_b32 s37, s6, s7
	s_or_b32 exec_lo, exec_lo, s38
	s_mov_b32 s6, 0
	s_and_saveexec_b32 s1, s37
	s_cbranch_execz .LBB19_298
.LBB19_993:
	s_mov_b32 s6, exec_lo
	s_andn2_b32 s39, s39, exec_lo
	s_trap 2
	s_or_b32 exec_lo, exec_lo, s1
	s_and_saveexec_b32 s1, s39
	s_xor_b32 s1, exec_lo, s1
	s_cbranch_execnz .LBB19_299
.LBB19_994:
	s_or_b32 exec_lo, exec_lo, s1
	s_and_saveexec_b32 s1, s22
	s_cbranch_execz .LBB19_1040
.LBB19_995:
	s_sext_i32_i16 s7, s30
	s_cmp_lt_i32 s7, 5
	s_cbranch_scc1 .LBB19_1000
; %bb.996:
	s_cmp_lt_i32 s7, 8
	s_cbranch_scc1 .LBB19_1001
; %bb.997:
	s_cmp_lt_i32 s7, 9
	s_cbranch_scc1 .LBB19_1002
; %bb.998:
	s_cmp_gt_i32 s7, 9
	s_cbranch_scc0 .LBB19_1003
; %bb.999:
	global_load_dwordx2 v[3:4], v[1:2], off
	s_mov_b32 s7, 0
	s_waitcnt vmcnt(0)
	v_cvt_f32_f64_e32 v7, v[3:4]
	s_branch .LBB19_1004
.LBB19_1000:
                                        ; implicit-def: $vgpr7
	s_branch .LBB19_1021
.LBB19_1001:
                                        ; implicit-def: $vgpr7
	s_branch .LBB19_1010
.LBB19_1002:
	s_mov_b32 s7, -1
                                        ; implicit-def: $vgpr7
	s_branch .LBB19_1007
.LBB19_1003:
	s_mov_b32 s7, -1
                                        ; implicit-def: $vgpr7
.LBB19_1004:
	s_andn2_b32 vcc_lo, exec_lo, s7
	s_cbranch_vccnz .LBB19_1006
; %bb.1005:
	global_load_dword v7, v[1:2], off
.LBB19_1006:
	s_mov_b32 s7, 0
.LBB19_1007:
	s_andn2_b32 vcc_lo, exec_lo, s7
	s_cbranch_vccnz .LBB19_1009
; %bb.1008:
	global_load_dword v3, v[1:2], off
	s_waitcnt vmcnt(0)
	v_cvt_f32_f16_e32 v7, v3
.LBB19_1009:
	s_cbranch_execnz .LBB19_1020
.LBB19_1010:
	s_sext_i32_i16 s7, s30
	s_cmp_lt_i32 s7, 6
	s_cbranch_scc1 .LBB19_1013
; %bb.1011:
	s_cmp_gt_i32 s7, 6
	s_cbranch_scc0 .LBB19_1014
; %bb.1012:
	global_load_dwordx2 v[3:4], v[1:2], off
	s_mov_b32 s7, 0
	s_waitcnt vmcnt(0)
	v_cvt_f32_f64_e32 v7, v[3:4]
	s_branch .LBB19_1015
.LBB19_1013:
	s_mov_b32 s7, -1
                                        ; implicit-def: $vgpr7
	s_branch .LBB19_1018
.LBB19_1014:
	s_mov_b32 s7, -1
                                        ; implicit-def: $vgpr7
.LBB19_1015:
	s_andn2_b32 vcc_lo, exec_lo, s7
	s_cbranch_vccnz .LBB19_1017
; %bb.1016:
	global_load_dword v7, v[1:2], off
.LBB19_1017:
	s_mov_b32 s7, 0
.LBB19_1018:
	s_andn2_b32 vcc_lo, exec_lo, s7
	s_cbranch_vccnz .LBB19_1020
; %bb.1019:
	global_load_ushort v3, v[1:2], off
	s_waitcnt vmcnt(0)
	v_cvt_f32_f16_e32 v7, v3
.LBB19_1020:
	s_cbranch_execnz .LBB19_1039
.LBB19_1021:
	s_sext_i32_i16 s7, s30
	s_cmp_lt_i32 s7, 2
	s_cbranch_scc1 .LBB19_1025
; %bb.1022:
	s_cmp_lt_i32 s7, 3
	s_cbranch_scc1 .LBB19_1026
; %bb.1023:
	s_cmp_gt_i32 s7, 3
	s_cbranch_scc0 .LBB19_1027
; %bb.1024:
	global_load_dwordx2 v[3:4], v[1:2], off
	s_mov_b32 s7, 0
	s_waitcnt vmcnt(0)
	v_xor_b32_e32 v5, v3, v4
	v_ffbh_i32_e32 v6, v4
	v_ashrrev_i32_e32 v5, 31, v5
	v_add_nc_u32_e32 v6, -1, v6
	v_add_nc_u32_e32 v5, 32, v5
	v_min_u32_e32 v5, v6, v5
	v_lshlrev_b64 v[3:4], v5, v[3:4]
	v_min_u32_e32 v3, 1, v3
	v_or_b32_e32 v3, v4, v3
	v_sub_nc_u32_e32 v4, 32, v5
	v_cvt_f32_i32_e32 v3, v3
	v_ldexp_f32 v7, v3, v4
	s_branch .LBB19_1028
.LBB19_1025:
                                        ; implicit-def: $vgpr7
	s_branch .LBB19_1034
.LBB19_1026:
	s_mov_b32 s7, -1
                                        ; implicit-def: $vgpr7
	s_branch .LBB19_1031
.LBB19_1027:
	s_mov_b32 s7, -1
                                        ; implicit-def: $vgpr7
.LBB19_1028:
	s_andn2_b32 vcc_lo, exec_lo, s7
	s_cbranch_vccnz .LBB19_1030
; %bb.1029:
	global_load_dword v3, v[1:2], off
	s_waitcnt vmcnt(0)
	v_cvt_f32_i32_e32 v7, v3
.LBB19_1030:
	s_mov_b32 s7, 0
.LBB19_1031:
	s_andn2_b32 vcc_lo, exec_lo, s7
	s_cbranch_vccnz .LBB19_1033
; %bb.1032:
	global_load_sshort v3, v[1:2], off
	s_waitcnt vmcnt(0)
	v_cvt_f32_i32_e32 v7, v3
.LBB19_1033:
	s_cbranch_execnz .LBB19_1039
.LBB19_1034:
	s_sext_i32_i16 s7, s30
	s_cmp_gt_i32 s7, 0
	s_mov_b32 s7, 0
	s_cbranch_scc0 .LBB19_1036
; %bb.1035:
	global_load_sbyte v3, v[1:2], off
	s_waitcnt vmcnt(0)
	v_cvt_f32_i32_e32 v7, v3
	s_branch .LBB19_1037
.LBB19_1036:
	s_mov_b32 s7, -1
                                        ; implicit-def: $vgpr7
.LBB19_1037:
	s_andn2_b32 vcc_lo, exec_lo, s7
	s_cbranch_vccnz .LBB19_1039
; %bb.1038:
	global_load_ubyte v1, v[1:2], off
	s_waitcnt vmcnt(0)
	v_cvt_f32_ubyte0_e32 v7, v1
.LBB19_1039:
	s_or_b32 s0, s0, exec_lo
.LBB19_1040:
	s_or_b32 exec_lo, exec_lo, s1
	s_mov_b32 s11, 0
	s_mov_b32 s10, 0
                                        ; implicit-def: $sgpr1
                                        ; implicit-def: $vgpr3_vgpr4
                                        ; implicit-def: $vgpr1
	s_and_saveexec_b32 s7, s0
	s_cbranch_execz .LBB19_1072
; %bb.1041:
                                        ; implicit-def: $vgpr1
	s_mov_b32 s0, exec_lo
	s_waitcnt vmcnt(0)
	v_cmpx_neq_f32_e32 0, v7
	s_xor_b32 s10, exec_lo, s0
	s_cbranch_execz .LBB19_1063
; %bb.1042:
	v_mov_b32_e32 v2, 0
	s_mov_b32 s0, -1
	s_mov_b32 s11, exec_lo
	v_cmpx_gt_f32_e32 0, v7
	s_cbranch_execz .LBB19_1050
; %bb.1043:
	v_trunc_f32_e32 v1, v7
	v_mov_b32_e32 v2, 0
	s_mov_b32 s1, 0
	s_mov_b32 s12, exec_lo
	v_cmpx_neq_f32_e32 v7, v1
	s_cbranch_execz .LBB19_1049
; %bb.1044:
	v_cvt_f64_f32_e32 v[1:2], v7
	s_mov_b32 s1, 0xc00921fb
	s_mov_b32 s0, 0x54442d18
	s_mov_b32 s13, exec_lo
                                        ; implicit-def: $vgpr8
                                        ; implicit-def: $vgpr5_vgpr6
	v_trunc_f64_e32 v[3:4], v[1:2]
	v_cmp_neq_f64_e64 vcc_lo, 0x7ff00000, |v[1:2]|
	v_add_f64 v[3:4], v[1:2], -v[3:4]
	v_mul_f64 v[3:4], |v[3:4]|, s[0:1]
	v_cndmask_b32_e32 v2, 0x80000000, v4, vcc_lo
	v_cndmask_b32_e32 v1, 0, v3, vcc_lo
                                        ; implicit-def: $vgpr3_vgpr4
	v_cmpx_ngt_f64_e64 0x41d00000, |v[1:2]|
	s_xor_b32 s13, exec_lo, s13
	s_cbranch_execz .LBB19_1046
; %bb.1045:
	v_ldexp_f64 v[3:4], |v[1:2]|, 0xffffff80
	v_cmp_le_f64_e64 vcc_lo, 0x7b000000, |v[1:2]|
	v_trig_preop_f64 v[5:6], |v[1:2]|, 0
	v_and_b32_e32 v8, 0x7fffffff, v2
	v_trig_preop_f64 v[18:19], |v[1:2]|, 2
	v_mov_b32_e32 v26, 0
	s_mov_b32 s1, 0x3ff921fb
	s_mov_b32 s14, 0x33145c07
	;; [unrolled: 1-line block ×3, first 2 shown]
	v_cndmask_b32_e32 v4, v8, v4, vcc_lo
	v_cndmask_b32_e32 v3, v1, v3, vcc_lo
	v_trig_preop_f64 v[8:9], |v[1:2]|, 1
	v_mul_f64 v[10:11], v[5:6], v[3:4]
	v_mul_f64 v[24:25], v[18:19], v[3:4]
	;; [unrolled: 1-line block ×3, first 2 shown]
	v_fma_f64 v[5:6], v[5:6], v[3:4], -v[10:11]
	v_fma_f64 v[8:9], v[8:9], v[3:4], -v[12:13]
	;; [unrolled: 1-line block ×3, first 2 shown]
	v_add_f64 v[14:15], v[12:13], v[5:6]
	v_add_f64 v[16:17], v[14:15], -v[12:13]
	v_add_f64 v[22:23], v[10:11], v[14:15]
	v_add_f64 v[20:21], v[14:15], -v[16:17]
	v_add_f64 v[5:6], v[5:6], -v[16:17]
	v_ldexp_f64 v[16:17], v[22:23], -2
	v_add_f64 v[10:11], v[22:23], -v[10:11]
	v_add_f64 v[12:13], v[12:13], -v[20:21]
	v_add_f64 v[20:21], v[24:25], v[8:9]
	v_cmp_neq_f64_e64 vcc_lo, 0x7ff00000, |v[16:17]|
	v_add_f64 v[10:11], v[14:15], -v[10:11]
	v_add_f64 v[5:6], v[5:6], v[12:13]
	v_fract_f64_e32 v[12:13], v[16:17]
	v_add_f64 v[14:15], v[20:21], v[5:6]
	v_ldexp_f64 v[12:13], v[12:13], 2
	v_add_f64 v[16:17], v[10:11], v[14:15]
	v_cndmask_b32_e32 v13, 0, v13, vcc_lo
	v_cndmask_b32_e32 v12, 0, v12, vcc_lo
	v_add_f64 v[22:23], v[16:17], v[12:13]
	v_add_f64 v[10:11], v[16:17], -v[10:11]
	v_cmp_gt_f64_e32 vcc_lo, 0, v[22:23]
	v_add_f64 v[22:23], v[20:21], -v[24:25]
	v_cndmask_b32_e64 v27, 0, 0x40100000, vcc_lo
	v_add_f64 v[31:32], v[20:21], -v[22:23]
	v_add_f64 v[8:9], v[8:9], -v[22:23]
	v_add_f64 v[12:13], v[12:13], v[26:27]
	v_add_f64 v[27:28], v[14:15], -v[20:21]
	v_add_f64 v[22:23], v[24:25], -v[31:32]
	v_add_f64 v[29:30], v[16:17], v[12:13]
	;; [unrolled: 3-line block ×3, first 2 shown]
	v_cvt_i32_f64_e32 v29, v[29:30]
	v_add_f64 v[20:21], v[20:21], -v[33:34]
	v_cvt_f64_i32_e32 v[27:28], v29
	v_add_f64 v[5:6], v[5:6], v[20:21]
	v_add_f64 v[12:13], v[12:13], -v[27:28]
	v_add_f64 v[5:6], v[8:9], v[5:6]
	v_add_f64 v[8:9], v[14:15], -v[10:11]
	v_add_f64 v[18:19], v[16:17], v[12:13]
	v_add_f64 v[3:4], v[3:4], v[5:6]
	v_add_f64 v[5:6], v[18:19], -v[12:13]
	v_cmp_le_f64_e32 vcc_lo, 0.5, v[18:19]
	v_add_f64 v[3:4], v[8:9], v[3:4]
	v_add_f64 v[5:6], v[16:17], -v[5:6]
	v_cndmask_b32_e64 v27, 0, 0x3ff00000, vcc_lo
	v_add_co_ci_u32_e64 v8, null, 0, v29, vcc_lo
	v_add_f64 v[3:4], v[3:4], v[5:6]
	v_add_f64 v[5:6], v[18:19], -v[26:27]
	v_add_f64 v[9:10], v[5:6], v[3:4]
	v_mul_f64 v[11:12], v[9:10], s[0:1]
	v_add_f64 v[5:6], v[9:10], -v[5:6]
	v_fma_f64 v[13:14], v[9:10], s[0:1], -v[11:12]
	v_add_f64 v[3:4], v[3:4], -v[5:6]
	v_fma_f64 v[5:6], v[9:10], s[14:15], v[13:14]
	v_fma_f64 v[5:6], v[3:4], s[0:1], v[5:6]
	v_add_f64 v[3:4], v[11:12], v[5:6]
	v_add_f64 v[9:10], v[3:4], -v[11:12]
	v_add_f64 v[5:6], v[5:6], -v[9:10]
.LBB19_1046:
	s_andn2_saveexec_b32 s0, s13
	s_cbranch_execz .LBB19_1048
; %bb.1047:
	s_mov_b32 s14, 0x6dc9c883
	s_mov_b32 s15, 0x3fe45f30
	;; [unrolled: 1-line block ×3, first 2 shown]
	v_mul_f64 v[3:4], |v[1:2]|, s[14:15]
	s_mov_b32 s14, 0x54442d18
	s_mov_b32 s15, 0xbff921fb
	;; [unrolled: 1-line block ×3, first 2 shown]
	v_rndne_f64_e32 v[8:9], v[3:4]
	v_fma_f64 v[3:4], v[8:9], s[14:15], |v[1:2]|
	v_mul_f64 v[5:6], v[8:9], s[16:17]
	s_mov_b32 s14, 0x252049c0
	s_mov_b32 s15, 0xb97b839a
	v_fma_f64 v[12:13], v[8:9], s[16:17], v[3:4]
	v_add_f64 v[10:11], v[3:4], v[5:6]
	s_mov_b32 s17, 0x3c91a626
	v_add_f64 v[3:4], v[3:4], -v[10:11]
	v_add_f64 v[10:11], v[10:11], -v[12:13]
	v_add_f64 v[3:4], v[3:4], v[5:6]
	v_fma_f64 v[5:6], v[8:9], s[16:17], v[5:6]
	v_add_f64 v[3:4], v[10:11], v[3:4]
	v_add_f64 v[3:4], v[3:4], -v[5:6]
	v_fma_f64 v[5:6], v[8:9], s[14:15], v[3:4]
	v_cvt_i32_f64_e32 v8, v[8:9]
	v_add_f64 v[3:4], v[12:13], v[5:6]
	v_add_f64 v[10:11], v[3:4], -v[12:13]
	v_add_f64 v[5:6], v[5:6], -v[10:11]
.LBB19_1048:
	s_or_b32 exec_lo, exec_lo, s0
	v_mul_f64 v[9:10], v[3:4], v[3:4]
	v_add_f64 v[11:12], v[5:6], v[5:6]
	s_mov_b32 s14, 0xa9a29f71
	s_mov_b32 s16, 0xc751c08c
	;; [unrolled: 1-line block ×4, first 2 shown]
	v_cmp_class_f64_e64 s0, v[1:2], 0x1f8
	v_and_b32_e32 v8, 1, v8
	v_and_b32_e32 v2, 0x80000000, v2
	v_sub_f32_e32 v7, 1.0, v7
	s_mov_b32 s1, exec_lo
	v_cmp_eq_u32_e32 vcc_lo, 0, v8
	v_fma_f64 v[13:14], v[3:4], v[3:4], -v[9:10]
	v_fma_f64 v[11:12], v[3:4], v[11:12], v[13:14]
	v_add_f64 v[9:10], v[9:10], v[11:12]
	v_fma_f64 v[11:12], v[9:10], s[16:17], s[14:15]
	s_mov_b32 s14, 0x90a8aae0
	s_mov_b32 s15, 0x3f17746f
	v_fma_f64 v[11:12], v[9:10], v[11:12], s[14:15]
	s_mov_b32 s14, 0xa6fbf144
	s_mov_b32 s15, 0xbefbb44d
	v_fma_f64 v[11:12], v[9:10], v[11:12], s[14:15]
	s_mov_b32 s14, 0xa7943acf
	s_mov_b32 s15, 0x3f21e634
	v_fma_f64 v[11:12], v[9:10], v[11:12], s[14:15]
	s_mov_b32 s14, 0xdeb68feb
	s_mov_b32 s15, 0x3f2d250f
	v_fma_f64 v[11:12], v[9:10], v[11:12], s[14:15]
	s_mov_b32 s14, 0xb58c4d95
	s_mov_b32 s15, 0x3f437fd9
	v_fma_f64 v[11:12], v[9:10], v[11:12], s[14:15]
	s_mov_b32 s14, 0x15120e2c
	s_mov_b32 s15, 0x3f57d5af
	v_fma_f64 v[11:12], v[9:10], v[11:12], s[14:15]
	s_mov_b32 s14, 0xe09491df
	s_mov_b32 s15, 0x3f6d6d93
	v_fma_f64 v[11:12], v[9:10], v[11:12], s[14:15]
	s_mov_b32 s14, 0x2033784d
	s_mov_b32 s15, 0x3f8226e1
	v_fma_f64 v[11:12], v[9:10], v[11:12], s[14:15]
	s_mov_b32 s14, 0x9ac36ae2
	s_mov_b32 s15, 0x3f9664f4
	v_fma_f64 v[11:12], v[9:10], v[11:12], s[14:15]
	s_mov_b32 s14, 0x1b451c21
	s_mov_b32 s15, 0x3faba1ba
	v_fma_f64 v[11:12], v[9:10], v[11:12], s[14:15]
	s_mov_b32 s14, 0x111185b7
	s_mov_b32 s15, 0x3fc11111
	v_fma_f64 v[11:12], v[9:10], v[11:12], s[14:15]
	s_mov_b32 s14, 0x555554ee
	s_mov_b32 s15, 0x3fd55555
	v_fma_f64 v[11:12], v[9:10], v[11:12], s[14:15]
	s_mov_b32 s14, 0x54442d18
	s_mov_b32 s15, 0xc00921fb
	v_mul_f64 v[9:10], v[9:10], v[11:12]
	v_mul_f64 v[11:12], v[3:4], v[9:10]
	v_add_f64 v[13:14], v[3:4], v[11:12]
	v_fma_f64 v[9:10], v[3:4], v[9:10], -v[11:12]
	v_add_f64 v[3:4], v[13:14], -v[3:4]
	v_add_f64 v[5:6], v[5:6], v[9:10]
	v_add_f64 v[3:4], v[11:12], -v[3:4]
	v_add_f64 v[3:4], v[5:6], v[3:4]
	v_add_f64 v[5:6], v[13:14], v[3:4]
	v_rcp_f64_e32 v[9:10], v[5:6]
	v_fma_f64 v[11:12], -v[5:6], v[9:10], 1.0
	v_fma_f64 v[9:10], v[11:12], v[9:10], v[9:10]
	v_fma_f64 v[11:12], -v[5:6], v[9:10], 1.0
	v_fma_f64 v[9:10], v[11:12], v[9:10], v[9:10]
	v_add_f64 v[11:12], v[5:6], -v[13:14]
	v_mul_f64 v[13:14], v[5:6], v[9:10]
	v_add_f64 v[3:4], v[3:4], -v[11:12]
	v_fma_f64 v[11:12], v[9:10], v[5:6], -v[13:14]
	v_fma_f64 v[3:4], v[9:10], v[3:4], v[11:12]
	v_add_f64 v[11:12], v[13:14], v[3:4]
	v_add_f64 v[15:16], -v[11:12], 1.0
	v_add_f64 v[13:14], v[11:12], -v[13:14]
	v_add_f64 v[17:18], -v[15:16], 1.0
	v_add_f64 v[3:4], v[13:14], -v[3:4]
	v_add_f64 v[11:12], v[17:18], -v[11:12]
	v_add_f64 v[3:4], v[3:4], v[11:12]
	v_add_f64 v[3:4], v[15:16], v[3:4]
	v_mul_f64 v[3:4], v[9:10], v[3:4]
	v_add_f64 v[3:4], v[9:10], v[3:4]
	v_xor_b32_e32 v1, 0x80000000, v4
	v_cndmask_b32_e32 v3, v3, v5, vcc_lo
	v_cndmask_b32_e32 v1, v1, v6, vcc_lo
	v_xor_b32_e32 v2, v1, v2
	v_cndmask_b32_e64 v1, 0, v3, s0
	v_cndmask_b32_e64 v2, 0x7ff80000, v2, s0
	v_div_scale_f64 v[3:4], null, v[1:2], v[1:2], s[14:15]
	v_rcp_f64_e32 v[5:6], v[3:4]
	v_fma_f64 v[8:9], -v[3:4], v[5:6], 1.0
	v_fma_f64 v[5:6], v[5:6], v[8:9], v[5:6]
	v_fma_f64 v[8:9], -v[3:4], v[5:6], 1.0
	v_fma_f64 v[5:6], v[5:6], v[8:9], v[5:6]
	v_div_scale_f64 v[8:9], vcc_lo, s[14:15], v[1:2], s[14:15]
	v_mul_f64 v[10:11], v[8:9], v[5:6]
	v_fma_f64 v[3:4], -v[3:4], v[10:11], v[8:9]
	v_div_fmas_f64 v[3:4], v[3:4], v[5:6], v[10:11]
	v_div_fixup_f64 v[1:2], v[3:4], v[1:2], s[14:15]
	v_cvt_f32_f64_e32 v2, v[1:2]
.LBB19_1049:
	s_or_b32 exec_lo, exec_lo, s12
	s_orn2_b32 s0, s1, exec_lo
.LBB19_1050:
	s_or_b32 exec_lo, exec_lo, s11
	v_mov_b32_e32 v1, 0x7fc00000
	s_and_saveexec_b32 s11, s0
	s_cbranch_execz .LBB19_1062
; %bb.1051:
	s_mov_b32 s0, exec_lo
	v_cmpx_gt_f32_e32 0x41200000, v7
	s_cbranch_execz .LBB19_1055
; %bb.1052:
	s_mov_b32 s1, 0
	.p2align	6
.LBB19_1053:                            ; =>This Inner Loop Header: Depth=1
	v_div_scale_f32 v1, null, v7, v7, 1.0
	v_div_scale_f32 v5, vcc_lo, 1.0, v7, 1.0
	v_rcp_f32_e32 v3, v1
	v_fma_f32 v4, -v1, v3, 1.0
	v_fmac_f32_e32 v3, v4, v3
	v_mul_f32_e32 v4, v5, v3
	v_fma_f32 v6, -v1, v4, v5
	v_fmac_f32_e32 v4, v6, v3
	v_fma_f32 v1, -v1, v4, v5
	v_div_fmas_f32 v1, v1, v3, v4
	v_div_fixup_f32 v1, v1, v7, 1.0
	v_add_f32_e32 v7, 1.0, v7
	v_sub_f32_e32 v2, v2, v1
	v_cmp_ngt_f32_e32 vcc_lo, 0x41200000, v7
	s_or_b32 s1, vcc_lo, s1
	s_andn2_b32 exec_lo, exec_lo, s1
	s_cbranch_execnz .LBB19_1053
; %bb.1054:
	s_or_b32 exec_lo, exec_lo, s1
.LBB19_1055:
	s_or_b32 exec_lo, exec_lo, s0
                                        ; implicit-def: $vgpr1
	s_mov_b32 s0, exec_lo
	v_cmpx_neq_f32_e32 0x41200000, v7
	s_xor_b32 s12, exec_lo, s0
	s_cbranch_execz .LBB19_1059
; %bb.1056:
	v_cvt_f64_f32_e32 v[3:4], v7
	s_mov_b32 s0, 0x85d8a000
	s_mov_b32 s1, 0x43763457
	v_mov_b32_e32 v1, 0
	v_cmp_gt_f64_e32 vcc_lo, s[0:1], v[3:4]
	s_and_saveexec_b32 s0, vcc_lo
	s_cbranch_execz .LBB19_1058
; %bb.1057:
	v_mul_f32_e32 v1, v7, v7
	v_div_scale_f32 v3, null, v1, v1, 1.0
	v_rcp_f32_e32 v4, v3
	v_fma_f32 v5, -v3, v4, 1.0
	v_fmac_f32_e32 v4, v5, v4
	v_div_scale_f32 v5, vcc_lo, 1.0, v1, 1.0
	v_mul_f32_e32 v6, v5, v4
	v_fma_f32 v8, -v3, v6, v5
	v_fmac_f32_e32 v6, v8, v4
	v_fma_f32 v3, -v3, v6, v5
	v_div_fmas_f32 v3, v3, v4, v6
	v_div_fixup_f32 v1, v3, v1, 1.0
	v_fmaak_f32 v3, 0, v1, 0x3daaaaab
	v_fmaak_f32 v3, v1, v3, 0xbcaccacd
	;; [unrolled: 1-line block ×7, first 2 shown]
	v_mul_f32_e32 v1, v1, v3
.LBB19_1058:
	s_or_b32 exec_lo, exec_lo, s0
	v_cmp_gt_f32_e32 vcc_lo, 0x800000, v7
	v_div_scale_f32 v3, null, v7, v7, -0.5
	v_div_scale_f32 v8, s0, -0.5, v7, -0.5
	v_cndmask_b32_e64 v4, 0, 32, vcc_lo
	v_rcp_f32_e32 v5, v3
	v_ldexp_f32 v4, v7, v4
	v_log_f32_e32 v4, v4
	v_fma_f32 v6, -v3, v5, 1.0
	v_fmac_f32_e32 v5, v6, v5
	v_mul_f32_e32 v6, 0x3f317217, v4
	v_mul_f32_e32 v9, v8, v5
	v_cmp_gt_f32_e64 s1, 0x7f800000, |v4|
	v_fma_f32 v6, 0x3f317217, v4, -v6
	v_fma_f32 v10, -v3, v9, v8
	v_fmamk_f32 v6, v4, 0x3377d1cf, v6
	v_fmac_f32_e32 v9, v10, v5
	v_fmac_f32_e32 v6, 0x3f317217, v4
	v_fma_f32 v3, -v3, v9, v8
	v_cndmask_b32_e64 v4, v4, v6, s1
	v_cndmask_b32_e64 v6, 0, 0x41b17218, vcc_lo
	s_mov_b32 vcc_lo, s0
	v_div_fmas_f32 v3, v3, v5, v9
	v_sub_f32_e32 v4, v4, v6
	v_div_fixup_f32 v3, v3, v7, -0.5
	v_add_f32_e32 v3, v4, v3
	v_sub_f32_e32 v1, v3, v1
	v_add_f32_e32 v1, v2, v1
                                        ; implicit-def: $vgpr2
.LBB19_1059:
	s_andn2_saveexec_b32 s0, s12
; %bb.1060:
	v_add_f32_e32 v1, 0x40101cb7, v2
; %bb.1061:
	s_or_b32 exec_lo, exec_lo, s0
.LBB19_1062:
	s_or_b32 exec_lo, exec_lo, s11
                                        ; implicit-def: $vgpr7
.LBB19_1063:
	s_andn2_saveexec_b32 s0, s10
; %bb.1064:
	v_xor_b32_e32 v1, 0x80000000, v7
	s_mov_b32 s1, 0x7f800000
	v_bfi_b32 v1, 0x7fffffff, s1, v1
; %bb.1065:
	s_or_b32 exec_lo, exec_lo, s0
	v_add_co_u32 v3, s0, s8, v0
	v_add_co_ci_u32_e64 v4, null, s9, 0, s0
	s_and_b32 s1, s29, 0xff
	s_cmp_lt_i32 s1, 11
	s_cbranch_scc1 .LBB19_1075
; %bb.1066:
	s_and_b32 s8, 0xffff, s1
	s_mov_b32 s9, -1
	s_cmp_gt_i32 s8, 25
	s_mov_b32 s0, s36
	s_cbranch_scc0 .LBB19_1103
; %bb.1067:
	s_cmp_gt_i32 s8, 28
	s_mov_b32 s0, s36
	s_cbranch_scc0 .LBB19_1087
; %bb.1068:
	;; [unrolled: 4-line block ×4, first 2 shown]
	s_cmp_eq_u32 s8, 46
	s_mov_b32 s0, -1
	s_cbranch_scc0 .LBB19_1076
; %bb.1071:
	v_bfe_u32 v0, v1, 16, 1
	v_cmp_o_f32_e32 vcc_lo, v1, v1
	v_mov_b32_e32 v2, 0x7fc0
	s_mov_b32 s0, 0
	s_mov_b32 s9, 0
	v_add3_u32 v0, v1, v0, 0x7fff
	v_cndmask_b32_sdwa v0, v2, v0, vcc_lo dst_sel:DWORD dst_unused:UNUSED_PAD src0_sel:DWORD src1_sel:WORD_1
	global_store_dword v[3:4], v0, off
	s_branch .LBB19_1077
.LBB19_1072:
	s_or_b32 exec_lo, exec_lo, s7
	s_and_saveexec_b32 s0, s36
	s_cbranch_execnz .LBB19_1145
.LBB19_1073:
	s_or_b32 exec_lo, exec_lo, s0
	s_and_saveexec_b32 s0, s11
	s_xor_b32 s0, exec_lo, s0
	s_cbranch_execz .LBB19_1146
.LBB19_1074:
	v_cmp_neq_f32_e32 vcc_lo, 0, v1
	v_cndmask_b32_e64 v0, 0, 1, vcc_lo
	global_store_byte v[3:4], v0, off
	s_or_b32 exec_lo, exec_lo, s0
	s_and_saveexec_b32 s0, s10
	s_xor_b32 s0, exec_lo, s0
	s_cbranch_execz .LBB19_1184
	s_branch .LBB19_1147
.LBB19_1075:
	s_mov_b32 s11, 0
	s_mov_b32 s9, -1
	s_mov_b32 s0, s36
	s_branch .LBB19_1144
.LBB19_1076:
	s_mov_b32 s9, 0
.LBB19_1077:
	s_and_b32 vcc_lo, exec_lo, s9
	s_cbranch_vccz .LBB19_1082
; %bb.1078:
	s_cmp_eq_u32 s8, 44
	s_mov_b32 s0, -1
	s_cbranch_scc0 .LBB19_1082
; %bb.1079:
	v_bfe_u32 v2, v1, 23, 8
	v_mov_b32_e32 v0, 0xff
	s_mov_b32 s9, exec_lo
	v_cmpx_ne_u32_e32 0xff, v2
	s_cbranch_execz .LBB19_1081
; %bb.1080:
	v_and_b32_e32 v0, 0x400000, v1
	v_and_or_b32 v2, 0x3fffff, v1, v2
	v_cmp_ne_u32_e32 vcc_lo, 0, v0
	v_cmp_ne_u32_e64 s0, 0, v2
	v_lshrrev_b32_e32 v0, 23, v1
	s_and_b32 s0, vcc_lo, s0
	v_cndmask_b32_e64 v2, 0, 1, s0
	v_add_nc_u32_e32 v0, v0, v2
.LBB19_1081:
	s_or_b32 exec_lo, exec_lo, s9
	s_mov_b32 s0, 0
	global_store_byte v[3:4], v0, off
.LBB19_1082:
	s_mov_b32 s9, 0
.LBB19_1083:
	s_and_b32 vcc_lo, exec_lo, s9
	s_cbranch_vccz .LBB19_1086
; %bb.1084:
	s_cmp_eq_u32 s8, 29
	s_mov_b32 s0, -1
	s_cbranch_scc0 .LBB19_1086
; %bb.1085:
	v_trunc_f32_e32 v0, v1
	s_mov_b32 s0, 0
	s_mov_b32 s9, 0
	v_mul_f32_e32 v2, 0x2f800000, v0
	v_floor_f32_e32 v2, v2
	v_fmamk_f32 v0, v2, 0xcf800000, v0
	v_cvt_u32_f32_e32 v6, v2
	v_cvt_u32_f32_e32 v5, v0
	global_store_dwordx2 v[3:4], v[5:6], off
	s_branch .LBB19_1087
.LBB19_1086:
	s_mov_b32 s9, 0
.LBB19_1087:
	s_and_b32 vcc_lo, exec_lo, s9
	s_cbranch_vccz .LBB19_1102
; %bb.1088:
	s_cmp_lt_i32 s8, 27
	s_mov_b32 s9, -1
	s_cbranch_scc1 .LBB19_1094
; %bb.1089:
	s_cmp_gt_i32 s8, 27
	s_cbranch_scc0 .LBB19_1091
; %bb.1090:
	v_cvt_u32_f32_e32 v0, v1
	s_mov_b32 s9, 0
	global_store_dword v[3:4], v0, off
.LBB19_1091:
	s_andn2_b32 vcc_lo, exec_lo, s9
	s_cbranch_vccnz .LBB19_1093
; %bb.1092:
	v_cvt_u32_f32_e32 v0, v1
	global_store_short v[3:4], v0, off
.LBB19_1093:
	s_mov_b32 s9, 0
.LBB19_1094:
	s_andn2_b32 vcc_lo, exec_lo, s9
	s_cbranch_vccnz .LBB19_1102
; %bb.1095:
	v_and_b32_e32 v0, 0x7fffffff, v1
	v_mov_b32_e32 v2, 0x80
	s_mov_b32 s9, exec_lo
	v_cmpx_gt_u32_e32 0x43800000, v0
	s_cbranch_execz .LBB19_1101
; %bb.1096:
	v_cmp_lt_u32_e32 vcc_lo, 0x3bffffff, v0
	s_mov_b32 s10, 0
                                        ; implicit-def: $vgpr0
	s_and_saveexec_b32 s11, vcc_lo
	s_xor_b32 s11, exec_lo, s11
	s_cbranch_execz .LBB19_1255
; %bb.1097:
	v_bfe_u32 v0, v1, 20, 1
	s_mov_b32 s10, exec_lo
	v_add3_u32 v0, v1, v0, 0x487ffff
	v_lshrrev_b32_e32 v0, 20, v0
	s_andn2_saveexec_b32 s11, s11
	s_cbranch_execnz .LBB19_1256
.LBB19_1098:
	s_or_b32 exec_lo, exec_lo, s11
	v_mov_b32_e32 v2, 0
	s_and_saveexec_b32 s11, s10
.LBB19_1099:
	v_lshrrev_b32_e32 v2, 24, v1
	v_and_or_b32 v2, 0x80, v2, v0
.LBB19_1100:
	s_or_b32 exec_lo, exec_lo, s11
.LBB19_1101:
	s_or_b32 exec_lo, exec_lo, s9
	global_store_byte v[3:4], v2, off
.LBB19_1102:
	s_mov_b32 s9, 0
.LBB19_1103:
	s_and_b32 vcc_lo, exec_lo, s9
	s_mov_b32 s9, 0
	s_cbranch_vccz .LBB19_1143
; %bb.1104:
	s_cmp_gt_i32 s8, 22
	s_mov_b32 s10, -1
	s_cbranch_scc0 .LBB19_1136
; %bb.1105:
	s_cmp_lt_i32 s8, 24
	s_cbranch_scc1 .LBB19_1125
; %bb.1106:
	s_cmp_gt_i32 s8, 24
	s_cbranch_scc0 .LBB19_1114
; %bb.1107:
	v_and_b32_e32 v0, 0x7fffffff, v1
	v_mov_b32_e32 v2, 0x80
	s_mov_b32 s10, exec_lo
	v_cmpx_gt_u32_e32 0x47800000, v0
	s_cbranch_execz .LBB19_1113
; %bb.1108:
	v_cmp_lt_u32_e32 vcc_lo, 0x37ffffff, v0
	s_mov_b32 s11, 0
                                        ; implicit-def: $vgpr0
	s_and_saveexec_b32 s12, vcc_lo
	s_xor_b32 s12, exec_lo, s12
	s_cbranch_execz .LBB19_1405
; %bb.1109:
	v_bfe_u32 v0, v1, 21, 1
	s_mov_b32 s11, exec_lo
	v_add3_u32 v0, v1, v0, 0x88fffff
	v_lshrrev_b32_e32 v0, 21, v0
	s_andn2_saveexec_b32 s12, s12
	s_cbranch_execnz .LBB19_1406
.LBB19_1110:
	s_or_b32 exec_lo, exec_lo, s12
	v_mov_b32_e32 v2, 0
	s_and_saveexec_b32 s12, s11
.LBB19_1111:
	v_lshrrev_b32_e32 v2, 24, v1
	v_and_or_b32 v2, 0x80, v2, v0
.LBB19_1112:
	s_or_b32 exec_lo, exec_lo, s12
.LBB19_1113:
	s_or_b32 exec_lo, exec_lo, s10
	s_mov_b32 s10, 0
	global_store_byte v[3:4], v2, off
.LBB19_1114:
	s_and_b32 vcc_lo, exec_lo, s10
	s_cbranch_vccz .LBB19_1124
; %bb.1115:
	v_and_b32_e32 v2, 0x7fffffff, v1
	s_mov_b32 s10, exec_lo
                                        ; implicit-def: $vgpr0
	v_cmpx_gt_u32_e32 0x43f00000, v2
	s_xor_b32 s10, exec_lo, s10
	s_cbranch_execz .LBB19_1121
; %bb.1116:
	s_mov_b32 s11, exec_lo
                                        ; implicit-def: $vgpr0
	v_cmpx_lt_u32_e32 0x3c7fffff, v2
	s_xor_b32 s11, exec_lo, s11
; %bb.1117:
	v_bfe_u32 v0, v1, 20, 1
	v_add3_u32 v0, v1, v0, 0x407ffff
	v_and_b32_e32 v2, 0xff00000, v0
	v_lshrrev_b32_e32 v0, 20, v0
	v_cmp_ne_u32_e32 vcc_lo, 0x7f00000, v2
	v_cndmask_b32_e32 v0, 0x7e, v0, vcc_lo
; %bb.1118:
	s_andn2_saveexec_b32 s11, s11
; %bb.1119:
	v_add_f32_e64 v0, 0x46800000, |v1|
; %bb.1120:
	s_or_b32 exec_lo, exec_lo, s11
                                        ; implicit-def: $vgpr2
.LBB19_1121:
	s_andn2_saveexec_b32 s10, s10
; %bb.1122:
	v_mov_b32_e32 v0, 0x7f
	v_cmp_lt_u32_e32 vcc_lo, 0x7f800000, v2
	v_cndmask_b32_e32 v0, 0x7e, v0, vcc_lo
; %bb.1123:
	s_or_b32 exec_lo, exec_lo, s10
	v_lshrrev_b32_e32 v2, 24, v1
	v_and_or_b32 v0, 0x80, v2, v0
	global_store_byte v[3:4], v0, off
.LBB19_1124:
	s_mov_b32 s10, 0
.LBB19_1125:
	s_andn2_b32 vcc_lo, exec_lo, s10
	s_cbranch_vccnz .LBB19_1135
; %bb.1126:
	v_and_b32_e32 v2, 0x7fffffff, v1
	s_mov_b32 s10, exec_lo
                                        ; implicit-def: $vgpr0
	v_cmpx_gt_u32_e32 0x47800000, v2
	s_xor_b32 s10, exec_lo, s10
	s_cbranch_execz .LBB19_1132
; %bb.1127:
	s_mov_b32 s11, exec_lo
                                        ; implicit-def: $vgpr0
	v_cmpx_lt_u32_e32 0x387fffff, v2
	s_xor_b32 s11, exec_lo, s11
; %bb.1128:
	v_bfe_u32 v0, v1, 21, 1
	v_add3_u32 v0, v1, v0, 0x80fffff
	v_lshrrev_b32_e32 v0, 21, v0
; %bb.1129:
	s_andn2_saveexec_b32 s11, s11
; %bb.1130:
	v_add_f32_e64 v0, 0x43000000, |v1|
; %bb.1131:
	s_or_b32 exec_lo, exec_lo, s11
                                        ; implicit-def: $vgpr2
.LBB19_1132:
	s_andn2_saveexec_b32 s10, s10
; %bb.1133:
	v_mov_b32_e32 v0, 0x7f
	v_cmp_lt_u32_e32 vcc_lo, 0x7f800000, v2
	v_cndmask_b32_e32 v0, 0x7c, v0, vcc_lo
; %bb.1134:
	s_or_b32 exec_lo, exec_lo, s10
	v_lshrrev_b32_e32 v2, 24, v1
	v_and_or_b32 v0, 0x80, v2, v0
	global_store_byte v[3:4], v0, off
.LBB19_1135:
	s_mov_b32 s10, 0
.LBB19_1136:
	s_andn2_b32 vcc_lo, exec_lo, s10
	s_mov_b32 s11, 0
	s_cbranch_vccnz .LBB19_1144
; %bb.1137:
	s_cmp_gt_i32 s8, 14
	s_mov_b32 s10, -1
	s_cbranch_scc0 .LBB19_1141
; %bb.1138:
	s_cmp_eq_u32 s8, 15
	s_mov_b32 s0, -1
	s_cbranch_scc0 .LBB19_1140
; %bb.1139:
	v_bfe_u32 v0, v1, 16, 1
	v_cmp_o_f32_e32 vcc_lo, v1, v1
	v_mov_b32_e32 v2, 0x7fc0
	s_mov_b32 s0, 0
	v_add3_u32 v0, v1, v0, 0x7fff
	v_cndmask_b32_sdwa v0, v2, v0, vcc_lo dst_sel:DWORD dst_unused:UNUSED_PAD src0_sel:DWORD src1_sel:WORD_1
	global_store_short v[3:4], v0, off
.LBB19_1140:
	s_mov_b32 s10, 0
.LBB19_1141:
	s_and_b32 vcc_lo, exec_lo, s10
	s_cbranch_vccz .LBB19_1144
; %bb.1142:
	s_cmp_lg_u32 s8, 11
	s_mov_b32 s11, -1
	s_cselect_b32 s8, -1, 0
	s_andn2_b32 s0, s0, exec_lo
	s_and_b32 s8, s8, exec_lo
	s_or_b32 s0, s0, s8
	s_branch .LBB19_1144
.LBB19_1143:
	s_mov_b32 s11, 0
.LBB19_1144:
	s_andn2_b32 s8, s36, exec_lo
	s_and_b32 s0, s0, exec_lo
	s_and_b32 s10, s9, exec_lo
	;; [unrolled: 1-line block ×3, first 2 shown]
	s_or_b32 s36, s8, s0
	s_or_b32 exec_lo, exec_lo, s7
	s_and_saveexec_b32 s0, s36
	s_cbranch_execz .LBB19_1073
.LBB19_1145:
	s_or_b32 s6, s6, exec_lo
	s_andn2_b32 s11, s11, exec_lo
	s_trap 2
	s_or_b32 exec_lo, exec_lo, s0
	s_and_saveexec_b32 s0, s11
	s_xor_b32 s0, exec_lo, s0
	s_cbranch_execnz .LBB19_1074
.LBB19_1146:
	s_or_b32 exec_lo, exec_lo, s0
	s_and_saveexec_b32 s0, s10
	s_xor_b32 s0, exec_lo, s0
	s_cbranch_execz .LBB19_1184
.LBB19_1147:
	s_sext_i32_i16 s8, s1
	s_mov_b32 s7, -1
	s_cmp_lt_i32 s8, 5
	s_cbranch_scc1 .LBB19_1168
; %bb.1148:
	s_cmp_lt_i32 s8, 8
	s_cbranch_scc1 .LBB19_1158
; %bb.1149:
	;; [unrolled: 3-line block ×3, first 2 shown]
	s_cmp_gt_i32 s8, 9
	s_cbranch_scc0 .LBB19_1152
; %bb.1151:
	v_cvt_f64_f32_e32 v[5:6], v1
	s_waitcnt vmcnt(0)
	v_mov_b32_e32 v7, 0
	s_mov_b32 s7, 0
	v_mov_b32_e32 v8, v7
	global_store_dwordx4 v[3:4], v[5:8], off
.LBB19_1152:
	s_andn2_b32 vcc_lo, exec_lo, s7
	s_cbranch_vccnz .LBB19_1154
; %bb.1153:
	v_mov_b32_e32 v2, 0
	global_store_dwordx2 v[3:4], v[1:2], off
.LBB19_1154:
	s_mov_b32 s7, 0
.LBB19_1155:
	s_andn2_b32 vcc_lo, exec_lo, s7
	s_cbranch_vccnz .LBB19_1157
; %bb.1156:
	v_cvt_f16_f32_e32 v0, v1
	v_and_b32_e32 v0, 0xffff, v0
	global_store_dword v[3:4], v0, off
.LBB19_1157:
	s_mov_b32 s7, 0
.LBB19_1158:
	s_andn2_b32 vcc_lo, exec_lo, s7
	s_cbranch_vccnz .LBB19_1167
; %bb.1159:
	s_sext_i32_i16 s8, s1
	s_mov_b32 s7, -1
	s_cmp_lt_i32 s8, 6
	s_cbranch_scc1 .LBB19_1165
; %bb.1160:
	s_cmp_gt_i32 s8, 6
	s_cbranch_scc0 .LBB19_1162
; %bb.1161:
	v_cvt_f64_f32_e32 v[5:6], v1
	s_mov_b32 s7, 0
	global_store_dwordx2 v[3:4], v[5:6], off
.LBB19_1162:
	s_andn2_b32 vcc_lo, exec_lo, s7
	s_cbranch_vccnz .LBB19_1164
; %bb.1163:
	global_store_dword v[3:4], v1, off
.LBB19_1164:
	s_mov_b32 s7, 0
.LBB19_1165:
	s_andn2_b32 vcc_lo, exec_lo, s7
	s_cbranch_vccnz .LBB19_1167
; %bb.1166:
	v_cvt_f16_f32_e32 v0, v1
	global_store_short v[3:4], v0, off
.LBB19_1167:
	s_mov_b32 s7, 0
.LBB19_1168:
	s_andn2_b32 vcc_lo, exec_lo, s7
	s_cbranch_vccnz .LBB19_1184
; %bb.1169:
	s_sext_i32_i16 s8, s1
	s_mov_b32 s7, -1
	s_cmp_lt_i32 s8, 2
	s_cbranch_scc1 .LBB19_1179
; %bb.1170:
	s_cmp_lt_i32 s8, 3
	s_cbranch_scc1 .LBB19_1176
; %bb.1171:
	s_cmp_gt_i32 s8, 3
	s_cbranch_scc0 .LBB19_1173
; %bb.1172:
	v_trunc_f32_e32 v0, v1
	s_mov_b32 s7, 0
	v_mul_f32_e64 v2, 0x2f800000, |v0|
	v_floor_f32_e32 v2, v2
	v_fma_f32 v5, 0xcf800000, v2, |v0|
	v_ashrrev_i32_e32 v0, 31, v0
	v_cvt_u32_f32_e32 v2, v2
	v_cvt_u32_f32_e32 v5, v5
	v_xor_b32_e32 v2, v2, v0
	v_xor_b32_e32 v5, v5, v0
	v_sub_co_u32 v5, vcc_lo, v5, v0
	v_sub_co_ci_u32_e64 v6, null, v2, v0, vcc_lo
	global_store_dwordx2 v[3:4], v[5:6], off
.LBB19_1173:
	s_andn2_b32 vcc_lo, exec_lo, s7
	s_cbranch_vccnz .LBB19_1175
; %bb.1174:
	v_cvt_i32_f32_e32 v0, v1
	global_store_dword v[3:4], v0, off
.LBB19_1175:
	s_mov_b32 s7, 0
.LBB19_1176:
	s_andn2_b32 vcc_lo, exec_lo, s7
	s_cbranch_vccnz .LBB19_1178
; %bb.1177:
	v_cvt_i32_f32_e32 v0, v1
	global_store_short v[3:4], v0, off
.LBB19_1178:
	s_mov_b32 s7, 0
.LBB19_1179:
	s_andn2_b32 vcc_lo, exec_lo, s7
	s_cbranch_vccnz .LBB19_1184
; %bb.1180:
	s_sext_i32_i16 s1, s1
	s_cmp_gt_i32 s1, 0
	s_mov_b32 s1, -1
	s_cbranch_scc0 .LBB19_1182
; %bb.1181:
	v_cvt_i32_f32_e32 v0, v1
	s_mov_b32 s1, 0
	global_store_byte v[3:4], v0, off
.LBB19_1182:
	s_andn2_b32 vcc_lo, exec_lo, s1
	s_cbranch_vccnz .LBB19_1184
; %bb.1183:
	v_trunc_f32_e32 v0, v1
	v_mul_f32_e64 v1, 0x2f800000, |v0|
	v_floor_f32_e32 v1, v1
	v_fma_f32 v1, 0xcf800000, v1, |v0|
	v_ashrrev_i32_e32 v0, 31, v0
	v_cvt_u32_f32_e32 v1, v1
	v_xor_b32_e32 v1, v1, v0
	v_sub_nc_u32_e32 v0, v1, v0
	global_store_byte v[3:4], v0, off
.LBB19_1184:
	s_or_b32 exec_lo, exec_lo, s0
	s_and_b32 s12, s6, exec_lo
                                        ; implicit-def: $vgpr15
                                        ; implicit-def: $vgpr8
.LBB19_1185:
	s_or_saveexec_b32 s13, s28
	s_mov_b32 s0, 0
                                        ; implicit-def: $vgpr0_vgpr1
                                        ; implicit-def: $sgpr1
                                        ; implicit-def: $vgpr7
	s_xor_b32 exec_lo, exec_lo, s13
	s_cbranch_execz .LBB19_1934
; %bb.1186:
	v_cndmask_b32_e64 v0, 0, 1, s27
	s_andn2_b32 vcc_lo, exec_lo, s27
	s_cbranch_vccnz .LBB19_1192
; %bb.1187:
	s_cmp_lg_u32 s24, 0
	s_mov_b32 s8, 0
	s_cbranch_scc0 .LBB19_1193
; %bb.1188:
	s_min_u32 s10, s25, 15
	s_add_i32 s10, s10, 1
	s_cmp_eq_u32 s25, 2
	s_cbranch_scc1 .LBB19_1194
; %bb.1189:
	v_mov_b32_e32 v13, 0
	v_mov_b32_e32 v6, 0
	v_mov_b32_e32 v1, v8
	s_and_b32 s9, s10, 28
	s_add_u32 s0, s2, 0xc4
	s_addc_u32 s1, s3, 0
	s_mov_b32 s11, 0
	s_mov_b64 s[6:7], s[2:3]
.LBB19_1190:                            ; =>This Inner Loop Header: Depth=1
	s_clause 0x1
	s_load_dwordx8 s[16:23], s[6:7], 0x4
	s_load_dwordx4 s[28:31], s[6:7], 0x24
	s_load_dwordx8 s[36:43], s[0:1], 0x0
	s_add_u32 s6, s6, 48
	s_addc_u32 s7, s7, 0
	s_add_i32 s11, s11, 4
	s_add_u32 s0, s0, 32
	s_addc_u32 s1, s1, 0
	s_cmp_lg_u32 s9, s11
	s_waitcnt lgkmcnt(0)
	v_mul_hi_u32 v2, s17, v1
	v_add_nc_u32_e32 v2, v1, v2
	v_lshrrev_b32_e32 v2, s18, v2
	v_mul_hi_u32 v3, s20, v2
	v_mul_lo_u32 v5, v2, s16
	v_add_nc_u32_e32 v3, v2, v3
	v_sub_nc_u32_e32 v1, v1, v5
	v_lshrrev_b32_e32 v3, s21, v3
	v_mul_lo_u32 v5, v1, s36
	v_mul_lo_u32 v9, v1, s37
	v_mul_hi_u32 v4, s23, v3
	v_add_nc_u32_e32 v4, v3, v4
	v_lshrrev_b32_e32 v4, s28, v4
	s_waitcnt vmcnt(0)
	v_mul_hi_u32 v7, s30, v4
	v_mul_lo_u32 v10, v4, s22
	v_add_nc_u32_e32 v1, v4, v7
	v_mul_lo_u32 v7, v3, s19
	v_sub_nc_u32_e32 v3, v3, v10
	v_lshrrev_b32_e32 v1, s31, v1
	v_mul_lo_u32 v10, v3, s40
	v_mul_lo_u32 v3, v3, s41
	v_sub_nc_u32_e32 v2, v2, v7
	v_mul_lo_u32 v11, v1, s29
	v_mul_lo_u32 v7, v2, s38
	;; [unrolled: 1-line block ×3, first 2 shown]
	v_sub_nc_u32_e32 v4, v4, v11
	v_add3_u32 v5, v5, v6, v7
	v_mul_lo_u32 v11, v4, s42
	v_mul_lo_u32 v4, v4, s43
	v_add3_u32 v2, v9, v13, v2
	v_add3_u32 v6, v10, v5, v11
	;; [unrolled: 1-line block ×3, first 2 shown]
	s_cbranch_scc1 .LBB19_1190
; %bb.1191:
	s_and_b32 s10, s10, 3
	s_cmp_eq_u32 s10, 0
	s_cbranch_scc0 .LBB19_1195
	s_branch .LBB19_1197
.LBB19_1192:
	s_mov_b32 s8, -1
                                        ; implicit-def: $vgpr6
                                        ; implicit-def: $vgpr13
	s_branch .LBB19_1197
.LBB19_1193:
	v_mov_b32_e32 v6, 0
	v_mov_b32_e32 v13, 0
	s_branch .LBB19_1197
.LBB19_1194:
	v_mov_b32_e32 v6, 0
	v_mov_b32_e32 v13, 0
	;; [unrolled: 1-line block ×3, first 2 shown]
	s_mov_b32 s9, 0
	s_and_b32 s10, s10, 3
	s_cmp_eq_u32 s10, 0
	s_cbranch_scc1 .LBB19_1197
.LBB19_1195:
	s_lshl_b32 s0, s9, 3
	s_mul_i32 s6, s9, 12
	s_add_u32 s0, s2, s0
	s_addc_u32 s1, s3, 0
	s_add_u32 s0, s0, 0xc4
	s_addc_u32 s1, s1, 0
	;; [unrolled: 2-line block ×3, first 2 shown]
	.p2align	6
.LBB19_1196:                            ; =>This Inner Loop Header: Depth=1
	s_clause 0x1
	s_load_dwordx2 s[14:15], s[6:7], 0x4
	s_load_dword s9, s[6:7], 0xc
	s_load_dwordx2 s[16:17], s[0:1], 0x0
	s_add_u32 s6, s6, 12
	s_addc_u32 s7, s7, 0
	s_add_u32 s0, s0, 8
	s_addc_u32 s1, s1, 0
	s_add_i32 s10, s10, -1
	s_cmp_lg_u32 s10, 0
	s_waitcnt lgkmcnt(0)
	v_mul_hi_u32 v2, s15, v1
	v_add_nc_u32_e32 v2, v1, v2
	v_lshrrev_b32_e32 v2, s9, v2
	v_mul_lo_u32 v3, v2, s14
	v_sub_nc_u32_e32 v1, v1, v3
	s_waitcnt vmcnt(0)
	v_mad_u64_u32 v[6:7], null, v1, s16, v[6:7]
	v_mad_u64_u32 v[13:14], null, v1, s17, v[13:14]
	v_mov_b32_e32 v1, v2
	s_cbranch_scc1 .LBB19_1196
.LBB19_1197:
	s_andn2_b32 vcc_lo, exec_lo, s8
	s_cbranch_vccnz .LBB19_1200
; %bb.1198:
	s_clause 0x1
	s_load_dwordx4 s[8:11], s[2:3], 0x4
	s_load_dwordx2 s[0:1], s[2:3], 0xc4
	s_cmp_lt_u32 s24, 2
	s_waitcnt lgkmcnt(0)
	v_mul_hi_u32 v1, s9, v8
	v_add_nc_u32_e32 v1, v8, v1
	v_lshrrev_b32_e32 v1, s10, v1
	v_mul_lo_u32 v2, v1, s8
	v_sub_nc_u32_e32 v2, v8, v2
	v_mul_lo_u32 v6, v2, s0
	v_mul_lo_u32 v13, v2, s1
	s_cbranch_scc1 .LBB19_1200
; %bb.1199:
	s_clause 0x1
	s_load_dwordx4 s[8:11], s[2:3], 0x10
	s_load_dwordx2 s[0:1], s[2:3], 0xcc
	s_waitcnt lgkmcnt(0)
	v_mul_hi_u32 v2, s9, v1
	v_add_nc_u32_e32 v2, v1, v2
	v_lshrrev_b32_e32 v2, s10, v2
	v_mul_lo_u32 v2, v2, s8
	v_sub_nc_u32_e32 v1, v1, v2
	s_waitcnt vmcnt(0)
	v_mad_u64_u32 v[6:7], null, v1, s0, v[6:7]
	v_mad_u64_u32 v[13:14], null, v1, s1, v[13:14]
.LBB19_1200:
	v_cmp_ne_u32_e32 vcc_lo, 1, v0
	v_add_nc_u32_e32 v1, 0x80, v8
	s_cbranch_vccnz .LBB19_1206
; %bb.1201:
	s_cmp_lg_u32 s24, 0
	s_mov_b32 s8, 0
	s_cbranch_scc0 .LBB19_1207
; %bb.1202:
	s_min_u32 s10, s25, 15
	s_add_i32 s10, s10, 1
	s_cmp_eq_u32 s25, 2
	s_cbranch_scc1 .LBB19_1208
; %bb.1203:
	v_mov_b32_e32 v11, 0
	v_mov_b32_e32 v4, 0
	;; [unrolled: 1-line block ×3, first 2 shown]
	s_and_b32 s9, s10, 28
	s_add_u32 s0, s2, 0xc4
	s_addc_u32 s1, s3, 0
	s_mov_b32 s11, 0
	s_mov_b64 s[6:7], s[2:3]
.LBB19_1204:                            ; =>This Inner Loop Header: Depth=1
	s_clause 0x1
	s_load_dwordx8 s[16:23], s[6:7], 0x4
	s_load_dwordx4 s[28:31], s[6:7], 0x24
	s_load_dwordx8 s[36:43], s[0:1], 0x0
	s_add_u32 s6, s6, 48
	s_addc_u32 s7, s7, 0
	s_add_i32 s11, s11, 4
	s_add_u32 s0, s0, 32
	s_addc_u32 s1, s1, 0
	s_cmp_lg_u32 s9, s11
	s_waitcnt lgkmcnt(0)
	v_mul_hi_u32 v3, s17, v2
	v_add_nc_u32_e32 v3, v2, v3
	v_lshrrev_b32_e32 v3, s18, v3
	v_mul_hi_u32 v5, s20, v3
	v_mul_lo_u32 v9, v3, s16
	v_add_nc_u32_e32 v5, v3, v5
	v_sub_nc_u32_e32 v2, v2, v9
	v_lshrrev_b32_e32 v5, s21, v5
	v_mul_lo_u32 v9, v2, s36
	v_mul_lo_u32 v12, v2, s37
	s_waitcnt vmcnt(0)
	v_mul_hi_u32 v7, s23, v5
	v_add_nc_u32_e32 v7, v5, v7
	v_lshrrev_b32_e32 v7, s28, v7
	v_mul_hi_u32 v10, s30, v7
	v_mul_lo_u32 v14, v7, s22
	v_add_nc_u32_e32 v2, v7, v10
	v_mul_lo_u32 v10, v5, s19
	v_sub_nc_u32_e32 v5, v5, v14
	v_lshrrev_b32_e32 v2, s31, v2
	v_mul_lo_u32 v14, v5, s40
	v_mul_lo_u32 v5, v5, s41
	v_sub_nc_u32_e32 v3, v3, v10
	v_mul_lo_u32 v16, v2, s29
	v_mul_lo_u32 v10, v3, s38
	;; [unrolled: 1-line block ×3, first 2 shown]
	v_sub_nc_u32_e32 v7, v7, v16
	v_add3_u32 v4, v9, v4, v10
	v_mul_lo_u32 v16, v7, s42
	v_mul_lo_u32 v7, v7, s43
	v_add3_u32 v3, v12, v11, v3
	v_add3_u32 v4, v14, v4, v16
	v_add3_u32 v11, v5, v3, v7
	s_cbranch_scc1 .LBB19_1204
; %bb.1205:
	s_and_b32 s10, s10, 3
	s_cmp_eq_u32 s10, 0
	s_cbranch_scc0 .LBB19_1209
	s_branch .LBB19_1211
.LBB19_1206:
	s_mov_b32 s8, -1
                                        ; implicit-def: $vgpr4
                                        ; implicit-def: $vgpr11
	s_branch .LBB19_1211
.LBB19_1207:
	v_mov_b32_e32 v4, 0
	v_mov_b32_e32 v11, 0
	s_branch .LBB19_1211
.LBB19_1208:
	v_mov_b32_e32 v4, 0
	v_mov_b32_e32 v11, 0
	;; [unrolled: 1-line block ×3, first 2 shown]
	s_mov_b32 s9, 0
	s_and_b32 s10, s10, 3
	s_cmp_eq_u32 s10, 0
	s_cbranch_scc1 .LBB19_1211
.LBB19_1209:
	s_lshl_b32 s0, s9, 3
	s_mul_i32 s6, s9, 12
	s_add_u32 s0, s2, s0
	s_addc_u32 s1, s3, 0
	s_add_u32 s0, s0, 0xc4
	s_addc_u32 s1, s1, 0
	;; [unrolled: 2-line block ×3, first 2 shown]
	.p2align	6
.LBB19_1210:                            ; =>This Inner Loop Header: Depth=1
	s_clause 0x1
	s_load_dwordx2 s[14:15], s[6:7], 0x4
	s_load_dword s9, s[6:7], 0xc
	s_load_dwordx2 s[16:17], s[0:1], 0x0
	s_add_u32 s6, s6, 12
	s_addc_u32 s7, s7, 0
	s_add_u32 s0, s0, 8
	s_addc_u32 s1, s1, 0
	s_add_i32 s10, s10, -1
	s_cmp_lg_u32 s10, 0
	s_waitcnt lgkmcnt(0)
	v_mul_hi_u32 v3, s15, v2
	v_add_nc_u32_e32 v3, v2, v3
	v_lshrrev_b32_e32 v3, s9, v3
	v_mul_lo_u32 v5, v3, s14
	v_sub_nc_u32_e32 v2, v2, v5
	v_mad_u64_u32 v[4:5], null, v2, s16, v[4:5]
	v_mad_u64_u32 v[11:12], null, v2, s17, v[11:12]
	v_mov_b32_e32 v2, v3
	s_cbranch_scc1 .LBB19_1210
.LBB19_1211:
	s_andn2_b32 vcc_lo, exec_lo, s8
	s_cbranch_vccnz .LBB19_1214
; %bb.1212:
	s_clause 0x1
	s_load_dwordx4 s[8:11], s[2:3], 0x4
	s_load_dwordx2 s[0:1], s[2:3], 0xc4
	s_cmp_lt_u32 s24, 2
	s_waitcnt lgkmcnt(0)
	v_mul_hi_u32 v2, s9, v1
	v_add_nc_u32_e32 v2, v1, v2
	v_lshrrev_b32_e32 v2, s10, v2
	v_mul_lo_u32 v3, v2, s8
	v_sub_nc_u32_e32 v1, v1, v3
	v_mul_lo_u32 v4, v1, s0
	v_mul_lo_u32 v11, v1, s1
	s_cbranch_scc1 .LBB19_1214
; %bb.1213:
	s_clause 0x1
	s_load_dwordx4 s[8:11], s[2:3], 0x10
	s_load_dwordx2 s[0:1], s[2:3], 0xcc
	s_waitcnt lgkmcnt(0)
	v_mul_hi_u32 v1, s9, v2
	v_add_nc_u32_e32 v1, v2, v1
	v_lshrrev_b32_e32 v1, s10, v1
	v_mul_lo_u32 v1, v1, s8
	v_sub_nc_u32_e32 v1, v2, v1
	v_mad_u64_u32 v[4:5], null, v1, s0, v[4:5]
	v_mad_u64_u32 v[11:12], null, v1, s1, v[11:12]
.LBB19_1214:
	v_cmp_ne_u32_e32 vcc_lo, 1, v0
	v_add_nc_u32_e32 v1, 0x100, v8
	s_cbranch_vccnz .LBB19_1220
; %bb.1215:
	s_cmp_lg_u32 s24, 0
	s_mov_b32 s8, 0
	s_cbranch_scc0 .LBB19_1221
; %bb.1216:
	s_min_u32 s10, s25, 15
	s_add_i32 s10, s10, 1
	s_cmp_eq_u32 s25, 2
	s_cbranch_scc1 .LBB19_1222
; %bb.1217:
	v_mov_b32_e32 v9, 0
	v_mov_b32_e32 v2, 0
	;; [unrolled: 1-line block ×3, first 2 shown]
	s_and_b32 s9, s10, 28
	s_add_u32 s0, s2, 0xc4
	s_addc_u32 s1, s3, 0
	s_mov_b32 s11, 0
	s_mov_b64 s[6:7], s[2:3]
.LBB19_1218:                            ; =>This Inner Loop Header: Depth=1
	s_clause 0x1
	s_load_dwordx8 s[16:23], s[6:7], 0x4
	s_load_dwordx4 s[28:31], s[6:7], 0x24
	s_load_dwordx8 s[36:43], s[0:1], 0x0
	s_add_u32 s6, s6, 48
	s_addc_u32 s7, s7, 0
	s_add_i32 s11, s11, 4
	s_add_u32 s0, s0, 32
	s_addc_u32 s1, s1, 0
	s_cmp_lg_u32 s9, s11
	s_waitcnt lgkmcnt(0)
	v_mul_hi_u32 v5, s17, v3
	v_add_nc_u32_e32 v5, v3, v5
	v_lshrrev_b32_e32 v5, s18, v5
	s_waitcnt vmcnt(0)
	v_mul_hi_u32 v7, s20, v5
	v_mul_lo_u32 v10, v5, s16
	v_add_nc_u32_e32 v7, v5, v7
	v_sub_nc_u32_e32 v3, v3, v10
	v_lshrrev_b32_e32 v7, s21, v7
	v_mul_lo_u32 v10, v3, s36
	v_mul_lo_u32 v14, v3, s37
	v_mul_hi_u32 v8, s23, v7
	v_add_nc_u32_e32 v8, v7, v8
	v_lshrrev_b32_e32 v8, s28, v8
	v_mul_hi_u32 v12, s30, v8
	v_mul_lo_u32 v16, v8, s22
	v_add_nc_u32_e32 v3, v8, v12
	v_mul_lo_u32 v12, v7, s19
	v_sub_nc_u32_e32 v7, v7, v16
	v_lshrrev_b32_e32 v3, s31, v3
	v_mul_lo_u32 v16, v7, s40
	v_mul_lo_u32 v7, v7, s41
	v_sub_nc_u32_e32 v5, v5, v12
	v_mul_lo_u32 v17, v3, s29
	v_mul_lo_u32 v12, v5, s38
	;; [unrolled: 1-line block ×3, first 2 shown]
	v_sub_nc_u32_e32 v8, v8, v17
	v_add3_u32 v2, v10, v2, v12
	v_mul_lo_u32 v17, v8, s42
	v_mul_lo_u32 v8, v8, s43
	v_add3_u32 v5, v14, v9, v5
	v_add3_u32 v2, v16, v2, v17
	v_add3_u32 v9, v7, v5, v8
	s_cbranch_scc1 .LBB19_1218
; %bb.1219:
	s_and_b32 s10, s10, 3
	s_cmp_eq_u32 s10, 0
	s_cbranch_scc0 .LBB19_1223
	s_branch .LBB19_1225
.LBB19_1220:
	s_mov_b32 s8, -1
                                        ; implicit-def: $vgpr2
                                        ; implicit-def: $vgpr9
	s_branch .LBB19_1225
.LBB19_1221:
	v_mov_b32_e32 v2, 0
	v_mov_b32_e32 v9, 0
	s_branch .LBB19_1225
.LBB19_1222:
	v_mov_b32_e32 v2, 0
	v_mov_b32_e32 v9, 0
	;; [unrolled: 1-line block ×3, first 2 shown]
	s_mov_b32 s9, 0
	s_and_b32 s10, s10, 3
	s_cmp_eq_u32 s10, 0
	s_cbranch_scc1 .LBB19_1225
.LBB19_1223:
	s_lshl_b32 s0, s9, 3
	s_mul_i32 s6, s9, 12
	s_add_u32 s0, s2, s0
	s_addc_u32 s1, s3, 0
	s_add_u32 s0, s0, 0xc4
	s_addc_u32 s1, s1, 0
	;; [unrolled: 2-line block ×3, first 2 shown]
	.p2align	6
.LBB19_1224:                            ; =>This Inner Loop Header: Depth=1
	s_clause 0x1
	s_load_dwordx2 s[14:15], s[6:7], 0x4
	s_load_dword s9, s[6:7], 0xc
	s_load_dwordx2 s[16:17], s[0:1], 0x0
	s_add_u32 s6, s6, 12
	s_addc_u32 s7, s7, 0
	s_add_u32 s0, s0, 8
	s_addc_u32 s1, s1, 0
	s_add_i32 s10, s10, -1
	s_cmp_lg_u32 s10, 0
	s_waitcnt lgkmcnt(0)
	v_mul_hi_u32 v5, s15, v3
	v_add_nc_u32_e32 v5, v3, v5
	v_lshrrev_b32_e32 v5, s9, v5
	s_waitcnt vmcnt(0)
	v_mul_lo_u32 v7, v5, s14
	v_sub_nc_u32_e32 v7, v3, v7
	v_mad_u64_u32 v[2:3], null, v7, s16, v[2:3]
	v_mad_u64_u32 v[9:10], null, v7, s17, v[9:10]
	v_mov_b32_e32 v3, v5
	s_cbranch_scc1 .LBB19_1224
.LBB19_1225:
	s_andn2_b32 vcc_lo, exec_lo, s8
	s_cbranch_vccnz .LBB19_1228
; %bb.1226:
	s_clause 0x1
	s_load_dwordx4 s[8:11], s[2:3], 0x4
	s_load_dwordx2 s[0:1], s[2:3], 0xc4
	s_cmp_lt_u32 s24, 2
	s_waitcnt lgkmcnt(0)
	v_mul_hi_u32 v2, s9, v1
	v_add_nc_u32_e32 v2, v1, v2
	v_lshrrev_b32_e32 v3, s10, v2
	v_mul_lo_u32 v2, v3, s8
	v_sub_nc_u32_e32 v1, v1, v2
	v_mul_lo_u32 v2, v1, s0
	v_mul_lo_u32 v9, v1, s1
	s_cbranch_scc1 .LBB19_1228
; %bb.1227:
	s_clause 0x1
	s_load_dwordx4 s[8:11], s[2:3], 0x10
	s_load_dwordx2 s[0:1], s[2:3], 0xcc
	s_waitcnt lgkmcnt(0)
	v_mul_hi_u32 v1, s9, v3
	v_add_nc_u32_e32 v1, v3, v1
	v_lshrrev_b32_e32 v1, s10, v1
	v_mul_lo_u32 v1, v1, s8
	v_sub_nc_u32_e32 v1, v3, v1
	v_mad_u64_u32 v[2:3], null, v1, s0, v[2:3]
	v_mad_u64_u32 v[9:10], null, v1, s1, v[9:10]
.LBB19_1228:
	v_cmp_ne_u32_e32 vcc_lo, 1, v0
	s_cbranch_vccnz .LBB19_1234
; %bb.1229:
	s_cmp_lg_u32 s24, 0
	s_mov_b32 s8, 0
	s_cbranch_scc0 .LBB19_1235
; %bb.1230:
	s_min_u32 s10, s25, 15
	s_add_i32 s10, s10, 1
	s_cmp_eq_u32 s25, 2
	s_cbranch_scc1 .LBB19_1236
; %bb.1231:
	s_waitcnt vmcnt(0)
	v_mov_b32_e32 v7, 0
	v_mov_b32_e32 v0, 0
	;; [unrolled: 1-line block ×3, first 2 shown]
	s_and_b32 s9, s10, 28
	s_add_u32 s0, s2, 0xc4
	s_addc_u32 s1, s3, 0
	s_mov_b32 s11, 0
	s_mov_b64 s[6:7], s[2:3]
.LBB19_1232:                            ; =>This Inner Loop Header: Depth=1
	s_clause 0x1
	s_load_dwordx8 s[16:23], s[6:7], 0x4
	s_load_dwordx4 s[28:31], s[6:7], 0x24
	s_load_dwordx8 s[36:43], s[0:1], 0x0
	s_add_u32 s6, s6, 48
	s_addc_u32 s7, s7, 0
	s_add_i32 s11, s11, 4
	s_add_u32 s0, s0, 32
	s_addc_u32 s1, s1, 0
	s_cmp_lg_u32 s9, s11
	s_waitcnt lgkmcnt(0)
	v_mul_hi_u32 v3, s17, v1
	v_add_nc_u32_e32 v3, v1, v3
	v_lshrrev_b32_e32 v3, s18, v3
	v_mul_hi_u32 v5, s20, v3
	v_mul_lo_u32 v10, v3, s16
	v_add_nc_u32_e32 v5, v3, v5
	v_sub_nc_u32_e32 v1, v1, v10
	v_lshrrev_b32_e32 v5, s21, v5
	v_mul_lo_u32 v10, v1, s36
	v_mul_lo_u32 v14, v1, s37
	v_mul_hi_u32 v8, s23, v5
	v_add_nc_u32_e32 v8, v5, v8
	v_lshrrev_b32_e32 v8, s28, v8
	v_mul_hi_u32 v12, s30, v8
	v_mul_lo_u32 v16, v8, s22
	v_add_nc_u32_e32 v1, v8, v12
	v_mul_lo_u32 v12, v5, s19
	v_sub_nc_u32_e32 v5, v5, v16
	v_lshrrev_b32_e32 v1, s31, v1
	v_mul_lo_u32 v16, v5, s40
	v_mul_lo_u32 v5, v5, s41
	v_sub_nc_u32_e32 v3, v3, v12
	v_mul_lo_u32 v17, v1, s29
	v_mul_lo_u32 v12, v3, s38
	;; [unrolled: 1-line block ×3, first 2 shown]
	v_sub_nc_u32_e32 v8, v8, v17
	v_add3_u32 v0, v10, v0, v12
	v_mul_lo_u32 v17, v8, s42
	v_mul_lo_u32 v8, v8, s43
	v_add3_u32 v3, v14, v7, v3
	v_add3_u32 v0, v16, v0, v17
	;; [unrolled: 1-line block ×3, first 2 shown]
	s_cbranch_scc1 .LBB19_1232
; %bb.1233:
	s_and_b32 s10, s10, 3
	s_cmp_eq_u32 s10, 0
	s_cbranch_scc0 .LBB19_1237
	s_branch .LBB19_1239
.LBB19_1234:
	s_mov_b32 s8, -1
                                        ; implicit-def: $vgpr0
                                        ; implicit-def: $vgpr7
	s_branch .LBB19_1239
.LBB19_1235:
	v_mov_b32_e32 v0, 0
	s_waitcnt vmcnt(0)
	v_mov_b32_e32 v7, 0
	s_branch .LBB19_1239
.LBB19_1236:
	v_mov_b32_e32 v0, 0
	s_waitcnt vmcnt(0)
	v_mov_b32_e32 v7, 0
	v_mov_b32_e32 v1, v15
	s_mov_b32 s9, 0
	s_and_b32 s10, s10, 3
	s_cmp_eq_u32 s10, 0
	s_cbranch_scc1 .LBB19_1239
.LBB19_1237:
	s_lshl_b32 s0, s9, 3
	s_mul_i32 s6, s9, 12
	s_add_u32 s0, s2, s0
	s_addc_u32 s1, s3, 0
	s_add_u32 s0, s0, 0xc4
	s_addc_u32 s1, s1, 0
	;; [unrolled: 2-line block ×3, first 2 shown]
	.p2align	6
.LBB19_1238:                            ; =>This Inner Loop Header: Depth=1
	s_clause 0x1
	s_load_dwordx2 s[14:15], s[6:7], 0x4
	s_load_dword s9, s[6:7], 0xc
	s_load_dwordx2 s[16:17], s[0:1], 0x0
	s_add_u32 s6, s6, 12
	s_addc_u32 s7, s7, 0
	s_add_u32 s0, s0, 8
	s_addc_u32 s1, s1, 0
	s_add_i32 s10, s10, -1
	s_cmp_lg_u32 s10, 0
	s_waitcnt lgkmcnt(0)
	v_mul_hi_u32 v3, s15, v1
	v_add_nc_u32_e32 v3, v1, v3
	v_lshrrev_b32_e32 v3, s9, v3
	v_mul_lo_u32 v5, v3, s14
	v_sub_nc_u32_e32 v5, v1, v5
	v_mad_u64_u32 v[0:1], null, v5, s16, v[0:1]
	v_mad_u64_u32 v[7:8], null, v5, s17, v[7:8]
	v_mov_b32_e32 v1, v3
	s_cbranch_scc1 .LBB19_1238
.LBB19_1239:
	s_andn2_b32 vcc_lo, exec_lo, s8
	s_cbranch_vccnz .LBB19_1242
; %bb.1240:
	s_clause 0x1
	s_load_dwordx4 s[8:11], s[2:3], 0x4
	s_load_dwordx2 s[0:1], s[2:3], 0xc4
	s_cmp_lt_u32 s24, 2
	s_waitcnt lgkmcnt(0)
	v_mul_hi_u32 v0, s9, v15
	v_add_nc_u32_e32 v0, v15, v0
	v_lshrrev_b32_e32 v1, s10, v0
	v_mul_lo_u32 v0, v1, s8
	v_sub_nc_u32_e32 v3, v15, v0
	v_mul_lo_u32 v0, v3, s0
	s_waitcnt vmcnt(0)
	v_mul_lo_u32 v7, v3, s1
	s_cbranch_scc1 .LBB19_1242
; %bb.1241:
	s_clause 0x1
	s_load_dwordx4 s[8:11], s[2:3], 0x10
	s_load_dwordx2 s[0:1], s[2:3], 0xcc
	s_waitcnt lgkmcnt(0)
	v_mul_hi_u32 v3, s9, v1
	v_add_nc_u32_e32 v3, v1, v3
	v_lshrrev_b32_e32 v3, s10, v3
	v_mul_lo_u32 v3, v3, s8
	v_sub_nc_u32_e32 v3, v1, v3
	v_mad_u64_u32 v[0:1], null, v3, s0, v[0:1]
	v_mad_u64_u32 v[7:8], null, v3, s1, v[7:8]
.LBB19_1242:
	s_clause 0x1
	s_load_dwordx4 s[8:11], s[2:3], 0x148
	s_load_dword s3, s[4:5], 0x160
	s_waitcnt lgkmcnt(0)
	v_add_co_u32 v12, s0, s10, v13
	v_add_co_ci_u32_e64 v13, null, s11, 0, s0
	s_bfe_u32 s0, s3, 0x80010
	s_cmp_lt_i32 s0, 11
	s_cbranch_scc1 .LBB19_1249
; %bb.1243:
	s_and_b32 s1, 0xffff, s0
	s_mov_b32 s4, 0
	s_cmp_gt_i32 s1, 25
	s_cbranch_scc0 .LBB19_1251
; %bb.1244:
	s_cmp_gt_i32 s1, 28
	s_cbranch_scc0 .LBB19_1252
; %bb.1245:
	;; [unrolled: 3-line block ×4, first 2 shown]
	s_cmp_eq_u32 s1, 46
	s_mov_b32 s6, 0
	s_cbranch_scc0 .LBB19_1257
; %bb.1248:
	global_load_dword v1, v[12:13], off
	s_mov_b32 s2, 0
	s_mov_b32 s5, -1
	s_waitcnt vmcnt(0)
	v_lshlrev_b32_e32 v1, 16, v1
	s_branch .LBB19_1259
.LBB19_1249:
	s_mov_b32 s5, 0
	s_mov_b32 s2, s12
                                        ; implicit-def: $vgpr1
	s_cbranch_execnz .LBB19_1322
.LBB19_1250:
	s_andn2_b32 vcc_lo, exec_lo, s5
	s_cbranch_vccz .LBB19_1367
	s_branch .LBB19_1932
.LBB19_1251:
	s_mov_b32 s5, 0
	s_mov_b32 s2, 0
                                        ; implicit-def: $vgpr1
	s_cbranch_execnz .LBB19_1287
	s_branch .LBB19_1318
.LBB19_1252:
	s_mov_b32 s6, -1
	s_mov_b32 s5, 0
	s_mov_b32 s2, 0
                                        ; implicit-def: $vgpr1
	s_branch .LBB19_1268
.LBB19_1253:
	s_mov_b32 s5, 0
	s_mov_b32 s2, 0
                                        ; implicit-def: $vgpr1
	s_cbranch_execnz .LBB19_1264
	s_branch .LBB19_1267
.LBB19_1254:
	s_mov_b32 s6, -1
	s_mov_b32 s5, 0
	s_mov_b32 s2, 0
	s_branch .LBB19_1258
.LBB19_1255:
	s_andn2_saveexec_b32 s11, s11
	s_cbranch_execz .LBB19_1098
.LBB19_1256:
	v_add_f32_e64 v0, 0x46000000, |v1|
	s_andn2_b32 s10, s10, exec_lo
	v_and_b32_e32 v0, 0xff, v0
	v_cmp_ne_u32_e32 vcc_lo, 0, v0
	s_and_b32 s12, vcc_lo, exec_lo
	s_or_b32 s10, s10, s12
	s_or_b32 exec_lo, exec_lo, s11
	v_mov_b32_e32 v2, 0
	s_and_saveexec_b32 s11, s10
	s_cbranch_execnz .LBB19_1099
	s_branch .LBB19_1100
.LBB19_1257:
	s_mov_b32 s2, -1
	s_mov_b32 s5, 0
.LBB19_1258:
                                        ; implicit-def: $vgpr1
.LBB19_1259:
	s_and_b32 vcc_lo, exec_lo, s6
	s_cbranch_vccz .LBB19_1262
; %bb.1260:
	s_cmp_eq_u32 s1, 44
	s_cbranch_scc0 .LBB19_1263
; %bb.1261:
	global_load_ubyte v1, v[12:13], off
	s_mov_b32 s2, 0
	s_mov_b32 s5, -1
	s_waitcnt vmcnt(0)
	v_lshlrev_b32_e32 v3, 23, v1
	v_cmp_ne_u32_e32 vcc_lo, 0xff, v1
	v_cndmask_b32_e32 v3, 0x7f800001, v3, vcc_lo
	v_cmp_ne_u32_e32 vcc_lo, 0, v1
	v_cndmask_b32_e32 v1, 0x400000, v3, vcc_lo
.LBB19_1262:
	s_branch .LBB19_1267
.LBB19_1263:
	s_mov_b32 s2, -1
                                        ; implicit-def: $vgpr1
	s_branch .LBB19_1267
.LBB19_1264:
	s_cmp_eq_u32 s1, 29
	s_cbranch_scc0 .LBB19_1266
; %bb.1265:
	global_load_dwordx2 v[14:15], v[12:13], off
	s_mov_b32 s2, 0
	s_mov_b32 s5, -1
	s_mov_b32 s6, 0
	s_waitcnt vmcnt(0)
	v_ffbh_u32_e32 v1, v15
	v_min_u32_e32 v1, 32, v1
	v_lshlrev_b64 v[14:15], v1, v[14:15]
	v_sub_nc_u32_e32 v1, 32, v1
	v_min_u32_e32 v3, 1, v14
	v_or_b32_e32 v3, v15, v3
	v_cvt_f32_u32_e32 v3, v3
	v_ldexp_f32 v1, v3, v1
	s_branch .LBB19_1268
.LBB19_1266:
	s_mov_b32 s2, -1
                                        ; implicit-def: $vgpr1
.LBB19_1267:
	s_mov_b32 s6, 0
.LBB19_1268:
	s_and_b32 vcc_lo, exec_lo, s6
	s_cbranch_vccz .LBB19_1286
; %bb.1269:
	s_cmp_lt_i32 s1, 27
	s_cbranch_scc1 .LBB19_1272
; %bb.1270:
	s_cmp_gt_i32 s1, 27
	s_cbranch_scc0 .LBB19_1273
; %bb.1271:
	global_load_dword v1, v[12:13], off
	s_mov_b32 s5, 0
	s_waitcnt vmcnt(0)
	v_cvt_f32_u32_e32 v1, v1
	s_branch .LBB19_1274
.LBB19_1272:
	s_mov_b32 s5, -1
                                        ; implicit-def: $vgpr1
	s_branch .LBB19_1277
.LBB19_1273:
	s_mov_b32 s5, -1
                                        ; implicit-def: $vgpr1
.LBB19_1274:
	s_andn2_b32 vcc_lo, exec_lo, s5
	s_cbranch_vccnz .LBB19_1276
; %bb.1275:
	global_load_ushort v1, v[12:13], off
	s_waitcnt vmcnt(0)
	v_cvt_f32_u32_e32 v1, v1
.LBB19_1276:
	s_mov_b32 s5, 0
.LBB19_1277:
	s_andn2_b32 vcc_lo, exec_lo, s5
	s_cbranch_vccnz .LBB19_1285
; %bb.1278:
	global_load_ubyte v3, v[12:13], off
	s_mov_b32 s5, 0
	s_mov_b32 s6, exec_lo
	s_waitcnt vmcnt(0)
	v_cmpx_lt_i16_e32 0x7f, v3
	s_xor_b32 s6, exec_lo, s6
	s_cbranch_execz .LBB19_1298
; %bb.1279:
	s_mov_b32 s5, -1
	s_mov_b32 s7, exec_lo
	v_cmpx_eq_u16_e32 0x80, v3
; %bb.1280:
	s_xor_b32 s5, exec_lo, -1
; %bb.1281:
	s_or_b32 exec_lo, exec_lo, s7
	s_and_b32 s5, s5, exec_lo
	s_or_saveexec_b32 s6, s6
	v_mov_b32_e32 v1, 0x7f800001
	s_xor_b32 exec_lo, exec_lo, s6
	s_cbranch_execnz .LBB19_1299
.LBB19_1282:
	s_or_b32 exec_lo, exec_lo, s6
	s_and_saveexec_b32 s6, s5
	s_cbranch_execz .LBB19_1284
.LBB19_1283:
	v_and_b32_e32 v1, 0xffff, v3
	v_lshlrev_b32_e32 v3, 24, v3
	v_and_b32_e32 v5, 7, v1
	v_bfe_u32 v14, v1, 3, 4
	v_and_b32_e32 v3, 0x80000000, v3
	v_ffbh_u32_e32 v8, v5
	v_cmp_eq_u32_e32 vcc_lo, 0, v14
	v_min_u32_e32 v8, 32, v8
	v_subrev_nc_u32_e32 v10, 28, v8
	v_sub_nc_u32_e32 v8, 29, v8
	v_lshlrev_b32_e32 v1, v10, v1
	v_cndmask_b32_e32 v8, v14, v8, vcc_lo
	v_and_b32_e32 v1, 7, v1
	v_cndmask_b32_e32 v1, v5, v1, vcc_lo
	v_lshl_add_u32 v5, v8, 23, 0x3b800000
	v_lshlrev_b32_e32 v1, 20, v1
	v_or3_b32 v1, v3, v5, v1
.LBB19_1284:
	s_or_b32 exec_lo, exec_lo, s6
.LBB19_1285:
	s_mov_b32 s5, -1
.LBB19_1286:
	s_branch .LBB19_1318
.LBB19_1287:
	s_cmp_gt_i32 s1, 22
	s_cbranch_scc0 .LBB19_1297
; %bb.1288:
	s_cmp_lt_i32 s1, 24
	s_cbranch_scc1 .LBB19_1300
; %bb.1289:
	s_cmp_gt_i32 s1, 24
	s_cbranch_scc0 .LBB19_1301
; %bb.1290:
	global_load_ubyte v3, v[12:13], off
	s_mov_b32 s5, exec_lo
	s_waitcnt vmcnt(0)
	v_cmpx_lt_i16_e32 0x7f, v3
	s_xor_b32 s5, exec_lo, s5
	s_cbranch_execz .LBB19_1312
; %bb.1291:
	s_mov_b32 s4, -1
	s_mov_b32 s6, exec_lo
	v_cmpx_eq_u16_e32 0x80, v3
; %bb.1292:
	s_xor_b32 s4, exec_lo, -1
; %bb.1293:
	s_or_b32 exec_lo, exec_lo, s6
	s_and_b32 s4, s4, exec_lo
	s_or_saveexec_b32 s5, s5
	v_mov_b32_e32 v1, 0x7f800001
	s_xor_b32 exec_lo, exec_lo, s5
	s_cbranch_execnz .LBB19_1313
.LBB19_1294:
	s_or_b32 exec_lo, exec_lo, s5
	s_and_saveexec_b32 s5, s4
	s_cbranch_execz .LBB19_1296
.LBB19_1295:
	v_and_b32_e32 v1, 0xffff, v3
	v_lshlrev_b32_e32 v3, 24, v3
	v_and_b32_e32 v5, 3, v1
	v_bfe_u32 v14, v1, 2, 5
	v_and_b32_e32 v3, 0x80000000, v3
	v_ffbh_u32_e32 v8, v5
	v_cmp_eq_u32_e32 vcc_lo, 0, v14
	v_min_u32_e32 v8, 32, v8
	v_subrev_nc_u32_e32 v10, 29, v8
	v_sub_nc_u32_e32 v8, 30, v8
	v_lshlrev_b32_e32 v1, v10, v1
	v_cndmask_b32_e32 v8, v14, v8, vcc_lo
	v_and_b32_e32 v1, 3, v1
	v_cndmask_b32_e32 v1, v5, v1, vcc_lo
	v_lshl_add_u32 v5, v8, 23, 0x37800000
	v_lshlrev_b32_e32 v1, 21, v1
	v_or3_b32 v1, v3, v5, v1
.LBB19_1296:
	s_or_b32 exec_lo, exec_lo, s5
	s_mov_b32 s4, 0
	s_branch .LBB19_1302
.LBB19_1297:
                                        ; implicit-def: $vgpr1
	s_mov_b32 s4, 0
	s_branch .LBB19_1308
.LBB19_1298:
	s_or_saveexec_b32 s6, s6
	v_mov_b32_e32 v1, 0x7f800001
	s_xor_b32 exec_lo, exec_lo, s6
	s_cbranch_execz .LBB19_1282
.LBB19_1299:
	v_cmp_ne_u16_e32 vcc_lo, 0, v3
	v_mov_b32_e32 v1, 0
	s_andn2_b32 s5, s5, exec_lo
	s_and_b32 s7, vcc_lo, exec_lo
	s_or_b32 s5, s5, s7
	s_or_b32 exec_lo, exec_lo, s6
	s_and_saveexec_b32 s6, s5
	s_cbranch_execnz .LBB19_1283
	s_branch .LBB19_1284
.LBB19_1300:
	s_mov_b32 s4, -1
                                        ; implicit-def: $vgpr1
	s_branch .LBB19_1305
.LBB19_1301:
	s_mov_b32 s4, -1
                                        ; implicit-def: $vgpr1
.LBB19_1302:
	s_and_b32 vcc_lo, exec_lo, s4
	s_cbranch_vccz .LBB19_1304
; %bb.1303:
	global_load_ubyte v1, v[12:13], off
	s_waitcnt vmcnt(0)
	v_lshlrev_b32_e32 v1, 24, v1
	v_and_b32_e32 v3, 0x7f000000, v1
	v_ffbh_u32_e32 v5, v3
	v_add_nc_u32_e32 v10, 0x1000000, v3
	v_cmp_ne_u32_e32 vcc_lo, 0, v3
	v_min_u32_e32 v5, 32, v5
	v_sub_nc_u32_e64 v5, v5, 4 clamp
	v_lshlrev_b32_e32 v8, v5, v3
	v_lshlrev_b32_e32 v5, 23, v5
	v_lshrrev_b32_e32 v8, 4, v8
	v_sub_nc_u32_e32 v5, v8, v5
	v_ashrrev_i32_e32 v8, 8, v10
	v_add_nc_u32_e32 v5, 0x3c000000, v5
	v_and_or_b32 v5, 0x7f800000, v8, v5
	v_cndmask_b32_e32 v3, 0, v5, vcc_lo
	v_and_or_b32 v1, 0x80000000, v1, v3
.LBB19_1304:
	s_mov_b32 s4, 0
.LBB19_1305:
	s_andn2_b32 vcc_lo, exec_lo, s4
	s_cbranch_vccnz .LBB19_1307
; %bb.1306:
	global_load_ubyte v1, v[12:13], off
	s_waitcnt vmcnt(0)
	v_lshlrev_b32_e32 v3, 25, v1
	v_lshlrev_b16 v1, 8, v1
	v_lshrrev_b32_e32 v5, 4, v3
	v_and_or_b32 v8, 0x7f00, v1, 0.5
	v_cmp_gt_u32_e32 vcc_lo, 0x8000000, v3
	v_bfe_i32 v1, v1, 0, 16
	v_or_b32_e32 v5, 0x70000000, v5
	v_add_f32_e32 v8, -0.5, v8
	v_mul_f32_e32 v5, 0x7800000, v5
	v_cndmask_b32_e32 v3, v5, v8, vcc_lo
	v_and_or_b32 v1, 0x80000000, v1, v3
.LBB19_1307:
	s_mov_b32 s5, -1
	s_mov_b32 s4, 0
	s_cbranch_execnz .LBB19_1318
.LBB19_1308:
	s_cmp_gt_i32 s1, 14
	s_cbranch_scc0 .LBB19_1311
; %bb.1309:
	s_cmp_eq_u32 s1, 15
	s_cbranch_scc0 .LBB19_1314
; %bb.1310:
	global_load_ushort v1, v[12:13], off
	s_mov_b32 s2, 0
	s_mov_b32 s5, -1
	s_waitcnt vmcnt(0)
	v_lshlrev_b32_e32 v1, 16, v1
	s_branch .LBB19_1316
.LBB19_1311:
	s_mov_b32 s4, -1
	s_branch .LBB19_1315
.LBB19_1312:
	s_or_saveexec_b32 s5, s5
	v_mov_b32_e32 v1, 0x7f800001
	s_xor_b32 exec_lo, exec_lo, s5
	s_cbranch_execz .LBB19_1294
.LBB19_1313:
	v_cmp_ne_u16_e32 vcc_lo, 0, v3
	v_mov_b32_e32 v1, 0
	s_andn2_b32 s4, s4, exec_lo
	s_and_b32 s6, vcc_lo, exec_lo
	s_or_b32 s4, s4, s6
	s_or_b32 exec_lo, exec_lo, s5
	s_and_saveexec_b32 s5, s4
	s_cbranch_execnz .LBB19_1295
	s_branch .LBB19_1296
.LBB19_1314:
	s_mov_b32 s2, -1
.LBB19_1315:
                                        ; implicit-def: $vgpr1
.LBB19_1316:
	s_and_b32 vcc_lo, exec_lo, s4
	s_mov_b32 s4, 0
	s_cbranch_vccz .LBB19_1318
; %bb.1317:
	s_cmp_lg_u32 s1, 11
	s_mov_b32 s4, -1
	s_cselect_b32 s2, -1, 0
.LBB19_1318:
	s_and_b32 vcc_lo, exec_lo, s2
	s_mov_b32 s2, s12
	s_cbranch_vccnz .LBB19_1403
; %bb.1319:
	s_andn2_b32 vcc_lo, exec_lo, s4
	s_cbranch_vccnz .LBB19_1321
.LBB19_1320:
	global_load_ubyte v1, v[12:13], off
	s_mov_b32 s5, -1
	s_waitcnt vmcnt(0)
	v_cmp_ne_u16_e32 vcc_lo, 0, v1
	v_cndmask_b32_e64 v1, 0, 1.0, vcc_lo
.LBB19_1321:
	s_branch .LBB19_1250
.LBB19_1322:
	s_and_b32 s0, 0xffff, s0
	s_cmp_lt_i32 s0, 5
	s_cbranch_scc1 .LBB19_1327
; %bb.1323:
	s_cmp_lt_i32 s0, 8
	s_cbranch_scc1 .LBB19_1328
; %bb.1324:
	;; [unrolled: 3-line block ×3, first 2 shown]
	s_cmp_gt_i32 s0, 9
	s_cbranch_scc0 .LBB19_1330
; %bb.1326:
	global_load_dwordx2 v[14:15], v[12:13], off
	s_mov_b32 s1, 0
	s_waitcnt vmcnt(0)
	v_cvt_f32_f64_e32 v1, v[14:15]
	s_branch .LBB19_1331
.LBB19_1327:
                                        ; implicit-def: $vgpr1
	s_branch .LBB19_1348
.LBB19_1328:
                                        ; implicit-def: $vgpr1
	s_branch .LBB19_1337
.LBB19_1329:
	s_mov_b32 s1, -1
                                        ; implicit-def: $vgpr1
	s_branch .LBB19_1334
.LBB19_1330:
	s_mov_b32 s1, -1
                                        ; implicit-def: $vgpr1
.LBB19_1331:
	s_andn2_b32 vcc_lo, exec_lo, s1
	s_cbranch_vccnz .LBB19_1333
; %bb.1332:
	global_load_dword v1, v[12:13], off
.LBB19_1333:
	s_mov_b32 s1, 0
.LBB19_1334:
	s_andn2_b32 vcc_lo, exec_lo, s1
	s_cbranch_vccnz .LBB19_1336
; %bb.1335:
	global_load_dword v1, v[12:13], off
	s_waitcnt vmcnt(0)
	v_cvt_f32_f16_e32 v1, v1
.LBB19_1336:
	s_cbranch_execnz .LBB19_1347
.LBB19_1337:
	s_cmp_lt_i32 s0, 6
	s_cbranch_scc1 .LBB19_1340
; %bb.1338:
	s_cmp_gt_i32 s0, 6
	s_cbranch_scc0 .LBB19_1341
; %bb.1339:
	global_load_dwordx2 v[14:15], v[12:13], off
	s_mov_b32 s1, 0
	s_waitcnt vmcnt(0)
	v_cvt_f32_f64_e32 v1, v[14:15]
	s_branch .LBB19_1342
.LBB19_1340:
	s_mov_b32 s1, -1
                                        ; implicit-def: $vgpr1
	s_branch .LBB19_1345
.LBB19_1341:
	s_mov_b32 s1, -1
                                        ; implicit-def: $vgpr1
.LBB19_1342:
	s_andn2_b32 vcc_lo, exec_lo, s1
	s_cbranch_vccnz .LBB19_1344
; %bb.1343:
	global_load_dword v1, v[12:13], off
.LBB19_1344:
	s_mov_b32 s1, 0
.LBB19_1345:
	s_andn2_b32 vcc_lo, exec_lo, s1
	s_cbranch_vccnz .LBB19_1347
; %bb.1346:
	global_load_ushort v1, v[12:13], off
	s_waitcnt vmcnt(0)
	v_cvt_f32_f16_e32 v1, v1
.LBB19_1347:
	s_cbranch_execnz .LBB19_1366
.LBB19_1348:
	s_cmp_lt_i32 s0, 2
	s_cbranch_scc1 .LBB19_1352
; %bb.1349:
	s_cmp_lt_i32 s0, 3
	s_cbranch_scc1 .LBB19_1353
; %bb.1350:
	s_cmp_gt_i32 s0, 3
	s_cbranch_scc0 .LBB19_1354
; %bb.1351:
	global_load_dwordx2 v[14:15], v[12:13], off
	s_mov_b32 s1, 0
	s_waitcnt vmcnt(0)
	v_xor_b32_e32 v1, v14, v15
	v_ffbh_i32_e32 v3, v15
	v_ashrrev_i32_e32 v1, 31, v1
	v_add_nc_u32_e32 v3, -1, v3
	v_add_nc_u32_e32 v1, 32, v1
	v_min_u32_e32 v1, v3, v1
	v_lshlrev_b64 v[14:15], v1, v[14:15]
	v_sub_nc_u32_e32 v1, 32, v1
	v_min_u32_e32 v3, 1, v14
	v_or_b32_e32 v3, v15, v3
	v_cvt_f32_i32_e32 v3, v3
	v_ldexp_f32 v1, v3, v1
	s_branch .LBB19_1355
.LBB19_1352:
                                        ; implicit-def: $vgpr1
	s_branch .LBB19_1361
.LBB19_1353:
	s_mov_b32 s1, -1
                                        ; implicit-def: $vgpr1
	s_branch .LBB19_1358
.LBB19_1354:
	s_mov_b32 s1, -1
                                        ; implicit-def: $vgpr1
.LBB19_1355:
	s_andn2_b32 vcc_lo, exec_lo, s1
	s_cbranch_vccnz .LBB19_1357
; %bb.1356:
	global_load_dword v1, v[12:13], off
	s_waitcnt vmcnt(0)
	v_cvt_f32_i32_e32 v1, v1
.LBB19_1357:
	s_mov_b32 s1, 0
.LBB19_1358:
	s_andn2_b32 vcc_lo, exec_lo, s1
	s_cbranch_vccnz .LBB19_1360
; %bb.1359:
	global_load_sshort v1, v[12:13], off
	s_waitcnt vmcnt(0)
	v_cvt_f32_i32_e32 v1, v1
.LBB19_1360:
	s_cbranch_execnz .LBB19_1366
.LBB19_1361:
	s_cmp_gt_i32 s0, 0
	s_mov_b32 s0, 0
	s_cbranch_scc0 .LBB19_1363
; %bb.1362:
	global_load_sbyte v1, v[12:13], off
	s_waitcnt vmcnt(0)
	v_cvt_f32_i32_e32 v1, v1
	s_branch .LBB19_1364
.LBB19_1363:
	s_mov_b32 s0, -1
                                        ; implicit-def: $vgpr1
.LBB19_1364:
	s_andn2_b32 vcc_lo, exec_lo, s0
	s_cbranch_vccnz .LBB19_1366
; %bb.1365:
	global_load_ubyte v1, v[12:13], off
	s_waitcnt vmcnt(0)
	v_cvt_f32_ubyte0_e32 v1, v1
.LBB19_1366:
.LBB19_1367:
                                        ; implicit-def: $vgpr5
	s_mov_b32 s0, exec_lo
	s_waitcnt vmcnt(0)
	v_cmpx_neq_f32_e32 0, v1
	s_xor_b32 s4, exec_lo, s0
	s_cbranch_execz .LBB19_1389
; %bb.1368:
	v_mov_b32_e32 v3, 0
	s_mov_b32 s0, -1
	s_mov_b32 s5, exec_lo
	v_cmpx_gt_f32_e32 0, v1
	s_cbranch_execz .LBB19_1376
; %bb.1369:
	v_trunc_f32_e32 v3, v1
	s_mov_b32 s1, 0
	v_cmp_neq_f32_e32 vcc_lo, v1, v3
	v_mov_b32_e32 v3, 0
	s_and_saveexec_b32 s6, vcc_lo
	s_cbranch_execz .LBB19_1375
; %bb.1370:
	v_cvt_f64_f32_e32 v[12:13], v1
	s_mov_b32 s1, 0xc00921fb
	s_mov_b32 s0, 0x54442d18
	s_mov_b32 s7, exec_lo
                                        ; implicit-def: $vgpr3
                                        ; implicit-def: $vgpr16_vgpr17
	v_trunc_f64_e32 v[14:15], v[12:13]
	v_cmp_neq_f64_e64 vcc_lo, 0x7ff00000, |v[12:13]|
	v_add_f64 v[14:15], v[12:13], -v[14:15]
	v_mul_f64 v[14:15], |v[14:15]|, s[0:1]
	v_cndmask_b32_e32 v13, 0x80000000, v15, vcc_lo
	v_cndmask_b32_e32 v12, 0, v14, vcc_lo
                                        ; implicit-def: $vgpr14_vgpr15
	v_cmpx_ngt_f64_e64 0x41d00000, |v[12:13]|
	s_xor_b32 s7, exec_lo, s7
	s_cbranch_execz .LBB19_1372
; %bb.1371:
	v_ldexp_f64 v[14:15], |v[12:13]|, 0xffffff80
	v_cmp_le_f64_e64 vcc_lo, 0x7b000000, |v[12:13]|
	v_trig_preop_f64 v[16:17], |v[12:13]|, 0
	v_and_b32_e32 v3, 0x7fffffff, v13
	v_trig_preop_f64 v[18:19], |v[12:13]|, 1
	v_trig_preop_f64 v[28:29], |v[12:13]|, 2
	v_mov_b32_e32 v36, 0
	s_mov_b32 s1, 0x3ff921fb
	s_mov_b32 s14, 0x33145c07
	;; [unrolled: 1-line block ×3, first 2 shown]
	v_cndmask_b32_e32 v15, v3, v15, vcc_lo
	v_cndmask_b32_e32 v14, v12, v14, vcc_lo
	v_mul_f64 v[20:21], v[16:17], v[14:15]
	v_mul_f64 v[22:23], v[18:19], v[14:15]
	;; [unrolled: 1-line block ×3, first 2 shown]
	v_fma_f64 v[16:17], v[16:17], v[14:15], -v[20:21]
	v_fma_f64 v[18:19], v[18:19], v[14:15], -v[22:23]
	;; [unrolled: 1-line block ×3, first 2 shown]
	v_add_f64 v[24:25], v[22:23], v[16:17]
	v_add_f64 v[26:27], v[24:25], -v[22:23]
	v_add_f64 v[32:33], v[20:21], v[24:25]
	v_add_f64 v[30:31], v[24:25], -v[26:27]
	v_add_f64 v[16:17], v[16:17], -v[26:27]
	v_ldexp_f64 v[26:27], v[32:33], -2
	v_add_f64 v[20:21], v[32:33], -v[20:21]
	v_add_f64 v[22:23], v[22:23], -v[30:31]
	v_add_f64 v[30:31], v[34:35], v[18:19]
	v_cmp_neq_f64_e64 vcc_lo, 0x7ff00000, |v[26:27]|
	v_add_f64 v[20:21], v[24:25], -v[20:21]
	v_add_f64 v[16:17], v[16:17], v[22:23]
	v_fract_f64_e32 v[22:23], v[26:27]
	v_add_f64 v[24:25], v[30:31], v[16:17]
	v_ldexp_f64 v[22:23], v[22:23], 2
	v_add_f64 v[26:27], v[20:21], v[24:25]
	v_cndmask_b32_e32 v23, 0, v23, vcc_lo
	v_cndmask_b32_e32 v22, 0, v22, vcc_lo
	v_add_f64 v[32:33], v[26:27], v[22:23]
	v_add_f64 v[20:21], v[26:27], -v[20:21]
	v_cmp_gt_f64_e32 vcc_lo, 0, v[32:33]
	v_add_f64 v[32:33], v[30:31], -v[34:35]
	v_add_f64 v[20:21], v[24:25], -v[20:21]
	v_cndmask_b32_e64 v37, 0, 0x40100000, vcc_lo
	v_add_f64 v[41:42], v[30:31], -v[32:33]
	v_add_f64 v[18:19], v[18:19], -v[32:33]
	v_add_f64 v[22:23], v[22:23], v[36:37]
	v_add_f64 v[37:38], v[24:25], -v[30:31]
	v_add_f64 v[32:33], v[34:35], -v[41:42]
	v_add_f64 v[39:40], v[26:27], v[22:23]
	;; [unrolled: 3-line block ×3, first 2 shown]
	v_cvt_i32_f64_e32 v3, v[39:40]
	v_add_f64 v[30:31], v[30:31], -v[43:44]
	v_cvt_f64_i32_e32 v[37:38], v3
	v_add_f64 v[16:17], v[16:17], v[30:31]
	v_add_f64 v[22:23], v[22:23], -v[37:38]
	v_add_f64 v[16:17], v[18:19], v[16:17]
	v_add_f64 v[18:19], v[26:27], v[22:23]
	;; [unrolled: 1-line block ×3, first 2 shown]
	v_add_f64 v[16:17], v[18:19], -v[22:23]
	v_cmp_le_f64_e32 vcc_lo, 0.5, v[18:19]
	v_add_f64 v[14:15], v[20:21], v[14:15]
	v_add_f64 v[16:17], v[26:27], -v[16:17]
	v_cndmask_b32_e64 v37, 0, 0x3ff00000, vcc_lo
	v_add_co_ci_u32_e64 v3, null, 0, v3, vcc_lo
	v_add_f64 v[14:15], v[14:15], v[16:17]
	v_add_f64 v[16:17], v[18:19], -v[36:37]
	v_add_f64 v[18:19], v[16:17], v[14:15]
	v_mul_f64 v[20:21], v[18:19], s[0:1]
	v_add_f64 v[16:17], v[18:19], -v[16:17]
	v_fma_f64 v[22:23], v[18:19], s[0:1], -v[20:21]
	v_add_f64 v[14:15], v[14:15], -v[16:17]
	v_fma_f64 v[16:17], v[18:19], s[14:15], v[22:23]
	v_fma_f64 v[16:17], v[14:15], s[0:1], v[16:17]
	v_add_f64 v[14:15], v[20:21], v[16:17]
	v_add_f64 v[18:19], v[14:15], -v[20:21]
	v_add_f64 v[16:17], v[16:17], -v[18:19]
.LBB19_1372:
	s_andn2_saveexec_b32 s0, s7
	s_cbranch_execz .LBB19_1374
; %bb.1373:
	s_mov_b32 s14, 0x6dc9c883
	s_mov_b32 s15, 0x3fe45f30
	;; [unrolled: 1-line block ×3, first 2 shown]
	v_mul_f64 v[14:15], |v[12:13]|, s[14:15]
	s_mov_b32 s14, 0x54442d18
	s_mov_b32 s15, 0xbff921fb
	;; [unrolled: 1-line block ×3, first 2 shown]
	v_rndne_f64_e32 v[18:19], v[14:15]
	v_fma_f64 v[14:15], v[18:19], s[14:15], |v[12:13]|
	v_mul_f64 v[16:17], v[18:19], s[16:17]
	s_mov_b32 s14, 0x252049c0
	s_mov_b32 s15, 0xb97b839a
	v_cvt_i32_f64_e32 v3, v[18:19]
	v_fma_f64 v[22:23], v[18:19], s[16:17], v[14:15]
	v_add_f64 v[20:21], v[14:15], v[16:17]
	s_mov_b32 s17, 0x3c91a626
	v_add_f64 v[14:15], v[14:15], -v[20:21]
	v_add_f64 v[20:21], v[20:21], -v[22:23]
	v_add_f64 v[14:15], v[14:15], v[16:17]
	v_fma_f64 v[16:17], v[18:19], s[16:17], v[16:17]
	v_add_f64 v[14:15], v[20:21], v[14:15]
	v_add_f64 v[14:15], v[14:15], -v[16:17]
	v_fma_f64 v[16:17], v[18:19], s[14:15], v[14:15]
	v_add_f64 v[14:15], v[22:23], v[16:17]
	v_add_f64 v[20:21], v[14:15], -v[22:23]
	v_add_f64 v[16:17], v[16:17], -v[20:21]
.LBB19_1374:
	s_or_b32 exec_lo, exec_lo, s0
	v_mul_f64 v[18:19], v[14:15], v[14:15]
	v_add_f64 v[20:21], v[16:17], v[16:17]
	s_mov_b32 s14, 0xa9a29f71
	s_mov_b32 s16, 0xc751c08c
	;; [unrolled: 1-line block ×4, first 2 shown]
	v_cmp_class_f64_e64 s0, v[12:13], 0x1f8
	v_and_b32_e32 v3, 1, v3
	v_and_b32_e32 v8, 0x80000000, v13
	v_sub_f32_e32 v1, 1.0, v1
	s_mov_b32 s1, exec_lo
	v_cmp_eq_u32_e32 vcc_lo, 0, v3
	v_fma_f64 v[22:23], v[14:15], v[14:15], -v[18:19]
	v_fma_f64 v[20:21], v[14:15], v[20:21], v[22:23]
	v_add_f64 v[18:19], v[18:19], v[20:21]
	v_fma_f64 v[20:21], v[18:19], s[16:17], s[14:15]
	s_mov_b32 s14, 0x90a8aae0
	s_mov_b32 s15, 0x3f17746f
	v_fma_f64 v[20:21], v[18:19], v[20:21], s[14:15]
	s_mov_b32 s14, 0xa6fbf144
	s_mov_b32 s15, 0xbefbb44d
	;; [unrolled: 3-line block ×13, first 2 shown]
	v_mul_f64 v[18:19], v[18:19], v[20:21]
	v_mul_f64 v[20:21], v[14:15], v[18:19]
	v_add_f64 v[22:23], v[14:15], v[20:21]
	v_fma_f64 v[18:19], v[14:15], v[18:19], -v[20:21]
	v_add_f64 v[14:15], v[22:23], -v[14:15]
	v_add_f64 v[16:17], v[16:17], v[18:19]
	v_add_f64 v[14:15], v[20:21], -v[14:15]
	v_add_f64 v[14:15], v[16:17], v[14:15]
	v_add_f64 v[16:17], v[22:23], v[14:15]
	v_rcp_f64_e32 v[18:19], v[16:17]
	v_fma_f64 v[20:21], -v[16:17], v[18:19], 1.0
	v_fma_f64 v[18:19], v[20:21], v[18:19], v[18:19]
	v_fma_f64 v[20:21], -v[16:17], v[18:19], 1.0
	v_fma_f64 v[18:19], v[20:21], v[18:19], v[18:19]
	v_add_f64 v[20:21], v[16:17], -v[22:23]
	v_mul_f64 v[22:23], v[16:17], v[18:19]
	v_add_f64 v[14:15], v[14:15], -v[20:21]
	v_fma_f64 v[20:21], v[18:19], v[16:17], -v[22:23]
	v_fma_f64 v[14:15], v[18:19], v[14:15], v[20:21]
	v_add_f64 v[20:21], v[22:23], v[14:15]
	v_add_f64 v[24:25], -v[20:21], 1.0
	v_add_f64 v[22:23], v[20:21], -v[22:23]
	v_add_f64 v[26:27], -v[24:25], 1.0
	v_add_f64 v[14:15], v[22:23], -v[14:15]
	v_add_f64 v[20:21], v[26:27], -v[20:21]
	v_add_f64 v[14:15], v[14:15], v[20:21]
	v_add_f64 v[14:15], v[24:25], v[14:15]
	v_mul_f64 v[14:15], v[18:19], v[14:15]
	v_add_f64 v[14:15], v[18:19], v[14:15]
	v_xor_b32_e32 v5, 0x80000000, v15
	v_cndmask_b32_e32 v3, v14, v16, vcc_lo
	v_cndmask_b32_e32 v5, v5, v17, vcc_lo
	v_cndmask_b32_e64 v12, 0, v3, s0
	v_xor_b32_e32 v5, v5, v8
	v_cndmask_b32_e64 v13, 0x7ff80000, v5, s0
	v_div_scale_f64 v[14:15], null, v[12:13], v[12:13], s[14:15]
	v_rcp_f64_e32 v[16:17], v[14:15]
	v_fma_f64 v[18:19], -v[14:15], v[16:17], 1.0
	v_fma_f64 v[16:17], v[16:17], v[18:19], v[16:17]
	v_fma_f64 v[18:19], -v[14:15], v[16:17], 1.0
	v_fma_f64 v[16:17], v[16:17], v[18:19], v[16:17]
	v_div_scale_f64 v[18:19], vcc_lo, s[14:15], v[12:13], s[14:15]
	v_mul_f64 v[20:21], v[18:19], v[16:17]
	v_fma_f64 v[14:15], -v[14:15], v[20:21], v[18:19]
	v_div_fmas_f64 v[14:15], v[14:15], v[16:17], v[20:21]
	v_div_fixup_f64 v[12:13], v[14:15], v[12:13], s[14:15]
	v_cvt_f32_f64_e32 v3, v[12:13]
.LBB19_1375:
	s_or_b32 exec_lo, exec_lo, s6
	s_orn2_b32 s0, s1, exec_lo
.LBB19_1376:
	s_or_b32 exec_lo, exec_lo, s5
	v_mov_b32_e32 v5, 0x7fc00000
	s_and_saveexec_b32 s5, s0
	s_cbranch_execz .LBB19_1388
; %bb.1377:
	s_mov_b32 s0, exec_lo
	v_cmpx_gt_f32_e32 0x41200000, v1
	s_cbranch_execz .LBB19_1381
; %bb.1378:
	s_mov_b32 s1, 0
	.p2align	6
.LBB19_1379:                            ; =>This Inner Loop Header: Depth=1
	v_div_scale_f32 v5, null, v1, v1, 1.0
	v_div_scale_f32 v12, vcc_lo, 1.0, v1, 1.0
	v_rcp_f32_e32 v8, v5
	v_fma_f32 v10, -v5, v8, 1.0
	v_fmac_f32_e32 v8, v10, v8
	v_mul_f32_e32 v10, v12, v8
	v_fma_f32 v13, -v5, v10, v12
	v_fmac_f32_e32 v10, v13, v8
	v_fma_f32 v5, -v5, v10, v12
	v_div_fmas_f32 v5, v5, v8, v10
	v_div_fixup_f32 v5, v5, v1, 1.0
	v_add_f32_e32 v1, 1.0, v1
	v_sub_f32_e32 v3, v3, v5
	v_cmp_ngt_f32_e32 vcc_lo, 0x41200000, v1
	s_or_b32 s1, vcc_lo, s1
	s_andn2_b32 exec_lo, exec_lo, s1
	s_cbranch_execnz .LBB19_1379
; %bb.1380:
	s_or_b32 exec_lo, exec_lo, s1
.LBB19_1381:
	s_or_b32 exec_lo, exec_lo, s0
                                        ; implicit-def: $vgpr5
	s_mov_b32 s0, exec_lo
	v_cmpx_neq_f32_e32 0x41200000, v1
	s_xor_b32 s6, exec_lo, s0
	s_cbranch_execz .LBB19_1385
; %bb.1382:
	v_cvt_f64_f32_e32 v[12:13], v1
	s_mov_b32 s0, 0x85d8a000
	s_mov_b32 s1, 0x43763457
	v_mov_b32_e32 v5, 0
	v_cmp_gt_f64_e32 vcc_lo, s[0:1], v[12:13]
	s_and_saveexec_b32 s0, vcc_lo
	s_cbranch_execz .LBB19_1384
; %bb.1383:
	v_mul_f32_e32 v5, v1, v1
	v_div_scale_f32 v8, null, v5, v5, 1.0
	v_rcp_f32_e32 v10, v8
	v_fma_f32 v12, -v8, v10, 1.0
	v_fmac_f32_e32 v10, v12, v10
	v_div_scale_f32 v12, vcc_lo, 1.0, v5, 1.0
	v_mul_f32_e32 v13, v12, v10
	v_fma_f32 v14, -v8, v13, v12
	v_fmac_f32_e32 v13, v14, v10
	v_fma_f32 v8, -v8, v13, v12
	v_div_fmas_f32 v8, v8, v10, v13
	v_div_fixup_f32 v5, v8, v5, 1.0
	v_fmaak_f32 v8, 0, v5, 0x3daaaaab
	v_fmaak_f32 v8, v5, v8, 0xbcaccacd
	;; [unrolled: 1-line block ×7, first 2 shown]
	v_mul_f32_e32 v5, v5, v8
.LBB19_1384:
	s_or_b32 exec_lo, exec_lo, s0
	v_cmp_gt_f32_e32 vcc_lo, 0x800000, v1
	v_div_scale_f32 v8, null, v1, v1, -0.5
	v_div_scale_f32 v14, s0, -0.5, v1, -0.5
	v_cndmask_b32_e64 v10, 0, 32, vcc_lo
	v_rcp_f32_e32 v12, v8
	v_ldexp_f32 v10, v1, v10
	v_log_f32_e32 v10, v10
	v_fma_f32 v13, -v8, v12, 1.0
	v_fmac_f32_e32 v12, v13, v12
	v_mul_f32_e32 v13, 0x3f317217, v10
	v_mul_f32_e32 v15, v14, v12
	v_cmp_gt_f32_e64 s1, 0x7f800000, |v10|
	v_fma_f32 v13, 0x3f317217, v10, -v13
	v_fma_f32 v16, -v8, v15, v14
	v_fmamk_f32 v13, v10, 0x3377d1cf, v13
	v_fmac_f32_e32 v15, v16, v12
	v_fmac_f32_e32 v13, 0x3f317217, v10
	v_fma_f32 v8, -v8, v15, v14
	v_cndmask_b32_e64 v10, v10, v13, s1
	v_cndmask_b32_e64 v13, 0, 0x41b17218, vcc_lo
	s_mov_b32 vcc_lo, s0
	v_div_fmas_f32 v8, v8, v12, v15
	v_sub_f32_e32 v10, v10, v13
	v_div_fixup_f32 v1, v8, v1, -0.5
	v_add_f32_e32 v1, v10, v1
	v_sub_f32_e32 v1, v1, v5
	v_add_f32_e32 v5, v3, v1
                                        ; implicit-def: $vgpr3
.LBB19_1385:
	s_andn2_saveexec_b32 s0, s6
; %bb.1386:
	v_add_f32_e32 v5, 0x40101cb7, v3
; %bb.1387:
	s_or_b32 exec_lo, exec_lo, s0
.LBB19_1388:
	s_or_b32 exec_lo, exec_lo, s5
                                        ; implicit-def: $vgpr1
.LBB19_1389:
	s_andn2_saveexec_b32 s0, s4
; %bb.1390:
	v_xor_b32_e32 v1, 0x80000000, v1
	s_mov_b32 s1, 0x7f800000
	v_bfi_b32 v5, 0x7fffffff, s1, v1
; %bb.1391:
	s_or_b32 exec_lo, exec_lo, s0
	v_add_co_u32 v10, s1, s10, v11
	s_lshr_b32 s0, s3, 16
	v_add_co_ci_u32_e64 v11, null, s11, 0, s1
	s_and_b32 s4, s0, 0xff
	s_cmp_lt_i32 s4, 11
	s_cbranch_scc1 .LBB19_1398
; %bb.1392:
	s_and_b32 s0, 0xffff, s4
	s_mov_b32 s5, 0
	s_cmp_gt_i32 s0, 25
	s_cbranch_scc0 .LBB19_1400
; %bb.1393:
	s_cmp_gt_i32 s0, 28
	s_cbranch_scc0 .LBB19_1401
; %bb.1394:
	;; [unrolled: 3-line block ×4, first 2 shown]
	s_cmp_eq_u32 s0, 46
	s_mov_b32 s7, 0
	s_cbranch_scc0 .LBB19_1407
; %bb.1397:
	global_load_dword v1, v[10:11], off
	s_mov_b32 s1, 0
	s_mov_b32 s6, -1
	s_waitcnt vmcnt(0)
	v_lshlrev_b32_e32 v1, 16, v1
	s_branch .LBB19_1409
.LBB19_1398:
	s_mov_b32 s6, 0
                                        ; implicit-def: $vgpr1
	s_cbranch_execnz .LBB19_1474
.LBB19_1399:
	s_andn2_b32 vcc_lo, exec_lo, s6
	s_cbranch_vccnz .LBB19_1932
	s_branch .LBB19_1521
.LBB19_1400:
	s_mov_b32 s6, 0
	s_mov_b32 s1, 0
                                        ; implicit-def: $vgpr1
	s_cbranch_execnz .LBB19_1438
	s_branch .LBB19_1470
.LBB19_1401:
	s_mov_b32 s7, -1
	s_mov_b32 s6, 0
	s_mov_b32 s1, 0
                                        ; implicit-def: $vgpr1
	s_branch .LBB19_1419
.LBB19_1402:
	s_mov_b32 s7, -1
	s_mov_b32 s6, 0
	s_mov_b32 s1, 0
                                        ; implicit-def: $vgpr1
	s_branch .LBB19_1414
.LBB19_1403:
	s_or_b32 s2, s12, exec_lo
	s_trap 2
	s_cbranch_execz .LBB19_1320
	s_branch .LBB19_1321
.LBB19_1404:
	s_mov_b32 s7, -1
	s_mov_b32 s6, 0
	s_mov_b32 s1, 0
	s_branch .LBB19_1408
.LBB19_1405:
	s_andn2_saveexec_b32 s12, s12
	s_cbranch_execz .LBB19_1110
.LBB19_1406:
	v_add_f32_e64 v0, 0x42800000, |v1|
	s_andn2_b32 s11, s11, exec_lo
	v_and_b32_e32 v0, 0xff, v0
	v_cmp_ne_u32_e32 vcc_lo, 0, v0
	s_and_b32 s13, vcc_lo, exec_lo
	s_or_b32 s11, s11, s13
	s_or_b32 exec_lo, exec_lo, s12
	v_mov_b32_e32 v2, 0
	s_and_saveexec_b32 s12, s11
	s_cbranch_execnz .LBB19_1111
	s_branch .LBB19_1112
.LBB19_1407:
	s_mov_b32 s1, -1
	s_mov_b32 s6, 0
.LBB19_1408:
                                        ; implicit-def: $vgpr1
.LBB19_1409:
	s_and_b32 vcc_lo, exec_lo, s7
	s_cbranch_vccz .LBB19_1413
; %bb.1410:
	s_cmp_eq_u32 s0, 44
	s_cbranch_scc0 .LBB19_1412
; %bb.1411:
	global_load_ubyte v1, v[10:11], off
	s_mov_b32 s1, 0
	s_mov_b32 s6, -1
	s_waitcnt vmcnt(0)
	v_lshlrev_b32_e32 v3, 23, v1
	v_cmp_ne_u32_e32 vcc_lo, 0xff, v1
	v_cndmask_b32_e32 v3, 0x7f800001, v3, vcc_lo
	v_cmp_ne_u32_e32 vcc_lo, 0, v1
	v_cndmask_b32_e32 v1, 0x400000, v3, vcc_lo
	s_branch .LBB19_1413
.LBB19_1412:
	s_mov_b32 s1, -1
                                        ; implicit-def: $vgpr1
.LBB19_1413:
	s_mov_b32 s7, 0
.LBB19_1414:
	s_and_b32 vcc_lo, exec_lo, s7
	s_cbranch_vccz .LBB19_1418
; %bb.1415:
	s_cmp_eq_u32 s0, 29
	s_cbranch_scc0 .LBB19_1417
; %bb.1416:
	global_load_dwordx2 v[12:13], v[10:11], off
	s_mov_b32 s1, 0
	s_mov_b32 s6, -1
	s_mov_b32 s7, 0
	s_waitcnt vmcnt(0)
	v_ffbh_u32_e32 v1, v13
	v_min_u32_e32 v1, 32, v1
	v_lshlrev_b64 v[12:13], v1, v[12:13]
	v_sub_nc_u32_e32 v1, 32, v1
	v_min_u32_e32 v3, 1, v12
	v_or_b32_e32 v3, v13, v3
	v_cvt_f32_u32_e32 v3, v3
	v_ldexp_f32 v1, v3, v1
	s_branch .LBB19_1419
.LBB19_1417:
	s_mov_b32 s1, -1
                                        ; implicit-def: $vgpr1
.LBB19_1418:
	s_mov_b32 s7, 0
.LBB19_1419:
	s_and_b32 vcc_lo, exec_lo, s7
	s_cbranch_vccz .LBB19_1437
; %bb.1420:
	s_cmp_lt_i32 s0, 27
	s_cbranch_scc1 .LBB19_1423
; %bb.1421:
	s_cmp_gt_i32 s0, 27
	s_cbranch_scc0 .LBB19_1424
; %bb.1422:
	global_load_dword v1, v[10:11], off
	s_mov_b32 s6, 0
	s_waitcnt vmcnt(0)
	v_cvt_f32_u32_e32 v1, v1
	s_branch .LBB19_1425
.LBB19_1423:
	s_mov_b32 s6, -1
                                        ; implicit-def: $vgpr1
	s_branch .LBB19_1428
.LBB19_1424:
	s_mov_b32 s6, -1
                                        ; implicit-def: $vgpr1
.LBB19_1425:
	s_andn2_b32 vcc_lo, exec_lo, s6
	s_cbranch_vccnz .LBB19_1427
; %bb.1426:
	global_load_ushort v1, v[10:11], off
	s_waitcnt vmcnt(0)
	v_cvt_f32_u32_e32 v1, v1
.LBB19_1427:
	s_mov_b32 s6, 0
.LBB19_1428:
	s_andn2_b32 vcc_lo, exec_lo, s6
	s_cbranch_vccnz .LBB19_1436
; %bb.1429:
	global_load_ubyte v3, v[10:11], off
	s_mov_b32 s6, 0
	s_mov_b32 s7, exec_lo
	s_waitcnt vmcnt(0)
	v_cmpx_lt_i16_e32 0x7f, v3
	s_xor_b32 s7, exec_lo, s7
	s_cbranch_execz .LBB19_1449
; %bb.1430:
	s_mov_b32 s6, -1
	s_mov_b32 s14, exec_lo
	v_cmpx_eq_u16_e32 0x80, v3
; %bb.1431:
	s_xor_b32 s6, exec_lo, -1
; %bb.1432:
	s_or_b32 exec_lo, exec_lo, s14
	s_and_b32 s6, s6, exec_lo
	s_or_saveexec_b32 s7, s7
	v_mov_b32_e32 v1, 0x7f800001
	s_xor_b32 exec_lo, exec_lo, s7
	s_cbranch_execnz .LBB19_1450
.LBB19_1433:
	s_or_b32 exec_lo, exec_lo, s7
	s_and_saveexec_b32 s7, s6
	s_cbranch_execz .LBB19_1435
.LBB19_1434:
	v_and_b32_e32 v1, 0xffff, v3
	v_lshlrev_b32_e32 v3, 24, v3
	v_and_b32_e32 v8, 7, v1
	v_bfe_u32 v14, v1, 3, 4
	v_and_b32_e32 v3, 0x80000000, v3
	v_ffbh_u32_e32 v12, v8
	v_cmp_eq_u32_e32 vcc_lo, 0, v14
	v_min_u32_e32 v12, 32, v12
	v_subrev_nc_u32_e32 v13, 28, v12
	v_sub_nc_u32_e32 v12, 29, v12
	v_lshlrev_b32_e32 v1, v13, v1
	v_cndmask_b32_e32 v12, v14, v12, vcc_lo
	v_and_b32_e32 v1, 7, v1
	v_cndmask_b32_e32 v1, v8, v1, vcc_lo
	v_lshl_add_u32 v8, v12, 23, 0x3b800000
	v_lshlrev_b32_e32 v1, 20, v1
	v_or3_b32 v1, v3, v8, v1
.LBB19_1435:
	s_or_b32 exec_lo, exec_lo, s7
.LBB19_1436:
	s_mov_b32 s6, -1
.LBB19_1437:
	s_branch .LBB19_1470
.LBB19_1438:
	s_cmp_gt_i32 s0, 22
	s_cbranch_scc0 .LBB19_1448
; %bb.1439:
	s_cmp_lt_i32 s0, 24
	s_cbranch_scc1 .LBB19_1451
; %bb.1440:
	s_cmp_gt_i32 s0, 24
	s_cbranch_scc0 .LBB19_1452
; %bb.1441:
	global_load_ubyte v3, v[10:11], off
	s_mov_b32 s6, exec_lo
	s_waitcnt vmcnt(0)
	v_cmpx_lt_i16_e32 0x7f, v3
	s_xor_b32 s6, exec_lo, s6
	s_cbranch_execz .LBB19_1464
; %bb.1442:
	s_mov_b32 s5, -1
	s_mov_b32 s7, exec_lo
	v_cmpx_eq_u16_e32 0x80, v3
; %bb.1443:
	s_xor_b32 s5, exec_lo, -1
; %bb.1444:
	s_or_b32 exec_lo, exec_lo, s7
	s_and_b32 s5, s5, exec_lo
	s_or_saveexec_b32 s6, s6
	v_mov_b32_e32 v1, 0x7f800001
	s_xor_b32 exec_lo, exec_lo, s6
	s_cbranch_execnz .LBB19_1465
.LBB19_1445:
	s_or_b32 exec_lo, exec_lo, s6
	s_and_saveexec_b32 s6, s5
	s_cbranch_execz .LBB19_1447
.LBB19_1446:
	v_and_b32_e32 v1, 0xffff, v3
	v_lshlrev_b32_e32 v3, 24, v3
	v_and_b32_e32 v8, 3, v1
	v_bfe_u32 v14, v1, 2, 5
	v_and_b32_e32 v3, 0x80000000, v3
	v_ffbh_u32_e32 v12, v8
	v_cmp_eq_u32_e32 vcc_lo, 0, v14
	v_min_u32_e32 v12, 32, v12
	v_subrev_nc_u32_e32 v13, 29, v12
	v_sub_nc_u32_e32 v12, 30, v12
	v_lshlrev_b32_e32 v1, v13, v1
	v_cndmask_b32_e32 v12, v14, v12, vcc_lo
	v_and_b32_e32 v1, 3, v1
	v_cndmask_b32_e32 v1, v8, v1, vcc_lo
	v_lshl_add_u32 v8, v12, 23, 0x37800000
	v_lshlrev_b32_e32 v1, 21, v1
	v_or3_b32 v1, v3, v8, v1
.LBB19_1447:
	s_or_b32 exec_lo, exec_lo, s6
	s_mov_b32 s5, 0
	s_branch .LBB19_1453
.LBB19_1448:
	s_mov_b32 s5, -1
                                        ; implicit-def: $vgpr1
	s_branch .LBB19_1459
.LBB19_1449:
	s_or_saveexec_b32 s7, s7
	v_mov_b32_e32 v1, 0x7f800001
	s_xor_b32 exec_lo, exec_lo, s7
	s_cbranch_execz .LBB19_1433
.LBB19_1450:
	v_cmp_ne_u16_e32 vcc_lo, 0, v3
	v_mov_b32_e32 v1, 0
	s_andn2_b32 s6, s6, exec_lo
	s_and_b32 s14, vcc_lo, exec_lo
	s_or_b32 s6, s6, s14
	s_or_b32 exec_lo, exec_lo, s7
	s_and_saveexec_b32 s7, s6
	s_cbranch_execnz .LBB19_1434
	s_branch .LBB19_1435
.LBB19_1451:
	s_mov_b32 s5, -1
                                        ; implicit-def: $vgpr1
	s_branch .LBB19_1456
.LBB19_1452:
	s_mov_b32 s5, -1
                                        ; implicit-def: $vgpr1
.LBB19_1453:
	s_and_b32 vcc_lo, exec_lo, s5
	s_cbranch_vccz .LBB19_1455
; %bb.1454:
	global_load_ubyte v1, v[10:11], off
	s_waitcnt vmcnt(0)
	v_lshlrev_b32_e32 v1, 24, v1
	v_and_b32_e32 v3, 0x7f000000, v1
	v_ffbh_u32_e32 v8, v3
	v_add_nc_u32_e32 v13, 0x1000000, v3
	v_cmp_ne_u32_e32 vcc_lo, 0, v3
	v_min_u32_e32 v8, 32, v8
	v_sub_nc_u32_e64 v8, v8, 4 clamp
	v_lshlrev_b32_e32 v12, v8, v3
	v_lshlrev_b32_e32 v8, 23, v8
	v_lshrrev_b32_e32 v12, 4, v12
	v_sub_nc_u32_e32 v8, v12, v8
	v_ashrrev_i32_e32 v12, 8, v13
	v_add_nc_u32_e32 v8, 0x3c000000, v8
	v_and_or_b32 v8, 0x7f800000, v12, v8
	v_cndmask_b32_e32 v3, 0, v8, vcc_lo
	v_and_or_b32 v1, 0x80000000, v1, v3
.LBB19_1455:
	s_mov_b32 s5, 0
.LBB19_1456:
	s_andn2_b32 vcc_lo, exec_lo, s5
	s_cbranch_vccnz .LBB19_1458
; %bb.1457:
	global_load_ubyte v1, v[10:11], off
	s_waitcnt vmcnt(0)
	v_lshlrev_b32_e32 v3, 25, v1
	v_lshlrev_b16 v1, 8, v1
	v_lshrrev_b32_e32 v8, 4, v3
	v_and_or_b32 v12, 0x7f00, v1, 0.5
	v_cmp_gt_u32_e32 vcc_lo, 0x8000000, v3
	v_bfe_i32 v1, v1, 0, 16
	v_or_b32_e32 v8, 0x70000000, v8
	v_add_f32_e32 v12, -0.5, v12
	v_mul_f32_e32 v8, 0x7800000, v8
	v_cndmask_b32_e32 v3, v8, v12, vcc_lo
	v_and_or_b32 v1, 0x80000000, v1, v3
.LBB19_1458:
	s_mov_b32 s5, 0
	s_mov_b32 s6, -1
.LBB19_1459:
	s_andn2_b32 vcc_lo, exec_lo, s5
	s_mov_b32 s5, 0
	s_cbranch_vccnz .LBB19_1470
; %bb.1460:
	s_cmp_gt_i32 s0, 14
	s_cbranch_scc0 .LBB19_1463
; %bb.1461:
	s_cmp_eq_u32 s0, 15
	s_cbranch_scc0 .LBB19_1466
; %bb.1462:
	global_load_ushort v1, v[10:11], off
	s_mov_b32 s1, 0
	s_mov_b32 s6, -1
	s_waitcnt vmcnt(0)
	v_lshlrev_b32_e32 v1, 16, v1
	s_branch .LBB19_1468
.LBB19_1463:
	s_mov_b32 s5, -1
	s_branch .LBB19_1467
.LBB19_1464:
	s_or_saveexec_b32 s6, s6
	v_mov_b32_e32 v1, 0x7f800001
	s_xor_b32 exec_lo, exec_lo, s6
	s_cbranch_execz .LBB19_1445
.LBB19_1465:
	v_cmp_ne_u16_e32 vcc_lo, 0, v3
	v_mov_b32_e32 v1, 0
	s_andn2_b32 s5, s5, exec_lo
	s_and_b32 s7, vcc_lo, exec_lo
	s_or_b32 s5, s5, s7
	s_or_b32 exec_lo, exec_lo, s6
	s_and_saveexec_b32 s6, s5
	s_cbranch_execnz .LBB19_1446
	s_branch .LBB19_1447
.LBB19_1466:
	s_mov_b32 s1, -1
.LBB19_1467:
                                        ; implicit-def: $vgpr1
.LBB19_1468:
	s_and_b32 vcc_lo, exec_lo, s5
	s_mov_b32 s5, 0
	s_cbranch_vccz .LBB19_1470
; %bb.1469:
	s_cmp_lg_u32 s0, 11
	s_mov_b32 s5, -1
	s_cselect_b32 s1, -1, 0
.LBB19_1470:
	s_and_b32 vcc_lo, exec_lo, s1
	s_cbranch_vccnz .LBB19_1557
; %bb.1471:
	s_andn2_b32 vcc_lo, exec_lo, s5
	s_cbranch_vccnz .LBB19_1473
.LBB19_1472:
	global_load_ubyte v1, v[10:11], off
	s_mov_b32 s6, -1
	s_waitcnt vmcnt(0)
	v_cmp_ne_u16_e32 vcc_lo, 0, v1
	v_cndmask_b32_e64 v1, 0, 1.0, vcc_lo
.LBB19_1473:
	s_branch .LBB19_1399
.LBB19_1474:
	s_and_b32 s0, 0xffff, s4
	s_cmp_lt_i32 s0, 5
	s_cbranch_scc1 .LBB19_1479
; %bb.1475:
	s_cmp_lt_i32 s0, 8
	s_cbranch_scc1 .LBB19_1480
; %bb.1476:
	;; [unrolled: 3-line block ×3, first 2 shown]
	s_cmp_gt_i32 s0, 9
	s_cbranch_scc0 .LBB19_1482
; %bb.1478:
	global_load_dwordx2 v[12:13], v[10:11], off
	s_mov_b32 s1, 0
	s_waitcnt vmcnt(0)
	v_cvt_f32_f64_e32 v1, v[12:13]
	s_branch .LBB19_1483
.LBB19_1479:
                                        ; implicit-def: $vgpr1
	s_branch .LBB19_1501
.LBB19_1480:
	s_mov_b32 s1, -1
                                        ; implicit-def: $vgpr1
	s_branch .LBB19_1489
.LBB19_1481:
	s_mov_b32 s1, -1
                                        ; implicit-def: $vgpr1
	s_branch .LBB19_1486
.LBB19_1482:
	s_mov_b32 s1, -1
                                        ; implicit-def: $vgpr1
.LBB19_1483:
	s_andn2_b32 vcc_lo, exec_lo, s1
	s_cbranch_vccnz .LBB19_1485
; %bb.1484:
	global_load_dword v1, v[10:11], off
.LBB19_1485:
	s_mov_b32 s1, 0
.LBB19_1486:
	s_andn2_b32 vcc_lo, exec_lo, s1
	s_cbranch_vccnz .LBB19_1488
; %bb.1487:
	global_load_dword v1, v[10:11], off
	s_waitcnt vmcnt(0)
	v_cvt_f32_f16_e32 v1, v1
.LBB19_1488:
	s_mov_b32 s1, 0
.LBB19_1489:
	s_andn2_b32 vcc_lo, exec_lo, s1
	s_cbranch_vccnz .LBB19_1500
; %bb.1490:
	s_cmp_lt_i32 s0, 6
	s_cbranch_scc1 .LBB19_1493
; %bb.1491:
	s_cmp_gt_i32 s0, 6
	s_cbranch_scc0 .LBB19_1494
; %bb.1492:
	global_load_dwordx2 v[12:13], v[10:11], off
	s_mov_b32 s1, 0
	s_waitcnt vmcnt(0)
	v_cvt_f32_f64_e32 v1, v[12:13]
	s_branch .LBB19_1495
.LBB19_1493:
	s_mov_b32 s1, -1
                                        ; implicit-def: $vgpr1
	s_branch .LBB19_1498
.LBB19_1494:
	s_mov_b32 s1, -1
                                        ; implicit-def: $vgpr1
.LBB19_1495:
	s_andn2_b32 vcc_lo, exec_lo, s1
	s_cbranch_vccnz .LBB19_1497
; %bb.1496:
	global_load_dword v1, v[10:11], off
.LBB19_1497:
	s_mov_b32 s1, 0
.LBB19_1498:
	s_andn2_b32 vcc_lo, exec_lo, s1
	s_cbranch_vccnz .LBB19_1500
; %bb.1499:
	global_load_ushort v1, v[10:11], off
	s_waitcnt vmcnt(0)
	v_cvt_f32_f16_e32 v1, v1
.LBB19_1500:
	s_cbranch_execnz .LBB19_1520
.LBB19_1501:
	s_cmp_lt_i32 s0, 2
	s_cbranch_scc1 .LBB19_1505
; %bb.1502:
	s_cmp_lt_i32 s0, 3
	s_cbranch_scc1 .LBB19_1506
; %bb.1503:
	s_cmp_gt_i32 s0, 3
	s_cbranch_scc0 .LBB19_1507
; %bb.1504:
	global_load_dwordx2 v[12:13], v[10:11], off
	s_mov_b32 s1, 0
	s_waitcnt vmcnt(0)
	v_xor_b32_e32 v1, v12, v13
	v_ffbh_i32_e32 v3, v13
	v_ashrrev_i32_e32 v1, 31, v1
	v_add_nc_u32_e32 v3, -1, v3
	v_add_nc_u32_e32 v1, 32, v1
	v_min_u32_e32 v1, v3, v1
	v_lshlrev_b64 v[12:13], v1, v[12:13]
	v_sub_nc_u32_e32 v1, 32, v1
	v_min_u32_e32 v3, 1, v12
	v_or_b32_e32 v3, v13, v3
	v_cvt_f32_i32_e32 v3, v3
	v_ldexp_f32 v1, v3, v1
	s_branch .LBB19_1508
.LBB19_1505:
	s_mov_b32 s1, -1
                                        ; implicit-def: $vgpr1
	s_branch .LBB19_1514
.LBB19_1506:
	s_mov_b32 s1, -1
                                        ; implicit-def: $vgpr1
	s_branch .LBB19_1511
.LBB19_1507:
	s_mov_b32 s1, -1
                                        ; implicit-def: $vgpr1
.LBB19_1508:
	s_andn2_b32 vcc_lo, exec_lo, s1
	s_cbranch_vccnz .LBB19_1510
; %bb.1509:
	global_load_dword v1, v[10:11], off
	s_waitcnt vmcnt(0)
	v_cvt_f32_i32_e32 v1, v1
.LBB19_1510:
	s_mov_b32 s1, 0
.LBB19_1511:
	s_andn2_b32 vcc_lo, exec_lo, s1
	s_cbranch_vccnz .LBB19_1513
; %bb.1512:
	global_load_sshort v1, v[10:11], off
	s_waitcnt vmcnt(0)
	v_cvt_f32_i32_e32 v1, v1
.LBB19_1513:
	s_mov_b32 s1, 0
.LBB19_1514:
	s_andn2_b32 vcc_lo, exec_lo, s1
	s_cbranch_vccnz .LBB19_1520
; %bb.1515:
	s_cmp_gt_i32 s0, 0
	s_mov_b32 s0, 0
	s_cbranch_scc0 .LBB19_1517
; %bb.1516:
	global_load_sbyte v1, v[10:11], off
	s_waitcnt vmcnt(0)
	v_cvt_f32_i32_e32 v1, v1
	s_branch .LBB19_1518
.LBB19_1517:
	s_mov_b32 s0, -1
                                        ; implicit-def: $vgpr1
.LBB19_1518:
	s_andn2_b32 vcc_lo, exec_lo, s0
	s_cbranch_vccnz .LBB19_1520
; %bb.1519:
	global_load_ubyte v1, v[10:11], off
	s_waitcnt vmcnt(0)
	v_cvt_f32_ubyte0_e32 v1, v1
.LBB19_1520:
.LBB19_1521:
                                        ; implicit-def: $vgpr3
	s_mov_b32 s0, exec_lo
	s_waitcnt vmcnt(0)
	v_cmpx_neq_f32_e32 0, v1
	s_xor_b32 s5, exec_lo, s0
	s_cbranch_execz .LBB19_1543
; %bb.1522:
	v_mov_b32_e32 v8, 0
	s_mov_b32 s0, -1
	s_mov_b32 s6, exec_lo
	v_cmpx_gt_f32_e32 0, v1
	s_cbranch_execz .LBB19_1530
; %bb.1523:
	v_trunc_f32_e32 v3, v1
	v_mov_b32_e32 v8, 0
	s_mov_b32 s1, 0
	s_mov_b32 s7, exec_lo
	v_cmpx_neq_f32_e32 v1, v3
	s_cbranch_execz .LBB19_1529
; %bb.1524:
	v_cvt_f64_f32_e32 v[10:11], v1
	s_mov_b32 s1, 0xc00921fb
	s_mov_b32 s0, 0x54442d18
	s_mov_b32 s14, exec_lo
                                        ; implicit-def: $vgpr3
                                        ; implicit-def: $vgpr14_vgpr15
	v_trunc_f64_e32 v[12:13], v[10:11]
	v_cmp_neq_f64_e64 vcc_lo, 0x7ff00000, |v[10:11]|
	v_add_f64 v[12:13], v[10:11], -v[12:13]
	v_mul_f64 v[12:13], |v[12:13]|, s[0:1]
	v_cndmask_b32_e32 v11, 0x80000000, v13, vcc_lo
	v_cndmask_b32_e32 v10, 0, v12, vcc_lo
                                        ; implicit-def: $vgpr12_vgpr13
	v_cmpx_ngt_f64_e64 0x41d00000, |v[10:11]|
	s_xor_b32 s14, exec_lo, s14
	s_cbranch_execz .LBB19_1526
; %bb.1525:
	v_ldexp_f64 v[12:13], |v[10:11]|, 0xffffff80
	v_cmp_le_f64_e64 vcc_lo, 0x7b000000, |v[10:11]|
	v_trig_preop_f64 v[14:15], |v[10:11]|, 0
	v_and_b32_e32 v3, 0x7fffffff, v11
	v_trig_preop_f64 v[16:17], |v[10:11]|, 1
	v_trig_preop_f64 v[26:27], |v[10:11]|, 2
	v_mov_b32_e32 v34, 0
	s_mov_b32 s1, 0x3ff921fb
	s_mov_b32 s16, 0x33145c07
	;; [unrolled: 1-line block ×3, first 2 shown]
	v_cndmask_b32_e32 v13, v3, v13, vcc_lo
	v_cndmask_b32_e32 v12, v10, v12, vcc_lo
	v_mul_f64 v[18:19], v[14:15], v[12:13]
	v_mul_f64 v[20:21], v[16:17], v[12:13]
	v_mul_f64 v[32:33], v[26:27], v[12:13]
	v_fma_f64 v[14:15], v[14:15], v[12:13], -v[18:19]
	v_fma_f64 v[16:17], v[16:17], v[12:13], -v[20:21]
	;; [unrolled: 1-line block ×3, first 2 shown]
	v_add_f64 v[22:23], v[20:21], v[14:15]
	v_add_f64 v[24:25], v[22:23], -v[20:21]
	v_add_f64 v[30:31], v[18:19], v[22:23]
	v_add_f64 v[28:29], v[22:23], -v[24:25]
	v_add_f64 v[14:15], v[14:15], -v[24:25]
	v_ldexp_f64 v[24:25], v[30:31], -2
	v_add_f64 v[18:19], v[30:31], -v[18:19]
	v_add_f64 v[20:21], v[20:21], -v[28:29]
	v_add_f64 v[28:29], v[32:33], v[16:17]
	v_cmp_neq_f64_e64 vcc_lo, 0x7ff00000, |v[24:25]|
	v_add_f64 v[18:19], v[22:23], -v[18:19]
	v_add_f64 v[14:15], v[14:15], v[20:21]
	v_fract_f64_e32 v[20:21], v[24:25]
	v_add_f64 v[22:23], v[28:29], v[14:15]
	v_ldexp_f64 v[20:21], v[20:21], 2
	v_add_f64 v[24:25], v[18:19], v[22:23]
	v_cndmask_b32_e32 v21, 0, v21, vcc_lo
	v_cndmask_b32_e32 v20, 0, v20, vcc_lo
	v_add_f64 v[30:31], v[24:25], v[20:21]
	v_add_f64 v[18:19], v[24:25], -v[18:19]
	v_cmp_gt_f64_e32 vcc_lo, 0, v[30:31]
	v_add_f64 v[30:31], v[28:29], -v[32:33]
	v_add_f64 v[18:19], v[22:23], -v[18:19]
	v_cndmask_b32_e64 v35, 0, 0x40100000, vcc_lo
	v_add_f64 v[39:40], v[28:29], -v[30:31]
	v_add_f64 v[16:17], v[16:17], -v[30:31]
	v_add_f64 v[20:21], v[20:21], v[34:35]
	v_add_f64 v[35:36], v[22:23], -v[28:29]
	v_add_f64 v[30:31], v[32:33], -v[39:40]
	v_add_f64 v[37:38], v[24:25], v[20:21]
	;; [unrolled: 3-line block ×3, first 2 shown]
	v_cvt_i32_f64_e32 v3, v[37:38]
	v_add_f64 v[28:29], v[28:29], -v[41:42]
	v_cvt_f64_i32_e32 v[35:36], v3
	v_add_f64 v[14:15], v[14:15], v[28:29]
	v_add_f64 v[20:21], v[20:21], -v[35:36]
	v_add_f64 v[14:15], v[16:17], v[14:15]
	v_add_f64 v[16:17], v[24:25], v[20:21]
	;; [unrolled: 1-line block ×3, first 2 shown]
	v_add_f64 v[14:15], v[16:17], -v[20:21]
	v_cmp_le_f64_e32 vcc_lo, 0.5, v[16:17]
	v_add_f64 v[12:13], v[18:19], v[12:13]
	v_add_f64 v[14:15], v[24:25], -v[14:15]
	v_cndmask_b32_e64 v35, 0, 0x3ff00000, vcc_lo
	v_add_co_ci_u32_e64 v3, null, 0, v3, vcc_lo
	v_add_f64 v[12:13], v[12:13], v[14:15]
	v_add_f64 v[14:15], v[16:17], -v[34:35]
	v_add_f64 v[16:17], v[14:15], v[12:13]
	v_mul_f64 v[18:19], v[16:17], s[0:1]
	v_add_f64 v[14:15], v[16:17], -v[14:15]
	v_fma_f64 v[20:21], v[16:17], s[0:1], -v[18:19]
	v_add_f64 v[12:13], v[12:13], -v[14:15]
	v_fma_f64 v[14:15], v[16:17], s[16:17], v[20:21]
	v_fma_f64 v[14:15], v[12:13], s[0:1], v[14:15]
	v_add_f64 v[12:13], v[18:19], v[14:15]
	v_add_f64 v[16:17], v[12:13], -v[18:19]
	v_add_f64 v[14:15], v[14:15], -v[16:17]
.LBB19_1526:
	s_andn2_saveexec_b32 s0, s14
	s_cbranch_execz .LBB19_1528
; %bb.1527:
	s_mov_b32 s14, 0x6dc9c883
	s_mov_b32 s15, 0x3fe45f30
	;; [unrolled: 1-line block ×3, first 2 shown]
	v_mul_f64 v[12:13], |v[10:11]|, s[14:15]
	s_mov_b32 s14, 0x54442d18
	s_mov_b32 s15, 0xbff921fb
	;; [unrolled: 1-line block ×3, first 2 shown]
	v_rndne_f64_e32 v[16:17], v[12:13]
	v_fma_f64 v[12:13], v[16:17], s[14:15], |v[10:11]|
	v_mul_f64 v[14:15], v[16:17], s[16:17]
	s_mov_b32 s14, 0x252049c0
	s_mov_b32 s15, 0xb97b839a
	v_cvt_i32_f64_e32 v3, v[16:17]
	v_fma_f64 v[20:21], v[16:17], s[16:17], v[12:13]
	v_add_f64 v[18:19], v[12:13], v[14:15]
	s_mov_b32 s17, 0x3c91a626
	v_add_f64 v[12:13], v[12:13], -v[18:19]
	v_add_f64 v[18:19], v[18:19], -v[20:21]
	v_add_f64 v[12:13], v[12:13], v[14:15]
	v_fma_f64 v[14:15], v[16:17], s[16:17], v[14:15]
	v_add_f64 v[12:13], v[18:19], v[12:13]
	v_add_f64 v[12:13], v[12:13], -v[14:15]
	v_fma_f64 v[14:15], v[16:17], s[14:15], v[12:13]
	v_add_f64 v[12:13], v[20:21], v[14:15]
	v_add_f64 v[18:19], v[12:13], -v[20:21]
	v_add_f64 v[14:15], v[14:15], -v[18:19]
.LBB19_1528:
	s_or_b32 exec_lo, exec_lo, s0
	v_mul_f64 v[16:17], v[12:13], v[12:13]
	v_add_f64 v[18:19], v[14:15], v[14:15]
	s_mov_b32 s14, 0xa9a29f71
	s_mov_b32 s16, 0xc751c08c
	;; [unrolled: 1-line block ×4, first 2 shown]
	v_cmp_class_f64_e64 s0, v[10:11], 0x1f8
	v_and_b32_e32 v3, 1, v3
	v_and_b32_e32 v10, 0x80000000, v11
	v_sub_f32_e32 v1, 1.0, v1
	s_mov_b32 s1, exec_lo
	v_cmp_eq_u32_e32 vcc_lo, 0, v3
	v_fma_f64 v[20:21], v[12:13], v[12:13], -v[16:17]
	v_fma_f64 v[18:19], v[12:13], v[18:19], v[20:21]
	v_add_f64 v[16:17], v[16:17], v[18:19]
	v_fma_f64 v[18:19], v[16:17], s[16:17], s[14:15]
	s_mov_b32 s14, 0x90a8aae0
	s_mov_b32 s15, 0x3f17746f
	v_fma_f64 v[18:19], v[16:17], v[18:19], s[14:15]
	s_mov_b32 s14, 0xa6fbf144
	s_mov_b32 s15, 0xbefbb44d
	;; [unrolled: 3-line block ×13, first 2 shown]
	v_mul_f64 v[16:17], v[16:17], v[18:19]
	v_mul_f64 v[18:19], v[12:13], v[16:17]
	v_add_f64 v[20:21], v[12:13], v[18:19]
	v_fma_f64 v[16:17], v[12:13], v[16:17], -v[18:19]
	v_add_f64 v[12:13], v[20:21], -v[12:13]
	v_add_f64 v[14:15], v[14:15], v[16:17]
	v_add_f64 v[12:13], v[18:19], -v[12:13]
	v_add_f64 v[12:13], v[14:15], v[12:13]
	v_add_f64 v[14:15], v[20:21], v[12:13]
	v_rcp_f64_e32 v[16:17], v[14:15]
	v_fma_f64 v[18:19], -v[14:15], v[16:17], 1.0
	v_fma_f64 v[16:17], v[18:19], v[16:17], v[16:17]
	v_fma_f64 v[18:19], -v[14:15], v[16:17], 1.0
	v_fma_f64 v[16:17], v[18:19], v[16:17], v[16:17]
	v_add_f64 v[18:19], v[14:15], -v[20:21]
	v_mul_f64 v[20:21], v[14:15], v[16:17]
	v_add_f64 v[12:13], v[12:13], -v[18:19]
	v_fma_f64 v[18:19], v[16:17], v[14:15], -v[20:21]
	v_fma_f64 v[12:13], v[16:17], v[12:13], v[18:19]
	v_add_f64 v[18:19], v[20:21], v[12:13]
	v_add_f64 v[22:23], -v[18:19], 1.0
	v_add_f64 v[20:21], v[18:19], -v[20:21]
	v_add_f64 v[24:25], -v[22:23], 1.0
	v_add_f64 v[12:13], v[20:21], -v[12:13]
	v_add_f64 v[18:19], v[24:25], -v[18:19]
	v_add_f64 v[12:13], v[12:13], v[18:19]
	v_add_f64 v[12:13], v[22:23], v[12:13]
	v_mul_f64 v[12:13], v[16:17], v[12:13]
	v_add_f64 v[12:13], v[16:17], v[12:13]
	v_xor_b32_e32 v8, 0x80000000, v13
	v_cndmask_b32_e32 v3, v12, v14, vcc_lo
	v_cndmask_b32_e32 v8, v8, v15, vcc_lo
	v_xor_b32_e32 v8, v8, v10
	v_cndmask_b32_e64 v10, 0, v3, s0
	v_cndmask_b32_e64 v11, 0x7ff80000, v8, s0
	v_div_scale_f64 v[12:13], null, v[10:11], v[10:11], s[14:15]
	v_rcp_f64_e32 v[14:15], v[12:13]
	v_fma_f64 v[16:17], -v[12:13], v[14:15], 1.0
	v_fma_f64 v[14:15], v[14:15], v[16:17], v[14:15]
	v_fma_f64 v[16:17], -v[12:13], v[14:15], 1.0
	v_fma_f64 v[14:15], v[14:15], v[16:17], v[14:15]
	v_div_scale_f64 v[16:17], vcc_lo, s[14:15], v[10:11], s[14:15]
	v_mul_f64 v[18:19], v[16:17], v[14:15]
	v_fma_f64 v[12:13], -v[12:13], v[18:19], v[16:17]
	v_div_fmas_f64 v[12:13], v[12:13], v[14:15], v[18:19]
	v_div_fixup_f64 v[10:11], v[12:13], v[10:11], s[14:15]
	v_cvt_f32_f64_e32 v8, v[10:11]
.LBB19_1529:
	s_or_b32 exec_lo, exec_lo, s7
	s_orn2_b32 s0, s1, exec_lo
.LBB19_1530:
	s_or_b32 exec_lo, exec_lo, s6
	v_mov_b32_e32 v3, 0x7fc00000
	s_and_saveexec_b32 s6, s0
	s_cbranch_execz .LBB19_1542
; %bb.1531:
	s_mov_b32 s0, exec_lo
	v_cmpx_gt_f32_e32 0x41200000, v1
	s_cbranch_execz .LBB19_1535
; %bb.1532:
	s_mov_b32 s1, 0
	.p2align	6
.LBB19_1533:                            ; =>This Inner Loop Header: Depth=1
	v_div_scale_f32 v3, null, v1, v1, 1.0
	v_div_scale_f32 v12, vcc_lo, 1.0, v1, 1.0
	v_rcp_f32_e32 v10, v3
	v_fma_f32 v11, -v3, v10, 1.0
	v_fmac_f32_e32 v10, v11, v10
	v_mul_f32_e32 v11, v12, v10
	v_fma_f32 v13, -v3, v11, v12
	v_fmac_f32_e32 v11, v13, v10
	v_fma_f32 v3, -v3, v11, v12
	v_div_fmas_f32 v3, v3, v10, v11
	v_div_fixup_f32 v3, v3, v1, 1.0
	v_add_f32_e32 v1, 1.0, v1
	v_sub_f32_e32 v8, v8, v3
	v_cmp_ngt_f32_e32 vcc_lo, 0x41200000, v1
	s_or_b32 s1, vcc_lo, s1
	s_andn2_b32 exec_lo, exec_lo, s1
	s_cbranch_execnz .LBB19_1533
; %bb.1534:
	s_or_b32 exec_lo, exec_lo, s1
.LBB19_1535:
	s_or_b32 exec_lo, exec_lo, s0
                                        ; implicit-def: $vgpr3
	s_mov_b32 s0, exec_lo
	v_cmpx_neq_f32_e32 0x41200000, v1
	s_xor_b32 s7, exec_lo, s0
	s_cbranch_execz .LBB19_1539
; %bb.1536:
	v_cvt_f64_f32_e32 v[10:11], v1
	s_mov_b32 s0, 0x85d8a000
	s_mov_b32 s1, 0x43763457
	v_mov_b32_e32 v3, 0
	v_cmp_gt_f64_e32 vcc_lo, s[0:1], v[10:11]
	s_and_saveexec_b32 s0, vcc_lo
	s_cbranch_execz .LBB19_1538
; %bb.1537:
	v_mul_f32_e32 v3, v1, v1
	v_div_scale_f32 v10, null, v3, v3, 1.0
	v_rcp_f32_e32 v11, v10
	v_fma_f32 v12, -v10, v11, 1.0
	v_fmac_f32_e32 v11, v12, v11
	v_div_scale_f32 v12, vcc_lo, 1.0, v3, 1.0
	v_mul_f32_e32 v13, v12, v11
	v_fma_f32 v14, -v10, v13, v12
	v_fmac_f32_e32 v13, v14, v11
	v_fma_f32 v10, -v10, v13, v12
	v_div_fmas_f32 v10, v10, v11, v13
	v_div_fixup_f32 v3, v10, v3, 1.0
	v_fmaak_f32 v10, 0, v3, 0x3daaaaab
	v_fmaak_f32 v10, v3, v10, 0xbcaccacd
	;; [unrolled: 1-line block ×7, first 2 shown]
	v_mul_f32_e32 v3, v3, v10
.LBB19_1538:
	s_or_b32 exec_lo, exec_lo, s0
	v_cmp_gt_f32_e32 vcc_lo, 0x800000, v1
	v_div_scale_f32 v10, null, v1, v1, -0.5
	v_div_scale_f32 v14, s0, -0.5, v1, -0.5
	v_cndmask_b32_e64 v11, 0, 32, vcc_lo
	v_rcp_f32_e32 v12, v10
	v_ldexp_f32 v11, v1, v11
	v_log_f32_e32 v11, v11
	v_fma_f32 v13, -v10, v12, 1.0
	v_fmac_f32_e32 v12, v13, v12
	v_mul_f32_e32 v13, 0x3f317217, v11
	v_mul_f32_e32 v15, v14, v12
	v_cmp_gt_f32_e64 s1, 0x7f800000, |v11|
	v_fma_f32 v13, 0x3f317217, v11, -v13
	v_fma_f32 v16, -v10, v15, v14
	v_fmamk_f32 v13, v11, 0x3377d1cf, v13
	v_fmac_f32_e32 v15, v16, v12
	v_fmac_f32_e32 v13, 0x3f317217, v11
	v_fma_f32 v10, -v10, v15, v14
	v_cndmask_b32_e64 v11, v11, v13, s1
	v_cndmask_b32_e64 v13, 0, 0x41b17218, vcc_lo
	s_mov_b32 vcc_lo, s0
	v_div_fmas_f32 v10, v10, v12, v15
	v_sub_f32_e32 v11, v11, v13
	v_div_fixup_f32 v1, v10, v1, -0.5
	v_add_f32_e32 v1, v11, v1
	v_sub_f32_e32 v1, v1, v3
	v_add_f32_e32 v3, v8, v1
                                        ; implicit-def: $vgpr8
.LBB19_1539:
	s_andn2_saveexec_b32 s0, s7
; %bb.1540:
	v_add_f32_e32 v3, 0x40101cb7, v8
; %bb.1541:
	s_or_b32 exec_lo, exec_lo, s0
.LBB19_1542:
	s_or_b32 exec_lo, exec_lo, s6
                                        ; implicit-def: $vgpr1
.LBB19_1543:
	s_andn2_saveexec_b32 s0, s5
; %bb.1544:
	v_xor_b32_e32 v1, 0x80000000, v1
	s_mov_b32 s1, 0x7f800000
	v_bfi_b32 v3, 0x7fffffff, s1, v1
; %bb.1545:
	s_or_b32 exec_lo, exec_lo, s0
	v_add_co_u32 v8, s0, s10, v9
	v_add_co_ci_u32_e64 v9, null, s11, 0, s0
	s_cmp_lt_i32 s4, 11
	s_cbranch_scc1 .LBB19_1552
; %bb.1546:
	s_and_b32 s0, 0xffff, s4
	s_mov_b32 s5, 0
	s_cmp_gt_i32 s0, 25
	s_cbranch_scc0 .LBB19_1554
; %bb.1547:
	s_cmp_gt_i32 s0, 28
	s_cbranch_scc0 .LBB19_1555
; %bb.1548:
	s_cmp_gt_i32 s0, 43
	s_cbranch_scc0 .LBB19_1556
; %bb.1549:
	s_cmp_gt_i32 s0, 45
	s_cbranch_scc0 .LBB19_1558
; %bb.1550:
	s_cmp_eq_u32 s0, 46
	s_mov_b32 s7, 0
	s_cbranch_scc0 .LBB19_1559
; %bb.1551:
	global_load_dword v1, v[8:9], off
	s_mov_b32 s1, 0
	s_mov_b32 s6, -1
	s_waitcnt vmcnt(0)
	v_lshlrev_b32_e32 v14, 16, v1
	s_branch .LBB19_1561
.LBB19_1552:
	s_mov_b32 s6, 0
                                        ; implicit-def: $vgpr14
	s_cbranch_execnz .LBB19_1627
.LBB19_1553:
	s_andn2_b32 vcc_lo, exec_lo, s6
	s_cbranch_vccnz .LBB19_1932
	s_branch .LBB19_1675
.LBB19_1554:
	s_mov_b32 s7, -1
	s_mov_b32 s6, 0
	s_mov_b32 s1, 0
                                        ; implicit-def: $vgpr14
	s_branch .LBB19_1590
.LBB19_1555:
	s_mov_b32 s7, -1
	s_mov_b32 s6, 0
	s_mov_b32 s1, 0
                                        ; implicit-def: $vgpr14
	s_branch .LBB19_1571
.LBB19_1556:
	s_mov_b32 s7, -1
	s_mov_b32 s6, 0
	s_mov_b32 s1, 0
                                        ; implicit-def: $vgpr14
	s_branch .LBB19_1566
.LBB19_1557:
	s_or_b32 s2, s2, exec_lo
	s_trap 2
	s_cbranch_execz .LBB19_1472
	s_branch .LBB19_1473
.LBB19_1558:
	s_mov_b32 s7, -1
	s_mov_b32 s6, 0
	s_mov_b32 s1, 0
	s_branch .LBB19_1560
.LBB19_1559:
	s_mov_b32 s1, -1
	s_mov_b32 s6, 0
.LBB19_1560:
                                        ; implicit-def: $vgpr14
.LBB19_1561:
	s_and_b32 vcc_lo, exec_lo, s7
	s_cbranch_vccz .LBB19_1565
; %bb.1562:
	s_cmp_eq_u32 s0, 44
	s_cbranch_scc0 .LBB19_1564
; %bb.1563:
	global_load_ubyte v1, v[8:9], off
	s_mov_b32 s1, 0
	s_mov_b32 s6, -1
	s_waitcnt vmcnt(0)
	v_lshlrev_b32_e32 v10, 23, v1
	v_cmp_ne_u32_e32 vcc_lo, 0xff, v1
	v_cndmask_b32_e32 v10, 0x7f800001, v10, vcc_lo
	v_cmp_ne_u32_e32 vcc_lo, 0, v1
	v_cndmask_b32_e32 v14, 0x400000, v10, vcc_lo
	s_branch .LBB19_1565
.LBB19_1564:
	s_mov_b32 s1, -1
                                        ; implicit-def: $vgpr14
.LBB19_1565:
	s_mov_b32 s7, 0
.LBB19_1566:
	s_and_b32 vcc_lo, exec_lo, s7
	s_cbranch_vccz .LBB19_1570
; %bb.1567:
	s_cmp_eq_u32 s0, 29
	s_cbranch_scc0 .LBB19_1569
; %bb.1568:
	global_load_dwordx2 v[10:11], v[8:9], off
	s_mov_b32 s1, 0
	s_mov_b32 s6, -1
	s_mov_b32 s7, 0
	s_waitcnt vmcnt(0)
	v_ffbh_u32_e32 v1, v11
	v_min_u32_e32 v1, 32, v1
	v_lshlrev_b64 v[10:11], v1, v[10:11]
	v_sub_nc_u32_e32 v1, 32, v1
	v_min_u32_e32 v10, 1, v10
	v_or_b32_e32 v10, v11, v10
	v_cvt_f32_u32_e32 v10, v10
	v_ldexp_f32 v14, v10, v1
	s_branch .LBB19_1571
.LBB19_1569:
	s_mov_b32 s1, -1
                                        ; implicit-def: $vgpr14
.LBB19_1570:
	s_mov_b32 s7, 0
.LBB19_1571:
	s_and_b32 vcc_lo, exec_lo, s7
	s_cbranch_vccz .LBB19_1589
; %bb.1572:
	s_cmp_lt_i32 s0, 27
	s_cbranch_scc1 .LBB19_1575
; %bb.1573:
	s_cmp_gt_i32 s0, 27
	s_cbranch_scc0 .LBB19_1576
; %bb.1574:
	global_load_dword v1, v[8:9], off
	s_mov_b32 s6, 0
	s_waitcnt vmcnt(0)
	v_cvt_f32_u32_e32 v14, v1
	s_branch .LBB19_1577
.LBB19_1575:
	s_mov_b32 s6, -1
                                        ; implicit-def: $vgpr14
	s_branch .LBB19_1580
.LBB19_1576:
	s_mov_b32 s6, -1
                                        ; implicit-def: $vgpr14
.LBB19_1577:
	s_andn2_b32 vcc_lo, exec_lo, s6
	s_cbranch_vccnz .LBB19_1579
; %bb.1578:
	global_load_ushort v1, v[8:9], off
	s_waitcnt vmcnt(0)
	v_cvt_f32_u32_e32 v14, v1
.LBB19_1579:
	s_mov_b32 s6, 0
.LBB19_1580:
	s_andn2_b32 vcc_lo, exec_lo, s6
	s_cbranch_vccnz .LBB19_1588
; %bb.1581:
	global_load_ubyte v1, v[8:9], off
	s_mov_b32 s6, 0
	s_mov_b32 s7, exec_lo
	s_waitcnt vmcnt(0)
	v_cmpx_lt_i16_e32 0x7f, v1
	s_xor_b32 s7, exec_lo, s7
	s_cbranch_execz .LBB19_1602
; %bb.1582:
	s_mov_b32 s6, -1
	s_mov_b32 s14, exec_lo
	v_cmpx_eq_u16_e32 0x80, v1
; %bb.1583:
	s_xor_b32 s6, exec_lo, -1
; %bb.1584:
	s_or_b32 exec_lo, exec_lo, s14
	s_and_b32 s6, s6, exec_lo
	s_or_saveexec_b32 s7, s7
	v_mov_b32_e32 v14, 0x7f800001
	s_xor_b32 exec_lo, exec_lo, s7
	s_cbranch_execnz .LBB19_1603
.LBB19_1585:
	s_or_b32 exec_lo, exec_lo, s7
	s_and_saveexec_b32 s7, s6
	s_cbranch_execz .LBB19_1587
.LBB19_1586:
	v_and_b32_e32 v10, 0xffff, v1
	v_lshlrev_b32_e32 v1, 24, v1
	v_and_b32_e32 v11, 7, v10
	v_bfe_u32 v14, v10, 3, 4
	v_and_b32_e32 v1, 0x80000000, v1
	v_ffbh_u32_e32 v12, v11
	v_cmp_eq_u32_e32 vcc_lo, 0, v14
	v_min_u32_e32 v12, 32, v12
	v_subrev_nc_u32_e32 v13, 28, v12
	v_sub_nc_u32_e32 v12, 29, v12
	v_lshlrev_b32_e32 v10, v13, v10
	v_cndmask_b32_e32 v12, v14, v12, vcc_lo
	v_and_b32_e32 v10, 7, v10
	v_cndmask_b32_e32 v10, v11, v10, vcc_lo
	v_lshl_add_u32 v11, v12, 23, 0x3b800000
	v_lshlrev_b32_e32 v10, 20, v10
	v_or3_b32 v14, v1, v11, v10
.LBB19_1587:
	s_or_b32 exec_lo, exec_lo, s7
.LBB19_1588:
	s_mov_b32 s6, -1
.LBB19_1589:
	s_mov_b32 s7, 0
.LBB19_1590:
	s_and_b32 vcc_lo, exec_lo, s7
	s_cbranch_vccz .LBB19_1623
; %bb.1591:
	s_cmp_gt_i32 s0, 22
	s_cbranch_scc0 .LBB19_1601
; %bb.1592:
	s_cmp_lt_i32 s0, 24
	s_cbranch_scc1 .LBB19_1604
; %bb.1593:
	s_cmp_gt_i32 s0, 24
	s_cbranch_scc0 .LBB19_1605
; %bb.1594:
	global_load_ubyte v1, v[8:9], off
	s_mov_b32 s6, exec_lo
	s_waitcnt vmcnt(0)
	v_cmpx_lt_i16_e32 0x7f, v1
	s_xor_b32 s6, exec_lo, s6
	s_cbranch_execz .LBB19_1617
; %bb.1595:
	s_mov_b32 s5, -1
	s_mov_b32 s7, exec_lo
	v_cmpx_eq_u16_e32 0x80, v1
; %bb.1596:
	s_xor_b32 s5, exec_lo, -1
; %bb.1597:
	s_or_b32 exec_lo, exec_lo, s7
	s_and_b32 s5, s5, exec_lo
	s_or_saveexec_b32 s6, s6
	v_mov_b32_e32 v14, 0x7f800001
	s_xor_b32 exec_lo, exec_lo, s6
	s_cbranch_execnz .LBB19_1618
.LBB19_1598:
	s_or_b32 exec_lo, exec_lo, s6
	s_and_saveexec_b32 s6, s5
	s_cbranch_execz .LBB19_1600
.LBB19_1599:
	v_and_b32_e32 v10, 0xffff, v1
	v_lshlrev_b32_e32 v1, 24, v1
	v_and_b32_e32 v11, 3, v10
	v_bfe_u32 v14, v10, 2, 5
	v_and_b32_e32 v1, 0x80000000, v1
	v_ffbh_u32_e32 v12, v11
	v_cmp_eq_u32_e32 vcc_lo, 0, v14
	v_min_u32_e32 v12, 32, v12
	v_subrev_nc_u32_e32 v13, 29, v12
	v_sub_nc_u32_e32 v12, 30, v12
	v_lshlrev_b32_e32 v10, v13, v10
	v_cndmask_b32_e32 v12, v14, v12, vcc_lo
	v_and_b32_e32 v10, 3, v10
	v_cndmask_b32_e32 v10, v11, v10, vcc_lo
	v_lshl_add_u32 v11, v12, 23, 0x37800000
	v_lshlrev_b32_e32 v10, 21, v10
	v_or3_b32 v14, v1, v11, v10
.LBB19_1600:
	s_or_b32 exec_lo, exec_lo, s6
	s_mov_b32 s5, 0
	s_branch .LBB19_1606
.LBB19_1601:
	s_mov_b32 s5, -1
                                        ; implicit-def: $vgpr14
	s_branch .LBB19_1612
.LBB19_1602:
	s_or_saveexec_b32 s7, s7
	v_mov_b32_e32 v14, 0x7f800001
	s_xor_b32 exec_lo, exec_lo, s7
	s_cbranch_execz .LBB19_1585
.LBB19_1603:
	v_cmp_ne_u16_e32 vcc_lo, 0, v1
	v_mov_b32_e32 v14, 0
	s_andn2_b32 s6, s6, exec_lo
	s_and_b32 s14, vcc_lo, exec_lo
	s_or_b32 s6, s6, s14
	s_or_b32 exec_lo, exec_lo, s7
	s_and_saveexec_b32 s7, s6
	s_cbranch_execnz .LBB19_1586
	s_branch .LBB19_1587
.LBB19_1604:
	s_mov_b32 s5, -1
                                        ; implicit-def: $vgpr14
	s_branch .LBB19_1609
.LBB19_1605:
	s_mov_b32 s5, -1
                                        ; implicit-def: $vgpr14
.LBB19_1606:
	s_and_b32 vcc_lo, exec_lo, s5
	s_cbranch_vccz .LBB19_1608
; %bb.1607:
	global_load_ubyte v1, v[8:9], off
	s_waitcnt vmcnt(0)
	v_lshlrev_b32_e32 v1, 24, v1
	v_and_b32_e32 v10, 0x7f000000, v1
	v_ffbh_u32_e32 v11, v10
	v_add_nc_u32_e32 v13, 0x1000000, v10
	v_cmp_ne_u32_e32 vcc_lo, 0, v10
	v_min_u32_e32 v11, 32, v11
	v_sub_nc_u32_e64 v11, v11, 4 clamp
	v_lshlrev_b32_e32 v12, v11, v10
	v_lshlrev_b32_e32 v11, 23, v11
	v_lshrrev_b32_e32 v12, 4, v12
	v_sub_nc_u32_e32 v11, v12, v11
	v_ashrrev_i32_e32 v12, 8, v13
	v_add_nc_u32_e32 v11, 0x3c000000, v11
	v_and_or_b32 v11, 0x7f800000, v12, v11
	v_cndmask_b32_e32 v10, 0, v11, vcc_lo
	v_and_or_b32 v14, 0x80000000, v1, v10
.LBB19_1608:
	s_mov_b32 s5, 0
.LBB19_1609:
	s_andn2_b32 vcc_lo, exec_lo, s5
	s_cbranch_vccnz .LBB19_1611
; %bb.1610:
	global_load_ubyte v1, v[8:9], off
	s_waitcnt vmcnt(0)
	v_lshlrev_b32_e32 v10, 25, v1
	v_lshlrev_b16 v1, 8, v1
	v_lshrrev_b32_e32 v11, 4, v10
	v_and_or_b32 v12, 0x7f00, v1, 0.5
	v_cmp_gt_u32_e32 vcc_lo, 0x8000000, v10
	v_bfe_i32 v1, v1, 0, 16
	v_or_b32_e32 v11, 0x70000000, v11
	v_add_f32_e32 v12, -0.5, v12
	v_mul_f32_e32 v11, 0x7800000, v11
	v_cndmask_b32_e32 v10, v11, v12, vcc_lo
	v_and_or_b32 v14, 0x80000000, v1, v10
.LBB19_1611:
	s_mov_b32 s5, 0
	s_mov_b32 s6, -1
.LBB19_1612:
	s_andn2_b32 vcc_lo, exec_lo, s5
	s_mov_b32 s5, 0
	s_cbranch_vccnz .LBB19_1623
; %bb.1613:
	s_cmp_gt_i32 s0, 14
	s_cbranch_scc0 .LBB19_1616
; %bb.1614:
	s_cmp_eq_u32 s0, 15
	s_cbranch_scc0 .LBB19_1619
; %bb.1615:
	global_load_ushort v1, v[8:9], off
	s_mov_b32 s1, 0
	s_mov_b32 s6, -1
	s_waitcnt vmcnt(0)
	v_lshlrev_b32_e32 v14, 16, v1
	s_branch .LBB19_1621
.LBB19_1616:
	s_mov_b32 s5, -1
	s_branch .LBB19_1620
.LBB19_1617:
	s_or_saveexec_b32 s6, s6
	v_mov_b32_e32 v14, 0x7f800001
	s_xor_b32 exec_lo, exec_lo, s6
	s_cbranch_execz .LBB19_1598
.LBB19_1618:
	v_cmp_ne_u16_e32 vcc_lo, 0, v1
	v_mov_b32_e32 v14, 0
	s_andn2_b32 s5, s5, exec_lo
	s_and_b32 s7, vcc_lo, exec_lo
	s_or_b32 s5, s5, s7
	s_or_b32 exec_lo, exec_lo, s6
	s_and_saveexec_b32 s6, s5
	s_cbranch_execnz .LBB19_1599
	s_branch .LBB19_1600
.LBB19_1619:
	s_mov_b32 s1, -1
.LBB19_1620:
                                        ; implicit-def: $vgpr14
.LBB19_1621:
	s_and_b32 vcc_lo, exec_lo, s5
	s_mov_b32 s5, 0
	s_cbranch_vccz .LBB19_1623
; %bb.1622:
	s_cmp_lg_u32 s0, 11
	s_mov_b32 s5, -1
	s_cselect_b32 s1, -1, 0
.LBB19_1623:
	s_and_b32 vcc_lo, exec_lo, s1
	s_cbranch_vccnz .LBB19_1710
; %bb.1624:
	s_andn2_b32 vcc_lo, exec_lo, s5
	s_cbranch_vccnz .LBB19_1626
.LBB19_1625:
	global_load_ubyte v1, v[8:9], off
	s_mov_b32 s6, -1
	s_waitcnt vmcnt(0)
	v_cmp_ne_u16_e32 vcc_lo, 0, v1
	v_cndmask_b32_e64 v14, 0, 1.0, vcc_lo
.LBB19_1626:
	s_branch .LBB19_1553
.LBB19_1627:
	s_and_b32 s0, 0xffff, s4
	s_cmp_lt_i32 s0, 5
	s_cbranch_scc1 .LBB19_1632
; %bb.1628:
	s_cmp_lt_i32 s0, 8
	s_cbranch_scc1 .LBB19_1633
; %bb.1629:
	;; [unrolled: 3-line block ×3, first 2 shown]
	s_cmp_gt_i32 s0, 9
	s_cbranch_scc0 .LBB19_1635
; %bb.1631:
	global_load_dwordx2 v[10:11], v[8:9], off
	s_mov_b32 s1, 0
	s_waitcnt vmcnt(0)
	v_cvt_f32_f64_e32 v14, v[10:11]
	s_branch .LBB19_1636
.LBB19_1632:
	s_mov_b32 s1, -1
                                        ; implicit-def: $vgpr14
	s_branch .LBB19_1654
.LBB19_1633:
	s_mov_b32 s1, -1
                                        ; implicit-def: $vgpr14
	s_branch .LBB19_1642
.LBB19_1634:
	s_mov_b32 s1, -1
                                        ; implicit-def: $vgpr14
	s_branch .LBB19_1639
.LBB19_1635:
	s_mov_b32 s1, -1
                                        ; implicit-def: $vgpr14
.LBB19_1636:
	s_andn2_b32 vcc_lo, exec_lo, s1
	s_cbranch_vccnz .LBB19_1638
; %bb.1637:
	global_load_dword v14, v[8:9], off
.LBB19_1638:
	s_mov_b32 s1, 0
.LBB19_1639:
	s_andn2_b32 vcc_lo, exec_lo, s1
	s_cbranch_vccnz .LBB19_1641
; %bb.1640:
	global_load_dword v1, v[8:9], off
	s_waitcnt vmcnt(0)
	v_cvt_f32_f16_e32 v14, v1
.LBB19_1641:
	s_mov_b32 s1, 0
.LBB19_1642:
	s_andn2_b32 vcc_lo, exec_lo, s1
	s_cbranch_vccnz .LBB19_1653
; %bb.1643:
	s_cmp_lt_i32 s0, 6
	s_cbranch_scc1 .LBB19_1646
; %bb.1644:
	s_cmp_gt_i32 s0, 6
	s_cbranch_scc0 .LBB19_1647
; %bb.1645:
	global_load_dwordx2 v[10:11], v[8:9], off
	s_mov_b32 s1, 0
	s_waitcnt vmcnt(0)
	v_cvt_f32_f64_e32 v14, v[10:11]
	s_branch .LBB19_1648
.LBB19_1646:
	s_mov_b32 s1, -1
                                        ; implicit-def: $vgpr14
	s_branch .LBB19_1651
.LBB19_1647:
	s_mov_b32 s1, -1
                                        ; implicit-def: $vgpr14
.LBB19_1648:
	s_andn2_b32 vcc_lo, exec_lo, s1
	s_cbranch_vccnz .LBB19_1650
; %bb.1649:
	global_load_dword v14, v[8:9], off
.LBB19_1650:
	s_mov_b32 s1, 0
.LBB19_1651:
	s_andn2_b32 vcc_lo, exec_lo, s1
	s_cbranch_vccnz .LBB19_1653
; %bb.1652:
	global_load_ushort v1, v[8:9], off
	s_waitcnt vmcnt(0)
	v_cvt_f32_f16_e32 v14, v1
.LBB19_1653:
	s_mov_b32 s1, 0
.LBB19_1654:
	s_andn2_b32 vcc_lo, exec_lo, s1
	s_cbranch_vccnz .LBB19_1674
; %bb.1655:
	s_cmp_lt_i32 s0, 2
	s_cbranch_scc1 .LBB19_1659
; %bb.1656:
	s_cmp_lt_i32 s0, 3
	s_cbranch_scc1 .LBB19_1660
; %bb.1657:
	s_cmp_gt_i32 s0, 3
	s_cbranch_scc0 .LBB19_1661
; %bb.1658:
	global_load_dwordx2 v[10:11], v[8:9], off
	s_mov_b32 s1, 0
	s_waitcnt vmcnt(0)
	v_xor_b32_e32 v1, v10, v11
	v_ffbh_i32_e32 v12, v11
	v_ashrrev_i32_e32 v1, 31, v1
	v_add_nc_u32_e32 v12, -1, v12
	v_add_nc_u32_e32 v1, 32, v1
	v_min_u32_e32 v1, v12, v1
	v_lshlrev_b64 v[10:11], v1, v[10:11]
	v_sub_nc_u32_e32 v1, 32, v1
	v_min_u32_e32 v10, 1, v10
	v_or_b32_e32 v10, v11, v10
	v_cvt_f32_i32_e32 v10, v10
	v_ldexp_f32 v14, v10, v1
	s_branch .LBB19_1662
.LBB19_1659:
	s_mov_b32 s1, -1
                                        ; implicit-def: $vgpr14
	s_branch .LBB19_1668
.LBB19_1660:
	s_mov_b32 s1, -1
                                        ; implicit-def: $vgpr14
	s_branch .LBB19_1665
.LBB19_1661:
	s_mov_b32 s1, -1
                                        ; implicit-def: $vgpr14
.LBB19_1662:
	s_andn2_b32 vcc_lo, exec_lo, s1
	s_cbranch_vccnz .LBB19_1664
; %bb.1663:
	global_load_dword v1, v[8:9], off
	s_waitcnt vmcnt(0)
	v_cvt_f32_i32_e32 v14, v1
.LBB19_1664:
	s_mov_b32 s1, 0
.LBB19_1665:
	s_andn2_b32 vcc_lo, exec_lo, s1
	s_cbranch_vccnz .LBB19_1667
; %bb.1666:
	global_load_sshort v1, v[8:9], off
	s_waitcnt vmcnt(0)
	v_cvt_f32_i32_e32 v14, v1
.LBB19_1667:
	s_mov_b32 s1, 0
.LBB19_1668:
	s_andn2_b32 vcc_lo, exec_lo, s1
	s_cbranch_vccnz .LBB19_1674
; %bb.1669:
	s_cmp_gt_i32 s0, 0
	s_mov_b32 s0, 0
	s_cbranch_scc0 .LBB19_1671
; %bb.1670:
	global_load_sbyte v1, v[8:9], off
	s_waitcnt vmcnt(0)
	v_cvt_f32_i32_e32 v14, v1
	s_branch .LBB19_1672
.LBB19_1671:
	s_mov_b32 s0, -1
                                        ; implicit-def: $vgpr14
.LBB19_1672:
	s_andn2_b32 vcc_lo, exec_lo, s0
	s_cbranch_vccnz .LBB19_1674
; %bb.1673:
	global_load_ubyte v1, v[8:9], off
	s_waitcnt vmcnt(0)
	v_cvt_f32_ubyte0_e32 v14, v1
.LBB19_1674:
.LBB19_1675:
                                        ; implicit-def: $vgpr1
	s_mov_b32 s0, exec_lo
	s_waitcnt vmcnt(0)
	v_cmpx_neq_f32_e32 0, v14
	s_xor_b32 s5, exec_lo, s0
	s_cbranch_execz .LBB19_1697
; %bb.1676:
	v_mov_b32_e32 v8, 0
	s_mov_b32 s0, -1
	s_mov_b32 s6, exec_lo
	v_cmpx_gt_f32_e32 0, v14
	s_cbranch_execz .LBB19_1684
; %bb.1677:
	v_trunc_f32_e32 v1, v14
	v_mov_b32_e32 v8, 0
	s_mov_b32 s1, 0
	s_mov_b32 s7, exec_lo
	v_cmpx_neq_f32_e32 v14, v1
	s_cbranch_execz .LBB19_1683
; %bb.1678:
	v_cvt_f64_f32_e32 v[8:9], v14
	s_mov_b32 s1, 0xc00921fb
	s_mov_b32 s0, 0x54442d18
	s_mov_b32 s14, exec_lo
                                        ; implicit-def: $vgpr1
                                        ; implicit-def: $vgpr12_vgpr13
	v_trunc_f64_e32 v[10:11], v[8:9]
	v_cmp_neq_f64_e64 vcc_lo, 0x7ff00000, |v[8:9]|
	v_add_f64 v[10:11], v[8:9], -v[10:11]
	v_mul_f64 v[10:11], |v[10:11]|, s[0:1]
	v_cndmask_b32_e32 v9, 0x80000000, v11, vcc_lo
	v_cndmask_b32_e32 v8, 0, v10, vcc_lo
                                        ; implicit-def: $vgpr10_vgpr11
	v_cmpx_ngt_f64_e64 0x41d00000, |v[8:9]|
	s_xor_b32 s14, exec_lo, s14
	s_cbranch_execz .LBB19_1680
; %bb.1679:
	v_ldexp_f64 v[10:11], |v[8:9]|, 0xffffff80
	v_cmp_le_f64_e64 vcc_lo, 0x7b000000, |v[8:9]|
	v_trig_preop_f64 v[12:13], |v[8:9]|, 0
	v_and_b32_e32 v1, 0x7fffffff, v9
	v_trig_preop_f64 v[15:16], |v[8:9]|, 1
	v_trig_preop_f64 v[25:26], |v[8:9]|, 2
	v_mov_b32_e32 v33, 0
	s_mov_b32 s1, 0x3ff921fb
	s_mov_b32 s16, 0x33145c07
	;; [unrolled: 1-line block ×3, first 2 shown]
	v_cndmask_b32_e32 v11, v1, v11, vcc_lo
	v_cndmask_b32_e32 v10, v8, v10, vcc_lo
	v_mul_f64 v[17:18], v[12:13], v[10:11]
	v_mul_f64 v[19:20], v[15:16], v[10:11]
	v_mul_f64 v[31:32], v[25:26], v[10:11]
	v_fma_f64 v[12:13], v[12:13], v[10:11], -v[17:18]
	v_fma_f64 v[15:16], v[15:16], v[10:11], -v[19:20]
	;; [unrolled: 1-line block ×3, first 2 shown]
	v_add_f64 v[21:22], v[19:20], v[12:13]
	v_add_f64 v[23:24], v[21:22], -v[19:20]
	v_add_f64 v[29:30], v[17:18], v[21:22]
	v_add_f64 v[27:28], v[21:22], -v[23:24]
	v_add_f64 v[12:13], v[12:13], -v[23:24]
	v_ldexp_f64 v[23:24], v[29:30], -2
	v_add_f64 v[17:18], v[29:30], -v[17:18]
	v_add_f64 v[19:20], v[19:20], -v[27:28]
	v_add_f64 v[27:28], v[31:32], v[15:16]
	v_cmp_neq_f64_e64 vcc_lo, 0x7ff00000, |v[23:24]|
	v_add_f64 v[17:18], v[21:22], -v[17:18]
	v_add_f64 v[12:13], v[12:13], v[19:20]
	v_fract_f64_e32 v[19:20], v[23:24]
	v_add_f64 v[21:22], v[27:28], v[12:13]
	v_ldexp_f64 v[19:20], v[19:20], 2
	v_add_f64 v[23:24], v[17:18], v[21:22]
	v_cndmask_b32_e32 v20, 0, v20, vcc_lo
	v_cndmask_b32_e32 v19, 0, v19, vcc_lo
	v_add_f64 v[29:30], v[23:24], v[19:20]
	v_add_f64 v[17:18], v[23:24], -v[17:18]
	v_cmp_gt_f64_e32 vcc_lo, 0, v[29:30]
	v_add_f64 v[29:30], v[27:28], -v[31:32]
	v_add_f64 v[17:18], v[21:22], -v[17:18]
	v_cndmask_b32_e64 v34, 0, 0x40100000, vcc_lo
	v_add_f64 v[38:39], v[27:28], -v[29:30]
	v_add_f64 v[15:16], v[15:16], -v[29:30]
	v_add_f64 v[19:20], v[19:20], v[33:34]
	v_add_f64 v[34:35], v[21:22], -v[27:28]
	v_add_f64 v[29:30], v[31:32], -v[38:39]
	v_add_f64 v[36:37], v[23:24], v[19:20]
	;; [unrolled: 3-line block ×3, first 2 shown]
	v_cvt_i32_f64_e32 v1, v[36:37]
	v_add_f64 v[27:28], v[27:28], -v[40:41]
	v_cvt_f64_i32_e32 v[34:35], v1
	v_add_f64 v[12:13], v[12:13], v[27:28]
	v_add_f64 v[19:20], v[19:20], -v[34:35]
	v_add_f64 v[12:13], v[15:16], v[12:13]
	v_add_f64 v[15:16], v[23:24], v[19:20]
	;; [unrolled: 1-line block ×3, first 2 shown]
	v_add_f64 v[12:13], v[15:16], -v[19:20]
	v_cmp_le_f64_e32 vcc_lo, 0.5, v[15:16]
	v_add_f64 v[10:11], v[17:18], v[10:11]
	v_add_f64 v[12:13], v[23:24], -v[12:13]
	v_cndmask_b32_e64 v34, 0, 0x3ff00000, vcc_lo
	v_add_co_ci_u32_e64 v1, null, 0, v1, vcc_lo
	v_add_f64 v[10:11], v[10:11], v[12:13]
	v_add_f64 v[12:13], v[15:16], -v[33:34]
	v_add_f64 v[15:16], v[12:13], v[10:11]
	v_mul_f64 v[17:18], v[15:16], s[0:1]
	v_add_f64 v[12:13], v[15:16], -v[12:13]
	v_fma_f64 v[19:20], v[15:16], s[0:1], -v[17:18]
	v_add_f64 v[10:11], v[10:11], -v[12:13]
	v_fma_f64 v[12:13], v[15:16], s[16:17], v[19:20]
	v_fma_f64 v[12:13], v[10:11], s[0:1], v[12:13]
	v_add_f64 v[10:11], v[17:18], v[12:13]
	v_add_f64 v[15:16], v[10:11], -v[17:18]
	v_add_f64 v[12:13], v[12:13], -v[15:16]
.LBB19_1680:
	s_andn2_saveexec_b32 s0, s14
	s_cbranch_execz .LBB19_1682
; %bb.1681:
	s_mov_b32 s14, 0x6dc9c883
	s_mov_b32 s15, 0x3fe45f30
	;; [unrolled: 1-line block ×3, first 2 shown]
	v_mul_f64 v[10:11], |v[8:9]|, s[14:15]
	s_mov_b32 s14, 0x54442d18
	s_mov_b32 s15, 0xbff921fb
	;; [unrolled: 1-line block ×3, first 2 shown]
	v_rndne_f64_e32 v[15:16], v[10:11]
	v_fma_f64 v[10:11], v[15:16], s[14:15], |v[8:9]|
	v_mul_f64 v[12:13], v[15:16], s[16:17]
	s_mov_b32 s14, 0x252049c0
	s_mov_b32 s15, 0xb97b839a
	v_cvt_i32_f64_e32 v1, v[15:16]
	v_fma_f64 v[19:20], v[15:16], s[16:17], v[10:11]
	v_add_f64 v[17:18], v[10:11], v[12:13]
	s_mov_b32 s17, 0x3c91a626
	v_add_f64 v[10:11], v[10:11], -v[17:18]
	v_add_f64 v[17:18], v[17:18], -v[19:20]
	v_add_f64 v[10:11], v[10:11], v[12:13]
	v_fma_f64 v[12:13], v[15:16], s[16:17], v[12:13]
	v_add_f64 v[10:11], v[17:18], v[10:11]
	v_add_f64 v[10:11], v[10:11], -v[12:13]
	v_fma_f64 v[12:13], v[15:16], s[14:15], v[10:11]
	v_add_f64 v[10:11], v[19:20], v[12:13]
	v_add_f64 v[17:18], v[10:11], -v[19:20]
	v_add_f64 v[12:13], v[12:13], -v[17:18]
.LBB19_1682:
	s_or_b32 exec_lo, exec_lo, s0
	v_mul_f64 v[15:16], v[10:11], v[10:11]
	v_add_f64 v[17:18], v[12:13], v[12:13]
	s_mov_b32 s14, 0xa9a29f71
	s_mov_b32 s16, 0xc751c08c
	;; [unrolled: 1-line block ×4, first 2 shown]
	v_cmp_class_f64_e64 s0, v[8:9], 0x1f8
	v_and_b32_e32 v1, 1, v1
	v_and_b32_e32 v9, 0x80000000, v9
	v_sub_f32_e32 v14, 1.0, v14
	s_mov_b32 s1, exec_lo
	v_cmp_eq_u32_e32 vcc_lo, 0, v1
	v_fma_f64 v[19:20], v[10:11], v[10:11], -v[15:16]
	v_fma_f64 v[17:18], v[10:11], v[17:18], v[19:20]
	v_add_f64 v[15:16], v[15:16], v[17:18]
	v_fma_f64 v[17:18], v[15:16], s[16:17], s[14:15]
	s_mov_b32 s14, 0x90a8aae0
	s_mov_b32 s15, 0x3f17746f
	v_fma_f64 v[17:18], v[15:16], v[17:18], s[14:15]
	s_mov_b32 s14, 0xa6fbf144
	s_mov_b32 s15, 0xbefbb44d
	;; [unrolled: 3-line block ×13, first 2 shown]
	v_mul_f64 v[15:16], v[15:16], v[17:18]
	v_mul_f64 v[17:18], v[10:11], v[15:16]
	v_add_f64 v[19:20], v[10:11], v[17:18]
	v_fma_f64 v[15:16], v[10:11], v[15:16], -v[17:18]
	v_add_f64 v[10:11], v[19:20], -v[10:11]
	v_add_f64 v[12:13], v[12:13], v[15:16]
	v_add_f64 v[10:11], v[17:18], -v[10:11]
	v_add_f64 v[10:11], v[12:13], v[10:11]
	v_add_f64 v[12:13], v[19:20], v[10:11]
	v_rcp_f64_e32 v[15:16], v[12:13]
	v_fma_f64 v[17:18], -v[12:13], v[15:16], 1.0
	v_fma_f64 v[15:16], v[17:18], v[15:16], v[15:16]
	v_fma_f64 v[17:18], -v[12:13], v[15:16], 1.0
	v_fma_f64 v[15:16], v[17:18], v[15:16], v[15:16]
	v_add_f64 v[17:18], v[12:13], -v[19:20]
	v_mul_f64 v[19:20], v[12:13], v[15:16]
	v_add_f64 v[10:11], v[10:11], -v[17:18]
	v_fma_f64 v[17:18], v[15:16], v[12:13], -v[19:20]
	v_fma_f64 v[10:11], v[15:16], v[10:11], v[17:18]
	v_add_f64 v[17:18], v[19:20], v[10:11]
	v_add_f64 v[21:22], -v[17:18], 1.0
	v_add_f64 v[19:20], v[17:18], -v[19:20]
	v_add_f64 v[23:24], -v[21:22], 1.0
	v_add_f64 v[10:11], v[19:20], -v[10:11]
	v_add_f64 v[17:18], v[23:24], -v[17:18]
	v_add_f64 v[10:11], v[10:11], v[17:18]
	v_add_f64 v[10:11], v[21:22], v[10:11]
	v_mul_f64 v[10:11], v[15:16], v[10:11]
	v_add_f64 v[10:11], v[15:16], v[10:11]
	v_xor_b32_e32 v8, 0x80000000, v11
	v_cndmask_b32_e32 v1, v10, v12, vcc_lo
	v_cndmask_b32_e32 v8, v8, v13, vcc_lo
	v_xor_b32_e32 v9, v8, v9
	v_cndmask_b32_e64 v8, 0, v1, s0
	v_cndmask_b32_e64 v9, 0x7ff80000, v9, s0
	v_div_scale_f64 v[10:11], null, v[8:9], v[8:9], s[14:15]
	v_rcp_f64_e32 v[12:13], v[10:11]
	v_fma_f64 v[15:16], -v[10:11], v[12:13], 1.0
	v_fma_f64 v[12:13], v[12:13], v[15:16], v[12:13]
	v_fma_f64 v[15:16], -v[10:11], v[12:13], 1.0
	v_fma_f64 v[12:13], v[12:13], v[15:16], v[12:13]
	v_div_scale_f64 v[15:16], vcc_lo, s[14:15], v[8:9], s[14:15]
	v_mul_f64 v[17:18], v[15:16], v[12:13]
	v_fma_f64 v[10:11], -v[10:11], v[17:18], v[15:16]
	v_div_fmas_f64 v[10:11], v[10:11], v[12:13], v[17:18]
	v_div_fixup_f64 v[8:9], v[10:11], v[8:9], s[14:15]
	v_cvt_f32_f64_e32 v8, v[8:9]
.LBB19_1683:
	s_or_b32 exec_lo, exec_lo, s7
	s_orn2_b32 s0, s1, exec_lo
.LBB19_1684:
	s_or_b32 exec_lo, exec_lo, s6
	v_mov_b32_e32 v1, 0x7fc00000
	s_and_saveexec_b32 s6, s0
	s_cbranch_execz .LBB19_1696
; %bb.1685:
	s_mov_b32 s0, exec_lo
	v_cmpx_gt_f32_e32 0x41200000, v14
	s_cbranch_execz .LBB19_1689
; %bb.1686:
	s_mov_b32 s1, 0
	.p2align	6
.LBB19_1687:                            ; =>This Inner Loop Header: Depth=1
	v_div_scale_f32 v1, null, v14, v14, 1.0
	v_div_scale_f32 v11, vcc_lo, 1.0, v14, 1.0
	v_rcp_f32_e32 v9, v1
	v_fma_f32 v10, -v1, v9, 1.0
	v_fmac_f32_e32 v9, v10, v9
	v_mul_f32_e32 v10, v11, v9
	v_fma_f32 v12, -v1, v10, v11
	v_fmac_f32_e32 v10, v12, v9
	v_fma_f32 v1, -v1, v10, v11
	v_div_fmas_f32 v1, v1, v9, v10
	v_div_fixup_f32 v1, v1, v14, 1.0
	v_add_f32_e32 v14, 1.0, v14
	v_sub_f32_e32 v8, v8, v1
	v_cmp_ngt_f32_e32 vcc_lo, 0x41200000, v14
	s_or_b32 s1, vcc_lo, s1
	s_andn2_b32 exec_lo, exec_lo, s1
	s_cbranch_execnz .LBB19_1687
; %bb.1688:
	s_or_b32 exec_lo, exec_lo, s1
.LBB19_1689:
	s_or_b32 exec_lo, exec_lo, s0
                                        ; implicit-def: $vgpr1
	s_mov_b32 s0, exec_lo
	v_cmpx_neq_f32_e32 0x41200000, v14
	s_xor_b32 s7, exec_lo, s0
	s_cbranch_execz .LBB19_1693
; %bb.1690:
	v_cvt_f64_f32_e32 v[9:10], v14
	s_mov_b32 s0, 0x85d8a000
	s_mov_b32 s1, 0x43763457
	v_mov_b32_e32 v1, 0
	v_cmp_gt_f64_e32 vcc_lo, s[0:1], v[9:10]
	s_and_saveexec_b32 s0, vcc_lo
	s_cbranch_execz .LBB19_1692
; %bb.1691:
	v_mul_f32_e32 v1, v14, v14
	v_div_scale_f32 v9, null, v1, v1, 1.0
	v_rcp_f32_e32 v10, v9
	v_fma_f32 v11, -v9, v10, 1.0
	v_fmac_f32_e32 v10, v11, v10
	v_div_scale_f32 v11, vcc_lo, 1.0, v1, 1.0
	v_mul_f32_e32 v12, v11, v10
	v_fma_f32 v13, -v9, v12, v11
	v_fmac_f32_e32 v12, v13, v10
	v_fma_f32 v9, -v9, v12, v11
	v_div_fmas_f32 v9, v9, v10, v12
	v_div_fixup_f32 v1, v9, v1, 1.0
	v_fmaak_f32 v9, 0, v1, 0x3daaaaab
	v_fmaak_f32 v9, v1, v9, 0xbcaccacd
	;; [unrolled: 1-line block ×7, first 2 shown]
	v_mul_f32_e32 v1, v1, v9
.LBB19_1692:
	s_or_b32 exec_lo, exec_lo, s0
	v_cmp_gt_f32_e32 vcc_lo, 0x800000, v14
	v_div_scale_f32 v9, null, v14, v14, -0.5
	v_div_scale_f32 v13, s0, -0.5, v14, -0.5
	v_cndmask_b32_e64 v10, 0, 32, vcc_lo
	v_rcp_f32_e32 v11, v9
	v_ldexp_f32 v10, v14, v10
	v_log_f32_e32 v10, v10
	v_fma_f32 v12, -v9, v11, 1.0
	v_fmac_f32_e32 v11, v12, v11
	v_mul_f32_e32 v12, 0x3f317217, v10
	v_mul_f32_e32 v15, v13, v11
	v_cmp_gt_f32_e64 s1, 0x7f800000, |v10|
	v_fma_f32 v12, 0x3f317217, v10, -v12
	v_fma_f32 v16, -v9, v15, v13
	v_fmamk_f32 v12, v10, 0x3377d1cf, v12
	v_fmac_f32_e32 v15, v16, v11
	v_fmac_f32_e32 v12, 0x3f317217, v10
	v_fma_f32 v9, -v9, v15, v13
	v_cndmask_b32_e64 v10, v10, v12, s1
	v_cndmask_b32_e64 v12, 0, 0x41b17218, vcc_lo
	s_mov_b32 vcc_lo, s0
	v_div_fmas_f32 v9, v9, v11, v15
	v_sub_f32_e32 v10, v10, v12
	v_div_fixup_f32 v9, v9, v14, -0.5
	v_add_f32_e32 v9, v10, v9
	v_sub_f32_e32 v1, v9, v1
	v_add_f32_e32 v1, v8, v1
                                        ; implicit-def: $vgpr8
.LBB19_1693:
	s_andn2_saveexec_b32 s0, s7
; %bb.1694:
	v_add_f32_e32 v1, 0x40101cb7, v8
; %bb.1695:
	s_or_b32 exec_lo, exec_lo, s0
.LBB19_1696:
	s_or_b32 exec_lo, exec_lo, s6
                                        ; implicit-def: $vgpr14
.LBB19_1697:
	s_andn2_saveexec_b32 s0, s5
; %bb.1698:
	v_xor_b32_e32 v1, 0x80000000, v14
	s_mov_b32 s1, 0x7f800000
	v_bfi_b32 v1, 0x7fffffff, s1, v1
; %bb.1699:
	s_or_b32 exec_lo, exec_lo, s0
	v_add_co_u32 v7, s0, s10, v7
	v_add_co_ci_u32_e64 v8, null, s11, 0, s0
	s_cmp_lt_i32 s4, 11
	s_cbranch_scc1 .LBB19_1706
; %bb.1700:
	s_and_b32 s0, 0xffff, s4
	s_mov_b32 s5, 0
	s_cmp_gt_i32 s0, 25
	s_cbranch_scc0 .LBB19_1707
; %bb.1701:
	s_cmp_gt_i32 s0, 28
	s_cbranch_scc0 .LBB19_1708
; %bb.1702:
	;; [unrolled: 3-line block ×4, first 2 shown]
	s_cmp_eq_u32 s0, 46
	s_mov_b32 s7, 0
	s_cbranch_scc0 .LBB19_1712
; %bb.1705:
	global_load_dword v9, v[7:8], off
	s_mov_b32 s1, 0
	s_mov_b32 s6, -1
	s_waitcnt vmcnt(0)
	v_lshlrev_b32_e32 v13, 16, v9
	s_branch .LBB19_1714
.LBB19_1706:
	s_mov_b32 s0, -1
	s_mov_b32 s6, 0
                                        ; implicit-def: $vgpr13
	s_branch .LBB19_1780
.LBB19_1707:
	s_mov_b32 s7, -1
	s_mov_b32 s6, 0
	s_mov_b32 s1, 0
                                        ; implicit-def: $vgpr13
	s_branch .LBB19_1743
.LBB19_1708:
	s_mov_b32 s7, -1
	s_mov_b32 s6, 0
	s_mov_b32 s1, 0
                                        ; implicit-def: $vgpr13
	s_branch .LBB19_1724
.LBB19_1709:
	s_mov_b32 s7, -1
	s_mov_b32 s6, 0
	s_mov_b32 s1, 0
                                        ; implicit-def: $vgpr13
	s_branch .LBB19_1719
.LBB19_1710:
	s_or_b32 s2, s2, exec_lo
	s_trap 2
	s_cbranch_execz .LBB19_1625
	s_branch .LBB19_1626
.LBB19_1711:
	s_mov_b32 s7, -1
	s_mov_b32 s6, 0
	s_mov_b32 s1, 0
	s_branch .LBB19_1713
.LBB19_1712:
	s_mov_b32 s1, -1
	s_mov_b32 s6, 0
.LBB19_1713:
                                        ; implicit-def: $vgpr13
.LBB19_1714:
	s_and_b32 vcc_lo, exec_lo, s7
	s_cbranch_vccz .LBB19_1718
; %bb.1715:
	s_cmp_eq_u32 s0, 44
	s_cbranch_scc0 .LBB19_1717
; %bb.1716:
	global_load_ubyte v9, v[7:8], off
	s_mov_b32 s1, 0
	s_mov_b32 s6, -1
	s_waitcnt vmcnt(0)
	v_lshlrev_b32_e32 v10, 23, v9
	v_cmp_ne_u32_e32 vcc_lo, 0xff, v9
	v_cndmask_b32_e32 v10, 0x7f800001, v10, vcc_lo
	v_cmp_ne_u32_e32 vcc_lo, 0, v9
	v_cndmask_b32_e32 v13, 0x400000, v10, vcc_lo
	s_branch .LBB19_1718
.LBB19_1717:
	s_mov_b32 s1, -1
                                        ; implicit-def: $vgpr13
.LBB19_1718:
	s_mov_b32 s7, 0
.LBB19_1719:
	s_and_b32 vcc_lo, exec_lo, s7
	s_cbranch_vccz .LBB19_1723
; %bb.1720:
	s_cmp_eq_u32 s0, 29
	s_cbranch_scc0 .LBB19_1722
; %bb.1721:
	global_load_dwordx2 v[9:10], v[7:8], off
	s_mov_b32 s1, 0
	s_mov_b32 s6, -1
	s_mov_b32 s7, 0
	s_waitcnt vmcnt(0)
	v_ffbh_u32_e32 v11, v10
	v_min_u32_e32 v11, 32, v11
	v_lshlrev_b64 v[9:10], v11, v[9:10]
	v_min_u32_e32 v9, 1, v9
	v_or_b32_e32 v9, v10, v9
	v_sub_nc_u32_e32 v10, 32, v11
	v_cvt_f32_u32_e32 v9, v9
	v_ldexp_f32 v13, v9, v10
	s_branch .LBB19_1724
.LBB19_1722:
	s_mov_b32 s1, -1
                                        ; implicit-def: $vgpr13
.LBB19_1723:
	s_mov_b32 s7, 0
.LBB19_1724:
	s_and_b32 vcc_lo, exec_lo, s7
	s_cbranch_vccz .LBB19_1742
; %bb.1725:
	s_cmp_lt_i32 s0, 27
	s_cbranch_scc1 .LBB19_1728
; %bb.1726:
	s_cmp_gt_i32 s0, 27
	s_cbranch_scc0 .LBB19_1729
; %bb.1727:
	global_load_dword v9, v[7:8], off
	s_mov_b32 s6, 0
	s_waitcnt vmcnt(0)
	v_cvt_f32_u32_e32 v13, v9
	s_branch .LBB19_1730
.LBB19_1728:
	s_mov_b32 s6, -1
                                        ; implicit-def: $vgpr13
	s_branch .LBB19_1733
.LBB19_1729:
	s_mov_b32 s6, -1
                                        ; implicit-def: $vgpr13
.LBB19_1730:
	s_andn2_b32 vcc_lo, exec_lo, s6
	s_cbranch_vccnz .LBB19_1732
; %bb.1731:
	global_load_ushort v9, v[7:8], off
	s_waitcnt vmcnt(0)
	v_cvt_f32_u32_e32 v13, v9
.LBB19_1732:
	s_mov_b32 s6, 0
.LBB19_1733:
	s_andn2_b32 vcc_lo, exec_lo, s6
	s_cbranch_vccnz .LBB19_1741
; %bb.1734:
	global_load_ubyte v9, v[7:8], off
	s_mov_b32 s6, 0
	s_mov_b32 s7, exec_lo
	s_waitcnt vmcnt(0)
	v_cmpx_lt_i16_e32 0x7f, v9
	s_xor_b32 s7, exec_lo, s7
	s_cbranch_execz .LBB19_1755
; %bb.1735:
	s_mov_b32 s6, -1
	s_mov_b32 s10, exec_lo
	v_cmpx_eq_u16_e32 0x80, v9
; %bb.1736:
	s_xor_b32 s6, exec_lo, -1
; %bb.1737:
	s_or_b32 exec_lo, exec_lo, s10
	s_and_b32 s6, s6, exec_lo
	s_or_saveexec_b32 s7, s7
	v_mov_b32_e32 v13, 0x7f800001
	s_xor_b32 exec_lo, exec_lo, s7
	s_cbranch_execnz .LBB19_1756
.LBB19_1738:
	s_or_b32 exec_lo, exec_lo, s7
	s_and_saveexec_b32 s7, s6
	s_cbranch_execz .LBB19_1740
.LBB19_1739:
	v_and_b32_e32 v10, 0xffff, v9
	v_lshlrev_b32_e32 v9, 24, v9
	v_and_b32_e32 v11, 7, v10
	v_bfe_u32 v14, v10, 3, 4
	v_and_b32_e32 v9, 0x80000000, v9
	v_ffbh_u32_e32 v12, v11
	v_cmp_eq_u32_e32 vcc_lo, 0, v14
	v_min_u32_e32 v12, 32, v12
	v_subrev_nc_u32_e32 v13, 28, v12
	v_sub_nc_u32_e32 v12, 29, v12
	v_lshlrev_b32_e32 v10, v13, v10
	v_cndmask_b32_e32 v12, v14, v12, vcc_lo
	v_and_b32_e32 v10, 7, v10
	v_cndmask_b32_e32 v10, v11, v10, vcc_lo
	v_lshl_add_u32 v11, v12, 23, 0x3b800000
	v_lshlrev_b32_e32 v10, 20, v10
	v_or3_b32 v13, v9, v11, v10
.LBB19_1740:
	s_or_b32 exec_lo, exec_lo, s7
.LBB19_1741:
	s_mov_b32 s6, -1
.LBB19_1742:
	s_mov_b32 s7, 0
.LBB19_1743:
	s_and_b32 vcc_lo, exec_lo, s7
	s_cbranch_vccz .LBB19_1776
; %bb.1744:
	s_cmp_gt_i32 s0, 22
	s_cbranch_scc0 .LBB19_1754
; %bb.1745:
	s_cmp_lt_i32 s0, 24
	s_cbranch_scc1 .LBB19_1757
; %bb.1746:
	s_cmp_gt_i32 s0, 24
	s_cbranch_scc0 .LBB19_1758
; %bb.1747:
	global_load_ubyte v9, v[7:8], off
	s_mov_b32 s6, exec_lo
	s_waitcnt vmcnt(0)
	v_cmpx_lt_i16_e32 0x7f, v9
	s_xor_b32 s6, exec_lo, s6
	s_cbranch_execz .LBB19_1770
; %bb.1748:
	s_mov_b32 s5, -1
	s_mov_b32 s7, exec_lo
	v_cmpx_eq_u16_e32 0x80, v9
; %bb.1749:
	s_xor_b32 s5, exec_lo, -1
; %bb.1750:
	s_or_b32 exec_lo, exec_lo, s7
	s_and_b32 s5, s5, exec_lo
	s_or_saveexec_b32 s6, s6
	v_mov_b32_e32 v13, 0x7f800001
	s_xor_b32 exec_lo, exec_lo, s6
	s_cbranch_execnz .LBB19_1771
.LBB19_1751:
	s_or_b32 exec_lo, exec_lo, s6
	s_and_saveexec_b32 s6, s5
	s_cbranch_execz .LBB19_1753
.LBB19_1752:
	v_and_b32_e32 v10, 0xffff, v9
	v_lshlrev_b32_e32 v9, 24, v9
	v_and_b32_e32 v11, 3, v10
	v_bfe_u32 v14, v10, 2, 5
	v_and_b32_e32 v9, 0x80000000, v9
	v_ffbh_u32_e32 v12, v11
	v_cmp_eq_u32_e32 vcc_lo, 0, v14
	v_min_u32_e32 v12, 32, v12
	v_subrev_nc_u32_e32 v13, 29, v12
	v_sub_nc_u32_e32 v12, 30, v12
	v_lshlrev_b32_e32 v10, v13, v10
	v_cndmask_b32_e32 v12, v14, v12, vcc_lo
	v_and_b32_e32 v10, 3, v10
	v_cndmask_b32_e32 v10, v11, v10, vcc_lo
	v_lshl_add_u32 v11, v12, 23, 0x37800000
	v_lshlrev_b32_e32 v10, 21, v10
	v_or3_b32 v13, v9, v11, v10
.LBB19_1753:
	s_or_b32 exec_lo, exec_lo, s6
	s_mov_b32 s5, 0
	s_branch .LBB19_1759
.LBB19_1754:
	s_mov_b32 s5, -1
                                        ; implicit-def: $vgpr13
	s_branch .LBB19_1765
.LBB19_1755:
	s_or_saveexec_b32 s7, s7
	v_mov_b32_e32 v13, 0x7f800001
	s_xor_b32 exec_lo, exec_lo, s7
	s_cbranch_execz .LBB19_1738
.LBB19_1756:
	v_cmp_ne_u16_e32 vcc_lo, 0, v9
	v_mov_b32_e32 v13, 0
	s_andn2_b32 s6, s6, exec_lo
	s_and_b32 s10, vcc_lo, exec_lo
	s_or_b32 s6, s6, s10
	s_or_b32 exec_lo, exec_lo, s7
	s_and_saveexec_b32 s7, s6
	s_cbranch_execnz .LBB19_1739
	s_branch .LBB19_1740
.LBB19_1757:
	s_mov_b32 s5, -1
                                        ; implicit-def: $vgpr13
	s_branch .LBB19_1762
.LBB19_1758:
	s_mov_b32 s5, -1
                                        ; implicit-def: $vgpr13
.LBB19_1759:
	s_and_b32 vcc_lo, exec_lo, s5
	s_cbranch_vccz .LBB19_1761
; %bb.1760:
	global_load_ubyte v9, v[7:8], off
	s_waitcnt vmcnt(0)
	v_lshlrev_b32_e32 v9, 24, v9
	v_and_b32_e32 v10, 0x7f000000, v9
	v_ffbh_u32_e32 v11, v10
	v_add_nc_u32_e32 v13, 0x1000000, v10
	v_cmp_ne_u32_e32 vcc_lo, 0, v10
	v_min_u32_e32 v11, 32, v11
	v_sub_nc_u32_e64 v11, v11, 4 clamp
	v_lshlrev_b32_e32 v12, v11, v10
	v_lshlrev_b32_e32 v11, 23, v11
	v_lshrrev_b32_e32 v12, 4, v12
	v_sub_nc_u32_e32 v11, v12, v11
	v_ashrrev_i32_e32 v12, 8, v13
	v_add_nc_u32_e32 v11, 0x3c000000, v11
	v_and_or_b32 v11, 0x7f800000, v12, v11
	v_cndmask_b32_e32 v10, 0, v11, vcc_lo
	v_and_or_b32 v13, 0x80000000, v9, v10
.LBB19_1761:
	s_mov_b32 s5, 0
.LBB19_1762:
	s_andn2_b32 vcc_lo, exec_lo, s5
	s_cbranch_vccnz .LBB19_1764
; %bb.1763:
	global_load_ubyte v9, v[7:8], off
	s_waitcnt vmcnt(0)
	v_lshlrev_b32_e32 v10, 25, v9
	v_lshlrev_b16 v9, 8, v9
	v_lshrrev_b32_e32 v11, 4, v10
	v_and_or_b32 v12, 0x7f00, v9, 0.5
	v_cmp_gt_u32_e32 vcc_lo, 0x8000000, v10
	v_bfe_i32 v9, v9, 0, 16
	v_or_b32_e32 v11, 0x70000000, v11
	v_add_f32_e32 v12, -0.5, v12
	v_mul_f32_e32 v11, 0x7800000, v11
	v_cndmask_b32_e32 v10, v11, v12, vcc_lo
	v_and_or_b32 v13, 0x80000000, v9, v10
.LBB19_1764:
	s_mov_b32 s5, 0
	s_mov_b32 s6, -1
.LBB19_1765:
	s_andn2_b32 vcc_lo, exec_lo, s5
	s_mov_b32 s5, 0
	s_cbranch_vccnz .LBB19_1776
; %bb.1766:
	s_cmp_gt_i32 s0, 14
	s_cbranch_scc0 .LBB19_1769
; %bb.1767:
	s_cmp_eq_u32 s0, 15
	s_cbranch_scc0 .LBB19_1772
; %bb.1768:
	global_load_ushort v9, v[7:8], off
	s_mov_b32 s1, 0
	s_mov_b32 s6, -1
	s_waitcnt vmcnt(0)
	v_lshlrev_b32_e32 v13, 16, v9
	s_branch .LBB19_1774
.LBB19_1769:
	s_mov_b32 s5, -1
	s_branch .LBB19_1773
.LBB19_1770:
	s_or_saveexec_b32 s6, s6
	v_mov_b32_e32 v13, 0x7f800001
	s_xor_b32 exec_lo, exec_lo, s6
	s_cbranch_execz .LBB19_1751
.LBB19_1771:
	v_cmp_ne_u16_e32 vcc_lo, 0, v9
	v_mov_b32_e32 v13, 0
	s_andn2_b32 s5, s5, exec_lo
	s_and_b32 s7, vcc_lo, exec_lo
	s_or_b32 s5, s5, s7
	s_or_b32 exec_lo, exec_lo, s6
	s_and_saveexec_b32 s6, s5
	s_cbranch_execnz .LBB19_1752
	s_branch .LBB19_1753
.LBB19_1772:
	s_mov_b32 s1, -1
.LBB19_1773:
                                        ; implicit-def: $vgpr13
.LBB19_1774:
	s_and_b32 vcc_lo, exec_lo, s5
	s_mov_b32 s5, 0
	s_cbranch_vccz .LBB19_1776
; %bb.1775:
	s_cmp_lg_u32 s0, 11
	s_mov_b32 s5, -1
	s_cselect_b32 s1, -1, 0
.LBB19_1776:
	s_and_b32 vcc_lo, exec_lo, s1
	s_cbranch_vccnz .LBB19_2334
; %bb.1777:
	s_andn2_b32 vcc_lo, exec_lo, s5
	s_cbranch_vccnz .LBB19_1779
.LBB19_1778:
	global_load_ubyte v9, v[7:8], off
	s_mov_b32 s6, -1
	s_waitcnt vmcnt(0)
	v_cmp_ne_u16_e32 vcc_lo, 0, v9
	v_cndmask_b32_e64 v13, 0, 1.0, vcc_lo
.LBB19_1779:
	s_mov_b32 s0, 0
.LBB19_1780:
	s_and_b32 vcc_lo, exec_lo, s0
	s_cbranch_vccz .LBB19_1829
; %bb.1781:
	s_and_b32 s0, 0xffff, s4
	s_cmp_lt_i32 s0, 5
	s_cbranch_scc1 .LBB19_1786
; %bb.1782:
	s_cmp_lt_i32 s0, 8
	s_cbranch_scc1 .LBB19_1787
; %bb.1783:
	;; [unrolled: 3-line block ×3, first 2 shown]
	s_cmp_gt_i32 s0, 9
	s_cbranch_scc0 .LBB19_1789
; %bb.1785:
	global_load_dwordx2 v[9:10], v[7:8], off
	s_mov_b32 s1, 0
	s_waitcnt vmcnt(0)
	v_cvt_f32_f64_e32 v13, v[9:10]
	s_branch .LBB19_1790
.LBB19_1786:
	s_mov_b32 s1, -1
                                        ; implicit-def: $vgpr13
	s_branch .LBB19_1808
.LBB19_1787:
	s_mov_b32 s1, -1
                                        ; implicit-def: $vgpr13
	s_branch .LBB19_1796
.LBB19_1788:
	s_mov_b32 s1, -1
                                        ; implicit-def: $vgpr13
	s_branch .LBB19_1793
.LBB19_1789:
	s_mov_b32 s1, -1
                                        ; implicit-def: $vgpr13
.LBB19_1790:
	s_andn2_b32 vcc_lo, exec_lo, s1
	s_cbranch_vccnz .LBB19_1792
; %bb.1791:
	global_load_dword v13, v[7:8], off
.LBB19_1792:
	s_mov_b32 s1, 0
.LBB19_1793:
	s_andn2_b32 vcc_lo, exec_lo, s1
	s_cbranch_vccnz .LBB19_1795
; %bb.1794:
	global_load_dword v9, v[7:8], off
	s_waitcnt vmcnt(0)
	v_cvt_f32_f16_e32 v13, v9
.LBB19_1795:
	s_mov_b32 s1, 0
.LBB19_1796:
	s_andn2_b32 vcc_lo, exec_lo, s1
	s_cbranch_vccnz .LBB19_1807
; %bb.1797:
	s_cmp_lt_i32 s0, 6
	s_cbranch_scc1 .LBB19_1800
; %bb.1798:
	s_cmp_gt_i32 s0, 6
	s_cbranch_scc0 .LBB19_1801
; %bb.1799:
	global_load_dwordx2 v[9:10], v[7:8], off
	s_mov_b32 s1, 0
	s_waitcnt vmcnt(0)
	v_cvt_f32_f64_e32 v13, v[9:10]
	s_branch .LBB19_1802
.LBB19_1800:
	s_mov_b32 s1, -1
                                        ; implicit-def: $vgpr13
	s_branch .LBB19_1805
.LBB19_1801:
	s_mov_b32 s1, -1
                                        ; implicit-def: $vgpr13
.LBB19_1802:
	s_andn2_b32 vcc_lo, exec_lo, s1
	s_cbranch_vccnz .LBB19_1804
; %bb.1803:
	global_load_dword v13, v[7:8], off
.LBB19_1804:
	s_mov_b32 s1, 0
.LBB19_1805:
	s_andn2_b32 vcc_lo, exec_lo, s1
	s_cbranch_vccnz .LBB19_1807
; %bb.1806:
	global_load_ushort v9, v[7:8], off
	s_waitcnt vmcnt(0)
	v_cvt_f32_f16_e32 v13, v9
.LBB19_1807:
	s_mov_b32 s1, 0
.LBB19_1808:
	s_andn2_b32 vcc_lo, exec_lo, s1
	s_cbranch_vccnz .LBB19_1828
; %bb.1809:
	s_cmp_lt_i32 s0, 2
	s_cbranch_scc1 .LBB19_1813
; %bb.1810:
	s_cmp_lt_i32 s0, 3
	s_cbranch_scc1 .LBB19_1814
; %bb.1811:
	s_cmp_gt_i32 s0, 3
	s_cbranch_scc0 .LBB19_1815
; %bb.1812:
	global_load_dwordx2 v[9:10], v[7:8], off
	s_mov_b32 s1, 0
	s_waitcnt vmcnt(0)
	v_xor_b32_e32 v11, v9, v10
	v_ffbh_i32_e32 v12, v10
	v_ashrrev_i32_e32 v11, 31, v11
	v_add_nc_u32_e32 v12, -1, v12
	v_add_nc_u32_e32 v11, 32, v11
	v_min_u32_e32 v11, v12, v11
	v_lshlrev_b64 v[9:10], v11, v[9:10]
	v_min_u32_e32 v9, 1, v9
	v_or_b32_e32 v9, v10, v9
	v_sub_nc_u32_e32 v10, 32, v11
	v_cvt_f32_i32_e32 v9, v9
	v_ldexp_f32 v13, v9, v10
	s_branch .LBB19_1816
.LBB19_1813:
	s_mov_b32 s1, -1
                                        ; implicit-def: $vgpr13
	s_branch .LBB19_1822
.LBB19_1814:
	s_mov_b32 s1, -1
                                        ; implicit-def: $vgpr13
	s_branch .LBB19_1819
.LBB19_1815:
	s_mov_b32 s1, -1
                                        ; implicit-def: $vgpr13
.LBB19_1816:
	s_andn2_b32 vcc_lo, exec_lo, s1
	s_cbranch_vccnz .LBB19_1818
; %bb.1817:
	global_load_dword v9, v[7:8], off
	s_waitcnt vmcnt(0)
	v_cvt_f32_i32_e32 v13, v9
.LBB19_1818:
	s_mov_b32 s1, 0
.LBB19_1819:
	s_andn2_b32 vcc_lo, exec_lo, s1
	s_cbranch_vccnz .LBB19_1821
; %bb.1820:
	global_load_sshort v9, v[7:8], off
	s_waitcnt vmcnt(0)
	v_cvt_f32_i32_e32 v13, v9
.LBB19_1821:
	s_mov_b32 s1, 0
.LBB19_1822:
	s_andn2_b32 vcc_lo, exec_lo, s1
	s_cbranch_vccnz .LBB19_1828
; %bb.1823:
	s_cmp_gt_i32 s0, 0
	s_mov_b32 s0, 0
	s_cbranch_scc0 .LBB19_1825
; %bb.1824:
	global_load_sbyte v9, v[7:8], off
	s_waitcnt vmcnt(0)
	v_cvt_f32_i32_e32 v13, v9
	s_branch .LBB19_1826
.LBB19_1825:
	s_mov_b32 s0, -1
                                        ; implicit-def: $vgpr13
.LBB19_1826:
	s_andn2_b32 vcc_lo, exec_lo, s0
	s_cbranch_vccnz .LBB19_1828
; %bb.1827:
	global_load_ubyte v7, v[7:8], off
	s_waitcnt vmcnt(0)
	v_cvt_f32_ubyte0_e32 v13, v7
.LBB19_1828:
	s_mov_b32 s6, -1
.LBB19_1829:
	s_andn2_b32 vcc_lo, exec_lo, s6
	s_cbranch_vccnz .LBB19_1932
; %bb.1830:
                                        ; implicit-def: $vgpr7
	s_mov_b32 s0, exec_lo
	s_waitcnt vmcnt(0)
	v_cmpx_neq_f32_e32 0, v13
	s_xor_b32 s4, exec_lo, s0
	s_cbranch_execz .LBB19_1852
; %bb.1831:
	v_mov_b32_e32 v8, 0
	s_mov_b32 s0, -1
	s_mov_b32 s5, exec_lo
	v_cmpx_gt_f32_e32 0, v13
	s_cbranch_execz .LBB19_1839
; %bb.1832:
	v_trunc_f32_e32 v7, v13
	v_mov_b32_e32 v8, 0
	s_mov_b32 s1, 0
	s_mov_b32 s6, exec_lo
	v_cmpx_neq_f32_e32 v13, v7
	s_cbranch_execz .LBB19_1838
; %bb.1833:
	v_cvt_f64_f32_e32 v[7:8], v13
	s_mov_b32 s1, 0xc00921fb
	s_mov_b32 s0, 0x54442d18
	s_mov_b32 s7, exec_lo
                                        ; implicit-def: $vgpr14
                                        ; implicit-def: $vgpr11_vgpr12
	v_trunc_f64_e32 v[9:10], v[7:8]
	v_cmp_neq_f64_e64 vcc_lo, 0x7ff00000, |v[7:8]|
	v_add_f64 v[9:10], v[7:8], -v[9:10]
	v_mul_f64 v[9:10], |v[9:10]|, s[0:1]
	v_cndmask_b32_e32 v8, 0x80000000, v10, vcc_lo
	v_cndmask_b32_e32 v7, 0, v9, vcc_lo
                                        ; implicit-def: $vgpr9_vgpr10
	v_cmpx_ngt_f64_e64 0x41d00000, |v[7:8]|
	s_xor_b32 s7, exec_lo, s7
	s_cbranch_execz .LBB19_1835
; %bb.1834:
	v_ldexp_f64 v[9:10], |v[7:8]|, 0xffffff80
	v_cmp_le_f64_e64 vcc_lo, 0x7b000000, |v[7:8]|
	v_trig_preop_f64 v[11:12], |v[7:8]|, 0
	v_and_b32_e32 v14, 0x7fffffff, v8
	v_trig_preop_f64 v[24:25], |v[7:8]|, 2
	v_mov_b32_e32 v32, 0
	s_mov_b32 s1, 0x3ff921fb
	s_mov_b32 s10, 0x33145c07
	;; [unrolled: 1-line block ×3, first 2 shown]
	v_cndmask_b32_e32 v10, v14, v10, vcc_lo
	v_cndmask_b32_e32 v9, v7, v9, vcc_lo
	v_trig_preop_f64 v[14:15], |v[7:8]|, 1
	v_mul_f64 v[16:17], v[11:12], v[9:10]
	v_mul_f64 v[30:31], v[24:25], v[9:10]
	;; [unrolled: 1-line block ×3, first 2 shown]
	v_fma_f64 v[11:12], v[11:12], v[9:10], -v[16:17]
	v_fma_f64 v[14:15], v[14:15], v[9:10], -v[18:19]
	;; [unrolled: 1-line block ×3, first 2 shown]
	v_add_f64 v[20:21], v[18:19], v[11:12]
	v_add_f64 v[22:23], v[20:21], -v[18:19]
	v_add_f64 v[28:29], v[16:17], v[20:21]
	v_add_f64 v[26:27], v[20:21], -v[22:23]
	v_add_f64 v[11:12], v[11:12], -v[22:23]
	v_ldexp_f64 v[22:23], v[28:29], -2
	v_add_f64 v[16:17], v[28:29], -v[16:17]
	v_add_f64 v[18:19], v[18:19], -v[26:27]
	v_add_f64 v[26:27], v[30:31], v[14:15]
	v_cmp_neq_f64_e64 vcc_lo, 0x7ff00000, |v[22:23]|
	v_add_f64 v[16:17], v[20:21], -v[16:17]
	v_add_f64 v[11:12], v[11:12], v[18:19]
	v_fract_f64_e32 v[18:19], v[22:23]
	v_add_f64 v[20:21], v[26:27], v[11:12]
	v_ldexp_f64 v[18:19], v[18:19], 2
	v_add_f64 v[22:23], v[16:17], v[20:21]
	v_cndmask_b32_e32 v19, 0, v19, vcc_lo
	v_cndmask_b32_e32 v18, 0, v18, vcc_lo
	v_add_f64 v[28:29], v[22:23], v[18:19]
	v_add_f64 v[16:17], v[22:23], -v[16:17]
	v_cmp_gt_f64_e32 vcc_lo, 0, v[28:29]
	v_add_f64 v[28:29], v[26:27], -v[30:31]
	v_cndmask_b32_e64 v33, 0, 0x40100000, vcc_lo
	v_add_f64 v[37:38], v[26:27], -v[28:29]
	v_add_f64 v[14:15], v[14:15], -v[28:29]
	v_add_f64 v[18:19], v[18:19], v[32:33]
	v_add_f64 v[33:34], v[20:21], -v[26:27]
	v_add_f64 v[28:29], v[30:31], -v[37:38]
	v_add_f64 v[35:36], v[22:23], v[18:19]
	;; [unrolled: 3-line block ×3, first 2 shown]
	v_cvt_i32_f64_e32 v35, v[35:36]
	v_add_f64 v[26:27], v[26:27], -v[39:40]
	v_cvt_f64_i32_e32 v[33:34], v35
	v_add_f64 v[11:12], v[11:12], v[26:27]
	v_add_f64 v[18:19], v[18:19], -v[33:34]
	v_add_f64 v[11:12], v[14:15], v[11:12]
	v_add_f64 v[14:15], v[20:21], -v[16:17]
	v_add_f64 v[24:25], v[22:23], v[18:19]
	v_add_f64 v[9:10], v[9:10], v[11:12]
	v_add_f64 v[11:12], v[24:25], -v[18:19]
	v_cmp_le_f64_e32 vcc_lo, 0.5, v[24:25]
	v_add_f64 v[9:10], v[14:15], v[9:10]
	v_add_f64 v[11:12], v[22:23], -v[11:12]
	v_cndmask_b32_e64 v33, 0, 0x3ff00000, vcc_lo
	v_add_co_ci_u32_e64 v14, null, 0, v35, vcc_lo
	v_add_f64 v[9:10], v[9:10], v[11:12]
	v_add_f64 v[11:12], v[24:25], -v[32:33]
	v_add_f64 v[15:16], v[11:12], v[9:10]
	v_mul_f64 v[17:18], v[15:16], s[0:1]
	v_add_f64 v[11:12], v[15:16], -v[11:12]
	v_fma_f64 v[19:20], v[15:16], s[0:1], -v[17:18]
	v_add_f64 v[9:10], v[9:10], -v[11:12]
	v_fma_f64 v[11:12], v[15:16], s[10:11], v[19:20]
	v_fma_f64 v[11:12], v[9:10], s[0:1], v[11:12]
	v_add_f64 v[9:10], v[17:18], v[11:12]
	v_add_f64 v[15:16], v[9:10], -v[17:18]
	v_add_f64 v[11:12], v[11:12], -v[15:16]
.LBB19_1835:
	s_andn2_saveexec_b32 s0, s7
	s_cbranch_execz .LBB19_1837
; %bb.1836:
	s_mov_b32 s10, 0x6dc9c883
	s_mov_b32 s11, 0x3fe45f30
	;; [unrolled: 1-line block ×3, first 2 shown]
	v_mul_f64 v[9:10], |v[7:8]|, s[10:11]
	s_mov_b32 s10, 0x54442d18
	s_mov_b32 s11, 0xbff921fb
	;; [unrolled: 1-line block ×3, first 2 shown]
	v_rndne_f64_e32 v[14:15], v[9:10]
	v_fma_f64 v[9:10], v[14:15], s[10:11], |v[7:8]|
	v_mul_f64 v[11:12], v[14:15], s[14:15]
	s_mov_b32 s10, 0x252049c0
	s_mov_b32 s11, 0xb97b839a
	v_fma_f64 v[18:19], v[14:15], s[14:15], v[9:10]
	v_add_f64 v[16:17], v[9:10], v[11:12]
	s_mov_b32 s15, 0x3c91a626
	v_add_f64 v[9:10], v[9:10], -v[16:17]
	v_add_f64 v[16:17], v[16:17], -v[18:19]
	v_add_f64 v[9:10], v[9:10], v[11:12]
	v_fma_f64 v[11:12], v[14:15], s[14:15], v[11:12]
	v_add_f64 v[9:10], v[16:17], v[9:10]
	v_add_f64 v[9:10], v[9:10], -v[11:12]
	v_fma_f64 v[11:12], v[14:15], s[10:11], v[9:10]
	v_cvt_i32_f64_e32 v14, v[14:15]
	v_add_f64 v[9:10], v[18:19], v[11:12]
	v_add_f64 v[16:17], v[9:10], -v[18:19]
	v_add_f64 v[11:12], v[11:12], -v[16:17]
.LBB19_1837:
	s_or_b32 exec_lo, exec_lo, s0
	v_mul_f64 v[15:16], v[9:10], v[9:10]
	v_add_f64 v[17:18], v[11:12], v[11:12]
	s_mov_b32 s10, 0xa9a29f71
	s_mov_b32 s14, 0xc751c08c
	;; [unrolled: 1-line block ×4, first 2 shown]
	v_cmp_class_f64_e64 s0, v[7:8], 0x1f8
	v_and_b32_e32 v14, 1, v14
	v_and_b32_e32 v8, 0x80000000, v8
	v_sub_f32_e32 v13, 1.0, v13
	s_mov_b32 s1, exec_lo
	v_cmp_eq_u32_e32 vcc_lo, 0, v14
	v_fma_f64 v[19:20], v[9:10], v[9:10], -v[15:16]
	v_fma_f64 v[17:18], v[9:10], v[17:18], v[19:20]
	v_add_f64 v[15:16], v[15:16], v[17:18]
	v_fma_f64 v[17:18], v[15:16], s[14:15], s[10:11]
	s_mov_b32 s10, 0x90a8aae0
	s_mov_b32 s11, 0x3f17746f
	v_fma_f64 v[17:18], v[15:16], v[17:18], s[10:11]
	s_mov_b32 s10, 0xa6fbf144
	s_mov_b32 s11, 0xbefbb44d
	;; [unrolled: 3-line block ×13, first 2 shown]
	v_mul_f64 v[15:16], v[15:16], v[17:18]
	v_mul_f64 v[17:18], v[9:10], v[15:16]
	v_add_f64 v[19:20], v[9:10], v[17:18]
	v_fma_f64 v[15:16], v[9:10], v[15:16], -v[17:18]
	v_add_f64 v[9:10], v[19:20], -v[9:10]
	v_add_f64 v[11:12], v[11:12], v[15:16]
	v_add_f64 v[9:10], v[17:18], -v[9:10]
	v_add_f64 v[9:10], v[11:12], v[9:10]
	v_add_f64 v[11:12], v[19:20], v[9:10]
	v_rcp_f64_e32 v[15:16], v[11:12]
	v_fma_f64 v[17:18], -v[11:12], v[15:16], 1.0
	v_fma_f64 v[15:16], v[17:18], v[15:16], v[15:16]
	v_fma_f64 v[17:18], -v[11:12], v[15:16], 1.0
	v_fma_f64 v[15:16], v[17:18], v[15:16], v[15:16]
	v_add_f64 v[17:18], v[11:12], -v[19:20]
	v_mul_f64 v[19:20], v[11:12], v[15:16]
	v_add_f64 v[9:10], v[9:10], -v[17:18]
	v_fma_f64 v[17:18], v[15:16], v[11:12], -v[19:20]
	v_fma_f64 v[9:10], v[15:16], v[9:10], v[17:18]
	v_add_f64 v[17:18], v[19:20], v[9:10]
	v_add_f64 v[21:22], -v[17:18], 1.0
	v_add_f64 v[19:20], v[17:18], -v[19:20]
	v_add_f64 v[23:24], -v[21:22], 1.0
	v_add_f64 v[9:10], v[19:20], -v[9:10]
	v_add_f64 v[17:18], v[23:24], -v[17:18]
	v_add_f64 v[9:10], v[9:10], v[17:18]
	v_add_f64 v[9:10], v[21:22], v[9:10]
	v_mul_f64 v[9:10], v[15:16], v[9:10]
	v_add_f64 v[9:10], v[15:16], v[9:10]
	v_xor_b32_e32 v7, 0x80000000, v10
	v_cndmask_b32_e32 v9, v9, v11, vcc_lo
	v_cndmask_b32_e32 v7, v7, v12, vcc_lo
	v_xor_b32_e32 v8, v7, v8
	v_cndmask_b32_e64 v7, 0, v9, s0
	v_cndmask_b32_e64 v8, 0x7ff80000, v8, s0
	v_div_scale_f64 v[9:10], null, v[7:8], v[7:8], s[10:11]
	v_rcp_f64_e32 v[11:12], v[9:10]
	v_fma_f64 v[14:15], -v[9:10], v[11:12], 1.0
	v_fma_f64 v[11:12], v[11:12], v[14:15], v[11:12]
	v_fma_f64 v[14:15], -v[9:10], v[11:12], 1.0
	v_fma_f64 v[11:12], v[11:12], v[14:15], v[11:12]
	v_div_scale_f64 v[14:15], vcc_lo, s[10:11], v[7:8], s[10:11]
	v_mul_f64 v[16:17], v[14:15], v[11:12]
	v_fma_f64 v[9:10], -v[9:10], v[16:17], v[14:15]
	v_div_fmas_f64 v[9:10], v[9:10], v[11:12], v[16:17]
	v_div_fixup_f64 v[7:8], v[9:10], v[7:8], s[10:11]
	v_cvt_f32_f64_e32 v8, v[7:8]
.LBB19_1838:
	s_or_b32 exec_lo, exec_lo, s6
	s_orn2_b32 s0, s1, exec_lo
.LBB19_1839:
	s_or_b32 exec_lo, exec_lo, s5
	v_mov_b32_e32 v7, 0x7fc00000
	s_and_saveexec_b32 s5, s0
	s_cbranch_execz .LBB19_1851
; %bb.1840:
	s_mov_b32 s0, exec_lo
	v_cmpx_gt_f32_e32 0x41200000, v13
	s_cbranch_execz .LBB19_1844
; %bb.1841:
	s_mov_b32 s1, 0
.LBB19_1842:                            ; =>This Inner Loop Header: Depth=1
	v_div_scale_f32 v7, null, v13, v13, 1.0
	v_div_scale_f32 v11, vcc_lo, 1.0, v13, 1.0
	v_rcp_f32_e32 v9, v7
	v_fma_f32 v10, -v7, v9, 1.0
	v_fmac_f32_e32 v9, v10, v9
	v_mul_f32_e32 v10, v11, v9
	v_fma_f32 v12, -v7, v10, v11
	v_fmac_f32_e32 v10, v12, v9
	v_fma_f32 v7, -v7, v10, v11
	v_div_fmas_f32 v7, v7, v9, v10
	v_div_fixup_f32 v7, v7, v13, 1.0
	v_add_f32_e32 v13, 1.0, v13
	v_sub_f32_e32 v8, v8, v7
	v_cmp_ngt_f32_e32 vcc_lo, 0x41200000, v13
	s_or_b32 s1, vcc_lo, s1
	s_andn2_b32 exec_lo, exec_lo, s1
	s_cbranch_execnz .LBB19_1842
; %bb.1843:
	s_or_b32 exec_lo, exec_lo, s1
.LBB19_1844:
	s_or_b32 exec_lo, exec_lo, s0
                                        ; implicit-def: $vgpr7
	s_mov_b32 s0, exec_lo
	v_cmpx_neq_f32_e32 0x41200000, v13
	s_xor_b32 s6, exec_lo, s0
	s_cbranch_execz .LBB19_1848
; %bb.1845:
	v_cvt_f64_f32_e32 v[9:10], v13
	s_mov_b32 s0, 0x85d8a000
	s_mov_b32 s1, 0x43763457
	v_mov_b32_e32 v7, 0
	v_cmp_gt_f64_e32 vcc_lo, s[0:1], v[9:10]
	s_and_saveexec_b32 s0, vcc_lo
	s_cbranch_execz .LBB19_1847
; %bb.1846:
	v_mul_f32_e32 v7, v13, v13
	v_div_scale_f32 v9, null, v7, v7, 1.0
	v_rcp_f32_e32 v10, v9
	v_fma_f32 v11, -v9, v10, 1.0
	v_fmac_f32_e32 v10, v11, v10
	v_div_scale_f32 v11, vcc_lo, 1.0, v7, 1.0
	v_mul_f32_e32 v12, v11, v10
	v_fma_f32 v14, -v9, v12, v11
	v_fmac_f32_e32 v12, v14, v10
	v_fma_f32 v9, -v9, v12, v11
	v_div_fmas_f32 v9, v9, v10, v12
	v_div_fixup_f32 v7, v9, v7, 1.0
	v_fmaak_f32 v9, 0, v7, 0x3daaaaab
	v_fmaak_f32 v9, v7, v9, 0xbcaccacd
	;; [unrolled: 1-line block ×7, first 2 shown]
	v_mul_f32_e32 v7, v7, v9
.LBB19_1847:
	s_or_b32 exec_lo, exec_lo, s0
	v_cmp_gt_f32_e32 vcc_lo, 0x800000, v13
	v_div_scale_f32 v9, null, v13, v13, -0.5
	v_div_scale_f32 v14, s0, -0.5, v13, -0.5
	v_cndmask_b32_e64 v10, 0, 32, vcc_lo
	v_rcp_f32_e32 v11, v9
	v_ldexp_f32 v10, v13, v10
	v_log_f32_e32 v10, v10
	v_fma_f32 v12, -v9, v11, 1.0
	v_fmac_f32_e32 v11, v12, v11
	v_mul_f32_e32 v12, 0x3f317217, v10
	v_mul_f32_e32 v15, v14, v11
	v_cmp_gt_f32_e64 s1, 0x7f800000, |v10|
	v_fma_f32 v12, 0x3f317217, v10, -v12
	v_fma_f32 v16, -v9, v15, v14
	v_fmamk_f32 v12, v10, 0x3377d1cf, v12
	v_fmac_f32_e32 v15, v16, v11
	v_fmac_f32_e32 v12, 0x3f317217, v10
	v_fma_f32 v9, -v9, v15, v14
	v_cndmask_b32_e64 v10, v10, v12, s1
	v_cndmask_b32_e64 v12, 0, 0x41b17218, vcc_lo
	s_mov_b32 vcc_lo, s0
	v_div_fmas_f32 v9, v9, v11, v15
	v_sub_f32_e32 v10, v10, v12
	v_div_fixup_f32 v9, v9, v13, -0.5
	v_add_f32_e32 v9, v10, v9
	v_sub_f32_e32 v7, v9, v7
	v_add_f32_e32 v7, v8, v7
                                        ; implicit-def: $vgpr8
.LBB19_1848:
	s_andn2_saveexec_b32 s0, s6
; %bb.1849:
	v_add_f32_e32 v7, 0x40101cb7, v8
; %bb.1850:
	s_or_b32 exec_lo, exec_lo, s0
.LBB19_1851:
	s_or_b32 exec_lo, exec_lo, s5
                                        ; implicit-def: $vgpr13
.LBB19_1852:
	s_andn2_saveexec_b32 s0, s4
; %bb.1853:
	v_xor_b32_e32 v7, 0x80000000, v13
	s_mov_b32 s1, 0x7f800000
	v_bfi_b32 v7, 0x7fffffff, s1, v7
; %bb.1854:
	s_or_b32 exec_lo, exec_lo, s0
	v_add_co_u32 v8, s0, s8, v6
	v_add_co_ci_u32_e64 v9, null, s9, 0, s0
	s_bfe_u32 s1, s3, 0x80008
	s_cmp_lt_i32 s1, 11
	s_cbranch_scc1 .LBB19_1977
; %bb.1855:
	s_and_b32 s4, 0xffff, s1
	s_mov_b32 s7, -1
	s_mov_b32 s5, 0
	s_cmp_gt_i32 s4, 25
	s_mov_b32 s6, 0
	s_mov_b32 s0, 0
	s_cbranch_scc0 .LBB19_1888
; %bb.1856:
	s_cmp_gt_i32 s4, 28
	s_cbranch_scc0 .LBB19_1871
; %bb.1857:
	s_cmp_gt_i32 s4, 43
	;; [unrolled: 3-line block ×3, first 2 shown]
	s_cbranch_scc0 .LBB19_1861
; %bb.1859:
	s_mov_b32 s0, -1
	s_mov_b32 s7, 0
	s_cmp_eq_u32 s4, 46
	s_cbranch_scc0 .LBB19_1861
; %bb.1860:
	v_bfe_u32 v6, v5, 16, 1
	v_cmp_o_f32_e32 vcc_lo, v5, v5
	v_mov_b32_e32 v10, 0x7fc0
	s_mov_b32 s0, 0
	s_mov_b32 s6, -1
	v_add3_u32 v6, v5, v6, 0x7fff
	v_cndmask_b32_sdwa v6, v10, v6, vcc_lo dst_sel:DWORD dst_unused:UNUSED_PAD src0_sel:DWORD src1_sel:WORD_1
	global_store_dword v[8:9], v6, off
.LBB19_1861:
	s_and_b32 vcc_lo, exec_lo, s7
	s_cbranch_vccz .LBB19_1866
; %bb.1862:
	s_cmp_eq_u32 s4, 44
	s_mov_b32 s0, -1
	s_cbranch_scc0 .LBB19_1866
; %bb.1863:
	v_bfe_u32 v10, v5, 23, 8
	v_mov_b32_e32 v6, 0xff
	s_mov_b32 s6, exec_lo
	v_cmpx_ne_u32_e32 0xff, v10
	s_cbranch_execz .LBB19_1865
; %bb.1864:
	v_and_b32_e32 v6, 0x400000, v5
	v_and_or_b32 v10, 0x3fffff, v5, v10
	v_cmp_ne_u32_e32 vcc_lo, 0, v6
	v_cmp_ne_u32_e64 s0, 0, v10
	v_lshrrev_b32_e32 v6, 23, v5
	s_and_b32 s0, vcc_lo, s0
	v_cndmask_b32_e64 v10, 0, 1, s0
	v_add_nc_u32_e32 v6, v6, v10
.LBB19_1865:
	s_or_b32 exec_lo, exec_lo, s6
	s_mov_b32 s0, 0
	s_mov_b32 s6, -1
	global_store_byte v[8:9], v6, off
.LBB19_1866:
	s_mov_b32 s7, 0
.LBB19_1867:
	s_and_b32 vcc_lo, exec_lo, s7
	s_cbranch_vccz .LBB19_1870
; %bb.1868:
	s_cmp_eq_u32 s4, 29
	s_mov_b32 s0, -1
	s_cbranch_scc0 .LBB19_1870
; %bb.1869:
	v_trunc_f32_e32 v6, v5
	s_mov_b32 s0, 0
	s_mov_b32 s6, -1
	v_mul_f32_e32 v10, 0x2f800000, v6
	v_floor_f32_e32 v10, v10
	v_fmamk_f32 v6, v10, 0xcf800000, v6
	v_cvt_u32_f32_e32 v11, v10
	v_cvt_u32_f32_e32 v10, v6
	global_store_dwordx2 v[8:9], v[10:11], off
.LBB19_1870:
	s_mov_b32 s7, 0
.LBB19_1871:
	s_and_b32 vcc_lo, exec_lo, s7
	s_cbranch_vccz .LBB19_1887
; %bb.1872:
	s_cmp_lt_i32 s4, 27
	s_mov_b32 s6, -1
	s_cbranch_scc1 .LBB19_1878
; %bb.1873:
	v_cvt_u32_f32_e32 v6, v5
	s_cmp_gt_i32 s4, 27
	s_cbranch_scc0 .LBB19_1875
; %bb.1874:
	s_mov_b32 s6, 0
	global_store_dword v[8:9], v6, off
.LBB19_1875:
	s_andn2_b32 vcc_lo, exec_lo, s6
	s_cbranch_vccnz .LBB19_1877
; %bb.1876:
	global_store_short v[8:9], v6, off
.LBB19_1877:
	s_mov_b32 s6, 0
.LBB19_1878:
	s_andn2_b32 vcc_lo, exec_lo, s6
	s_cbranch_vccnz .LBB19_1886
; %bb.1879:
	v_and_b32_e32 v6, 0x7fffffff, v5
	v_mov_b32_e32 v10, 0x80
	s_mov_b32 s6, exec_lo
	v_cmpx_gt_u32_e32 0x43800000, v6
	s_cbranch_execz .LBB19_1885
; %bb.1880:
	v_cmp_lt_u32_e32 vcc_lo, 0x3bffffff, v6
	s_mov_b32 s7, 0
                                        ; implicit-def: $vgpr6
	s_and_saveexec_b32 s10, vcc_lo
	s_xor_b32 s10, exec_lo, s10
	s_cbranch_execz .LBB19_2335
; %bb.1881:
	v_bfe_u32 v6, v5, 20, 1
	s_mov_b32 s7, exec_lo
	v_add3_u32 v6, v5, v6, 0x487ffff
	v_lshrrev_b32_e32 v6, 20, v6
	s_andn2_saveexec_b32 s10, s10
	s_cbranch_execnz .LBB19_2336
.LBB19_1882:
	s_or_b32 exec_lo, exec_lo, s10
	v_mov_b32_e32 v10, 0
	s_and_saveexec_b32 s10, s7
.LBB19_1883:
	v_lshrrev_b32_e32 v10, 24, v5
	v_and_or_b32 v10, 0x80, v10, v6
.LBB19_1884:
	s_or_b32 exec_lo, exec_lo, s10
.LBB19_1885:
	s_or_b32 exec_lo, exec_lo, s6
	global_store_byte v[8:9], v10, off
.LBB19_1886:
	s_mov_b32 s6, -1
.LBB19_1887:
	s_mov_b32 s7, 0
.LBB19_1888:
	s_and_b32 vcc_lo, exec_lo, s7
	s_cbranch_vccz .LBB19_1928
; %bb.1889:
	s_cmp_gt_i32 s4, 22
	s_mov_b32 s5, -1
	s_cbranch_scc0 .LBB19_1921
; %bb.1890:
	s_cmp_lt_i32 s4, 24
	s_cbranch_scc1 .LBB19_1910
; %bb.1891:
	s_cmp_gt_i32 s4, 24
	s_cbranch_scc0 .LBB19_1899
; %bb.1892:
	v_and_b32_e32 v6, 0x7fffffff, v5
	v_mov_b32_e32 v10, 0x80
	s_mov_b32 s5, exec_lo
	v_cmpx_gt_u32_e32 0x47800000, v6
	s_cbranch_execz .LBB19_1898
; %bb.1893:
	v_cmp_lt_u32_e32 vcc_lo, 0x37ffffff, v6
	s_mov_b32 s6, 0
                                        ; implicit-def: $vgpr6
	s_and_saveexec_b32 s7, vcc_lo
	s_xor_b32 s7, exec_lo, s7
	s_cbranch_execz .LBB19_2338
; %bb.1894:
	v_bfe_u32 v6, v5, 21, 1
	s_mov_b32 s6, exec_lo
	v_add3_u32 v6, v5, v6, 0x88fffff
	v_lshrrev_b32_e32 v6, 21, v6
	s_andn2_saveexec_b32 s7, s7
	s_cbranch_execnz .LBB19_2339
.LBB19_1895:
	s_or_b32 exec_lo, exec_lo, s7
	v_mov_b32_e32 v10, 0
	s_and_saveexec_b32 s7, s6
.LBB19_1896:
	v_lshrrev_b32_e32 v10, 24, v5
	v_and_or_b32 v10, 0x80, v10, v6
.LBB19_1897:
	s_or_b32 exec_lo, exec_lo, s7
.LBB19_1898:
	s_or_b32 exec_lo, exec_lo, s5
	s_mov_b32 s5, 0
	global_store_byte v[8:9], v10, off
.LBB19_1899:
	s_and_b32 vcc_lo, exec_lo, s5
	s_cbranch_vccz .LBB19_1909
; %bb.1900:
	v_and_b32_e32 v10, 0x7fffffff, v5
	s_mov_b32 s5, exec_lo
                                        ; implicit-def: $vgpr6
	v_cmpx_gt_u32_e32 0x43f00000, v10
	s_xor_b32 s5, exec_lo, s5
	s_cbranch_execz .LBB19_1906
; %bb.1901:
	s_mov_b32 s6, exec_lo
                                        ; implicit-def: $vgpr6
	v_cmpx_lt_u32_e32 0x3c7fffff, v10
	s_xor_b32 s6, exec_lo, s6
; %bb.1902:
	v_bfe_u32 v6, v5, 20, 1
	v_add3_u32 v6, v5, v6, 0x407ffff
	v_and_b32_e32 v10, 0xff00000, v6
	v_lshrrev_b32_e32 v6, 20, v6
	v_cmp_ne_u32_e32 vcc_lo, 0x7f00000, v10
	v_cndmask_b32_e32 v6, 0x7e, v6, vcc_lo
; %bb.1903:
	s_andn2_saveexec_b32 s6, s6
; %bb.1904:
	v_add_f32_e64 v6, 0x46800000, |v5|
; %bb.1905:
	s_or_b32 exec_lo, exec_lo, s6
                                        ; implicit-def: $vgpr10
.LBB19_1906:
	s_andn2_saveexec_b32 s5, s5
; %bb.1907:
	v_mov_b32_e32 v6, 0x7f
	v_cmp_lt_u32_e32 vcc_lo, 0x7f800000, v10
	v_cndmask_b32_e32 v6, 0x7e, v6, vcc_lo
; %bb.1908:
	s_or_b32 exec_lo, exec_lo, s5
	v_lshrrev_b32_e32 v10, 24, v5
	v_and_or_b32 v6, 0x80, v10, v6
	global_store_byte v[8:9], v6, off
.LBB19_1909:
	s_mov_b32 s5, 0
.LBB19_1910:
	s_andn2_b32 vcc_lo, exec_lo, s5
	s_cbranch_vccnz .LBB19_1920
; %bb.1911:
	v_and_b32_e32 v10, 0x7fffffff, v5
	s_mov_b32 s5, exec_lo
                                        ; implicit-def: $vgpr6
	v_cmpx_gt_u32_e32 0x47800000, v10
	s_xor_b32 s5, exec_lo, s5
	s_cbranch_execz .LBB19_1917
; %bb.1912:
	s_mov_b32 s6, exec_lo
                                        ; implicit-def: $vgpr6
	v_cmpx_lt_u32_e32 0x387fffff, v10
	s_xor_b32 s6, exec_lo, s6
; %bb.1913:
	v_bfe_u32 v6, v5, 21, 1
	v_add3_u32 v6, v5, v6, 0x80fffff
	v_lshrrev_b32_e32 v6, 21, v6
; %bb.1914:
	s_andn2_saveexec_b32 s6, s6
; %bb.1915:
	v_add_f32_e64 v6, 0x43000000, |v5|
; %bb.1916:
	s_or_b32 exec_lo, exec_lo, s6
                                        ; implicit-def: $vgpr10
.LBB19_1917:
	s_andn2_saveexec_b32 s5, s5
; %bb.1918:
	v_mov_b32_e32 v6, 0x7f
	v_cmp_lt_u32_e32 vcc_lo, 0x7f800000, v10
	v_cndmask_b32_e32 v6, 0x7c, v6, vcc_lo
; %bb.1919:
	s_or_b32 exec_lo, exec_lo, s5
	v_lshrrev_b32_e32 v10, 24, v5
	v_and_or_b32 v6, 0x80, v10, v6
	global_store_byte v[8:9], v6, off
.LBB19_1920:
	s_mov_b32 s5, 0
	s_mov_b32 s6, -1
.LBB19_1921:
	s_andn2_b32 vcc_lo, exec_lo, s5
	s_mov_b32 s5, 0
	s_cbranch_vccnz .LBB19_1928
; %bb.1922:
	s_cmp_gt_i32 s4, 14
	s_mov_b32 s5, -1
	s_cbranch_scc0 .LBB19_1926
; %bb.1923:
	s_cmp_eq_u32 s4, 15
	s_mov_b32 s0, -1
	s_cbranch_scc0 .LBB19_1925
; %bb.1924:
	v_bfe_u32 v6, v5, 16, 1
	v_cmp_o_f32_e32 vcc_lo, v5, v5
	v_mov_b32_e32 v10, 0x7fc0
	s_mov_b32 s0, 0
	s_mov_b32 s6, -1
	v_add3_u32 v6, v5, v6, 0x7fff
	v_cndmask_b32_sdwa v6, v10, v6, vcc_lo dst_sel:DWORD dst_unused:UNUSED_PAD src0_sel:DWORD src1_sel:WORD_1
	global_store_short v[8:9], v6, off
.LBB19_1925:
	s_mov_b32 s5, 0
.LBB19_1926:
	s_and_b32 vcc_lo, exec_lo, s5
	s_mov_b32 s5, 0
	s_cbranch_vccz .LBB19_1928
; %bb.1927:
	s_cmp_lg_u32 s4, 11
	s_mov_b32 s5, -1
	s_cselect_b32 s0, -1, 0
.LBB19_1928:
	s_and_b32 vcc_lo, exec_lo, s0
	s_cbranch_vccnz .LBB19_2337
; %bb.1929:
	s_andn2_b32 vcc_lo, exec_lo, s5
	s_cbranch_vccnz .LBB19_1931
.LBB19_1930:
	v_cmp_neq_f32_e32 vcc_lo, 0, v5
	s_mov_b32 s6, -1
	v_cndmask_b32_e64 v6, 0, 1, vcc_lo
	global_store_byte v[8:9], v6, off
.LBB19_1931:
	s_mov_b32 s0, 0
	s_branch .LBB19_1978
.LBB19_1932:
	s_mov_b32 s0, 0
	s_mov_b32 s4, 0
                                        ; implicit-def: $vgpr0_vgpr1
                                        ; implicit-def: $sgpr1
                                        ; implicit-def: $vgpr7
.LBB19_1933:
	s_andn2_b32 s3, s12, exec_lo
	s_and_b32 s2, s2, exec_lo
	s_and_b32 s0, s0, exec_lo
	;; [unrolled: 1-line block ×3, first 2 shown]
	s_or_b32 s12, s3, s2
.LBB19_1934:
	s_or_b32 exec_lo, exec_lo, s13
	s_and_saveexec_b32 s2, s12
	s_cbranch_execz .LBB19_1937
; %bb.1935:
	; divergent unreachable
	s_or_b32 exec_lo, exec_lo, s2
	s_and_saveexec_b32 s2, s26
	s_xor_b32 s2, exec_lo, s2
	s_cbranch_execnz .LBB19_1938
.LBB19_1936:
	s_or_b32 exec_lo, exec_lo, s2
	s_and_saveexec_b32 s2, s0
	s_cbranch_execnz .LBB19_1939
	s_branch .LBB19_1976
.LBB19_1937:
	s_or_b32 exec_lo, exec_lo, s2
	s_and_saveexec_b32 s2, s26
	s_xor_b32 s2, exec_lo, s2
	s_cbranch_execz .LBB19_1936
.LBB19_1938:
	s_waitcnt vmcnt(0)
	v_cmp_neq_f32_e32 vcc_lo, 0, v7
	v_cndmask_b32_e64 v2, 0, 1, vcc_lo
	global_store_byte v[0:1], v2, off
	s_or_b32 exec_lo, exec_lo, s2
	s_and_saveexec_b32 s2, s0
	s_cbranch_execz .LBB19_1976
.LBB19_1939:
	s_sext_i32_i16 s2, s1
	s_mov_b32 s0, -1
	s_cmp_lt_i32 s2, 5
	s_cbranch_scc1 .LBB19_1960
; %bb.1940:
	s_cmp_lt_i32 s2, 8
	s_cbranch_scc1 .LBB19_1950
; %bb.1941:
	;; [unrolled: 3-line block ×3, first 2 shown]
	s_cmp_gt_i32 s2, 9
	s_cbranch_scc0 .LBB19_1944
; %bb.1943:
	s_waitcnt vmcnt(0)
	v_cvt_f64_f32_e32 v[2:3], v7
	v_mov_b32_e32 v4, 0
	s_mov_b32 s0, 0
	v_mov_b32_e32 v5, v4
	global_store_dwordx4 v[0:1], v[2:5], off
.LBB19_1944:
	s_andn2_b32 vcc_lo, exec_lo, s0
	s_cbranch_vccnz .LBB19_1946
; %bb.1945:
	v_mov_b32_e32 v8, 0
	s_waitcnt vmcnt(0)
	global_store_dwordx2 v[0:1], v[7:8], off
.LBB19_1946:
	s_mov_b32 s0, 0
.LBB19_1947:
	s_andn2_b32 vcc_lo, exec_lo, s0
	s_cbranch_vccnz .LBB19_1949
; %bb.1948:
	s_waitcnt vmcnt(0)
	v_cvt_f16_f32_e32 v2, v7
	v_and_b32_e32 v2, 0xffff, v2
	global_store_dword v[0:1], v2, off
.LBB19_1949:
	s_mov_b32 s0, 0
.LBB19_1950:
	s_andn2_b32 vcc_lo, exec_lo, s0
	s_cbranch_vccnz .LBB19_1959
; %bb.1951:
	s_sext_i32_i16 s2, s1
	s_mov_b32 s0, -1
	s_cmp_lt_i32 s2, 6
	s_cbranch_scc1 .LBB19_1957
; %bb.1952:
	s_cmp_gt_i32 s2, 6
	s_cbranch_scc0 .LBB19_1954
; %bb.1953:
	s_waitcnt vmcnt(0)
	v_cvt_f64_f32_e32 v[2:3], v7
	s_mov_b32 s0, 0
	global_store_dwordx2 v[0:1], v[2:3], off
.LBB19_1954:
	s_andn2_b32 vcc_lo, exec_lo, s0
	s_cbranch_vccnz .LBB19_1956
; %bb.1955:
	s_waitcnt vmcnt(0)
	global_store_dword v[0:1], v7, off
.LBB19_1956:
	s_mov_b32 s0, 0
.LBB19_1957:
	s_andn2_b32 vcc_lo, exec_lo, s0
	s_cbranch_vccnz .LBB19_1959
; %bb.1958:
	s_waitcnt vmcnt(0)
	v_cvt_f16_f32_e32 v2, v7
	global_store_short v[0:1], v2, off
.LBB19_1959:
	s_mov_b32 s0, 0
.LBB19_1960:
	s_andn2_b32 vcc_lo, exec_lo, s0
	s_cbranch_vccnz .LBB19_1976
; %bb.1961:
	s_sext_i32_i16 s2, s1
	s_mov_b32 s0, -1
	s_cmp_lt_i32 s2, 2
	s_cbranch_scc1 .LBB19_1971
; %bb.1962:
	s_cmp_lt_i32 s2, 3
	s_cbranch_scc1 .LBB19_1968
; %bb.1963:
	s_cmp_gt_i32 s2, 3
	s_cbranch_scc0 .LBB19_1965
; %bb.1964:
	s_waitcnt vmcnt(0)
	v_trunc_f32_e32 v2, v7
	s_mov_b32 s0, 0
	v_mul_f32_e64 v3, 0x2f800000, |v2|
	v_ashrrev_i32_e32 v5, 31, v2
	v_floor_f32_e32 v3, v3
	v_fma_f32 v4, 0xcf800000, v3, |v2|
	v_cvt_u32_f32_e32 v3, v3
	v_cvt_u32_f32_e32 v2, v4
	v_xor_b32_e32 v3, v3, v5
	v_xor_b32_e32 v2, v2, v5
	v_sub_co_u32 v2, vcc_lo, v2, v5
	v_sub_co_ci_u32_e64 v3, null, v3, v5, vcc_lo
	global_store_dwordx2 v[0:1], v[2:3], off
.LBB19_1965:
	s_andn2_b32 vcc_lo, exec_lo, s0
	s_cbranch_vccnz .LBB19_1967
; %bb.1966:
	s_waitcnt vmcnt(0)
	v_cvt_i32_f32_e32 v2, v7
	global_store_dword v[0:1], v2, off
.LBB19_1967:
	s_mov_b32 s0, 0
.LBB19_1968:
	s_andn2_b32 vcc_lo, exec_lo, s0
	s_cbranch_vccnz .LBB19_1970
; %bb.1969:
	s_waitcnt vmcnt(0)
	v_cvt_i32_f32_e32 v2, v7
	global_store_short v[0:1], v2, off
.LBB19_1970:
	s_mov_b32 s0, 0
.LBB19_1971:
	s_andn2_b32 vcc_lo, exec_lo, s0
	s_cbranch_vccnz .LBB19_1976
; %bb.1972:
	s_sext_i32_i16 s0, s1
	s_cmp_gt_i32 s0, 0
	s_mov_b32 s0, -1
	s_cbranch_scc0 .LBB19_1974
; %bb.1973:
	s_waitcnt vmcnt(0)
	v_cvt_i32_f32_e32 v2, v7
	s_mov_b32 s0, 0
	global_store_byte v[0:1], v2, off
.LBB19_1974:
	s_andn2_b32 vcc_lo, exec_lo, s0
	s_cbranch_vccnz .LBB19_1976
; %bb.1975:
	s_waitcnt vmcnt(0)
	v_trunc_f32_e32 v2, v7
	v_mul_f32_e64 v3, 0x2f800000, |v2|
	v_floor_f32_e32 v3, v3
	v_fma_f32 v3, 0xcf800000, v3, |v2|
	v_ashrrev_i32_e32 v2, 31, v2
	v_cvt_u32_f32_e32 v3, v3
	v_xor_b32_e32 v3, v3, v2
	v_sub_nc_u32_e32 v2, v3, v2
	global_store_byte v[0:1], v2, off
	s_endpgm
.LBB19_1976:
	s_endpgm
.LBB19_1977:
	s_mov_b32 s0, -1
	s_mov_b32 s6, 0
.LBB19_1978:
	s_and_b32 vcc_lo, exec_lo, s0
	s_cbranch_vccz .LBB19_2017
; %bb.1979:
	s_and_b32 s0, 0xffff, s1
	s_mov_b32 s1, -1
	s_cmp_lt_i32 s0, 5
	s_cbranch_scc1 .LBB19_2000
; %bb.1980:
	s_cmp_lt_i32 s0, 8
	s_cbranch_scc1 .LBB19_1990
; %bb.1981:
	;; [unrolled: 3-line block ×3, first 2 shown]
	s_cmp_gt_i32 s0, 9
	s_cbranch_scc0 .LBB19_1984
; %bb.1983:
	v_cvt_f64_f32_e32 v[10:11], v5
	v_mov_b32_e32 v12, 0
	s_mov_b32 s1, 0
	v_mov_b32_e32 v13, v12
	global_store_dwordx4 v[8:9], v[10:13], off
.LBB19_1984:
	s_andn2_b32 vcc_lo, exec_lo, s1
	s_cbranch_vccnz .LBB19_1986
; %bb.1985:
	v_mov_b32_e32 v6, 0
	global_store_dwordx2 v[8:9], v[5:6], off
.LBB19_1986:
	s_mov_b32 s1, 0
.LBB19_1987:
	s_andn2_b32 vcc_lo, exec_lo, s1
	s_cbranch_vccnz .LBB19_1989
; %bb.1988:
	v_cvt_f16_f32_e32 v6, v5
	v_and_b32_e32 v6, 0xffff, v6
	global_store_dword v[8:9], v6, off
.LBB19_1989:
	s_mov_b32 s1, 0
.LBB19_1990:
	s_andn2_b32 vcc_lo, exec_lo, s1
	s_cbranch_vccnz .LBB19_1999
; %bb.1991:
	s_cmp_lt_i32 s0, 6
	s_mov_b32 s1, -1
	s_cbranch_scc1 .LBB19_1997
; %bb.1992:
	s_cmp_gt_i32 s0, 6
	s_cbranch_scc0 .LBB19_1994
; %bb.1993:
	v_cvt_f64_f32_e32 v[10:11], v5
	s_mov_b32 s1, 0
	global_store_dwordx2 v[8:9], v[10:11], off
.LBB19_1994:
	s_andn2_b32 vcc_lo, exec_lo, s1
	s_cbranch_vccnz .LBB19_1996
; %bb.1995:
	global_store_dword v[8:9], v5, off
.LBB19_1996:
	s_mov_b32 s1, 0
.LBB19_1997:
	s_andn2_b32 vcc_lo, exec_lo, s1
	s_cbranch_vccnz .LBB19_1999
; %bb.1998:
	v_cvt_f16_f32_e32 v6, v5
	global_store_short v[8:9], v6, off
.LBB19_1999:
	s_mov_b32 s1, 0
.LBB19_2000:
	s_andn2_b32 vcc_lo, exec_lo, s1
	s_cbranch_vccnz .LBB19_2016
; %bb.2001:
	s_cmp_lt_i32 s0, 2
	s_mov_b32 s1, -1
	s_cbranch_scc1 .LBB19_2011
; %bb.2002:
	s_cmp_lt_i32 s0, 3
	s_cbranch_scc1 .LBB19_2008
; %bb.2003:
	s_cmp_gt_i32 s0, 3
	s_cbranch_scc0 .LBB19_2005
; %bb.2004:
	v_trunc_f32_e32 v6, v5
	s_mov_b32 s1, 0
	v_mul_f32_e64 v10, 0x2f800000, |v6|
	v_floor_f32_e32 v10, v10
	v_fma_f32 v11, 0xcf800000, v10, |v6|
	v_ashrrev_i32_e32 v6, 31, v6
	v_cvt_u32_f32_e32 v10, v10
	v_cvt_u32_f32_e32 v11, v11
	v_xor_b32_e32 v12, v10, v6
	v_xor_b32_e32 v11, v11, v6
	v_sub_co_u32 v10, vcc_lo, v11, v6
	v_sub_co_ci_u32_e64 v11, null, v12, v6, vcc_lo
	global_store_dwordx2 v[8:9], v[10:11], off
.LBB19_2005:
	s_andn2_b32 vcc_lo, exec_lo, s1
	s_cbranch_vccnz .LBB19_2007
; %bb.2006:
	v_cvt_i32_f32_e32 v6, v5
	global_store_dword v[8:9], v6, off
.LBB19_2007:
	s_mov_b32 s1, 0
.LBB19_2008:
	s_andn2_b32 vcc_lo, exec_lo, s1
	s_cbranch_vccnz .LBB19_2010
; %bb.2009:
	v_cvt_i32_f32_e32 v6, v5
	global_store_short v[8:9], v6, off
.LBB19_2010:
	s_mov_b32 s1, 0
.LBB19_2011:
	s_andn2_b32 vcc_lo, exec_lo, s1
	s_cbranch_vccnz .LBB19_2016
; %bb.2012:
	s_cmp_gt_i32 s0, 0
	s_mov_b32 s0, -1
	s_cbranch_scc0 .LBB19_2014
; %bb.2013:
	v_cvt_i32_f32_e32 v6, v5
	s_mov_b32 s0, 0
	global_store_byte v[8:9], v6, off
.LBB19_2014:
	s_andn2_b32 vcc_lo, exec_lo, s0
	s_cbranch_vccnz .LBB19_2016
; %bb.2015:
	v_trunc_f32_e32 v5, v5
	v_mul_f32_e64 v6, 0x2f800000, |v5|
	v_floor_f32_e32 v6, v6
	v_fma_f32 v6, 0xcf800000, v6, |v5|
	v_ashrrev_i32_e32 v5, 31, v5
	v_cvt_u32_f32_e32 v6, v6
	v_xor_b32_e32 v6, v6, v5
	v_sub_nc_u32_e32 v5, v6, v5
	global_store_byte v[8:9], v5, off
.LBB19_2016:
	s_mov_b32 s6, -1
.LBB19_2017:
	s_andn2_b32 vcc_lo, exec_lo, s6
	s_cbranch_vccnz .LBB19_2332
; %bb.2018:
	s_lshr_b32 s0, s3, 8
	s_and_b32 s1, s0, 0xff
	v_add_co_u32 v5, s0, s8, v4
	v_add_co_ci_u32_e64 v6, null, s9, 0, s0
	s_cmp_lt_i32 s1, 11
	s_cbranch_scc1 .LBB19_2096
; %bb.2019:
	s_and_b32 s3, 0xffff, s1
	s_mov_b32 s6, -1
	s_mov_b32 s4, 0
	s_cmp_gt_i32 s3, 25
	s_mov_b32 s5, 0
	s_mov_b32 s0, 0
	s_cbranch_scc0 .LBB19_2052
; %bb.2020:
	s_cmp_gt_i32 s3, 28
	s_cbranch_scc0 .LBB19_2035
; %bb.2021:
	s_cmp_gt_i32 s3, 43
	s_cbranch_scc0 .LBB19_2031
; %bb.2022:
	s_cmp_gt_i32 s3, 45
	s_cbranch_scc0 .LBB19_2025
; %bb.2023:
	s_mov_b32 s0, -1
	s_mov_b32 s6, 0
	s_cmp_eq_u32 s3, 46
	s_cbranch_scc0 .LBB19_2025
; %bb.2024:
	v_bfe_u32 v4, v3, 16, 1
	v_cmp_o_f32_e32 vcc_lo, v3, v3
	v_mov_b32_e32 v8, 0x7fc0
	s_mov_b32 s0, 0
	s_mov_b32 s5, -1
	v_add3_u32 v4, v3, v4, 0x7fff
	v_cndmask_b32_sdwa v4, v8, v4, vcc_lo dst_sel:DWORD dst_unused:UNUSED_PAD src0_sel:DWORD src1_sel:WORD_1
	global_store_dword v[5:6], v4, off
.LBB19_2025:
	s_and_b32 vcc_lo, exec_lo, s6
	s_cbranch_vccz .LBB19_2030
; %bb.2026:
	s_cmp_eq_u32 s3, 44
	s_mov_b32 s0, -1
	s_cbranch_scc0 .LBB19_2030
; %bb.2027:
	v_bfe_u32 v8, v3, 23, 8
	v_mov_b32_e32 v4, 0xff
	s_mov_b32 s5, exec_lo
	v_cmpx_ne_u32_e32 0xff, v8
	s_cbranch_execz .LBB19_2029
; %bb.2028:
	v_and_b32_e32 v4, 0x400000, v3
	v_and_or_b32 v8, 0x3fffff, v3, v8
	v_cmp_ne_u32_e32 vcc_lo, 0, v4
	v_cmp_ne_u32_e64 s0, 0, v8
	v_lshrrev_b32_e32 v4, 23, v3
	s_and_b32 s0, vcc_lo, s0
	v_cndmask_b32_e64 v8, 0, 1, s0
	v_add_nc_u32_e32 v4, v4, v8
.LBB19_2029:
	s_or_b32 exec_lo, exec_lo, s5
	s_mov_b32 s0, 0
	s_mov_b32 s5, -1
	global_store_byte v[5:6], v4, off
.LBB19_2030:
	s_mov_b32 s6, 0
.LBB19_2031:
	s_and_b32 vcc_lo, exec_lo, s6
	s_cbranch_vccz .LBB19_2034
; %bb.2032:
	s_cmp_eq_u32 s3, 29
	s_mov_b32 s0, -1
	s_cbranch_scc0 .LBB19_2034
; %bb.2033:
	v_trunc_f32_e32 v4, v3
	s_mov_b32 s0, 0
	s_mov_b32 s5, -1
	v_mul_f32_e32 v8, 0x2f800000, v4
	v_floor_f32_e32 v8, v8
	v_fmamk_f32 v4, v8, 0xcf800000, v4
	v_cvt_u32_f32_e32 v9, v8
	v_cvt_u32_f32_e32 v8, v4
	global_store_dwordx2 v[5:6], v[8:9], off
.LBB19_2034:
	s_mov_b32 s6, 0
.LBB19_2035:
	s_and_b32 vcc_lo, exec_lo, s6
	s_cbranch_vccz .LBB19_2051
; %bb.2036:
	s_cmp_lt_i32 s3, 27
	s_mov_b32 s5, -1
	s_cbranch_scc1 .LBB19_2042
; %bb.2037:
	s_cmp_gt_i32 s3, 27
	s_cbranch_scc0 .LBB19_2039
; %bb.2038:
	v_cvt_u32_f32_e32 v4, v3
	s_mov_b32 s5, 0
	global_store_dword v[5:6], v4, off
.LBB19_2039:
	s_andn2_b32 vcc_lo, exec_lo, s5
	s_cbranch_vccnz .LBB19_2041
; %bb.2040:
	v_cvt_u32_f32_e32 v4, v3
	global_store_short v[5:6], v4, off
.LBB19_2041:
	s_mov_b32 s5, 0
.LBB19_2042:
	s_andn2_b32 vcc_lo, exec_lo, s5
	s_cbranch_vccnz .LBB19_2050
; %bb.2043:
	v_and_b32_e32 v4, 0x7fffffff, v3
	v_mov_b32_e32 v8, 0x80
	s_mov_b32 s5, exec_lo
	v_cmpx_gt_u32_e32 0x43800000, v4
	s_cbranch_execz .LBB19_2049
; %bb.2044:
	v_cmp_lt_u32_e32 vcc_lo, 0x3bffffff, v4
	s_mov_b32 s6, 0
                                        ; implicit-def: $vgpr4
	s_and_saveexec_b32 s7, vcc_lo
	s_xor_b32 s7, exec_lo, s7
	s_cbranch_execz .LBB19_2340
; %bb.2045:
	v_bfe_u32 v4, v3, 20, 1
	s_mov_b32 s6, exec_lo
	v_add3_u32 v4, v3, v4, 0x487ffff
	v_lshrrev_b32_e32 v4, 20, v4
	s_andn2_saveexec_b32 s7, s7
	s_cbranch_execnz .LBB19_2341
.LBB19_2046:
	s_or_b32 exec_lo, exec_lo, s7
	v_mov_b32_e32 v8, 0
	s_and_saveexec_b32 s7, s6
.LBB19_2047:
	v_lshrrev_b32_e32 v8, 24, v3
	v_and_or_b32 v8, 0x80, v8, v4
.LBB19_2048:
	s_or_b32 exec_lo, exec_lo, s7
.LBB19_2049:
	s_or_b32 exec_lo, exec_lo, s5
	global_store_byte v[5:6], v8, off
.LBB19_2050:
	s_mov_b32 s5, -1
.LBB19_2051:
	s_mov_b32 s6, 0
.LBB19_2052:
	s_and_b32 vcc_lo, exec_lo, s6
	s_cbranch_vccz .LBB19_2092
; %bb.2053:
	s_cmp_gt_i32 s3, 22
	s_mov_b32 s4, -1
	s_cbranch_scc0 .LBB19_2085
; %bb.2054:
	s_cmp_lt_i32 s3, 24
	s_cbranch_scc1 .LBB19_2074
; %bb.2055:
	s_cmp_gt_i32 s3, 24
	s_cbranch_scc0 .LBB19_2063
; %bb.2056:
	v_and_b32_e32 v4, 0x7fffffff, v3
	v_mov_b32_e32 v8, 0x80
	s_mov_b32 s4, exec_lo
	v_cmpx_gt_u32_e32 0x47800000, v4
	s_cbranch_execz .LBB19_2062
; %bb.2057:
	v_cmp_lt_u32_e32 vcc_lo, 0x37ffffff, v4
	s_mov_b32 s5, 0
                                        ; implicit-def: $vgpr4
	s_and_saveexec_b32 s6, vcc_lo
	s_xor_b32 s6, exec_lo, s6
	s_cbranch_execz .LBB19_2343
; %bb.2058:
	v_bfe_u32 v4, v3, 21, 1
	s_mov_b32 s5, exec_lo
	v_add3_u32 v4, v3, v4, 0x88fffff
	v_lshrrev_b32_e32 v4, 21, v4
	s_andn2_saveexec_b32 s6, s6
	s_cbranch_execnz .LBB19_2344
.LBB19_2059:
	s_or_b32 exec_lo, exec_lo, s6
	v_mov_b32_e32 v8, 0
	s_and_saveexec_b32 s6, s5
.LBB19_2060:
	v_lshrrev_b32_e32 v8, 24, v3
	v_and_or_b32 v8, 0x80, v8, v4
.LBB19_2061:
	s_or_b32 exec_lo, exec_lo, s6
.LBB19_2062:
	s_or_b32 exec_lo, exec_lo, s4
	s_mov_b32 s4, 0
	global_store_byte v[5:6], v8, off
.LBB19_2063:
	s_and_b32 vcc_lo, exec_lo, s4
	s_cbranch_vccz .LBB19_2073
; %bb.2064:
	v_and_b32_e32 v8, 0x7fffffff, v3
	s_mov_b32 s4, exec_lo
                                        ; implicit-def: $vgpr4
	v_cmpx_gt_u32_e32 0x43f00000, v8
	s_xor_b32 s4, exec_lo, s4
	s_cbranch_execz .LBB19_2070
; %bb.2065:
	s_mov_b32 s5, exec_lo
                                        ; implicit-def: $vgpr4
	v_cmpx_lt_u32_e32 0x3c7fffff, v8
	s_xor_b32 s5, exec_lo, s5
; %bb.2066:
	v_bfe_u32 v4, v3, 20, 1
	v_add3_u32 v4, v3, v4, 0x407ffff
	v_and_b32_e32 v8, 0xff00000, v4
	v_lshrrev_b32_e32 v4, 20, v4
	v_cmp_ne_u32_e32 vcc_lo, 0x7f00000, v8
	v_cndmask_b32_e32 v4, 0x7e, v4, vcc_lo
; %bb.2067:
	s_andn2_saveexec_b32 s5, s5
; %bb.2068:
	v_add_f32_e64 v4, 0x46800000, |v3|
; %bb.2069:
	s_or_b32 exec_lo, exec_lo, s5
                                        ; implicit-def: $vgpr8
.LBB19_2070:
	s_andn2_saveexec_b32 s4, s4
; %bb.2071:
	v_mov_b32_e32 v4, 0x7f
	v_cmp_lt_u32_e32 vcc_lo, 0x7f800000, v8
	v_cndmask_b32_e32 v4, 0x7e, v4, vcc_lo
; %bb.2072:
	s_or_b32 exec_lo, exec_lo, s4
	v_lshrrev_b32_e32 v8, 24, v3
	v_and_or_b32 v4, 0x80, v8, v4
	global_store_byte v[5:6], v4, off
.LBB19_2073:
	s_mov_b32 s4, 0
.LBB19_2074:
	s_andn2_b32 vcc_lo, exec_lo, s4
	s_cbranch_vccnz .LBB19_2084
; %bb.2075:
	v_and_b32_e32 v8, 0x7fffffff, v3
	s_mov_b32 s4, exec_lo
                                        ; implicit-def: $vgpr4
	v_cmpx_gt_u32_e32 0x47800000, v8
	s_xor_b32 s4, exec_lo, s4
	s_cbranch_execz .LBB19_2081
; %bb.2076:
	s_mov_b32 s5, exec_lo
                                        ; implicit-def: $vgpr4
	v_cmpx_lt_u32_e32 0x387fffff, v8
	s_xor_b32 s5, exec_lo, s5
; %bb.2077:
	v_bfe_u32 v4, v3, 21, 1
	v_add3_u32 v4, v3, v4, 0x80fffff
	v_lshrrev_b32_e32 v4, 21, v4
; %bb.2078:
	s_andn2_saveexec_b32 s5, s5
; %bb.2079:
	v_add_f32_e64 v4, 0x43000000, |v3|
; %bb.2080:
	s_or_b32 exec_lo, exec_lo, s5
                                        ; implicit-def: $vgpr8
.LBB19_2081:
	s_andn2_saveexec_b32 s4, s4
; %bb.2082:
	v_mov_b32_e32 v4, 0x7f
	v_cmp_lt_u32_e32 vcc_lo, 0x7f800000, v8
	v_cndmask_b32_e32 v4, 0x7c, v4, vcc_lo
; %bb.2083:
	s_or_b32 exec_lo, exec_lo, s4
	v_lshrrev_b32_e32 v8, 24, v3
	v_and_or_b32 v4, 0x80, v8, v4
	global_store_byte v[5:6], v4, off
.LBB19_2084:
	s_mov_b32 s4, 0
	s_mov_b32 s5, -1
.LBB19_2085:
	s_andn2_b32 vcc_lo, exec_lo, s4
	s_mov_b32 s4, 0
	s_cbranch_vccnz .LBB19_2092
; %bb.2086:
	s_cmp_gt_i32 s3, 14
	s_mov_b32 s4, -1
	s_cbranch_scc0 .LBB19_2090
; %bb.2087:
	s_cmp_eq_u32 s3, 15
	s_mov_b32 s0, -1
	s_cbranch_scc0 .LBB19_2089
; %bb.2088:
	v_bfe_u32 v4, v3, 16, 1
	v_cmp_o_f32_e32 vcc_lo, v3, v3
	v_mov_b32_e32 v8, 0x7fc0
	s_mov_b32 s0, 0
	s_mov_b32 s5, -1
	v_add3_u32 v4, v3, v4, 0x7fff
	v_cndmask_b32_sdwa v4, v8, v4, vcc_lo dst_sel:DWORD dst_unused:UNUSED_PAD src0_sel:DWORD src1_sel:WORD_1
	global_store_short v[5:6], v4, off
.LBB19_2089:
	s_mov_b32 s4, 0
.LBB19_2090:
	s_and_b32 vcc_lo, exec_lo, s4
	s_mov_b32 s4, 0
	s_cbranch_vccz .LBB19_2092
; %bb.2091:
	s_cmp_lg_u32 s3, 11
	s_mov_b32 s4, -1
	s_cselect_b32 s0, -1, 0
.LBB19_2092:
	s_and_b32 vcc_lo, exec_lo, s0
	s_cbranch_vccnz .LBB19_2342
; %bb.2093:
	s_andn2_b32 vcc_lo, exec_lo, s4
	s_cbranch_vccnz .LBB19_2095
.LBB19_2094:
	v_cmp_neq_f32_e32 vcc_lo, 0, v3
	s_mov_b32 s5, -1
	v_cndmask_b32_e64 v4, 0, 1, vcc_lo
	global_store_byte v[5:6], v4, off
.LBB19_2095:
	s_mov_b32 s0, 0
	s_branch .LBB19_2097
.LBB19_2096:
	s_mov_b32 s0, -1
	s_mov_b32 s5, 0
.LBB19_2097:
	s_and_b32 vcc_lo, exec_lo, s0
	s_cbranch_vccz .LBB19_2136
; %bb.2098:
	s_and_b32 s0, 0xffff, s1
	s_mov_b32 s3, -1
	s_cmp_lt_i32 s0, 5
	s_cbranch_scc1 .LBB19_2119
; %bb.2099:
	s_cmp_lt_i32 s0, 8
	s_cbranch_scc1 .LBB19_2109
; %bb.2100:
	;; [unrolled: 3-line block ×3, first 2 shown]
	s_cmp_gt_i32 s0, 9
	s_cbranch_scc0 .LBB19_2103
; %bb.2102:
	v_cvt_f64_f32_e32 v[8:9], v3
	v_mov_b32_e32 v10, 0
	s_mov_b32 s3, 0
	v_mov_b32_e32 v11, v10
	global_store_dwordx4 v[5:6], v[8:11], off
.LBB19_2103:
	s_andn2_b32 vcc_lo, exec_lo, s3
	s_cbranch_vccnz .LBB19_2105
; %bb.2104:
	v_mov_b32_e32 v4, 0
	global_store_dwordx2 v[5:6], v[3:4], off
.LBB19_2105:
	s_mov_b32 s3, 0
.LBB19_2106:
	s_andn2_b32 vcc_lo, exec_lo, s3
	s_cbranch_vccnz .LBB19_2108
; %bb.2107:
	v_cvt_f16_f32_e32 v4, v3
	v_and_b32_e32 v4, 0xffff, v4
	global_store_dword v[5:6], v4, off
.LBB19_2108:
	s_mov_b32 s3, 0
.LBB19_2109:
	s_andn2_b32 vcc_lo, exec_lo, s3
	s_cbranch_vccnz .LBB19_2118
; %bb.2110:
	s_cmp_lt_i32 s0, 6
	s_mov_b32 s3, -1
	s_cbranch_scc1 .LBB19_2116
; %bb.2111:
	s_cmp_gt_i32 s0, 6
	s_cbranch_scc0 .LBB19_2113
; %bb.2112:
	v_cvt_f64_f32_e32 v[8:9], v3
	s_mov_b32 s3, 0
	global_store_dwordx2 v[5:6], v[8:9], off
.LBB19_2113:
	s_andn2_b32 vcc_lo, exec_lo, s3
	s_cbranch_vccnz .LBB19_2115
; %bb.2114:
	global_store_dword v[5:6], v3, off
.LBB19_2115:
	s_mov_b32 s3, 0
.LBB19_2116:
	s_andn2_b32 vcc_lo, exec_lo, s3
	s_cbranch_vccnz .LBB19_2118
; %bb.2117:
	v_cvt_f16_f32_e32 v4, v3
	global_store_short v[5:6], v4, off
.LBB19_2118:
	s_mov_b32 s3, 0
.LBB19_2119:
	s_andn2_b32 vcc_lo, exec_lo, s3
	s_cbranch_vccnz .LBB19_2135
; %bb.2120:
	s_cmp_lt_i32 s0, 2
	s_mov_b32 s3, -1
	s_cbranch_scc1 .LBB19_2130
; %bb.2121:
	s_cmp_lt_i32 s0, 3
	s_cbranch_scc1 .LBB19_2127
; %bb.2122:
	s_cmp_gt_i32 s0, 3
	s_cbranch_scc0 .LBB19_2124
; %bb.2123:
	v_trunc_f32_e32 v4, v3
	s_mov_b32 s3, 0
	v_mul_f32_e64 v8, 0x2f800000, |v4|
	v_floor_f32_e32 v8, v8
	v_fma_f32 v9, 0xcf800000, v8, |v4|
	v_ashrrev_i32_e32 v4, 31, v4
	v_cvt_u32_f32_e32 v8, v8
	v_cvt_u32_f32_e32 v9, v9
	v_xor_b32_e32 v10, v8, v4
	v_xor_b32_e32 v9, v9, v4
	v_sub_co_u32 v8, vcc_lo, v9, v4
	v_sub_co_ci_u32_e64 v9, null, v10, v4, vcc_lo
	global_store_dwordx2 v[5:6], v[8:9], off
.LBB19_2124:
	s_andn2_b32 vcc_lo, exec_lo, s3
	s_cbranch_vccnz .LBB19_2126
; %bb.2125:
	v_cvt_i32_f32_e32 v4, v3
	global_store_dword v[5:6], v4, off
.LBB19_2126:
	s_mov_b32 s3, 0
.LBB19_2127:
	s_andn2_b32 vcc_lo, exec_lo, s3
	s_cbranch_vccnz .LBB19_2129
; %bb.2128:
	v_cvt_i32_f32_e32 v4, v3
	global_store_short v[5:6], v4, off
.LBB19_2129:
	s_mov_b32 s3, 0
.LBB19_2130:
	s_andn2_b32 vcc_lo, exec_lo, s3
	s_cbranch_vccnz .LBB19_2135
; %bb.2131:
	s_cmp_gt_i32 s0, 0
	s_mov_b32 s0, -1
	s_cbranch_scc0 .LBB19_2133
; %bb.2132:
	v_cvt_i32_f32_e32 v4, v3
	s_mov_b32 s0, 0
	global_store_byte v[5:6], v4, off
.LBB19_2133:
	s_andn2_b32 vcc_lo, exec_lo, s0
	s_cbranch_vccnz .LBB19_2135
; %bb.2134:
	v_trunc_f32_e32 v3, v3
	v_mul_f32_e64 v4, 0x2f800000, |v3|
	v_floor_f32_e32 v4, v4
	v_fma_f32 v4, 0xcf800000, v4, |v3|
	v_ashrrev_i32_e32 v3, 31, v3
	v_cvt_u32_f32_e32 v4, v4
	v_xor_b32_e32 v4, v4, v3
	v_sub_nc_u32_e32 v3, v4, v3
	global_store_byte v[5:6], v3, off
.LBB19_2135:
	s_mov_b32 s5, -1
.LBB19_2136:
	s_andn2_b32 vcc_lo, exec_lo, s5
	s_cbranch_vccnz .LBB19_2332
; %bb.2137:
	v_add_co_u32 v3, s0, s8, v2
	v_add_co_ci_u32_e64 v4, null, s9, 0, s0
	s_cmp_lt_i32 s1, 11
	s_cbranch_scc1 .LBB19_2215
; %bb.2138:
	s_and_b32 s3, 0xffff, s1
	s_mov_b32 s6, -1
	s_mov_b32 s4, 0
	s_cmp_gt_i32 s3, 25
	s_mov_b32 s5, 0
	s_mov_b32 s0, 0
	s_cbranch_scc0 .LBB19_2171
; %bb.2139:
	s_cmp_gt_i32 s3, 28
	s_cbranch_scc0 .LBB19_2154
; %bb.2140:
	s_cmp_gt_i32 s3, 43
	;; [unrolled: 3-line block ×3, first 2 shown]
	s_cbranch_scc0 .LBB19_2144
; %bb.2142:
	s_mov_b32 s0, -1
	s_mov_b32 s6, 0
	s_cmp_eq_u32 s3, 46
	s_cbranch_scc0 .LBB19_2144
; %bb.2143:
	v_bfe_u32 v2, v1, 16, 1
	v_cmp_o_f32_e32 vcc_lo, v1, v1
	v_mov_b32_e32 v5, 0x7fc0
	s_mov_b32 s0, 0
	s_mov_b32 s5, -1
	v_add3_u32 v2, v1, v2, 0x7fff
	v_cndmask_b32_sdwa v2, v5, v2, vcc_lo dst_sel:DWORD dst_unused:UNUSED_PAD src0_sel:DWORD src1_sel:WORD_1
	global_store_dword v[3:4], v2, off
.LBB19_2144:
	s_and_b32 vcc_lo, exec_lo, s6
	s_cbranch_vccz .LBB19_2149
; %bb.2145:
	s_cmp_eq_u32 s3, 44
	s_mov_b32 s0, -1
	s_cbranch_scc0 .LBB19_2149
; %bb.2146:
	v_bfe_u32 v5, v1, 23, 8
	v_mov_b32_e32 v2, 0xff
	s_mov_b32 s5, exec_lo
	v_cmpx_ne_u32_e32 0xff, v5
	s_cbranch_execz .LBB19_2148
; %bb.2147:
	v_and_b32_e32 v2, 0x400000, v1
	v_and_or_b32 v5, 0x3fffff, v1, v5
	v_cmp_ne_u32_e32 vcc_lo, 0, v2
	v_cmp_ne_u32_e64 s0, 0, v5
	v_lshrrev_b32_e32 v2, 23, v1
	s_and_b32 s0, vcc_lo, s0
	v_cndmask_b32_e64 v5, 0, 1, s0
	v_add_nc_u32_e32 v2, v2, v5
.LBB19_2148:
	s_or_b32 exec_lo, exec_lo, s5
	s_mov_b32 s0, 0
	s_mov_b32 s5, -1
	global_store_byte v[3:4], v2, off
.LBB19_2149:
	s_mov_b32 s6, 0
.LBB19_2150:
	s_and_b32 vcc_lo, exec_lo, s6
	s_cbranch_vccz .LBB19_2153
; %bb.2151:
	s_cmp_eq_u32 s3, 29
	s_mov_b32 s0, -1
	s_cbranch_scc0 .LBB19_2153
; %bb.2152:
	v_trunc_f32_e32 v2, v1
	s_mov_b32 s0, 0
	s_mov_b32 s5, -1
	v_mul_f32_e32 v5, 0x2f800000, v2
	v_floor_f32_e32 v5, v5
	v_fmamk_f32 v2, v5, 0xcf800000, v2
	v_cvt_u32_f32_e32 v6, v5
	v_cvt_u32_f32_e32 v5, v2
	global_store_dwordx2 v[3:4], v[5:6], off
.LBB19_2153:
	s_mov_b32 s6, 0
.LBB19_2154:
	s_and_b32 vcc_lo, exec_lo, s6
	s_cbranch_vccz .LBB19_2170
; %bb.2155:
	s_cmp_lt_i32 s3, 27
	s_mov_b32 s5, -1
	s_cbranch_scc1 .LBB19_2161
; %bb.2156:
	v_cvt_u32_f32_e32 v2, v1
	s_cmp_gt_i32 s3, 27
	s_cbranch_scc0 .LBB19_2158
; %bb.2157:
	s_mov_b32 s5, 0
	global_store_dword v[3:4], v2, off
.LBB19_2158:
	s_andn2_b32 vcc_lo, exec_lo, s5
	s_cbranch_vccnz .LBB19_2160
; %bb.2159:
	global_store_short v[3:4], v2, off
.LBB19_2160:
	s_mov_b32 s5, 0
.LBB19_2161:
	s_andn2_b32 vcc_lo, exec_lo, s5
	s_cbranch_vccnz .LBB19_2169
; %bb.2162:
	v_and_b32_e32 v2, 0x7fffffff, v1
	v_mov_b32_e32 v5, 0x80
	s_mov_b32 s5, exec_lo
	v_cmpx_gt_u32_e32 0x43800000, v2
	s_cbranch_execz .LBB19_2168
; %bb.2163:
	v_cmp_lt_u32_e32 vcc_lo, 0x3bffffff, v2
	s_mov_b32 s6, 0
                                        ; implicit-def: $vgpr2
	s_and_saveexec_b32 s7, vcc_lo
	s_xor_b32 s7, exec_lo, s7
	s_cbranch_execz .LBB19_2345
; %bb.2164:
	v_bfe_u32 v2, v1, 20, 1
	s_mov_b32 s6, exec_lo
	v_add3_u32 v2, v1, v2, 0x487ffff
	v_lshrrev_b32_e32 v2, 20, v2
	s_andn2_saveexec_b32 s7, s7
	s_cbranch_execnz .LBB19_2346
.LBB19_2165:
	s_or_b32 exec_lo, exec_lo, s7
	v_mov_b32_e32 v5, 0
	s_and_saveexec_b32 s7, s6
.LBB19_2166:
	v_lshrrev_b32_e32 v5, 24, v1
	v_and_or_b32 v5, 0x80, v5, v2
.LBB19_2167:
	s_or_b32 exec_lo, exec_lo, s7
.LBB19_2168:
	s_or_b32 exec_lo, exec_lo, s5
	global_store_byte v[3:4], v5, off
.LBB19_2169:
	s_mov_b32 s5, -1
.LBB19_2170:
	s_mov_b32 s6, 0
.LBB19_2171:
	s_and_b32 vcc_lo, exec_lo, s6
	s_cbranch_vccz .LBB19_2211
; %bb.2172:
	s_cmp_gt_i32 s3, 22
	s_mov_b32 s4, -1
	s_cbranch_scc0 .LBB19_2204
; %bb.2173:
	s_cmp_lt_i32 s3, 24
	s_cbranch_scc1 .LBB19_2193
; %bb.2174:
	s_cmp_gt_i32 s3, 24
	s_cbranch_scc0 .LBB19_2182
; %bb.2175:
	v_and_b32_e32 v2, 0x7fffffff, v1
	v_mov_b32_e32 v5, 0x80
	s_mov_b32 s4, exec_lo
	v_cmpx_gt_u32_e32 0x47800000, v2
	s_cbranch_execz .LBB19_2181
; %bb.2176:
	v_cmp_lt_u32_e32 vcc_lo, 0x37ffffff, v2
	s_mov_b32 s5, 0
                                        ; implicit-def: $vgpr2
	s_and_saveexec_b32 s6, vcc_lo
	s_xor_b32 s6, exec_lo, s6
	s_cbranch_execz .LBB19_2348
; %bb.2177:
	v_bfe_u32 v2, v1, 21, 1
	s_mov_b32 s5, exec_lo
	v_add3_u32 v2, v1, v2, 0x88fffff
	v_lshrrev_b32_e32 v2, 21, v2
	s_andn2_saveexec_b32 s6, s6
	s_cbranch_execnz .LBB19_2349
.LBB19_2178:
	s_or_b32 exec_lo, exec_lo, s6
	v_mov_b32_e32 v5, 0
	s_and_saveexec_b32 s6, s5
.LBB19_2179:
	v_lshrrev_b32_e32 v5, 24, v1
	v_and_or_b32 v5, 0x80, v5, v2
.LBB19_2180:
	s_or_b32 exec_lo, exec_lo, s6
.LBB19_2181:
	s_or_b32 exec_lo, exec_lo, s4
	s_mov_b32 s4, 0
	global_store_byte v[3:4], v5, off
.LBB19_2182:
	s_and_b32 vcc_lo, exec_lo, s4
	s_cbranch_vccz .LBB19_2192
; %bb.2183:
	v_and_b32_e32 v5, 0x7fffffff, v1
	s_mov_b32 s4, exec_lo
                                        ; implicit-def: $vgpr2
	v_cmpx_gt_u32_e32 0x43f00000, v5
	s_xor_b32 s4, exec_lo, s4
	s_cbranch_execz .LBB19_2189
; %bb.2184:
	s_mov_b32 s5, exec_lo
                                        ; implicit-def: $vgpr2
	v_cmpx_lt_u32_e32 0x3c7fffff, v5
	s_xor_b32 s5, exec_lo, s5
; %bb.2185:
	v_bfe_u32 v2, v1, 20, 1
	v_add3_u32 v2, v1, v2, 0x407ffff
	v_and_b32_e32 v5, 0xff00000, v2
	v_lshrrev_b32_e32 v2, 20, v2
	v_cmp_ne_u32_e32 vcc_lo, 0x7f00000, v5
	v_cndmask_b32_e32 v2, 0x7e, v2, vcc_lo
; %bb.2186:
	s_andn2_saveexec_b32 s5, s5
; %bb.2187:
	v_add_f32_e64 v2, 0x46800000, |v1|
; %bb.2188:
	s_or_b32 exec_lo, exec_lo, s5
                                        ; implicit-def: $vgpr5
.LBB19_2189:
	s_andn2_saveexec_b32 s4, s4
; %bb.2190:
	v_mov_b32_e32 v2, 0x7f
	v_cmp_lt_u32_e32 vcc_lo, 0x7f800000, v5
	v_cndmask_b32_e32 v2, 0x7e, v2, vcc_lo
; %bb.2191:
	s_or_b32 exec_lo, exec_lo, s4
	v_lshrrev_b32_e32 v5, 24, v1
	v_and_or_b32 v2, 0x80, v5, v2
	global_store_byte v[3:4], v2, off
.LBB19_2192:
	s_mov_b32 s4, 0
.LBB19_2193:
	s_andn2_b32 vcc_lo, exec_lo, s4
	s_cbranch_vccnz .LBB19_2203
; %bb.2194:
	v_and_b32_e32 v5, 0x7fffffff, v1
	s_mov_b32 s4, exec_lo
                                        ; implicit-def: $vgpr2
	v_cmpx_gt_u32_e32 0x47800000, v5
	s_xor_b32 s4, exec_lo, s4
	s_cbranch_execz .LBB19_2200
; %bb.2195:
	s_mov_b32 s5, exec_lo
                                        ; implicit-def: $vgpr2
	v_cmpx_lt_u32_e32 0x387fffff, v5
	s_xor_b32 s5, exec_lo, s5
; %bb.2196:
	v_bfe_u32 v2, v1, 21, 1
	v_add3_u32 v2, v1, v2, 0x80fffff
	v_lshrrev_b32_e32 v2, 21, v2
; %bb.2197:
	s_andn2_saveexec_b32 s5, s5
; %bb.2198:
	v_add_f32_e64 v2, 0x43000000, |v1|
; %bb.2199:
	s_or_b32 exec_lo, exec_lo, s5
                                        ; implicit-def: $vgpr5
.LBB19_2200:
	s_andn2_saveexec_b32 s4, s4
; %bb.2201:
	v_mov_b32_e32 v2, 0x7f
	v_cmp_lt_u32_e32 vcc_lo, 0x7f800000, v5
	v_cndmask_b32_e32 v2, 0x7c, v2, vcc_lo
; %bb.2202:
	s_or_b32 exec_lo, exec_lo, s4
	v_lshrrev_b32_e32 v5, 24, v1
	v_and_or_b32 v2, 0x80, v5, v2
	global_store_byte v[3:4], v2, off
.LBB19_2203:
	s_mov_b32 s4, 0
	s_mov_b32 s5, -1
.LBB19_2204:
	s_andn2_b32 vcc_lo, exec_lo, s4
	s_mov_b32 s4, 0
	s_cbranch_vccnz .LBB19_2211
; %bb.2205:
	s_cmp_gt_i32 s3, 14
	s_mov_b32 s4, -1
	s_cbranch_scc0 .LBB19_2209
; %bb.2206:
	s_cmp_eq_u32 s3, 15
	s_mov_b32 s0, -1
	s_cbranch_scc0 .LBB19_2208
; %bb.2207:
	v_bfe_u32 v2, v1, 16, 1
	v_cmp_o_f32_e32 vcc_lo, v1, v1
	v_mov_b32_e32 v5, 0x7fc0
	s_mov_b32 s0, 0
	s_mov_b32 s5, -1
	v_add3_u32 v2, v1, v2, 0x7fff
	v_cndmask_b32_sdwa v2, v5, v2, vcc_lo dst_sel:DWORD dst_unused:UNUSED_PAD src0_sel:DWORD src1_sel:WORD_1
	global_store_short v[3:4], v2, off
.LBB19_2208:
	s_mov_b32 s4, 0
.LBB19_2209:
	s_and_b32 vcc_lo, exec_lo, s4
	s_mov_b32 s4, 0
	s_cbranch_vccz .LBB19_2211
; %bb.2210:
	s_cmp_lg_u32 s3, 11
	s_mov_b32 s4, -1
	s_cselect_b32 s0, -1, 0
.LBB19_2211:
	s_and_b32 vcc_lo, exec_lo, s0
	s_cbranch_vccnz .LBB19_2347
; %bb.2212:
	s_andn2_b32 vcc_lo, exec_lo, s4
	s_cbranch_vccnz .LBB19_2214
.LBB19_2213:
	v_cmp_neq_f32_e32 vcc_lo, 0, v1
	s_mov_b32 s5, -1
	v_cndmask_b32_e64 v2, 0, 1, vcc_lo
	global_store_byte v[3:4], v2, off
.LBB19_2214:
	s_mov_b32 s0, 0
	s_branch .LBB19_2216
.LBB19_2215:
	s_mov_b32 s0, -1
	s_mov_b32 s5, 0
.LBB19_2216:
	s_and_b32 vcc_lo, exec_lo, s0
	s_cbranch_vccz .LBB19_2255
; %bb.2217:
	s_and_b32 s0, 0xffff, s1
	s_mov_b32 s3, -1
	s_cmp_lt_i32 s0, 5
	s_cbranch_scc1 .LBB19_2238
; %bb.2218:
	s_cmp_lt_i32 s0, 8
	s_cbranch_scc1 .LBB19_2228
; %bb.2219:
	;; [unrolled: 3-line block ×3, first 2 shown]
	s_cmp_gt_i32 s0, 9
	s_cbranch_scc0 .LBB19_2222
; %bb.2221:
	v_cvt_f64_f32_e32 v[8:9], v1
	v_mov_b32_e32 v10, 0
	s_mov_b32 s3, 0
	v_mov_b32_e32 v11, v10
	global_store_dwordx4 v[3:4], v[8:11], off
.LBB19_2222:
	s_andn2_b32 vcc_lo, exec_lo, s3
	s_cbranch_vccnz .LBB19_2224
; %bb.2223:
	v_mov_b32_e32 v2, 0
	global_store_dwordx2 v[3:4], v[1:2], off
.LBB19_2224:
	s_mov_b32 s3, 0
.LBB19_2225:
	s_andn2_b32 vcc_lo, exec_lo, s3
	s_cbranch_vccnz .LBB19_2227
; %bb.2226:
	v_cvt_f16_f32_e32 v2, v1
	v_and_b32_e32 v2, 0xffff, v2
	global_store_dword v[3:4], v2, off
.LBB19_2227:
	s_mov_b32 s3, 0
.LBB19_2228:
	s_andn2_b32 vcc_lo, exec_lo, s3
	s_cbranch_vccnz .LBB19_2237
; %bb.2229:
	s_cmp_lt_i32 s0, 6
	s_mov_b32 s3, -1
	s_cbranch_scc1 .LBB19_2235
; %bb.2230:
	s_cmp_gt_i32 s0, 6
	s_cbranch_scc0 .LBB19_2232
; %bb.2231:
	v_cvt_f64_f32_e32 v[5:6], v1
	s_mov_b32 s3, 0
	global_store_dwordx2 v[3:4], v[5:6], off
.LBB19_2232:
	s_andn2_b32 vcc_lo, exec_lo, s3
	s_cbranch_vccnz .LBB19_2234
; %bb.2233:
	global_store_dword v[3:4], v1, off
.LBB19_2234:
	s_mov_b32 s3, 0
.LBB19_2235:
	s_andn2_b32 vcc_lo, exec_lo, s3
	s_cbranch_vccnz .LBB19_2237
; %bb.2236:
	v_cvt_f16_f32_e32 v2, v1
	global_store_short v[3:4], v2, off
.LBB19_2237:
	s_mov_b32 s3, 0
.LBB19_2238:
	s_andn2_b32 vcc_lo, exec_lo, s3
	s_cbranch_vccnz .LBB19_2254
; %bb.2239:
	s_cmp_lt_i32 s0, 2
	s_mov_b32 s3, -1
	s_cbranch_scc1 .LBB19_2249
; %bb.2240:
	s_cmp_lt_i32 s0, 3
	s_cbranch_scc1 .LBB19_2246
; %bb.2241:
	s_cmp_gt_i32 s0, 3
	s_cbranch_scc0 .LBB19_2243
; %bb.2242:
	v_trunc_f32_e32 v2, v1
	s_mov_b32 s3, 0
	v_mul_f32_e64 v5, 0x2f800000, |v2|
	v_floor_f32_e32 v5, v5
	v_fma_f32 v6, 0xcf800000, v5, |v2|
	v_ashrrev_i32_e32 v2, 31, v2
	v_cvt_u32_f32_e32 v5, v5
	v_cvt_u32_f32_e32 v6, v6
	v_xor_b32_e32 v8, v5, v2
	v_xor_b32_e32 v6, v6, v2
	v_sub_co_u32 v5, vcc_lo, v6, v2
	v_sub_co_ci_u32_e64 v6, null, v8, v2, vcc_lo
	global_store_dwordx2 v[3:4], v[5:6], off
.LBB19_2243:
	s_andn2_b32 vcc_lo, exec_lo, s3
	s_cbranch_vccnz .LBB19_2245
; %bb.2244:
	v_cvt_i32_f32_e32 v2, v1
	global_store_dword v[3:4], v2, off
.LBB19_2245:
	s_mov_b32 s3, 0
.LBB19_2246:
	s_andn2_b32 vcc_lo, exec_lo, s3
	s_cbranch_vccnz .LBB19_2248
; %bb.2247:
	v_cvt_i32_f32_e32 v2, v1
	global_store_short v[3:4], v2, off
.LBB19_2248:
	s_mov_b32 s3, 0
.LBB19_2249:
	s_andn2_b32 vcc_lo, exec_lo, s3
	s_cbranch_vccnz .LBB19_2254
; %bb.2250:
	s_cmp_gt_i32 s0, 0
	s_mov_b32 s0, -1
	s_cbranch_scc0 .LBB19_2252
; %bb.2251:
	v_cvt_i32_f32_e32 v2, v1
	s_mov_b32 s0, 0
	global_store_byte v[3:4], v2, off
.LBB19_2252:
	s_andn2_b32 vcc_lo, exec_lo, s0
	s_cbranch_vccnz .LBB19_2254
; %bb.2253:
	v_trunc_f32_e32 v1, v1
	v_mul_f32_e64 v2, 0x2f800000, |v1|
	v_floor_f32_e32 v2, v2
	v_fma_f32 v2, 0xcf800000, v2, |v1|
	v_ashrrev_i32_e32 v1, 31, v1
	v_cvt_u32_f32_e32 v2, v2
	v_xor_b32_e32 v2, v2, v1
	v_sub_nc_u32_e32 v1, v2, v1
	global_store_byte v[3:4], v1, off
.LBB19_2254:
	s_mov_b32 s5, -1
.LBB19_2255:
	s_andn2_b32 vcc_lo, exec_lo, s5
	s_cbranch_vccnz .LBB19_2332
; %bb.2256:
	v_add_co_u32 v0, s0, s8, v0
	v_add_co_ci_u32_e64 v1, null, s9, 0, s0
	s_cmp_lt_i32 s1, 11
	s_cbranch_scc1 .LBB19_2333
; %bb.2257:
	s_and_b32 s3, 0xffff, s1
	s_mov_b32 s5, -1
	s_mov_b32 s4, 0
	s_cmp_gt_i32 s3, 25
	s_mov_b32 s0, 0
	s_cbranch_scc0 .LBB19_2290
; %bb.2258:
	s_cmp_gt_i32 s3, 28
	s_cbranch_scc0 .LBB19_2274
; %bb.2259:
	s_cmp_gt_i32 s3, 43
	;; [unrolled: 3-line block ×3, first 2 shown]
	s_cbranch_scc0 .LBB19_2264
; %bb.2261:
	s_cmp_eq_u32 s3, 46
	s_mov_b32 s0, -1
	s_cbranch_scc0 .LBB19_2263
; %bb.2262:
	v_bfe_u32 v2, v7, 16, 1
	v_cmp_o_f32_e32 vcc_lo, v7, v7
	v_mov_b32_e32 v3, 0x7fc0
	s_mov_b32 s0, 0
	v_add3_u32 v2, v7, v2, 0x7fff
	v_cndmask_b32_sdwa v2, v3, v2, vcc_lo dst_sel:DWORD dst_unused:UNUSED_PAD src0_sel:DWORD src1_sel:WORD_1
	global_store_dword v[0:1], v2, off
.LBB19_2263:
	s_mov_b32 s5, 0
.LBB19_2264:
	s_and_b32 vcc_lo, exec_lo, s5
	s_cbranch_vccz .LBB19_2269
; %bb.2265:
	s_cmp_eq_u32 s3, 44
	s_mov_b32 s0, -1
	s_cbranch_scc0 .LBB19_2269
; %bb.2266:
	v_bfe_u32 v3, v7, 23, 8
	v_mov_b32_e32 v2, 0xff
	s_mov_b32 s5, exec_lo
	v_cmpx_ne_u32_e32 0xff, v3
	s_cbranch_execz .LBB19_2268
; %bb.2267:
	v_and_b32_e32 v2, 0x400000, v7
	v_and_or_b32 v3, 0x3fffff, v7, v3
	v_cmp_ne_u32_e32 vcc_lo, 0, v2
	v_cmp_ne_u32_e64 s0, 0, v3
	v_lshrrev_b32_e32 v2, 23, v7
	s_and_b32 s0, vcc_lo, s0
	v_cndmask_b32_e64 v3, 0, 1, s0
	v_add_nc_u32_e32 v2, v2, v3
.LBB19_2268:
	s_or_b32 exec_lo, exec_lo, s5
	s_mov_b32 s0, 0
	global_store_byte v[0:1], v2, off
.LBB19_2269:
	s_mov_b32 s5, 0
.LBB19_2270:
	s_and_b32 vcc_lo, exec_lo, s5
	s_cbranch_vccz .LBB19_2273
; %bb.2271:
	s_cmp_eq_u32 s3, 29
	s_mov_b32 s0, -1
	s_cbranch_scc0 .LBB19_2273
; %bb.2272:
	v_trunc_f32_e32 v2, v7
	s_mov_b32 s0, 0
	v_mul_f32_e32 v3, 0x2f800000, v2
	v_floor_f32_e32 v3, v3
	v_fmamk_f32 v2, v3, 0xcf800000, v2
	v_cvt_u32_f32_e32 v3, v3
	v_cvt_u32_f32_e32 v2, v2
	global_store_dwordx2 v[0:1], v[2:3], off
.LBB19_2273:
	s_mov_b32 s5, 0
.LBB19_2274:
	s_and_b32 vcc_lo, exec_lo, s5
	s_cbranch_vccz .LBB19_2289
; %bb.2275:
	s_cmp_lt_i32 s3, 27
	s_mov_b32 s5, -1
	s_cbranch_scc1 .LBB19_2281
; %bb.2276:
	s_cmp_gt_i32 s3, 27
	s_cbranch_scc0 .LBB19_2278
; %bb.2277:
	v_cvt_u32_f32_e32 v2, v7
	s_mov_b32 s5, 0
	global_store_dword v[0:1], v2, off
.LBB19_2278:
	s_andn2_b32 vcc_lo, exec_lo, s5
	s_cbranch_vccnz .LBB19_2280
; %bb.2279:
	v_cvt_u32_f32_e32 v2, v7
	global_store_short v[0:1], v2, off
.LBB19_2280:
	s_mov_b32 s5, 0
.LBB19_2281:
	s_andn2_b32 vcc_lo, exec_lo, s5
	s_cbranch_vccnz .LBB19_2289
; %bb.2282:
	v_and_b32_e32 v2, 0x7fffffff, v7
	v_mov_b32_e32 v3, 0x80
	s_mov_b32 s5, exec_lo
	v_cmpx_gt_u32_e32 0x43800000, v2
	s_cbranch_execz .LBB19_2288
; %bb.2283:
	v_cmp_lt_u32_e32 vcc_lo, 0x3bffffff, v2
	s_mov_b32 s6, 0
                                        ; implicit-def: $vgpr2
	s_and_saveexec_b32 s7, vcc_lo
	s_xor_b32 s7, exec_lo, s7
	s_cbranch_execz .LBB19_2350
; %bb.2284:
	v_bfe_u32 v2, v7, 20, 1
	s_mov_b32 s6, exec_lo
	v_add3_u32 v2, v7, v2, 0x487ffff
	v_lshrrev_b32_e32 v2, 20, v2
	s_andn2_saveexec_b32 s7, s7
	s_cbranch_execnz .LBB19_2351
.LBB19_2285:
	s_or_b32 exec_lo, exec_lo, s7
	v_mov_b32_e32 v3, 0
	s_and_saveexec_b32 s7, s6
.LBB19_2286:
	v_lshrrev_b32_e32 v3, 24, v7
	v_and_or_b32 v3, 0x80, v3, v2
.LBB19_2287:
	s_or_b32 exec_lo, exec_lo, s7
.LBB19_2288:
	s_or_b32 exec_lo, exec_lo, s5
	global_store_byte v[0:1], v3, off
.LBB19_2289:
	s_mov_b32 s5, 0
.LBB19_2290:
	s_and_b32 vcc_lo, exec_lo, s5
	s_cbranch_vccz .LBB19_2330
; %bb.2291:
	s_cmp_gt_i32 s3, 22
	s_mov_b32 s4, -1
	s_cbranch_scc0 .LBB19_2323
; %bb.2292:
	s_cmp_lt_i32 s3, 24
	s_cbranch_scc1 .LBB19_2312
; %bb.2293:
	s_cmp_gt_i32 s3, 24
	s_cbranch_scc0 .LBB19_2301
; %bb.2294:
	v_and_b32_e32 v2, 0x7fffffff, v7
	v_mov_b32_e32 v3, 0x80
	s_mov_b32 s4, exec_lo
	v_cmpx_gt_u32_e32 0x47800000, v2
	s_cbranch_execz .LBB19_2300
; %bb.2295:
	v_cmp_lt_u32_e32 vcc_lo, 0x37ffffff, v2
	s_mov_b32 s5, 0
                                        ; implicit-def: $vgpr2
	s_and_saveexec_b32 s6, vcc_lo
	s_xor_b32 s6, exec_lo, s6
	s_cbranch_execz .LBB19_2353
; %bb.2296:
	v_bfe_u32 v2, v7, 21, 1
	s_mov_b32 s5, exec_lo
	v_add3_u32 v2, v7, v2, 0x88fffff
	v_lshrrev_b32_e32 v2, 21, v2
	s_andn2_saveexec_b32 s6, s6
	s_cbranch_execnz .LBB19_2354
.LBB19_2297:
	s_or_b32 exec_lo, exec_lo, s6
	v_mov_b32_e32 v3, 0
	s_and_saveexec_b32 s6, s5
.LBB19_2298:
	v_lshrrev_b32_e32 v3, 24, v7
	v_and_or_b32 v3, 0x80, v3, v2
.LBB19_2299:
	s_or_b32 exec_lo, exec_lo, s6
.LBB19_2300:
	s_or_b32 exec_lo, exec_lo, s4
	s_mov_b32 s4, 0
	global_store_byte v[0:1], v3, off
.LBB19_2301:
	s_and_b32 vcc_lo, exec_lo, s4
	s_cbranch_vccz .LBB19_2311
; %bb.2302:
	v_and_b32_e32 v3, 0x7fffffff, v7
	s_mov_b32 s4, exec_lo
                                        ; implicit-def: $vgpr2
	v_cmpx_gt_u32_e32 0x43f00000, v3
	s_xor_b32 s4, exec_lo, s4
	s_cbranch_execz .LBB19_2308
; %bb.2303:
	s_mov_b32 s5, exec_lo
                                        ; implicit-def: $vgpr2
	v_cmpx_lt_u32_e32 0x3c7fffff, v3
	s_xor_b32 s5, exec_lo, s5
; %bb.2304:
	v_bfe_u32 v2, v7, 20, 1
	v_add3_u32 v2, v7, v2, 0x407ffff
	v_and_b32_e32 v3, 0xff00000, v2
	v_lshrrev_b32_e32 v2, 20, v2
	v_cmp_ne_u32_e32 vcc_lo, 0x7f00000, v3
	v_cndmask_b32_e32 v2, 0x7e, v2, vcc_lo
; %bb.2305:
	s_andn2_saveexec_b32 s5, s5
; %bb.2306:
	v_add_f32_e64 v2, 0x46800000, |v7|
; %bb.2307:
	s_or_b32 exec_lo, exec_lo, s5
                                        ; implicit-def: $vgpr3
.LBB19_2308:
	s_andn2_saveexec_b32 s4, s4
; %bb.2309:
	v_mov_b32_e32 v2, 0x7f
	v_cmp_lt_u32_e32 vcc_lo, 0x7f800000, v3
	v_cndmask_b32_e32 v2, 0x7e, v2, vcc_lo
; %bb.2310:
	s_or_b32 exec_lo, exec_lo, s4
	v_lshrrev_b32_e32 v3, 24, v7
	v_and_or_b32 v2, 0x80, v3, v2
	global_store_byte v[0:1], v2, off
.LBB19_2311:
	s_mov_b32 s4, 0
.LBB19_2312:
	s_andn2_b32 vcc_lo, exec_lo, s4
	s_cbranch_vccnz .LBB19_2322
; %bb.2313:
	v_and_b32_e32 v3, 0x7fffffff, v7
	s_mov_b32 s4, exec_lo
                                        ; implicit-def: $vgpr2
	v_cmpx_gt_u32_e32 0x47800000, v3
	s_xor_b32 s4, exec_lo, s4
	s_cbranch_execz .LBB19_2319
; %bb.2314:
	s_mov_b32 s5, exec_lo
                                        ; implicit-def: $vgpr2
	v_cmpx_lt_u32_e32 0x387fffff, v3
	s_xor_b32 s5, exec_lo, s5
; %bb.2315:
	v_bfe_u32 v2, v7, 21, 1
	v_add3_u32 v2, v7, v2, 0x80fffff
	v_lshrrev_b32_e32 v2, 21, v2
; %bb.2316:
	s_andn2_saveexec_b32 s5, s5
; %bb.2317:
	v_add_f32_e64 v2, 0x43000000, |v7|
; %bb.2318:
	s_or_b32 exec_lo, exec_lo, s5
                                        ; implicit-def: $vgpr3
.LBB19_2319:
	s_andn2_saveexec_b32 s4, s4
; %bb.2320:
	v_mov_b32_e32 v2, 0x7f
	v_cmp_lt_u32_e32 vcc_lo, 0x7f800000, v3
	v_cndmask_b32_e32 v2, 0x7c, v2, vcc_lo
; %bb.2321:
	s_or_b32 exec_lo, exec_lo, s4
	v_lshrrev_b32_e32 v3, 24, v7
	v_and_or_b32 v2, 0x80, v3, v2
	global_store_byte v[0:1], v2, off
.LBB19_2322:
	s_mov_b32 s4, 0
.LBB19_2323:
	s_andn2_b32 vcc_lo, exec_lo, s4
	s_mov_b32 s4, 0
	s_cbranch_vccnz .LBB19_2330
; %bb.2324:
	s_cmp_gt_i32 s3, 14
	s_mov_b32 s4, -1
	s_cbranch_scc0 .LBB19_2328
; %bb.2325:
	s_cmp_eq_u32 s3, 15
	s_mov_b32 s0, -1
	s_cbranch_scc0 .LBB19_2327
; %bb.2326:
	v_bfe_u32 v2, v7, 16, 1
	v_cmp_o_f32_e32 vcc_lo, v7, v7
	v_mov_b32_e32 v3, 0x7fc0
	s_mov_b32 s0, 0
	v_add3_u32 v2, v7, v2, 0x7fff
	v_cndmask_b32_sdwa v2, v3, v2, vcc_lo dst_sel:DWORD dst_unused:UNUSED_PAD src0_sel:DWORD src1_sel:WORD_1
	global_store_short v[0:1], v2, off
.LBB19_2327:
	s_mov_b32 s4, 0
.LBB19_2328:
	s_and_b32 vcc_lo, exec_lo, s4
	s_mov_b32 s4, 0
	s_cbranch_vccz .LBB19_2330
; %bb.2329:
	s_cmp_lg_u32 s3, 11
	s_mov_b32 s4, -1
	s_cselect_b32 s0, -1, 0
.LBB19_2330:
	s_and_b32 vcc_lo, exec_lo, s0
	s_cbranch_vccnz .LBB19_2352
.LBB19_2331:
	s_mov_b32 s0, 0
	s_branch .LBB19_1933
.LBB19_2332:
	s_mov_b32 s0, 0
	s_mov_b32 s4, 0
                                        ; implicit-def: $vgpr0_vgpr1
                                        ; implicit-def: $sgpr1
	s_branch .LBB19_1933
.LBB19_2333:
	s_mov_b32 s4, 0
	s_mov_b32 s0, -1
	s_branch .LBB19_1933
.LBB19_2334:
	s_or_b32 s2, s2, exec_lo
	s_trap 2
	s_cbranch_execz .LBB19_1778
	s_branch .LBB19_1779
.LBB19_2335:
	s_andn2_saveexec_b32 s10, s10
	s_cbranch_execz .LBB19_1882
.LBB19_2336:
	v_add_f32_e64 v6, 0x46000000, |v5|
	s_andn2_b32 s7, s7, exec_lo
	v_and_b32_e32 v6, 0xff, v6
	v_cmp_ne_u32_e32 vcc_lo, 0, v6
	s_and_b32 s11, vcc_lo, exec_lo
	s_or_b32 s7, s7, s11
	s_or_b32 exec_lo, exec_lo, s10
	v_mov_b32_e32 v10, 0
	s_and_saveexec_b32 s10, s7
	s_cbranch_execnz .LBB19_1883
	s_branch .LBB19_1884
.LBB19_2337:
	s_or_b32 s2, s2, exec_lo
	s_trap 2
	s_cbranch_execz .LBB19_1930
	s_branch .LBB19_1931
.LBB19_2338:
	s_andn2_saveexec_b32 s7, s7
	s_cbranch_execz .LBB19_1895
.LBB19_2339:
	v_add_f32_e64 v6, 0x42800000, |v5|
	s_andn2_b32 s6, s6, exec_lo
	v_and_b32_e32 v6, 0xff, v6
	v_cmp_ne_u32_e32 vcc_lo, 0, v6
	s_and_b32 s10, vcc_lo, exec_lo
	s_or_b32 s6, s6, s10
	s_or_b32 exec_lo, exec_lo, s7
	v_mov_b32_e32 v10, 0
	s_and_saveexec_b32 s7, s6
	s_cbranch_execnz .LBB19_1896
	s_branch .LBB19_1897
.LBB19_2340:
	s_andn2_saveexec_b32 s7, s7
	s_cbranch_execz .LBB19_2046
.LBB19_2341:
	v_add_f32_e64 v4, 0x46000000, |v3|
	s_andn2_b32 s6, s6, exec_lo
	v_and_b32_e32 v4, 0xff, v4
	v_cmp_ne_u32_e32 vcc_lo, 0, v4
	s_and_b32 s10, vcc_lo, exec_lo
	s_or_b32 s6, s6, s10
	s_or_b32 exec_lo, exec_lo, s7
	v_mov_b32_e32 v8, 0
	s_and_saveexec_b32 s7, s6
	s_cbranch_execnz .LBB19_2047
	s_branch .LBB19_2048
.LBB19_2342:
	s_or_b32 s2, s2, exec_lo
	s_trap 2
	s_cbranch_execz .LBB19_2094
	s_branch .LBB19_2095
.LBB19_2343:
	s_andn2_saveexec_b32 s6, s6
	s_cbranch_execz .LBB19_2059
.LBB19_2344:
	v_add_f32_e64 v4, 0x42800000, |v3|
	s_andn2_b32 s5, s5, exec_lo
	v_and_b32_e32 v4, 0xff, v4
	v_cmp_ne_u32_e32 vcc_lo, 0, v4
	s_and_b32 s7, vcc_lo, exec_lo
	s_or_b32 s5, s5, s7
	s_or_b32 exec_lo, exec_lo, s6
	v_mov_b32_e32 v8, 0
	s_and_saveexec_b32 s6, s5
	s_cbranch_execnz .LBB19_2060
	s_branch .LBB19_2061
.LBB19_2345:
	s_andn2_saveexec_b32 s7, s7
	s_cbranch_execz .LBB19_2165
.LBB19_2346:
	v_add_f32_e64 v2, 0x46000000, |v1|
	s_andn2_b32 s6, s6, exec_lo
	v_and_b32_e32 v2, 0xff, v2
	v_cmp_ne_u32_e32 vcc_lo, 0, v2
	s_and_b32 s10, vcc_lo, exec_lo
	s_or_b32 s6, s6, s10
	s_or_b32 exec_lo, exec_lo, s7
	v_mov_b32_e32 v5, 0
	s_and_saveexec_b32 s7, s6
	s_cbranch_execnz .LBB19_2166
	s_branch .LBB19_2167
.LBB19_2347:
	s_or_b32 s2, s2, exec_lo
	s_trap 2
	s_cbranch_execz .LBB19_2213
	s_branch .LBB19_2214
.LBB19_2348:
	s_andn2_saveexec_b32 s6, s6
	s_cbranch_execz .LBB19_2178
.LBB19_2349:
	v_add_f32_e64 v2, 0x42800000, |v1|
	s_andn2_b32 s5, s5, exec_lo
	v_and_b32_e32 v2, 0xff, v2
	v_cmp_ne_u32_e32 vcc_lo, 0, v2
	s_and_b32 s7, vcc_lo, exec_lo
	s_or_b32 s5, s5, s7
	s_or_b32 exec_lo, exec_lo, s6
	v_mov_b32_e32 v5, 0
	s_and_saveexec_b32 s6, s5
	s_cbranch_execnz .LBB19_2179
	s_branch .LBB19_2180
.LBB19_2350:
	s_andn2_saveexec_b32 s7, s7
	s_cbranch_execz .LBB19_2285
.LBB19_2351:
	v_add_f32_e64 v2, 0x46000000, |v7|
	s_andn2_b32 s6, s6, exec_lo
	v_and_b32_e32 v2, 0xff, v2
	v_cmp_ne_u32_e32 vcc_lo, 0, v2
	s_and_b32 s8, vcc_lo, exec_lo
	s_or_b32 s6, s6, s8
	s_or_b32 exec_lo, exec_lo, s7
	v_mov_b32_e32 v3, 0
	s_and_saveexec_b32 s7, s6
	s_cbranch_execnz .LBB19_2286
	s_branch .LBB19_2287
.LBB19_2352:
	s_mov_b32 s4, 0
	s_or_b32 s2, s2, exec_lo
	s_trap 2
	s_branch .LBB19_2331
.LBB19_2353:
	s_andn2_saveexec_b32 s6, s6
	s_cbranch_execz .LBB19_2297
.LBB19_2354:
	v_add_f32_e64 v2, 0x42800000, |v7|
	s_andn2_b32 s5, s5, exec_lo
	v_and_b32_e32 v2, 0xff, v2
	v_cmp_ne_u32_e32 vcc_lo, 0, v2
	s_and_b32 s7, vcc_lo, exec_lo
	s_or_b32 s5, s5, s7
	s_or_b32 exec_lo, exec_lo, s6
	v_mov_b32_e32 v3, 0
	s_and_saveexec_b32 s6, s5
	s_cbranch_execnz .LBB19_2298
	s_branch .LBB19_2299
	.section	.rodata,"a",@progbits
	.p2align	6, 0x0
	.amdhsa_kernel _ZN2at6native32elementwise_kernel_manual_unrollILi128ELi4EZNS0_15gpu_kernel_implIZZZNS0_19digamma_kernel_cudaERNS_18TensorIteratorBaseEENKUlvE_clEvENKUlvE0_clEvEUlfE_EEvS4_RKT_EUlibE0_EEviT1_
		.amdhsa_group_segment_fixed_size 0
		.amdhsa_private_segment_fixed_size 0
		.amdhsa_kernarg_size 360
		.amdhsa_user_sgpr_count 6
		.amdhsa_user_sgpr_private_segment_buffer 1
		.amdhsa_user_sgpr_dispatch_ptr 0
		.amdhsa_user_sgpr_queue_ptr 0
		.amdhsa_user_sgpr_kernarg_segment_ptr 1
		.amdhsa_user_sgpr_dispatch_id 0
		.amdhsa_user_sgpr_flat_scratch_init 0
		.amdhsa_user_sgpr_private_segment_size 0
		.amdhsa_wavefront_size32 1
		.amdhsa_uses_dynamic_stack 0
		.amdhsa_system_sgpr_private_segment_wavefront_offset 0
		.amdhsa_system_sgpr_workgroup_id_x 1
		.amdhsa_system_sgpr_workgroup_id_y 0
		.amdhsa_system_sgpr_workgroup_id_z 0
		.amdhsa_system_sgpr_workgroup_info 0
		.amdhsa_system_vgpr_workitem_id 0
		.amdhsa_next_free_vgpr 45
		.amdhsa_next_free_sgpr 68
		.amdhsa_reserve_vcc 1
		.amdhsa_reserve_flat_scratch 0
		.amdhsa_float_round_mode_32 0
		.amdhsa_float_round_mode_16_64 0
		.amdhsa_float_denorm_mode_32 3
		.amdhsa_float_denorm_mode_16_64 3
		.amdhsa_dx10_clamp 1
		.amdhsa_ieee_mode 1
		.amdhsa_fp16_overflow 0
		.amdhsa_workgroup_processor_mode 1
		.amdhsa_memory_ordered 1
		.amdhsa_forward_progress 1
		.amdhsa_shared_vgpr_count 0
		.amdhsa_exception_fp_ieee_invalid_op 0
		.amdhsa_exception_fp_denorm_src 0
		.amdhsa_exception_fp_ieee_div_zero 0
		.amdhsa_exception_fp_ieee_overflow 0
		.amdhsa_exception_fp_ieee_underflow 0
		.amdhsa_exception_fp_ieee_inexact 0
		.amdhsa_exception_int_div_zero 0
	.end_amdhsa_kernel
	.section	.text._ZN2at6native32elementwise_kernel_manual_unrollILi128ELi4EZNS0_15gpu_kernel_implIZZZNS0_19digamma_kernel_cudaERNS_18TensorIteratorBaseEENKUlvE_clEvENKUlvE0_clEvEUlfE_EEvS4_RKT_EUlibE0_EEviT1_,"axG",@progbits,_ZN2at6native32elementwise_kernel_manual_unrollILi128ELi4EZNS0_15gpu_kernel_implIZZZNS0_19digamma_kernel_cudaERNS_18TensorIteratorBaseEENKUlvE_clEvENKUlvE0_clEvEUlfE_EEvS4_RKT_EUlibE0_EEviT1_,comdat
.Lfunc_end19:
	.size	_ZN2at6native32elementwise_kernel_manual_unrollILi128ELi4EZNS0_15gpu_kernel_implIZZZNS0_19digamma_kernel_cudaERNS_18TensorIteratorBaseEENKUlvE_clEvENKUlvE0_clEvEUlfE_EEvS4_RKT_EUlibE0_EEviT1_, .Lfunc_end19-_ZN2at6native32elementwise_kernel_manual_unrollILi128ELi4EZNS0_15gpu_kernel_implIZZZNS0_19digamma_kernel_cudaERNS_18TensorIteratorBaseEENKUlvE_clEvENKUlvE0_clEvEUlfE_EEvS4_RKT_EUlibE0_EEviT1_
                                        ; -- End function
	.set _ZN2at6native32elementwise_kernel_manual_unrollILi128ELi4EZNS0_15gpu_kernel_implIZZZNS0_19digamma_kernel_cudaERNS_18TensorIteratorBaseEENKUlvE_clEvENKUlvE0_clEvEUlfE_EEvS4_RKT_EUlibE0_EEviT1_.num_vgpr, 45
	.set _ZN2at6native32elementwise_kernel_manual_unrollILi128ELi4EZNS0_15gpu_kernel_implIZZZNS0_19digamma_kernel_cudaERNS_18TensorIteratorBaseEENKUlvE_clEvENKUlvE0_clEvEUlfE_EEvS4_RKT_EUlibE0_EEviT1_.num_agpr, 0
	.set _ZN2at6native32elementwise_kernel_manual_unrollILi128ELi4EZNS0_15gpu_kernel_implIZZZNS0_19digamma_kernel_cudaERNS_18TensorIteratorBaseEENKUlvE_clEvENKUlvE0_clEvEUlfE_EEvS4_RKT_EUlibE0_EEviT1_.numbered_sgpr, 68
	.set _ZN2at6native32elementwise_kernel_manual_unrollILi128ELi4EZNS0_15gpu_kernel_implIZZZNS0_19digamma_kernel_cudaERNS_18TensorIteratorBaseEENKUlvE_clEvENKUlvE0_clEvEUlfE_EEvS4_RKT_EUlibE0_EEviT1_.num_named_barrier, 0
	.set _ZN2at6native32elementwise_kernel_manual_unrollILi128ELi4EZNS0_15gpu_kernel_implIZZZNS0_19digamma_kernel_cudaERNS_18TensorIteratorBaseEENKUlvE_clEvENKUlvE0_clEvEUlfE_EEvS4_RKT_EUlibE0_EEviT1_.private_seg_size, 0
	.set _ZN2at6native32elementwise_kernel_manual_unrollILi128ELi4EZNS0_15gpu_kernel_implIZZZNS0_19digamma_kernel_cudaERNS_18TensorIteratorBaseEENKUlvE_clEvENKUlvE0_clEvEUlfE_EEvS4_RKT_EUlibE0_EEviT1_.uses_vcc, 1
	.set _ZN2at6native32elementwise_kernel_manual_unrollILi128ELi4EZNS0_15gpu_kernel_implIZZZNS0_19digamma_kernel_cudaERNS_18TensorIteratorBaseEENKUlvE_clEvENKUlvE0_clEvEUlfE_EEvS4_RKT_EUlibE0_EEviT1_.uses_flat_scratch, 0
	.set _ZN2at6native32elementwise_kernel_manual_unrollILi128ELi4EZNS0_15gpu_kernel_implIZZZNS0_19digamma_kernel_cudaERNS_18TensorIteratorBaseEENKUlvE_clEvENKUlvE0_clEvEUlfE_EEvS4_RKT_EUlibE0_EEviT1_.has_dyn_sized_stack, 0
	.set _ZN2at6native32elementwise_kernel_manual_unrollILi128ELi4EZNS0_15gpu_kernel_implIZZZNS0_19digamma_kernel_cudaERNS_18TensorIteratorBaseEENKUlvE_clEvENKUlvE0_clEvEUlfE_EEvS4_RKT_EUlibE0_EEviT1_.has_recursion, 0
	.set _ZN2at6native32elementwise_kernel_manual_unrollILi128ELi4EZNS0_15gpu_kernel_implIZZZNS0_19digamma_kernel_cudaERNS_18TensorIteratorBaseEENKUlvE_clEvENKUlvE0_clEvEUlfE_EEvS4_RKT_EUlibE0_EEviT1_.has_indirect_call, 0
	.section	.AMDGPU.csdata,"",@progbits
; Kernel info:
; codeLenInByte = 56088
; TotalNumSgprs: 70
; NumVgprs: 45
; ScratchSize: 0
; MemoryBound: 1
; FloatMode: 240
; IeeeMode: 1
; LDSByteSize: 0 bytes/workgroup (compile time only)
; SGPRBlocks: 0
; VGPRBlocks: 5
; NumSGPRsForWavesPerEU: 70
; NumVGPRsForWavesPerEU: 45
; Occupancy: 16
; WaveLimiterHint : 1
; COMPUTE_PGM_RSRC2:SCRATCH_EN: 0
; COMPUTE_PGM_RSRC2:USER_SGPR: 6
; COMPUTE_PGM_RSRC2:TRAP_HANDLER: 0
; COMPUTE_PGM_RSRC2:TGID_X_EN: 1
; COMPUTE_PGM_RSRC2:TGID_Y_EN: 0
; COMPUTE_PGM_RSRC2:TGID_Z_EN: 0
; COMPUTE_PGM_RSRC2:TIDIG_COMP_CNT: 0
	.text
	.p2align	2                               ; -- Begin function _ZN2at6native25elementwise_kernel_helperILb0EZZZNS0_19digamma_kernel_cudaERNS_18TensorIteratorBaseEENKUlvE_clEvENKUlvE1_clEvEUlN3c104HalfEE_NS0_6memory8policies11unroll_baseILi256ESt5arrayIPcLm2EE23TrivialOffsetCalculatorILi1EjESG_NS9_15LoadWithoutCastENS9_16StoreWithoutCastELi8ELi1EEEEEvT0_T1_
	.type	_ZN2at6native25elementwise_kernel_helperILb0EZZZNS0_19digamma_kernel_cudaERNS_18TensorIteratorBaseEENKUlvE_clEvENKUlvE1_clEvEUlN3c104HalfEE_NS0_6memory8policies11unroll_baseILi256ESt5arrayIPcLm2EE23TrivialOffsetCalculatorILi1EjESG_NS9_15LoadWithoutCastENS9_16StoreWithoutCastELi8ELi1EEEEEvT0_T1_,@function
_ZN2at6native25elementwise_kernel_helperILb0EZZZNS0_19digamma_kernel_cudaERNS_18TensorIteratorBaseEENKUlvE_clEvENKUlvE1_clEvEUlN3c104HalfEE_NS0_6memory8policies11unroll_baseILi256ESt5arrayIPcLm2EE23TrivialOffsetCalculatorILi1EjESG_NS9_15LoadWithoutCastENS9_16StoreWithoutCastELi8ELi1EEEEEvT0_T1_: ; @_ZN2at6native25elementwise_kernel_helperILb0EZZZNS0_19digamma_kernel_cudaERNS_18TensorIteratorBaseEENKUlvE_clEvENKUlvE1_clEvEUlN3c104HalfEE_NS0_6memory8policies11unroll_baseILi256ESt5arrayIPcLm2EE23TrivialOffsetCalculatorILi1EjESG_NS9_15LoadWithoutCastENS9_16StoreWithoutCastELi8ELi1EEEEEvT0_T1_
; %bb.0:
	s_waitcnt vmcnt(0) expcnt(0) lgkmcnt(0)
	v_and_b32_e32 v10, 0x3ff, v31
	s_lshl_b32 s8, s12, 11
	v_mov_b32_e32 v17, 0
	v_mov_b32_e32 v6, 0
	v_cmp_lt_i32_e64 s4, v10, v4
	v_or_b32_e32 v5, s8, v10
	v_add_nc_u32_e32 v11, 0x100, v10
	v_mov_b32_e32 v7, v10
	s_and_saveexec_b32 s5, s4
	s_cbranch_execz .LBB20_2
; %bb.1:
	v_mov_b32_e32 v6, 0
	v_lshlrev_b64 v[6:7], 1, v[5:6]
	v_add_co_u32 v6, vcc_lo, v2, v6
	v_add_co_ci_u32_e64 v7, null, v3, v7, vcc_lo
	flat_load_ushort v6, v[6:7]
	v_add_nc_u32_e32 v7, 0x100, v10
.LBB20_2:
	s_or_b32 exec_lo, exec_lo, s5
	s_mov_b32 s5, exec_lo
	v_cmpx_lt_i32_e64 v7, v4
	s_cbranch_execz .LBB20_4
; %bb.3:
	v_add_nc_u32_e32 v8, s8, v7
	v_mov_b32_e32 v9, 0
	v_add_nc_u32_e32 v7, 0x100, v7
	v_lshlrev_b64 v[8:9], 1, v[8:9]
	v_add_co_u32 v8, vcc_lo, v2, v8
	v_add_co_ci_u32_e64 v9, null, v3, v9, vcc_lo
	flat_load_ushort v17, v[8:9]
.LBB20_4:
	s_or_b32 exec_lo, exec_lo, s5
	v_mov_b32_e32 v20, 0
	v_mov_b32_e32 v18, 0
	s_mov_b32 s5, exec_lo
	v_cmpx_lt_i32_e64 v7, v4
	s_cbranch_execz .LBB20_6
; %bb.5:
	v_add_nc_u32_e32 v8, s8, v7
	v_mov_b32_e32 v9, 0
	v_add_nc_u32_e32 v7, 0x100, v7
	v_lshlrev_b64 v[8:9], 1, v[8:9]
	v_add_co_u32 v8, vcc_lo, v2, v8
	v_add_co_ci_u32_e64 v9, null, v3, v9, vcc_lo
	flat_load_ushort v18, v[8:9]
.LBB20_6:
	s_or_b32 exec_lo, exec_lo, s5
	s_mov_b32 s5, exec_lo
	v_cmpx_lt_i32_e64 v7, v4
	s_cbranch_execz .LBB20_8
; %bb.7:
	v_add_nc_u32_e32 v8, s8, v7
	v_mov_b32_e32 v9, 0
	v_add_nc_u32_e32 v7, 0x100, v7
	v_lshlrev_b64 v[8:9], 1, v[8:9]
	v_add_co_u32 v8, vcc_lo, v2, v8
	v_add_co_ci_u32_e64 v9, null, v3, v9, vcc_lo
	flat_load_ushort v20, v[8:9]
.LBB20_8:
	s_or_b32 exec_lo, exec_lo, s5
	v_mov_b32_e32 v16, 0
	v_mov_b32_e32 v19, 0
	s_mov_b32 s5, exec_lo
	v_cmpx_lt_i32_e64 v7, v4
	s_cbranch_execz .LBB20_10
; %bb.9:
	v_add_nc_u32_e32 v8, s8, v7
	v_mov_b32_e32 v9, 0
	v_add_nc_u32_e32 v7, 0x100, v7
	v_lshlrev_b64 v[8:9], 1, v[8:9]
	v_add_co_u32 v8, vcc_lo, v2, v8
	v_add_co_ci_u32_e64 v9, null, v3, v9, vcc_lo
	flat_load_ushort v19, v[8:9]
.LBB20_10:
	s_or_b32 exec_lo, exec_lo, s5
	s_mov_b32 s5, exec_lo
	v_cmpx_lt_i32_e64 v7, v4
	s_cbranch_execz .LBB20_12
; %bb.11:
	v_add_nc_u32_e32 v8, s8, v7
	v_mov_b32_e32 v9, 0
	v_add_nc_u32_e32 v7, 0x100, v7
	v_lshlrev_b64 v[8:9], 1, v[8:9]
	v_add_co_u32 v8, vcc_lo, v2, v8
	v_add_co_ci_u32_e64 v9, null, v3, v9, vcc_lo
	flat_load_ushort v16, v[8:9]
.LBB20_12:
	s_or_b32 exec_lo, exec_lo, s5
	v_mov_b32_e32 v13, 0
	v_mov_b32_e32 v15, 0
	s_mov_b32 s5, exec_lo
	v_cmpx_lt_i32_e64 v7, v4
	s_cbranch_execz .LBB20_16
; %bb.13:
	v_add_nc_u32_e32 v8, s8, v7
	v_mov_b32_e32 v9, 0
	v_add_nc_u32_e32 v7, 0x100, v7
	v_lshlrev_b64 v[8:9], 1, v[8:9]
	v_add_co_u32 v8, vcc_lo, v2, v8
	v_add_co_ci_u32_e64 v9, null, v3, v9, vcc_lo
	flat_load_ushort v15, v[8:9]
	s_or_b32 exec_lo, exec_lo, s5
	s_mov_b32 s5, exec_lo
	v_cmpx_lt_i32_e64 v7, v4
	s_cbranch_execnz .LBB20_17
.LBB20_14:
	s_or_b32 exec_lo, exec_lo, s5
                                        ; implicit-def: $vgpr12
	s_and_saveexec_b32 s9, s4
	s_cbranch_execnz .LBB20_18
.LBB20_15:
	s_or_b32 exec_lo, exec_lo, s9
	s_mov_b32 s9, exec_lo
                                        ; implicit-def: $vgpr14
	v_cmpx_lt_i32_e64 v11, v4
	s_cbranch_execz .LBB20_68
	s_branch .LBB20_43
.LBB20_16:
	s_or_b32 exec_lo, exec_lo, s5
	s_mov_b32 s5, exec_lo
	v_cmpx_lt_i32_e64 v7, v4
	s_cbranch_execz .LBB20_14
.LBB20_17:
	v_add_nc_u32_e32 v7, s8, v7
	v_mov_b32_e32 v8, 0
	v_lshlrev_b64 v[7:8], 1, v[7:8]
	v_add_co_u32 v2, vcc_lo, v2, v7
	v_add_co_ci_u32_e64 v3, null, v3, v8, vcc_lo
	flat_load_ushort v13, v[2:3]
	s_or_b32 exec_lo, exec_lo, s5
                                        ; implicit-def: $vgpr12
	s_and_saveexec_b32 s9, s4
	s_cbranch_execz .LBB20_15
.LBB20_18:
	s_waitcnt vmcnt(0) lgkmcnt(0)
	v_cvt_f32_f16_e32 v14, v6
                                        ; implicit-def: $vgpr12
	s_mov_b32 s5, exec_lo
	v_cmpx_neq_f16_e32 0, v6
	s_xor_b32 s10, exec_lo, s5
	s_cbranch_execz .LBB20_40
; %bb.19:
	v_mov_b32_e32 v2, 0
	s_mov_b32 s5, -1
	s_mov_b32 s11, exec_lo
	v_cmpx_gt_f16_e32 0, v6
	s_cbranch_execz .LBB20_27
; %bb.20:
	v_trunc_f32_e32 v2, v14
	s_mov_b32 s6, 0
	v_cmp_neq_f32_e32 vcc_lo, v2, v14
	v_mov_b32_e32 v2, 0
	s_and_saveexec_b32 s12, vcc_lo
	s_cbranch_execz .LBB20_26
; %bb.21:
	v_cvt_f32_f16_e32 v2, v6
	s_mov_b32 s7, 0xc00921fb
	s_mov_b32 s6, 0x54442d18
                                        ; implicit-def: $vgpr12
                                        ; implicit-def: $vgpr8_vgpr9
	v_cvt_f64_f32_e32 v[2:3], v2
	v_trunc_f64_e32 v[6:7], v[2:3]
	v_cmp_neq_f64_e64 vcc_lo, 0x7ff00000, |v[2:3]|
	v_add_f64 v[6:7], v[2:3], -v[6:7]
	v_mul_f64 v[6:7], |v[6:7]|, s[6:7]
	v_cndmask_b32_e32 v3, 0x80000000, v7, vcc_lo
	v_cndmask_b32_e32 v2, 0, v6, vcc_lo
                                        ; implicit-def: $vgpr6_vgpr7
	v_cmp_ngt_f64_e64 s5, 0x41d00000, |v[2:3]|
	s_and_saveexec_b32 s7, s5
	s_xor_b32 s5, exec_lo, s7
	s_cbranch_execz .LBB20_23
; %bb.22:
	v_ldexp_f64 v[6:7], |v[2:3]|, 0xffffff80
	v_cmp_le_f64_e64 vcc_lo, 0x7b000000, |v[2:3]|
	v_trig_preop_f64 v[8:9], |v[2:3]|, 0
	v_and_b32_e32 v12, 0x7fffffff, v3
	v_trig_preop_f64 v[21:22], |v[2:3]|, 1
	v_trig_preop_f64 v[31:32], |v[2:3]|, 2
	v_mov_b32_e32 v48, 0
	s_mov_b32 s7, 0x3ff921fb
	s_mov_b32 s14, 0x33145c07
	;; [unrolled: 1-line block ×3, first 2 shown]
	v_cndmask_b32_e32 v7, v12, v7, vcc_lo
	v_cndmask_b32_e32 v6, v2, v6, vcc_lo
	v_mul_f64 v[23:24], v[8:9], v[6:7]
	v_mul_f64 v[25:26], v[21:22], v[6:7]
	;; [unrolled: 1-line block ×3, first 2 shown]
	v_fma_f64 v[8:9], v[8:9], v[6:7], -v[23:24]
	v_fma_f64 v[21:22], v[21:22], v[6:7], -v[25:26]
	;; [unrolled: 1-line block ×3, first 2 shown]
	v_add_f64 v[27:28], v[25:26], v[8:9]
	v_add_f64 v[29:30], v[27:28], -v[25:26]
	v_add_f64 v[35:36], v[23:24], v[27:28]
	v_add_f64 v[33:34], v[27:28], -v[29:30]
	v_add_f64 v[8:9], v[8:9], -v[29:30]
	v_ldexp_f64 v[29:30], v[35:36], -2
	v_add_f64 v[23:24], v[35:36], -v[23:24]
	v_add_f64 v[25:26], v[25:26], -v[33:34]
	v_add_f64 v[33:34], v[37:38], v[21:22]
	v_cmp_neq_f64_e64 vcc_lo, 0x7ff00000, |v[29:30]|
	v_add_f64 v[23:24], v[27:28], -v[23:24]
	v_add_f64 v[8:9], v[8:9], v[25:26]
	v_fract_f64_e32 v[25:26], v[29:30]
	v_add_f64 v[27:28], v[33:34], v[8:9]
	v_ldexp_f64 v[25:26], v[25:26], 2
	v_add_f64 v[29:30], v[23:24], v[27:28]
	v_cndmask_b32_e32 v26, 0, v26, vcc_lo
	v_cndmask_b32_e32 v25, 0, v25, vcc_lo
	v_add_f64 v[35:36], v[29:30], v[25:26]
	v_add_f64 v[23:24], v[29:30], -v[23:24]
	v_cmp_gt_f64_e32 vcc_lo, 0, v[35:36]
	v_add_f64 v[35:36], v[33:34], -v[37:38]
	v_add_f64 v[23:24], v[27:28], -v[23:24]
	v_cndmask_b32_e64 v49, 0, 0x40100000, vcc_lo
	v_add_f64 v[53:54], v[33:34], -v[35:36]
	v_add_f64 v[21:22], v[21:22], -v[35:36]
	v_add_f64 v[25:26], v[25:26], v[48:49]
	v_add_f64 v[49:50], v[27:28], -v[33:34]
	v_add_f64 v[35:36], v[37:38], -v[53:54]
	v_add_f64 v[51:52], v[29:30], v[25:26]
	;; [unrolled: 3-line block ×3, first 2 shown]
	v_cvt_i32_f64_e32 v12, v[51:52]
	v_add_f64 v[33:34], v[33:34], -v[64:65]
	v_cvt_f64_i32_e32 v[49:50], v12
	v_add_f64 v[8:9], v[8:9], v[33:34]
	v_add_f64 v[25:26], v[25:26], -v[49:50]
	v_add_f64 v[8:9], v[21:22], v[8:9]
	v_add_f64 v[21:22], v[29:30], v[25:26]
	;; [unrolled: 1-line block ×3, first 2 shown]
	v_add_f64 v[8:9], v[21:22], -v[25:26]
	v_cmp_le_f64_e32 vcc_lo, 0.5, v[21:22]
	v_add_f64 v[6:7], v[23:24], v[6:7]
	v_add_f64 v[8:9], v[29:30], -v[8:9]
	v_cndmask_b32_e64 v49, 0, 0x3ff00000, vcc_lo
	v_add_co_ci_u32_e64 v12, null, 0, v12, vcc_lo
	v_add_f64 v[6:7], v[6:7], v[8:9]
	v_add_f64 v[8:9], v[21:22], -v[48:49]
	v_add_f64 v[21:22], v[8:9], v[6:7]
	v_mul_f64 v[23:24], v[21:22], s[6:7]
	v_add_f64 v[8:9], v[21:22], -v[8:9]
	v_fma_f64 v[25:26], v[21:22], s[6:7], -v[23:24]
	v_add_f64 v[6:7], v[6:7], -v[8:9]
	v_fma_f64 v[8:9], v[21:22], s[14:15], v[25:26]
	v_fma_f64 v[8:9], v[6:7], s[6:7], v[8:9]
	v_add_f64 v[6:7], v[23:24], v[8:9]
	v_add_f64 v[21:22], v[6:7], -v[23:24]
	v_add_f64 v[8:9], v[8:9], -v[21:22]
.LBB20_23:
	s_andn2_saveexec_b32 s5, s5
	s_cbranch_execz .LBB20_25
; %bb.24:
	s_mov_b32 s6, 0x6dc9c883
	s_mov_b32 s7, 0x3fe45f30
	;; [unrolled: 1-line block ×3, first 2 shown]
	v_mul_f64 v[6:7], |v[2:3]|, s[6:7]
	s_mov_b32 s6, 0x54442d18
	s_mov_b32 s7, 0xbff921fb
	;; [unrolled: 1-line block ×3, first 2 shown]
	v_rndne_f64_e32 v[21:22], v[6:7]
	v_fma_f64 v[6:7], v[21:22], s[6:7], |v[2:3]|
	v_mul_f64 v[8:9], v[21:22], s[14:15]
	s_mov_b32 s6, 0x252049c0
	s_mov_b32 s7, 0xb97b839a
	v_cvt_i32_f64_e32 v12, v[21:22]
	v_fma_f64 v[25:26], v[21:22], s[14:15], v[6:7]
	v_add_f64 v[23:24], v[6:7], v[8:9]
	s_mov_b32 s15, 0x3c91a626
	v_add_f64 v[6:7], v[6:7], -v[23:24]
	v_add_f64 v[23:24], v[23:24], -v[25:26]
	v_add_f64 v[6:7], v[6:7], v[8:9]
	v_fma_f64 v[8:9], v[21:22], s[14:15], v[8:9]
	v_add_f64 v[6:7], v[23:24], v[6:7]
	v_add_f64 v[6:7], v[6:7], -v[8:9]
	v_fma_f64 v[8:9], v[21:22], s[6:7], v[6:7]
	v_add_f64 v[6:7], v[25:26], v[8:9]
	v_add_f64 v[23:24], v[6:7], -v[25:26]
	v_add_f64 v[8:9], v[8:9], -v[23:24]
.LBB20_25:
	s_or_b32 exec_lo, exec_lo, s5
	v_mul_f64 v[21:22], v[6:7], v[6:7]
	v_add_f64 v[23:24], v[8:9], v[8:9]
	s_mov_b32 s14, 0xa9a29f71
	s_mov_b32 s16, 0xc751c08c
	;; [unrolled: 1-line block ×4, first 2 shown]
	v_cmp_class_f64_e64 s5, v[2:3], 0x1f8
	v_and_b32_e32 v12, 1, v12
	v_and_b32_e32 v3, 0x80000000, v3
	v_sub_f32_e32 v14, 1.0, v14
	s_mov_b32 s6, exec_lo
	v_cmp_eq_u32_e32 vcc_lo, 0, v12
	v_fma_f64 v[25:26], v[6:7], v[6:7], -v[21:22]
	v_fma_f64 v[23:24], v[6:7], v[23:24], v[25:26]
	v_add_f64 v[21:22], v[21:22], v[23:24]
	v_fma_f64 v[23:24], v[21:22], s[16:17], s[14:15]
	s_mov_b32 s14, 0x90a8aae0
	s_mov_b32 s15, 0x3f17746f
	v_fma_f64 v[23:24], v[21:22], v[23:24], s[14:15]
	s_mov_b32 s14, 0xa6fbf144
	s_mov_b32 s15, 0xbefbb44d
	;; [unrolled: 3-line block ×13, first 2 shown]
	v_mul_f64 v[21:22], v[21:22], v[23:24]
	v_mul_f64 v[23:24], v[6:7], v[21:22]
	v_add_f64 v[25:26], v[6:7], v[23:24]
	v_fma_f64 v[21:22], v[6:7], v[21:22], -v[23:24]
	v_add_f64 v[6:7], v[25:26], -v[6:7]
	v_add_f64 v[8:9], v[8:9], v[21:22]
	v_add_f64 v[6:7], v[23:24], -v[6:7]
	v_add_f64 v[6:7], v[8:9], v[6:7]
	v_add_f64 v[8:9], v[25:26], v[6:7]
	v_rcp_f64_e32 v[21:22], v[8:9]
	v_fma_f64 v[23:24], -v[8:9], v[21:22], 1.0
	v_fma_f64 v[21:22], v[23:24], v[21:22], v[21:22]
	v_fma_f64 v[23:24], -v[8:9], v[21:22], 1.0
	v_fma_f64 v[21:22], v[23:24], v[21:22], v[21:22]
	v_add_f64 v[23:24], v[8:9], -v[25:26]
	v_mul_f64 v[25:26], v[8:9], v[21:22]
	v_add_f64 v[6:7], v[6:7], -v[23:24]
	v_fma_f64 v[23:24], v[21:22], v[8:9], -v[25:26]
	v_fma_f64 v[6:7], v[21:22], v[6:7], v[23:24]
	v_add_f64 v[23:24], v[25:26], v[6:7]
	v_add_f64 v[27:28], -v[23:24], 1.0
	v_add_f64 v[25:26], v[23:24], -v[25:26]
	v_add_f64 v[29:30], -v[27:28], 1.0
	v_add_f64 v[6:7], v[25:26], -v[6:7]
	v_add_f64 v[23:24], v[29:30], -v[23:24]
	v_add_f64 v[6:7], v[6:7], v[23:24]
	v_add_f64 v[6:7], v[27:28], v[6:7]
	v_mul_f64 v[6:7], v[21:22], v[6:7]
	v_add_f64 v[6:7], v[21:22], v[6:7]
	v_xor_b32_e32 v2, 0x80000000, v7
	v_cndmask_b32_e32 v6, v6, v8, vcc_lo
	v_cndmask_b32_e32 v2, v2, v9, vcc_lo
	v_xor_b32_e32 v3, v2, v3
	v_cndmask_b32_e64 v2, 0, v6, s5
	v_cndmask_b32_e64 v3, 0x7ff80000, v3, s5
	v_div_scale_f64 v[6:7], null, v[2:3], v[2:3], s[14:15]
	v_rcp_f64_e32 v[8:9], v[6:7]
	v_fma_f64 v[21:22], -v[6:7], v[8:9], 1.0
	v_fma_f64 v[8:9], v[8:9], v[21:22], v[8:9]
	v_fma_f64 v[21:22], -v[6:7], v[8:9], 1.0
	v_fma_f64 v[8:9], v[8:9], v[21:22], v[8:9]
	v_div_scale_f64 v[21:22], vcc_lo, s[14:15], v[2:3], s[14:15]
	v_mul_f64 v[23:24], v[21:22], v[8:9]
	v_fma_f64 v[6:7], -v[6:7], v[23:24], v[21:22]
	v_div_fmas_f64 v[6:7], v[6:7], v[8:9], v[23:24]
	v_div_fixup_f64 v[2:3], v[6:7], v[2:3], s[14:15]
	v_cvt_f32_f64_e32 v2, v[2:3]
.LBB20_26:
	s_or_b32 exec_lo, exec_lo, s12
	s_orn2_b32 s5, s6, exec_lo
.LBB20_27:
	s_or_b32 exec_lo, exec_lo, s11
	v_mov_b32_e32 v12, 0x7e00
	s_and_saveexec_b32 s7, s5
	s_cbranch_execz .LBB20_39
; %bb.28:
	s_mov_b32 s5, exec_lo
	v_cmpx_gt_f32_e32 0x41200000, v14
	s_cbranch_execz .LBB20_32
; %bb.29:
	s_mov_b32 s6, 0
	.p2align	6
.LBB20_30:                              ; =>This Inner Loop Header: Depth=1
	v_div_scale_f32 v3, null, v14, v14, 1.0
	v_div_scale_f32 v8, vcc_lo, 1.0, v14, 1.0
	v_rcp_f32_e32 v6, v3
	v_fma_f32 v7, -v3, v6, 1.0
	v_fmac_f32_e32 v6, v7, v6
	v_mul_f32_e32 v7, v8, v6
	v_fma_f32 v9, -v3, v7, v8
	v_fmac_f32_e32 v7, v9, v6
	v_fma_f32 v3, -v3, v7, v8
	v_div_fmas_f32 v3, v3, v6, v7
	v_div_fixup_f32 v3, v3, v14, 1.0
	v_add_f32_e32 v14, 1.0, v14
	v_sub_f32_e32 v2, v2, v3
	v_cmp_ngt_f32_e32 vcc_lo, 0x41200000, v14
	s_or_b32 s6, vcc_lo, s6
	s_andn2_b32 exec_lo, exec_lo, s6
	s_cbranch_execnz .LBB20_30
; %bb.31:
	s_or_b32 exec_lo, exec_lo, s6
.LBB20_32:
	s_or_b32 exec_lo, exec_lo, s5
                                        ; implicit-def: $vgpr12
	s_mov_b32 s5, exec_lo
	v_cmpx_neq_f32_e32 0x41200000, v14
	s_xor_b32 s11, exec_lo, s5
	s_cbranch_execz .LBB20_36
; %bb.33:
	v_cvt_f64_f32_e32 v[6:7], v14
	v_mov_b32_e32 v3, 0
	s_mov_b32 s12, 0x85d8a000
	s_mov_b32 s13, 0x43763457
	s_mov_b32 s5, exec_lo
	v_cmpx_gt_f64_e32 s[12:13], v[6:7]
	s_cbranch_execz .LBB20_35
; %bb.34:
	v_mul_f32_e32 v3, v14, v14
	v_div_scale_f32 v6, null, v3, v3, 1.0
	v_rcp_f32_e32 v7, v6
	v_fma_f32 v8, -v6, v7, 1.0
	v_fmac_f32_e32 v7, v8, v7
	v_div_scale_f32 v8, vcc_lo, 1.0, v3, 1.0
	v_mul_f32_e32 v9, v8, v7
	v_fma_f32 v12, -v6, v9, v8
	v_fmac_f32_e32 v9, v12, v7
	v_fma_f32 v6, -v6, v9, v8
	v_div_fmas_f32 v6, v6, v7, v9
	v_div_fixup_f32 v3, v6, v3, 1.0
	v_fmaak_f32 v6, 0, v3, 0x3daaaaab
	v_fmaak_f32 v6, v3, v6, 0xbcaccacd
	;; [unrolled: 1-line block ×7, first 2 shown]
	v_mul_f32_e32 v3, v3, v6
.LBB20_35:
	s_or_b32 exec_lo, exec_lo, s5
	v_cmp_gt_f32_e32 vcc_lo, 0x800000, v14
	v_div_scale_f32 v6, null, v14, v14, -0.5
	v_div_scale_f32 v12, s5, -0.5, v14, -0.5
	v_cndmask_b32_e64 v7, 0, 32, vcc_lo
	v_rcp_f32_e32 v8, v6
	v_ldexp_f32 v7, v14, v7
	v_log_f32_e32 v7, v7
	v_fma_f32 v9, -v6, v8, 1.0
	v_fmac_f32_e32 v8, v9, v8
	v_mul_f32_e32 v9, 0x3f317217, v7
	v_mul_f32_e32 v21, v12, v8
	v_cmp_gt_f32_e64 s6, 0x7f800000, |v7|
	v_fma_f32 v9, 0x3f317217, v7, -v9
	v_fma_f32 v22, -v6, v21, v12
	v_fmamk_f32 v9, v7, 0x3377d1cf, v9
	v_fmac_f32_e32 v21, v22, v8
	v_fmac_f32_e32 v9, 0x3f317217, v7
	v_fma_f32 v6, -v6, v21, v12
	v_cndmask_b32_e64 v7, v7, v9, s6
	v_cndmask_b32_e64 v9, 0, 0x41b17218, vcc_lo
	s_mov_b32 vcc_lo, s5
	v_div_fmas_f32 v6, v6, v8, v21
	v_sub_f32_e32 v7, v7, v9
	v_div_fixup_f32 v6, v6, v14, -0.5
	v_add_f32_e32 v6, v7, v6
	v_sub_f32_e32 v3, v6, v3
	v_add_f32_e32 v2, v2, v3
	v_cvt_f16_f32_e32 v12, v2
                                        ; implicit-def: $vgpr2
.LBB20_36:
	s_andn2_saveexec_b32 s5, s11
; %bb.37:
	v_add_f32_e32 v2, 0x40101cb7, v2
	v_cvt_f16_f32_e32 v12, v2
; %bb.38:
	s_or_b32 exec_lo, exec_lo, s5
.LBB20_39:
	s_or_b32 exec_lo, exec_lo, s7
                                        ; implicit-def: $vgpr14
.LBB20_40:
	s_andn2_saveexec_b32 s5, s10
; %bb.41:
	v_xor_b32_e32 v2, 0x80000000, v14
	s_movk_i32 s6, 0x7c00
	v_lshrrev_b32_e32 v2, 16, v2
	v_bfi_b32 v12, 0x7fff, s6, v2
; %bb.42:
	s_or_b32 exec_lo, exec_lo, s5
	s_or_b32 exec_lo, exec_lo, s9
	s_mov_b32 s9, exec_lo
                                        ; implicit-def: $vgpr14
	v_cmpx_lt_i32_e64 v11, v4
	s_cbranch_execz .LBB20_68
.LBB20_43:
	s_waitcnt vmcnt(0) lgkmcnt(0)
	v_cvt_f32_f16_e32 v21, v17
                                        ; implicit-def: $vgpr14
	s_mov_b32 s5, exec_lo
	v_cmpx_neq_f16_e32 0, v17
	s_xor_b32 s10, exec_lo, s5
	s_cbranch_execz .LBB20_65
; %bb.44:
	v_mov_b32_e32 v2, 0
	s_mov_b32 s5, -1
	s_mov_b32 s11, exec_lo
	v_cmpx_gt_f16_e32 0, v17
	s_cbranch_execz .LBB20_52
; %bb.45:
	v_trunc_f32_e32 v2, v21
	s_mov_b32 s6, 0
	v_cmp_neq_f32_e32 vcc_lo, v2, v21
	v_mov_b32_e32 v2, 0
	s_and_saveexec_b32 s12, vcc_lo
	s_cbranch_execz .LBB20_51
; %bb.46:
	v_cvt_f32_f16_e32 v2, v17
	s_mov_b32 s7, 0xc00921fb
	s_mov_b32 s6, 0x54442d18
                                        ; implicit-def: $vgpr14
                                        ; implicit-def: $vgpr8_vgpr9
	v_cvt_f64_f32_e32 v[2:3], v2
	v_trunc_f64_e32 v[6:7], v[2:3]
	v_cmp_neq_f64_e64 vcc_lo, 0x7ff00000, |v[2:3]|
	v_add_f64 v[6:7], v[2:3], -v[6:7]
	v_mul_f64 v[6:7], |v[6:7]|, s[6:7]
	v_cndmask_b32_e32 v3, 0x80000000, v7, vcc_lo
	v_cndmask_b32_e32 v2, 0, v6, vcc_lo
                                        ; implicit-def: $vgpr6_vgpr7
	v_cmp_ngt_f64_e64 s5, 0x41d00000, |v[2:3]|
	s_and_saveexec_b32 s7, s5
	s_xor_b32 s5, exec_lo, s7
	s_cbranch_execz .LBB20_48
; %bb.47:
	v_ldexp_f64 v[6:7], |v[2:3]|, 0xffffff80
	v_cmp_le_f64_e64 vcc_lo, 0x7b000000, |v[2:3]|
	v_trig_preop_f64 v[8:9], |v[2:3]|, 0
	v_and_b32_e32 v14, 0x7fffffff, v3
	v_trig_preop_f64 v[22:23], |v[2:3]|, 1
	v_trig_preop_f64 v[32:33], |v[2:3]|, 2
	v_mov_b32_e32 v48, 0
	s_mov_b32 s7, 0x3ff921fb
	s_mov_b32 s14, 0x33145c07
	;; [unrolled: 1-line block ×3, first 2 shown]
	v_cndmask_b32_e32 v7, v14, v7, vcc_lo
	v_cndmask_b32_e32 v6, v2, v6, vcc_lo
	v_mul_f64 v[24:25], v[8:9], v[6:7]
	v_mul_f64 v[26:27], v[22:23], v[6:7]
	v_mul_f64 v[38:39], v[32:33], v[6:7]
	v_fma_f64 v[8:9], v[8:9], v[6:7], -v[24:25]
	v_fma_f64 v[22:23], v[22:23], v[6:7], -v[26:27]
	;; [unrolled: 1-line block ×3, first 2 shown]
	v_add_f64 v[28:29], v[26:27], v[8:9]
	v_add_f64 v[30:31], v[28:29], -v[26:27]
	v_add_f64 v[36:37], v[24:25], v[28:29]
	v_add_f64 v[34:35], v[28:29], -v[30:31]
	v_add_f64 v[8:9], v[8:9], -v[30:31]
	v_ldexp_f64 v[30:31], v[36:37], -2
	v_add_f64 v[24:25], v[36:37], -v[24:25]
	v_add_f64 v[26:27], v[26:27], -v[34:35]
	v_add_f64 v[34:35], v[38:39], v[22:23]
	v_cmp_neq_f64_e64 vcc_lo, 0x7ff00000, |v[30:31]|
	v_add_f64 v[24:25], v[28:29], -v[24:25]
	v_add_f64 v[8:9], v[8:9], v[26:27]
	v_fract_f64_e32 v[26:27], v[30:31]
	v_add_f64 v[28:29], v[34:35], v[8:9]
	v_ldexp_f64 v[26:27], v[26:27], 2
	v_add_f64 v[30:31], v[24:25], v[28:29]
	v_cndmask_b32_e32 v27, 0, v27, vcc_lo
	v_cndmask_b32_e32 v26, 0, v26, vcc_lo
	v_add_f64 v[36:37], v[30:31], v[26:27]
	v_add_f64 v[24:25], v[30:31], -v[24:25]
	v_cmp_gt_f64_e32 vcc_lo, 0, v[36:37]
	v_add_f64 v[36:37], v[34:35], -v[38:39]
	v_add_f64 v[24:25], v[28:29], -v[24:25]
	v_cndmask_b32_e64 v49, 0, 0x40100000, vcc_lo
	v_add_f64 v[53:54], v[34:35], -v[36:37]
	v_add_f64 v[22:23], v[22:23], -v[36:37]
	v_add_f64 v[26:27], v[26:27], v[48:49]
	v_add_f64 v[49:50], v[28:29], -v[34:35]
	v_add_f64 v[36:37], v[38:39], -v[53:54]
	v_add_f64 v[51:52], v[30:31], v[26:27]
	;; [unrolled: 3-line block ×3, first 2 shown]
	v_cvt_i32_f64_e32 v14, v[51:52]
	v_add_f64 v[34:35], v[34:35], -v[64:65]
	v_cvt_f64_i32_e32 v[49:50], v14
	v_add_f64 v[8:9], v[8:9], v[34:35]
	v_add_f64 v[26:27], v[26:27], -v[49:50]
	v_add_f64 v[8:9], v[22:23], v[8:9]
	v_add_f64 v[22:23], v[30:31], v[26:27]
	;; [unrolled: 1-line block ×3, first 2 shown]
	v_add_f64 v[8:9], v[22:23], -v[26:27]
	v_cmp_le_f64_e32 vcc_lo, 0.5, v[22:23]
	v_add_f64 v[6:7], v[24:25], v[6:7]
	v_add_f64 v[8:9], v[30:31], -v[8:9]
	v_cndmask_b32_e64 v49, 0, 0x3ff00000, vcc_lo
	v_add_co_ci_u32_e64 v14, null, 0, v14, vcc_lo
	v_add_f64 v[6:7], v[6:7], v[8:9]
	v_add_f64 v[8:9], v[22:23], -v[48:49]
	v_add_f64 v[22:23], v[8:9], v[6:7]
	v_mul_f64 v[24:25], v[22:23], s[6:7]
	v_add_f64 v[8:9], v[22:23], -v[8:9]
	v_fma_f64 v[26:27], v[22:23], s[6:7], -v[24:25]
	v_add_f64 v[6:7], v[6:7], -v[8:9]
	v_fma_f64 v[8:9], v[22:23], s[14:15], v[26:27]
	v_fma_f64 v[8:9], v[6:7], s[6:7], v[8:9]
	v_add_f64 v[6:7], v[24:25], v[8:9]
	v_add_f64 v[22:23], v[6:7], -v[24:25]
	v_add_f64 v[8:9], v[8:9], -v[22:23]
.LBB20_48:
	s_andn2_saveexec_b32 s5, s5
	s_cbranch_execz .LBB20_50
; %bb.49:
	s_mov_b32 s6, 0x6dc9c883
	s_mov_b32 s7, 0x3fe45f30
	;; [unrolled: 1-line block ×3, first 2 shown]
	v_mul_f64 v[6:7], |v[2:3]|, s[6:7]
	s_mov_b32 s6, 0x54442d18
	s_mov_b32 s7, 0xbff921fb
	s_mov_b32 s14, 0x33145c00
	v_rndne_f64_e32 v[22:23], v[6:7]
	v_fma_f64 v[6:7], v[22:23], s[6:7], |v[2:3]|
	v_mul_f64 v[8:9], v[22:23], s[14:15]
	s_mov_b32 s6, 0x252049c0
	s_mov_b32 s7, 0xb97b839a
	v_cvt_i32_f64_e32 v14, v[22:23]
	v_fma_f64 v[26:27], v[22:23], s[14:15], v[6:7]
	v_add_f64 v[24:25], v[6:7], v[8:9]
	s_mov_b32 s15, 0x3c91a626
	v_add_f64 v[6:7], v[6:7], -v[24:25]
	v_add_f64 v[24:25], v[24:25], -v[26:27]
	v_add_f64 v[6:7], v[6:7], v[8:9]
	v_fma_f64 v[8:9], v[22:23], s[14:15], v[8:9]
	v_add_f64 v[6:7], v[24:25], v[6:7]
	v_add_f64 v[6:7], v[6:7], -v[8:9]
	v_fma_f64 v[8:9], v[22:23], s[6:7], v[6:7]
	v_add_f64 v[6:7], v[26:27], v[8:9]
	v_add_f64 v[24:25], v[6:7], -v[26:27]
	v_add_f64 v[8:9], v[8:9], -v[24:25]
.LBB20_50:
	s_or_b32 exec_lo, exec_lo, s5
	v_mul_f64 v[22:23], v[6:7], v[6:7]
	v_add_f64 v[24:25], v[8:9], v[8:9]
	s_mov_b32 s14, 0xa9a29f71
	s_mov_b32 s16, 0xc751c08c
	;; [unrolled: 1-line block ×4, first 2 shown]
	v_cmp_class_f64_e64 s5, v[2:3], 0x1f8
	v_and_b32_e32 v14, 1, v14
	v_and_b32_e32 v3, 0x80000000, v3
	v_sub_f32_e32 v21, 1.0, v21
	s_mov_b32 s6, exec_lo
	v_cmp_eq_u32_e32 vcc_lo, 0, v14
	v_fma_f64 v[26:27], v[6:7], v[6:7], -v[22:23]
	v_fma_f64 v[24:25], v[6:7], v[24:25], v[26:27]
	v_add_f64 v[22:23], v[22:23], v[24:25]
	v_fma_f64 v[24:25], v[22:23], s[16:17], s[14:15]
	s_mov_b32 s14, 0x90a8aae0
	s_mov_b32 s15, 0x3f17746f
	v_fma_f64 v[24:25], v[22:23], v[24:25], s[14:15]
	s_mov_b32 s14, 0xa6fbf144
	s_mov_b32 s15, 0xbefbb44d
	;; [unrolled: 3-line block ×13, first 2 shown]
	v_mul_f64 v[22:23], v[22:23], v[24:25]
	v_mul_f64 v[24:25], v[6:7], v[22:23]
	v_add_f64 v[26:27], v[6:7], v[24:25]
	v_fma_f64 v[22:23], v[6:7], v[22:23], -v[24:25]
	v_add_f64 v[6:7], v[26:27], -v[6:7]
	v_add_f64 v[8:9], v[8:9], v[22:23]
	v_add_f64 v[6:7], v[24:25], -v[6:7]
	v_add_f64 v[6:7], v[8:9], v[6:7]
	v_add_f64 v[8:9], v[26:27], v[6:7]
	v_rcp_f64_e32 v[22:23], v[8:9]
	v_fma_f64 v[24:25], -v[8:9], v[22:23], 1.0
	v_fma_f64 v[22:23], v[24:25], v[22:23], v[22:23]
	v_fma_f64 v[24:25], -v[8:9], v[22:23], 1.0
	v_fma_f64 v[22:23], v[24:25], v[22:23], v[22:23]
	v_add_f64 v[24:25], v[8:9], -v[26:27]
	v_mul_f64 v[26:27], v[8:9], v[22:23]
	v_add_f64 v[6:7], v[6:7], -v[24:25]
	v_fma_f64 v[24:25], v[22:23], v[8:9], -v[26:27]
	v_fma_f64 v[6:7], v[22:23], v[6:7], v[24:25]
	v_add_f64 v[24:25], v[26:27], v[6:7]
	v_add_f64 v[28:29], -v[24:25], 1.0
	v_add_f64 v[26:27], v[24:25], -v[26:27]
	v_add_f64 v[30:31], -v[28:29], 1.0
	v_add_f64 v[6:7], v[26:27], -v[6:7]
	v_add_f64 v[24:25], v[30:31], -v[24:25]
	v_add_f64 v[6:7], v[6:7], v[24:25]
	v_add_f64 v[6:7], v[28:29], v[6:7]
	v_mul_f64 v[6:7], v[22:23], v[6:7]
	v_add_f64 v[6:7], v[22:23], v[6:7]
	v_xor_b32_e32 v2, 0x80000000, v7
	v_cndmask_b32_e32 v6, v6, v8, vcc_lo
	v_cndmask_b32_e32 v2, v2, v9, vcc_lo
	v_xor_b32_e32 v3, v2, v3
	v_cndmask_b32_e64 v2, 0, v6, s5
	v_cndmask_b32_e64 v3, 0x7ff80000, v3, s5
	v_div_scale_f64 v[6:7], null, v[2:3], v[2:3], s[14:15]
	v_rcp_f64_e32 v[8:9], v[6:7]
	v_fma_f64 v[22:23], -v[6:7], v[8:9], 1.0
	v_fma_f64 v[8:9], v[8:9], v[22:23], v[8:9]
	v_fma_f64 v[22:23], -v[6:7], v[8:9], 1.0
	v_fma_f64 v[8:9], v[8:9], v[22:23], v[8:9]
	v_div_scale_f64 v[22:23], vcc_lo, s[14:15], v[2:3], s[14:15]
	v_mul_f64 v[24:25], v[22:23], v[8:9]
	v_fma_f64 v[6:7], -v[6:7], v[24:25], v[22:23]
	v_div_fmas_f64 v[6:7], v[6:7], v[8:9], v[24:25]
	v_div_fixup_f64 v[2:3], v[6:7], v[2:3], s[14:15]
	v_cvt_f32_f64_e32 v2, v[2:3]
.LBB20_51:
	s_or_b32 exec_lo, exec_lo, s12
	s_orn2_b32 s5, s6, exec_lo
.LBB20_52:
	s_or_b32 exec_lo, exec_lo, s11
	v_mov_b32_e32 v14, 0x7e00
	s_and_saveexec_b32 s7, s5
	s_cbranch_execz .LBB20_64
; %bb.53:
	s_mov_b32 s5, exec_lo
	v_cmpx_gt_f32_e32 0x41200000, v21
	s_cbranch_execz .LBB20_57
; %bb.54:
	s_mov_b32 s6, 0
	.p2align	6
.LBB20_55:                              ; =>This Inner Loop Header: Depth=1
	v_div_scale_f32 v3, null, v21, v21, 1.0
	v_div_scale_f32 v8, vcc_lo, 1.0, v21, 1.0
	v_rcp_f32_e32 v6, v3
	v_fma_f32 v7, -v3, v6, 1.0
	v_fmac_f32_e32 v6, v7, v6
	v_mul_f32_e32 v7, v8, v6
	v_fma_f32 v9, -v3, v7, v8
	v_fmac_f32_e32 v7, v9, v6
	v_fma_f32 v3, -v3, v7, v8
	v_div_fmas_f32 v3, v3, v6, v7
	v_div_fixup_f32 v3, v3, v21, 1.0
	v_add_f32_e32 v21, 1.0, v21
	v_sub_f32_e32 v2, v2, v3
	v_cmp_ngt_f32_e32 vcc_lo, 0x41200000, v21
	s_or_b32 s6, vcc_lo, s6
	s_andn2_b32 exec_lo, exec_lo, s6
	s_cbranch_execnz .LBB20_55
; %bb.56:
	s_or_b32 exec_lo, exec_lo, s6
.LBB20_57:
	s_or_b32 exec_lo, exec_lo, s5
                                        ; implicit-def: $vgpr14
	s_mov_b32 s5, exec_lo
	v_cmpx_neq_f32_e32 0x41200000, v21
	s_xor_b32 s11, exec_lo, s5
	s_cbranch_execz .LBB20_61
; %bb.58:
	v_cvt_f64_f32_e32 v[6:7], v21
	v_mov_b32_e32 v3, 0
	s_mov_b32 s12, 0x85d8a000
	s_mov_b32 s13, 0x43763457
	s_mov_b32 s5, exec_lo
	v_cmpx_gt_f64_e32 s[12:13], v[6:7]
	s_cbranch_execz .LBB20_60
; %bb.59:
	v_mul_f32_e32 v3, v21, v21
	v_div_scale_f32 v6, null, v3, v3, 1.0
	v_rcp_f32_e32 v7, v6
	v_fma_f32 v8, -v6, v7, 1.0
	v_fmac_f32_e32 v7, v8, v7
	v_div_scale_f32 v8, vcc_lo, 1.0, v3, 1.0
	v_mul_f32_e32 v9, v8, v7
	v_fma_f32 v14, -v6, v9, v8
	v_fmac_f32_e32 v9, v14, v7
	v_fma_f32 v6, -v6, v9, v8
	v_div_fmas_f32 v6, v6, v7, v9
	v_div_fixup_f32 v3, v6, v3, 1.0
	v_fmaak_f32 v6, 0, v3, 0x3daaaaab
	v_fmaak_f32 v6, v3, v6, 0xbcaccacd
	;; [unrolled: 1-line block ×7, first 2 shown]
	v_mul_f32_e32 v3, v3, v6
.LBB20_60:
	s_or_b32 exec_lo, exec_lo, s5
	v_cmp_gt_f32_e32 vcc_lo, 0x800000, v21
	v_div_scale_f32 v6, null, v21, v21, -0.5
	v_div_scale_f32 v14, s5, -0.5, v21, -0.5
	v_cndmask_b32_e64 v7, 0, 32, vcc_lo
	v_rcp_f32_e32 v8, v6
	v_ldexp_f32 v7, v21, v7
	v_log_f32_e32 v7, v7
	v_fma_f32 v9, -v6, v8, 1.0
	v_fmac_f32_e32 v8, v9, v8
	v_mul_f32_e32 v9, 0x3f317217, v7
	v_mul_f32_e32 v17, v14, v8
	v_cmp_gt_f32_e64 s6, 0x7f800000, |v7|
	v_fma_f32 v9, 0x3f317217, v7, -v9
	v_fma_f32 v22, -v6, v17, v14
	v_fmamk_f32 v9, v7, 0x3377d1cf, v9
	v_fmac_f32_e32 v17, v22, v8
	v_fmac_f32_e32 v9, 0x3f317217, v7
	v_fma_f32 v6, -v6, v17, v14
	v_cndmask_b32_e64 v7, v7, v9, s6
	v_cndmask_b32_e64 v9, 0, 0x41b17218, vcc_lo
	s_mov_b32 vcc_lo, s5
	v_div_fmas_f32 v6, v6, v8, v17
	v_sub_f32_e32 v7, v7, v9
	v_div_fixup_f32 v6, v6, v21, -0.5
	v_add_f32_e32 v6, v7, v6
	v_sub_f32_e32 v3, v6, v3
	v_add_f32_e32 v2, v2, v3
	v_cvt_f16_f32_e32 v14, v2
                                        ; implicit-def: $vgpr2
.LBB20_61:
	s_andn2_saveexec_b32 s5, s11
; %bb.62:
	v_add_f32_e32 v2, 0x40101cb7, v2
	v_cvt_f16_f32_e32 v14, v2
; %bb.63:
	s_or_b32 exec_lo, exec_lo, s5
.LBB20_64:
	s_or_b32 exec_lo, exec_lo, s7
                                        ; implicit-def: $vgpr21
.LBB20_65:
	s_andn2_saveexec_b32 s5, s10
; %bb.66:
	v_xor_b32_e32 v2, 0x80000000, v21
	s_movk_i32 s6, 0x7c00
	v_lshrrev_b32_e32 v2, 16, v2
	v_bfi_b32 v14, 0x7fff, s6, v2
; %bb.67:
	s_or_b32 exec_lo, exec_lo, s5
.LBB20_68:
	s_or_b32 exec_lo, exec_lo, s9
	v_add_nc_u32_e32 v2, 0x200, v10
	s_mov_b32 s9, exec_lo
                                        ; implicit-def: $vgpr17
	v_cmpx_lt_i32_e64 v2, v4
	s_cbranch_execz .LBB20_94
; %bb.69:
	s_waitcnt vmcnt(0) lgkmcnt(0)
	v_cvt_f32_f16_e32 v21, v18
                                        ; implicit-def: $vgpr17
	s_mov_b32 s5, exec_lo
	v_cmpx_neq_f16_e32 0, v18
	s_xor_b32 s10, exec_lo, s5
	s_cbranch_execz .LBB20_91
; %bb.70:
	v_mov_b32_e32 v2, 0
	s_mov_b32 s5, -1
	s_mov_b32 s11, exec_lo
	v_cmpx_gt_f16_e32 0, v18
	s_cbranch_execz .LBB20_78
; %bb.71:
	v_trunc_f32_e32 v2, v21
	s_mov_b32 s6, 0
	v_cmp_neq_f32_e32 vcc_lo, v2, v21
	v_mov_b32_e32 v2, 0
	s_and_saveexec_b32 s12, vcc_lo
	s_cbranch_execz .LBB20_77
; %bb.72:
	v_cvt_f32_f16_e32 v2, v18
	s_mov_b32 s7, 0xc00921fb
	s_mov_b32 s6, 0x54442d18
                                        ; implicit-def: $vgpr17
                                        ; implicit-def: $vgpr8_vgpr9
	v_cvt_f64_f32_e32 v[2:3], v2
	v_trunc_f64_e32 v[6:7], v[2:3]
	v_cmp_neq_f64_e64 vcc_lo, 0x7ff00000, |v[2:3]|
	v_add_f64 v[6:7], v[2:3], -v[6:7]
	v_mul_f64 v[6:7], |v[6:7]|, s[6:7]
	v_cndmask_b32_e32 v3, 0x80000000, v7, vcc_lo
	v_cndmask_b32_e32 v2, 0, v6, vcc_lo
                                        ; implicit-def: $vgpr6_vgpr7
	v_cmp_ngt_f64_e64 s5, 0x41d00000, |v[2:3]|
	s_and_saveexec_b32 s7, s5
	s_xor_b32 s5, exec_lo, s7
	s_cbranch_execz .LBB20_74
; %bb.73:
	v_ldexp_f64 v[6:7], |v[2:3]|, 0xffffff80
	v_cmp_le_f64_e64 vcc_lo, 0x7b000000, |v[2:3]|
	v_trig_preop_f64 v[8:9], |v[2:3]|, 0
	v_and_b32_e32 v17, 0x7fffffff, v3
	v_trig_preop_f64 v[30:31], |v[2:3]|, 2
	v_mov_b32_e32 v38, 0
	s_mov_b32 s7, 0x3ff921fb
	s_mov_b32 s14, 0x33145c07
	;; [unrolled: 1-line block ×3, first 2 shown]
	v_cndmask_b32_e32 v7, v17, v7, vcc_lo
	v_cndmask_b32_e32 v6, v2, v6, vcc_lo
	v_trig_preop_f64 v[17:18], |v[2:3]|, 1
	v_mul_f64 v[22:23], v[8:9], v[6:7]
	v_mul_f64 v[36:37], v[30:31], v[6:7]
	;; [unrolled: 1-line block ×3, first 2 shown]
	v_fma_f64 v[8:9], v[8:9], v[6:7], -v[22:23]
	v_fma_f64 v[17:18], v[17:18], v[6:7], -v[24:25]
	v_fma_f64 v[6:7], v[30:31], v[6:7], -v[36:37]
	v_add_f64 v[26:27], v[24:25], v[8:9]
	v_add_f64 v[28:29], v[26:27], -v[24:25]
	v_add_f64 v[34:35], v[22:23], v[26:27]
	v_add_f64 v[32:33], v[26:27], -v[28:29]
	v_add_f64 v[8:9], v[8:9], -v[28:29]
	v_ldexp_f64 v[28:29], v[34:35], -2
	v_add_f64 v[22:23], v[34:35], -v[22:23]
	v_add_f64 v[24:25], v[24:25], -v[32:33]
	v_add_f64 v[32:33], v[36:37], v[17:18]
	v_cmp_neq_f64_e64 vcc_lo, 0x7ff00000, |v[28:29]|
	v_add_f64 v[22:23], v[26:27], -v[22:23]
	v_add_f64 v[8:9], v[8:9], v[24:25]
	v_fract_f64_e32 v[24:25], v[28:29]
	v_add_f64 v[26:27], v[32:33], v[8:9]
	v_ldexp_f64 v[24:25], v[24:25], 2
	v_add_f64 v[28:29], v[22:23], v[26:27]
	v_cndmask_b32_e32 v25, 0, v25, vcc_lo
	v_cndmask_b32_e32 v24, 0, v24, vcc_lo
	v_add_f64 v[48:49], v[26:27], -v[32:33]
	v_add_f64 v[34:35], v[28:29], v[24:25]
	v_add_f64 v[22:23], v[28:29], -v[22:23]
	v_add_f64 v[54:55], v[26:27], -v[48:49]
	;; [unrolled: 1-line block ×3, first 2 shown]
	v_cmp_gt_f64_e32 vcc_lo, 0, v[34:35]
	v_add_f64 v[34:35], v[32:33], -v[36:37]
	v_cndmask_b32_e64 v39, 0, 0x40100000, vcc_lo
	v_add_f64 v[52:53], v[32:33], -v[34:35]
	v_add_f64 v[17:18], v[17:18], -v[34:35]
	;; [unrolled: 1-line block ×3, first 2 shown]
	v_add_f64 v[24:25], v[24:25], v[38:39]
	v_add_f64 v[34:35], v[36:37], -v[52:53]
	v_add_f64 v[8:9], v[8:9], v[32:33]
	v_add_f64 v[50:51], v[28:29], v[24:25]
	;; [unrolled: 1-line block ×3, first 2 shown]
	v_cvt_i32_f64_e32 v39, v[50:51]
	v_add_f64 v[8:9], v[17:18], v[8:9]
	v_add_f64 v[17:18], v[26:27], -v[22:23]
	v_cvt_f64_i32_e32 v[48:49], v39
	v_add_f64 v[6:7], v[6:7], v[8:9]
	v_add_f64 v[24:25], v[24:25], -v[48:49]
	v_add_f64 v[6:7], v[17:18], v[6:7]
	v_add_f64 v[30:31], v[28:29], v[24:25]
	v_add_f64 v[8:9], v[30:31], -v[24:25]
	v_cmp_le_f64_e32 vcc_lo, 0.5, v[30:31]
	v_add_f64 v[8:9], v[28:29], -v[8:9]
	v_add_co_ci_u32_e64 v17, null, 0, v39, vcc_lo
	v_cndmask_b32_e64 v39, 0, 0x3ff00000, vcc_lo
	v_add_f64 v[6:7], v[6:7], v[8:9]
	v_add_f64 v[8:9], v[30:31], -v[38:39]
	v_add_f64 v[22:23], v[8:9], v[6:7]
	v_mul_f64 v[24:25], v[22:23], s[6:7]
	v_add_f64 v[8:9], v[22:23], -v[8:9]
	v_fma_f64 v[26:27], v[22:23], s[6:7], -v[24:25]
	v_add_f64 v[6:7], v[6:7], -v[8:9]
	v_fma_f64 v[8:9], v[22:23], s[14:15], v[26:27]
	v_fma_f64 v[8:9], v[6:7], s[6:7], v[8:9]
	v_add_f64 v[6:7], v[24:25], v[8:9]
	v_add_f64 v[22:23], v[6:7], -v[24:25]
	v_add_f64 v[8:9], v[8:9], -v[22:23]
.LBB20_74:
	s_andn2_saveexec_b32 s5, s5
	s_cbranch_execz .LBB20_76
; %bb.75:
	s_mov_b32 s6, 0x6dc9c883
	s_mov_b32 s7, 0x3fe45f30
	s_mov_b32 s15, 0xbc91a626
	v_mul_f64 v[6:7], |v[2:3]|, s[6:7]
	s_mov_b32 s6, 0x54442d18
	s_mov_b32 s7, 0xbff921fb
	;; [unrolled: 1-line block ×3, first 2 shown]
	v_rndne_f64_e32 v[17:18], v[6:7]
	v_fma_f64 v[6:7], v[17:18], s[6:7], |v[2:3]|
	v_mul_f64 v[8:9], v[17:18], s[14:15]
	s_mov_b32 s6, 0x252049c0
	s_mov_b32 s7, 0xb97b839a
	v_fma_f64 v[24:25], v[17:18], s[14:15], v[6:7]
	v_add_f64 v[22:23], v[6:7], v[8:9]
	s_mov_b32 s15, 0x3c91a626
	v_add_f64 v[6:7], v[6:7], -v[22:23]
	v_add_f64 v[22:23], v[22:23], -v[24:25]
	v_add_f64 v[6:7], v[6:7], v[8:9]
	v_fma_f64 v[8:9], v[17:18], s[14:15], v[8:9]
	v_add_f64 v[6:7], v[22:23], v[6:7]
	v_add_f64 v[6:7], v[6:7], -v[8:9]
	v_fma_f64 v[8:9], v[17:18], s[6:7], v[6:7]
	v_cvt_i32_f64_e32 v17, v[17:18]
	v_add_f64 v[6:7], v[24:25], v[8:9]
	v_add_f64 v[22:23], v[6:7], -v[24:25]
	v_add_f64 v[8:9], v[8:9], -v[22:23]
.LBB20_76:
	s_or_b32 exec_lo, exec_lo, s5
	v_mul_f64 v[22:23], v[6:7], v[6:7]
	v_add_f64 v[24:25], v[8:9], v[8:9]
	s_mov_b32 s14, 0xa9a29f71
	s_mov_b32 s16, 0xc751c08c
	;; [unrolled: 1-line block ×4, first 2 shown]
	v_cmp_class_f64_e64 s5, v[2:3], 0x1f8
	v_and_b32_e32 v17, 1, v17
	v_and_b32_e32 v3, 0x80000000, v3
	v_sub_f32_e32 v21, 1.0, v21
	s_mov_b32 s6, exec_lo
	v_cmp_eq_u32_e32 vcc_lo, 0, v17
	v_fma_f64 v[26:27], v[6:7], v[6:7], -v[22:23]
	v_fma_f64 v[24:25], v[6:7], v[24:25], v[26:27]
	v_add_f64 v[22:23], v[22:23], v[24:25]
	v_fma_f64 v[24:25], v[22:23], s[16:17], s[14:15]
	s_mov_b32 s14, 0x90a8aae0
	s_mov_b32 s15, 0x3f17746f
	v_fma_f64 v[24:25], v[22:23], v[24:25], s[14:15]
	s_mov_b32 s14, 0xa6fbf144
	s_mov_b32 s15, 0xbefbb44d
	;; [unrolled: 3-line block ×13, first 2 shown]
	v_mul_f64 v[22:23], v[22:23], v[24:25]
	v_mul_f64 v[24:25], v[6:7], v[22:23]
	v_add_f64 v[26:27], v[6:7], v[24:25]
	v_fma_f64 v[22:23], v[6:7], v[22:23], -v[24:25]
	v_add_f64 v[6:7], v[26:27], -v[6:7]
	v_add_f64 v[8:9], v[8:9], v[22:23]
	v_add_f64 v[6:7], v[24:25], -v[6:7]
	v_add_f64 v[6:7], v[8:9], v[6:7]
	v_add_f64 v[8:9], v[26:27], v[6:7]
	v_rcp_f64_e32 v[22:23], v[8:9]
	v_fma_f64 v[24:25], -v[8:9], v[22:23], 1.0
	v_fma_f64 v[22:23], v[24:25], v[22:23], v[22:23]
	v_fma_f64 v[24:25], -v[8:9], v[22:23], 1.0
	v_fma_f64 v[22:23], v[24:25], v[22:23], v[22:23]
	v_add_f64 v[24:25], v[8:9], -v[26:27]
	v_mul_f64 v[26:27], v[8:9], v[22:23]
	v_add_f64 v[6:7], v[6:7], -v[24:25]
	v_fma_f64 v[24:25], v[22:23], v[8:9], -v[26:27]
	v_fma_f64 v[6:7], v[22:23], v[6:7], v[24:25]
	v_add_f64 v[24:25], v[26:27], v[6:7]
	v_add_f64 v[28:29], -v[24:25], 1.0
	v_add_f64 v[26:27], v[24:25], -v[26:27]
	v_add_f64 v[30:31], -v[28:29], 1.0
	v_add_f64 v[6:7], v[26:27], -v[6:7]
	v_add_f64 v[24:25], v[30:31], -v[24:25]
	v_add_f64 v[6:7], v[6:7], v[24:25]
	v_add_f64 v[6:7], v[28:29], v[6:7]
	v_mul_f64 v[6:7], v[22:23], v[6:7]
	v_add_f64 v[6:7], v[22:23], v[6:7]
	v_xor_b32_e32 v2, 0x80000000, v7
	v_cndmask_b32_e32 v6, v6, v8, vcc_lo
	v_cndmask_b32_e32 v2, v2, v9, vcc_lo
	v_xor_b32_e32 v3, v2, v3
	v_cndmask_b32_e64 v2, 0, v6, s5
	v_cndmask_b32_e64 v3, 0x7ff80000, v3, s5
	v_div_scale_f64 v[6:7], null, v[2:3], v[2:3], s[14:15]
	v_rcp_f64_e32 v[8:9], v[6:7]
	v_fma_f64 v[17:18], -v[6:7], v[8:9], 1.0
	v_fma_f64 v[8:9], v[8:9], v[17:18], v[8:9]
	v_fma_f64 v[17:18], -v[6:7], v[8:9], 1.0
	v_fma_f64 v[8:9], v[8:9], v[17:18], v[8:9]
	v_div_scale_f64 v[17:18], vcc_lo, s[14:15], v[2:3], s[14:15]
	v_mul_f64 v[22:23], v[17:18], v[8:9]
	v_fma_f64 v[6:7], -v[6:7], v[22:23], v[17:18]
	v_div_fmas_f64 v[6:7], v[6:7], v[8:9], v[22:23]
	v_div_fixup_f64 v[2:3], v[6:7], v[2:3], s[14:15]
	v_cvt_f32_f64_e32 v2, v[2:3]
.LBB20_77:
	s_or_b32 exec_lo, exec_lo, s12
	s_orn2_b32 s5, s6, exec_lo
.LBB20_78:
	s_or_b32 exec_lo, exec_lo, s11
	v_mov_b32_e32 v17, 0x7e00
	s_and_saveexec_b32 s7, s5
	s_cbranch_execz .LBB20_90
; %bb.79:
	s_mov_b32 s5, exec_lo
	v_cmpx_gt_f32_e32 0x41200000, v21
	s_cbranch_execz .LBB20_83
; %bb.80:
	s_mov_b32 s6, 0
	.p2align	6
.LBB20_81:                              ; =>This Inner Loop Header: Depth=1
	v_div_scale_f32 v3, null, v21, v21, 1.0
	v_div_scale_f32 v8, vcc_lo, 1.0, v21, 1.0
	v_rcp_f32_e32 v6, v3
	v_fma_f32 v7, -v3, v6, 1.0
	v_fmac_f32_e32 v6, v7, v6
	v_mul_f32_e32 v7, v8, v6
	v_fma_f32 v9, -v3, v7, v8
	v_fmac_f32_e32 v7, v9, v6
	v_fma_f32 v3, -v3, v7, v8
	v_div_fmas_f32 v3, v3, v6, v7
	v_div_fixup_f32 v3, v3, v21, 1.0
	v_add_f32_e32 v21, 1.0, v21
	v_sub_f32_e32 v2, v2, v3
	v_cmp_ngt_f32_e32 vcc_lo, 0x41200000, v21
	s_or_b32 s6, vcc_lo, s6
	s_andn2_b32 exec_lo, exec_lo, s6
	s_cbranch_execnz .LBB20_81
; %bb.82:
	s_or_b32 exec_lo, exec_lo, s6
.LBB20_83:
	s_or_b32 exec_lo, exec_lo, s5
                                        ; implicit-def: $vgpr17
	s_mov_b32 s5, exec_lo
	v_cmpx_neq_f32_e32 0x41200000, v21
	s_xor_b32 s11, exec_lo, s5
	s_cbranch_execz .LBB20_87
; %bb.84:
	v_cvt_f64_f32_e32 v[6:7], v21
	v_mov_b32_e32 v3, 0
	s_mov_b32 s12, 0x85d8a000
	s_mov_b32 s13, 0x43763457
	s_mov_b32 s5, exec_lo
	v_cmpx_gt_f64_e32 s[12:13], v[6:7]
	s_cbranch_execz .LBB20_86
; %bb.85:
	v_mul_f32_e32 v3, v21, v21
	v_div_scale_f32 v6, null, v3, v3, 1.0
	v_rcp_f32_e32 v7, v6
	v_fma_f32 v8, -v6, v7, 1.0
	v_fmac_f32_e32 v7, v8, v7
	v_div_scale_f32 v8, vcc_lo, 1.0, v3, 1.0
	v_mul_f32_e32 v9, v8, v7
	v_fma_f32 v17, -v6, v9, v8
	v_fmac_f32_e32 v9, v17, v7
	v_fma_f32 v6, -v6, v9, v8
	v_div_fmas_f32 v6, v6, v7, v9
	v_div_fixup_f32 v3, v6, v3, 1.0
	v_fmaak_f32 v6, 0, v3, 0x3daaaaab
	v_fmaak_f32 v6, v3, v6, 0xbcaccacd
	;; [unrolled: 1-line block ×7, first 2 shown]
	v_mul_f32_e32 v3, v3, v6
.LBB20_86:
	s_or_b32 exec_lo, exec_lo, s5
	v_cmp_gt_f32_e32 vcc_lo, 0x800000, v21
	v_div_scale_f32 v6, null, v21, v21, -0.5
	v_div_scale_f32 v17, s5, -0.5, v21, -0.5
	v_cndmask_b32_e64 v7, 0, 32, vcc_lo
	v_rcp_f32_e32 v8, v6
	v_ldexp_f32 v7, v21, v7
	v_log_f32_e32 v7, v7
	v_fma_f32 v9, -v6, v8, 1.0
	v_fmac_f32_e32 v8, v9, v8
	v_mul_f32_e32 v9, 0x3f317217, v7
	v_mul_f32_e32 v18, v17, v8
	v_cmp_gt_f32_e64 s6, 0x7f800000, |v7|
	v_fma_f32 v9, 0x3f317217, v7, -v9
	v_fma_f32 v22, -v6, v18, v17
	v_fmamk_f32 v9, v7, 0x3377d1cf, v9
	v_fmac_f32_e32 v18, v22, v8
	v_fmac_f32_e32 v9, 0x3f317217, v7
	v_fma_f32 v6, -v6, v18, v17
	v_cndmask_b32_e64 v7, v7, v9, s6
	v_cndmask_b32_e64 v9, 0, 0x41b17218, vcc_lo
	s_mov_b32 vcc_lo, s5
	v_div_fmas_f32 v6, v6, v8, v18
	v_sub_f32_e32 v7, v7, v9
	v_div_fixup_f32 v6, v6, v21, -0.5
	v_add_f32_e32 v6, v7, v6
	v_sub_f32_e32 v3, v6, v3
	v_add_f32_e32 v2, v2, v3
	v_cvt_f16_f32_e32 v17, v2
                                        ; implicit-def: $vgpr2
.LBB20_87:
	s_andn2_saveexec_b32 s5, s11
; %bb.88:
	v_add_f32_e32 v2, 0x40101cb7, v2
	v_cvt_f16_f32_e32 v17, v2
; %bb.89:
	s_or_b32 exec_lo, exec_lo, s5
.LBB20_90:
	s_or_b32 exec_lo, exec_lo, s7
                                        ; implicit-def: $vgpr21
.LBB20_91:
	s_andn2_saveexec_b32 s5, s10
; %bb.92:
	v_xor_b32_e32 v2, 0x80000000, v21
	s_movk_i32 s6, 0x7c00
	v_lshrrev_b32_e32 v2, 16, v2
	v_bfi_b32 v17, 0x7fff, s6, v2
; %bb.93:
	s_or_b32 exec_lo, exec_lo, s5
.LBB20_94:
	s_or_b32 exec_lo, exec_lo, s9
	v_add_nc_u32_e32 v2, 0x300, v10
	s_mov_b32 s9, exec_lo
                                        ; implicit-def: $vgpr18
	v_cmpx_lt_i32_e64 v2, v4
	s_cbranch_execz .LBB20_120
; %bb.95:
	s_waitcnt vmcnt(0) lgkmcnt(0)
	v_cvt_f32_f16_e32 v21, v20
                                        ; implicit-def: $vgpr18
	s_mov_b32 s5, exec_lo
	v_cmpx_neq_f16_e32 0, v20
	s_xor_b32 s10, exec_lo, s5
	s_cbranch_execz .LBB20_117
; %bb.96:
	v_mov_b32_e32 v2, 0
	s_mov_b32 s5, -1
	s_mov_b32 s11, exec_lo
	v_cmpx_gt_f16_e32 0, v20
	s_cbranch_execz .LBB20_104
; %bb.97:
	v_trunc_f32_e32 v2, v21
	s_mov_b32 s6, 0
	v_cmp_neq_f32_e32 vcc_lo, v2, v21
	v_mov_b32_e32 v2, 0
	s_and_saveexec_b32 s12, vcc_lo
	s_cbranch_execz .LBB20_103
; %bb.98:
	v_cvt_f32_f16_e32 v2, v20
	s_mov_b32 s7, 0xc00921fb
	s_mov_b32 s6, 0x54442d18
                                        ; implicit-def: $vgpr18
                                        ; implicit-def: $vgpr8_vgpr9
	v_cvt_f64_f32_e32 v[2:3], v2
	v_trunc_f64_e32 v[6:7], v[2:3]
	v_cmp_neq_f64_e64 vcc_lo, 0x7ff00000, |v[2:3]|
	v_add_f64 v[6:7], v[2:3], -v[6:7]
	v_mul_f64 v[6:7], |v[6:7]|, s[6:7]
	v_cndmask_b32_e32 v3, 0x80000000, v7, vcc_lo
	v_cndmask_b32_e32 v2, 0, v6, vcc_lo
                                        ; implicit-def: $vgpr6_vgpr7
	v_cmp_ngt_f64_e64 s5, 0x41d00000, |v[2:3]|
	s_and_saveexec_b32 s7, s5
	s_xor_b32 s5, exec_lo, s7
	s_cbranch_execz .LBB20_100
; %bb.99:
	v_ldexp_f64 v[6:7], |v[2:3]|, 0xffffff80
	v_cmp_le_f64_e64 vcc_lo, 0x7b000000, |v[2:3]|
	v_trig_preop_f64 v[8:9], |v[2:3]|, 0
	v_and_b32_e32 v18, 0x7fffffff, v3
	v_trig_preop_f64 v[22:23], |v[2:3]|, 1
	v_trig_preop_f64 v[32:33], |v[2:3]|, 2
	v_mov_b32_e32 v48, 0
	s_mov_b32 s7, 0x3ff921fb
	s_mov_b32 s14, 0x33145c07
	;; [unrolled: 1-line block ×3, first 2 shown]
	v_cndmask_b32_e32 v7, v18, v7, vcc_lo
	v_cndmask_b32_e32 v6, v2, v6, vcc_lo
	v_mul_f64 v[24:25], v[8:9], v[6:7]
	v_mul_f64 v[26:27], v[22:23], v[6:7]
	;; [unrolled: 1-line block ×3, first 2 shown]
	v_fma_f64 v[8:9], v[8:9], v[6:7], -v[24:25]
	v_fma_f64 v[22:23], v[22:23], v[6:7], -v[26:27]
	;; [unrolled: 1-line block ×3, first 2 shown]
	v_add_f64 v[28:29], v[26:27], v[8:9]
	v_add_f64 v[30:31], v[28:29], -v[26:27]
	v_add_f64 v[36:37], v[24:25], v[28:29]
	v_add_f64 v[34:35], v[28:29], -v[30:31]
	v_add_f64 v[8:9], v[8:9], -v[30:31]
	v_ldexp_f64 v[30:31], v[36:37], -2
	v_add_f64 v[24:25], v[36:37], -v[24:25]
	v_add_f64 v[26:27], v[26:27], -v[34:35]
	v_add_f64 v[34:35], v[38:39], v[22:23]
	v_cmp_neq_f64_e64 vcc_lo, 0x7ff00000, |v[30:31]|
	v_add_f64 v[24:25], v[28:29], -v[24:25]
	v_add_f64 v[8:9], v[8:9], v[26:27]
	v_fract_f64_e32 v[26:27], v[30:31]
	v_add_f64 v[28:29], v[34:35], v[8:9]
	v_ldexp_f64 v[26:27], v[26:27], 2
	v_add_f64 v[30:31], v[24:25], v[28:29]
	v_cndmask_b32_e32 v27, 0, v27, vcc_lo
	v_cndmask_b32_e32 v26, 0, v26, vcc_lo
	v_add_f64 v[36:37], v[30:31], v[26:27]
	v_add_f64 v[24:25], v[30:31], -v[24:25]
	v_cmp_gt_f64_e32 vcc_lo, 0, v[36:37]
	v_add_f64 v[36:37], v[34:35], -v[38:39]
	v_add_f64 v[24:25], v[28:29], -v[24:25]
	v_cndmask_b32_e64 v49, 0, 0x40100000, vcc_lo
	v_add_f64 v[53:54], v[34:35], -v[36:37]
	v_add_f64 v[22:23], v[22:23], -v[36:37]
	v_add_f64 v[26:27], v[26:27], v[48:49]
	v_add_f64 v[49:50], v[28:29], -v[34:35]
	v_add_f64 v[36:37], v[38:39], -v[53:54]
	v_add_f64 v[51:52], v[30:31], v[26:27]
	;; [unrolled: 3-line block ×3, first 2 shown]
	v_cvt_i32_f64_e32 v18, v[51:52]
	v_add_f64 v[34:35], v[34:35], -v[64:65]
	v_cvt_f64_i32_e32 v[49:50], v18
	v_add_f64 v[8:9], v[8:9], v[34:35]
	v_add_f64 v[26:27], v[26:27], -v[49:50]
	v_add_f64 v[8:9], v[22:23], v[8:9]
	v_add_f64 v[22:23], v[30:31], v[26:27]
	;; [unrolled: 1-line block ×3, first 2 shown]
	v_add_f64 v[8:9], v[22:23], -v[26:27]
	v_cmp_le_f64_e32 vcc_lo, 0.5, v[22:23]
	v_add_f64 v[6:7], v[24:25], v[6:7]
	v_add_f64 v[8:9], v[30:31], -v[8:9]
	v_cndmask_b32_e64 v49, 0, 0x3ff00000, vcc_lo
	v_add_co_ci_u32_e64 v18, null, 0, v18, vcc_lo
	v_add_f64 v[6:7], v[6:7], v[8:9]
	v_add_f64 v[8:9], v[22:23], -v[48:49]
	v_add_f64 v[22:23], v[8:9], v[6:7]
	v_mul_f64 v[24:25], v[22:23], s[6:7]
	v_add_f64 v[8:9], v[22:23], -v[8:9]
	v_fma_f64 v[26:27], v[22:23], s[6:7], -v[24:25]
	v_add_f64 v[6:7], v[6:7], -v[8:9]
	v_fma_f64 v[8:9], v[22:23], s[14:15], v[26:27]
	v_fma_f64 v[8:9], v[6:7], s[6:7], v[8:9]
	v_add_f64 v[6:7], v[24:25], v[8:9]
	v_add_f64 v[22:23], v[6:7], -v[24:25]
	v_add_f64 v[8:9], v[8:9], -v[22:23]
.LBB20_100:
	s_andn2_saveexec_b32 s5, s5
	s_cbranch_execz .LBB20_102
; %bb.101:
	s_mov_b32 s6, 0x6dc9c883
	s_mov_b32 s7, 0x3fe45f30
	;; [unrolled: 1-line block ×3, first 2 shown]
	v_mul_f64 v[6:7], |v[2:3]|, s[6:7]
	s_mov_b32 s6, 0x54442d18
	s_mov_b32 s7, 0xbff921fb
	;; [unrolled: 1-line block ×3, first 2 shown]
	v_rndne_f64_e32 v[22:23], v[6:7]
	v_fma_f64 v[6:7], v[22:23], s[6:7], |v[2:3]|
	v_mul_f64 v[8:9], v[22:23], s[14:15]
	s_mov_b32 s6, 0x252049c0
	s_mov_b32 s7, 0xb97b839a
	v_cvt_i32_f64_e32 v18, v[22:23]
	v_fma_f64 v[26:27], v[22:23], s[14:15], v[6:7]
	v_add_f64 v[24:25], v[6:7], v[8:9]
	s_mov_b32 s15, 0x3c91a626
	v_add_f64 v[6:7], v[6:7], -v[24:25]
	v_add_f64 v[24:25], v[24:25], -v[26:27]
	v_add_f64 v[6:7], v[6:7], v[8:9]
	v_fma_f64 v[8:9], v[22:23], s[14:15], v[8:9]
	v_add_f64 v[6:7], v[24:25], v[6:7]
	v_add_f64 v[6:7], v[6:7], -v[8:9]
	v_fma_f64 v[8:9], v[22:23], s[6:7], v[6:7]
	v_add_f64 v[6:7], v[26:27], v[8:9]
	v_add_f64 v[24:25], v[6:7], -v[26:27]
	v_add_f64 v[8:9], v[8:9], -v[24:25]
.LBB20_102:
	s_or_b32 exec_lo, exec_lo, s5
	v_mul_f64 v[22:23], v[6:7], v[6:7]
	v_add_f64 v[24:25], v[8:9], v[8:9]
	s_mov_b32 s14, 0xa9a29f71
	s_mov_b32 s16, 0xc751c08c
	s_mov_b32 s15, 0xbf078809
	s_mov_b32 s17, 0x3ef5e089
	v_cmp_class_f64_e64 s5, v[2:3], 0x1f8
	v_and_b32_e32 v18, 1, v18
	v_and_b32_e32 v3, 0x80000000, v3
	v_sub_f32_e32 v21, 1.0, v21
	s_mov_b32 s6, exec_lo
	v_cmp_eq_u32_e32 vcc_lo, 0, v18
	v_fma_f64 v[26:27], v[6:7], v[6:7], -v[22:23]
	v_fma_f64 v[24:25], v[6:7], v[24:25], v[26:27]
	v_add_f64 v[22:23], v[22:23], v[24:25]
	v_fma_f64 v[24:25], v[22:23], s[16:17], s[14:15]
	s_mov_b32 s14, 0x90a8aae0
	s_mov_b32 s15, 0x3f17746f
	v_fma_f64 v[24:25], v[22:23], v[24:25], s[14:15]
	s_mov_b32 s14, 0xa6fbf144
	s_mov_b32 s15, 0xbefbb44d
	;; [unrolled: 3-line block ×13, first 2 shown]
	v_mul_f64 v[22:23], v[22:23], v[24:25]
	v_mul_f64 v[24:25], v[6:7], v[22:23]
	v_add_f64 v[26:27], v[6:7], v[24:25]
	v_fma_f64 v[22:23], v[6:7], v[22:23], -v[24:25]
	v_add_f64 v[6:7], v[26:27], -v[6:7]
	v_add_f64 v[8:9], v[8:9], v[22:23]
	v_add_f64 v[6:7], v[24:25], -v[6:7]
	v_add_f64 v[6:7], v[8:9], v[6:7]
	v_add_f64 v[8:9], v[26:27], v[6:7]
	v_rcp_f64_e32 v[22:23], v[8:9]
	v_fma_f64 v[24:25], -v[8:9], v[22:23], 1.0
	v_fma_f64 v[22:23], v[24:25], v[22:23], v[22:23]
	v_fma_f64 v[24:25], -v[8:9], v[22:23], 1.0
	v_fma_f64 v[22:23], v[24:25], v[22:23], v[22:23]
	v_add_f64 v[24:25], v[8:9], -v[26:27]
	v_mul_f64 v[26:27], v[8:9], v[22:23]
	v_add_f64 v[6:7], v[6:7], -v[24:25]
	v_fma_f64 v[24:25], v[22:23], v[8:9], -v[26:27]
	v_fma_f64 v[6:7], v[22:23], v[6:7], v[24:25]
	v_add_f64 v[24:25], v[26:27], v[6:7]
	v_add_f64 v[28:29], -v[24:25], 1.0
	v_add_f64 v[26:27], v[24:25], -v[26:27]
	v_add_f64 v[30:31], -v[28:29], 1.0
	v_add_f64 v[6:7], v[26:27], -v[6:7]
	v_add_f64 v[24:25], v[30:31], -v[24:25]
	v_add_f64 v[6:7], v[6:7], v[24:25]
	v_add_f64 v[6:7], v[28:29], v[6:7]
	v_mul_f64 v[6:7], v[22:23], v[6:7]
	v_add_f64 v[6:7], v[22:23], v[6:7]
	v_xor_b32_e32 v2, 0x80000000, v7
	v_cndmask_b32_e32 v6, v6, v8, vcc_lo
	v_cndmask_b32_e32 v2, v2, v9, vcc_lo
	v_xor_b32_e32 v3, v2, v3
	v_cndmask_b32_e64 v2, 0, v6, s5
	v_cndmask_b32_e64 v3, 0x7ff80000, v3, s5
	v_div_scale_f64 v[6:7], null, v[2:3], v[2:3], s[14:15]
	v_rcp_f64_e32 v[8:9], v[6:7]
	v_fma_f64 v[22:23], -v[6:7], v[8:9], 1.0
	v_fma_f64 v[8:9], v[8:9], v[22:23], v[8:9]
	v_fma_f64 v[22:23], -v[6:7], v[8:9], 1.0
	v_fma_f64 v[8:9], v[8:9], v[22:23], v[8:9]
	v_div_scale_f64 v[22:23], vcc_lo, s[14:15], v[2:3], s[14:15]
	v_mul_f64 v[24:25], v[22:23], v[8:9]
	v_fma_f64 v[6:7], -v[6:7], v[24:25], v[22:23]
	v_div_fmas_f64 v[6:7], v[6:7], v[8:9], v[24:25]
	v_div_fixup_f64 v[2:3], v[6:7], v[2:3], s[14:15]
	v_cvt_f32_f64_e32 v2, v[2:3]
.LBB20_103:
	s_or_b32 exec_lo, exec_lo, s12
	s_orn2_b32 s5, s6, exec_lo
.LBB20_104:
	s_or_b32 exec_lo, exec_lo, s11
	v_mov_b32_e32 v18, 0x7e00
	s_and_saveexec_b32 s7, s5
	s_cbranch_execz .LBB20_116
; %bb.105:
	s_mov_b32 s5, exec_lo
	v_cmpx_gt_f32_e32 0x41200000, v21
	s_cbranch_execz .LBB20_109
; %bb.106:
	s_mov_b32 s6, 0
	.p2align	6
.LBB20_107:                             ; =>This Inner Loop Header: Depth=1
	v_div_scale_f32 v3, null, v21, v21, 1.0
	v_div_scale_f32 v8, vcc_lo, 1.0, v21, 1.0
	v_rcp_f32_e32 v6, v3
	v_fma_f32 v7, -v3, v6, 1.0
	v_fmac_f32_e32 v6, v7, v6
	v_mul_f32_e32 v7, v8, v6
	v_fma_f32 v9, -v3, v7, v8
	v_fmac_f32_e32 v7, v9, v6
	v_fma_f32 v3, -v3, v7, v8
	v_div_fmas_f32 v3, v3, v6, v7
	v_div_fixup_f32 v3, v3, v21, 1.0
	v_add_f32_e32 v21, 1.0, v21
	v_sub_f32_e32 v2, v2, v3
	v_cmp_ngt_f32_e32 vcc_lo, 0x41200000, v21
	s_or_b32 s6, vcc_lo, s6
	s_andn2_b32 exec_lo, exec_lo, s6
	s_cbranch_execnz .LBB20_107
; %bb.108:
	s_or_b32 exec_lo, exec_lo, s6
.LBB20_109:
	s_or_b32 exec_lo, exec_lo, s5
                                        ; implicit-def: $vgpr18
	s_mov_b32 s5, exec_lo
	v_cmpx_neq_f32_e32 0x41200000, v21
	s_xor_b32 s11, exec_lo, s5
	s_cbranch_execz .LBB20_113
; %bb.110:
	v_cvt_f64_f32_e32 v[6:7], v21
	v_mov_b32_e32 v3, 0
	s_mov_b32 s12, 0x85d8a000
	s_mov_b32 s13, 0x43763457
	s_mov_b32 s5, exec_lo
	v_cmpx_gt_f64_e32 s[12:13], v[6:7]
	s_cbranch_execz .LBB20_112
; %bb.111:
	v_mul_f32_e32 v3, v21, v21
	v_div_scale_f32 v6, null, v3, v3, 1.0
	v_rcp_f32_e32 v7, v6
	v_fma_f32 v8, -v6, v7, 1.0
	v_fmac_f32_e32 v7, v8, v7
	v_div_scale_f32 v8, vcc_lo, 1.0, v3, 1.0
	v_mul_f32_e32 v9, v8, v7
	v_fma_f32 v18, -v6, v9, v8
	v_fmac_f32_e32 v9, v18, v7
	v_fma_f32 v6, -v6, v9, v8
	v_div_fmas_f32 v6, v6, v7, v9
	v_div_fixup_f32 v3, v6, v3, 1.0
	v_fmaak_f32 v6, 0, v3, 0x3daaaaab
	v_fmaak_f32 v6, v3, v6, 0xbcaccacd
	;; [unrolled: 1-line block ×7, first 2 shown]
	v_mul_f32_e32 v3, v3, v6
.LBB20_112:
	s_or_b32 exec_lo, exec_lo, s5
	v_cmp_gt_f32_e32 vcc_lo, 0x800000, v21
	v_div_scale_f32 v6, null, v21, v21, -0.5
	v_div_scale_f32 v18, s5, -0.5, v21, -0.5
	v_cndmask_b32_e64 v7, 0, 32, vcc_lo
	v_rcp_f32_e32 v8, v6
	v_ldexp_f32 v7, v21, v7
	v_log_f32_e32 v7, v7
	v_fma_f32 v9, -v6, v8, 1.0
	v_fmac_f32_e32 v8, v9, v8
	v_mul_f32_e32 v9, 0x3f317217, v7
	v_mul_f32_e32 v20, v18, v8
	v_cmp_gt_f32_e64 s6, 0x7f800000, |v7|
	v_fma_f32 v9, 0x3f317217, v7, -v9
	v_fma_f32 v22, -v6, v20, v18
	v_fmamk_f32 v9, v7, 0x3377d1cf, v9
	v_fmac_f32_e32 v20, v22, v8
	v_fmac_f32_e32 v9, 0x3f317217, v7
	v_fma_f32 v6, -v6, v20, v18
	v_cndmask_b32_e64 v7, v7, v9, s6
	v_cndmask_b32_e64 v9, 0, 0x41b17218, vcc_lo
	s_mov_b32 vcc_lo, s5
	v_div_fmas_f32 v6, v6, v8, v20
	v_sub_f32_e32 v7, v7, v9
	v_div_fixup_f32 v6, v6, v21, -0.5
	v_add_f32_e32 v6, v7, v6
	v_sub_f32_e32 v3, v6, v3
	v_add_f32_e32 v2, v2, v3
	v_cvt_f16_f32_e32 v18, v2
                                        ; implicit-def: $vgpr2
.LBB20_113:
	s_andn2_saveexec_b32 s5, s11
; %bb.114:
	v_add_f32_e32 v2, 0x40101cb7, v2
	v_cvt_f16_f32_e32 v18, v2
; %bb.115:
	s_or_b32 exec_lo, exec_lo, s5
.LBB20_116:
	s_or_b32 exec_lo, exec_lo, s7
                                        ; implicit-def: $vgpr21
.LBB20_117:
	s_andn2_saveexec_b32 s5, s10
; %bb.118:
	v_xor_b32_e32 v2, 0x80000000, v21
	s_movk_i32 s6, 0x7c00
	v_lshrrev_b32_e32 v2, 16, v2
	v_bfi_b32 v18, 0x7fff, s6, v2
; %bb.119:
	s_or_b32 exec_lo, exec_lo, s5
.LBB20_120:
	s_or_b32 exec_lo, exec_lo, s9
	v_or_b32_e32 v2, 0x400, v10
	s_mov_b32 s9, exec_lo
                                        ; implicit-def: $vgpr20
	v_cmpx_lt_i32_e64 v2, v4
	s_cbranch_execz .LBB20_146
; %bb.121:
	s_waitcnt vmcnt(0) lgkmcnt(0)
	v_cvt_f32_f16_e32 v21, v19
                                        ; implicit-def: $vgpr20
	s_mov_b32 s5, exec_lo
	v_cmpx_neq_f16_e32 0, v19
	s_xor_b32 s10, exec_lo, s5
	s_cbranch_execz .LBB20_143
; %bb.122:
	v_mov_b32_e32 v2, 0
	s_mov_b32 s5, -1
	s_mov_b32 s11, exec_lo
	v_cmpx_gt_f16_e32 0, v19
	s_cbranch_execz .LBB20_130
; %bb.123:
	v_trunc_f32_e32 v2, v21
	s_mov_b32 s6, 0
	v_cmp_neq_f32_e32 vcc_lo, v2, v21
	v_mov_b32_e32 v2, 0
	s_and_saveexec_b32 s12, vcc_lo
	s_cbranch_execz .LBB20_129
; %bb.124:
	v_cvt_f32_f16_e32 v2, v19
	s_mov_b32 s7, 0xc00921fb
	s_mov_b32 s6, 0x54442d18
                                        ; implicit-def: $vgpr19
                                        ; implicit-def: $vgpr8_vgpr9
	v_cvt_f64_f32_e32 v[2:3], v2
	v_trunc_f64_e32 v[6:7], v[2:3]
	v_cmp_neq_f64_e64 vcc_lo, 0x7ff00000, |v[2:3]|
	v_add_f64 v[6:7], v[2:3], -v[6:7]
	v_mul_f64 v[6:7], |v[6:7]|, s[6:7]
	v_cndmask_b32_e32 v3, 0x80000000, v7, vcc_lo
	v_cndmask_b32_e32 v2, 0, v6, vcc_lo
                                        ; implicit-def: $vgpr6_vgpr7
	v_cmp_ngt_f64_e64 s5, 0x41d00000, |v[2:3]|
	s_and_saveexec_b32 s7, s5
	s_xor_b32 s5, exec_lo, s7
	s_cbranch_execz .LBB20_126
; %bb.125:
	v_ldexp_f64 v[6:7], |v[2:3]|, 0xffffff80
	v_cmp_le_f64_e64 vcc_lo, 0x7b000000, |v[2:3]|
	v_trig_preop_f64 v[8:9], |v[2:3]|, 0
	v_and_b32_e32 v19, 0x7fffffff, v3
	v_trig_preop_f64 v[30:31], |v[2:3]|, 2
	v_mov_b32_e32 v38, 0
	s_mov_b32 s7, 0x3ff921fb
	s_mov_b32 s14, 0x33145c07
	;; [unrolled: 1-line block ×3, first 2 shown]
	v_cndmask_b32_e32 v7, v19, v7, vcc_lo
	v_cndmask_b32_e32 v6, v2, v6, vcc_lo
	v_trig_preop_f64 v[19:20], |v[2:3]|, 1
	v_mul_f64 v[22:23], v[8:9], v[6:7]
	v_mul_f64 v[36:37], v[30:31], v[6:7]
	;; [unrolled: 1-line block ×3, first 2 shown]
	v_fma_f64 v[8:9], v[8:9], v[6:7], -v[22:23]
	v_fma_f64 v[19:20], v[19:20], v[6:7], -v[24:25]
	;; [unrolled: 1-line block ×3, first 2 shown]
	v_add_f64 v[26:27], v[24:25], v[8:9]
	v_add_f64 v[28:29], v[26:27], -v[24:25]
	v_add_f64 v[34:35], v[22:23], v[26:27]
	v_add_f64 v[32:33], v[26:27], -v[28:29]
	v_add_f64 v[8:9], v[8:9], -v[28:29]
	v_ldexp_f64 v[28:29], v[34:35], -2
	v_add_f64 v[22:23], v[34:35], -v[22:23]
	v_add_f64 v[24:25], v[24:25], -v[32:33]
	v_add_f64 v[32:33], v[36:37], v[19:20]
	v_cmp_neq_f64_e64 vcc_lo, 0x7ff00000, |v[28:29]|
	v_add_f64 v[22:23], v[26:27], -v[22:23]
	v_add_f64 v[8:9], v[8:9], v[24:25]
	v_fract_f64_e32 v[24:25], v[28:29]
	v_add_f64 v[26:27], v[32:33], v[8:9]
	v_ldexp_f64 v[24:25], v[24:25], 2
	v_add_f64 v[28:29], v[22:23], v[26:27]
	v_cndmask_b32_e32 v25, 0, v25, vcc_lo
	v_cndmask_b32_e32 v24, 0, v24, vcc_lo
	v_add_f64 v[48:49], v[26:27], -v[32:33]
	v_add_f64 v[34:35], v[28:29], v[24:25]
	v_add_f64 v[22:23], v[28:29], -v[22:23]
	v_add_f64 v[54:55], v[26:27], -v[48:49]
	v_add_f64 v[8:9], v[8:9], -v[48:49]
	v_cmp_gt_f64_e32 vcc_lo, 0, v[34:35]
	v_add_f64 v[34:35], v[32:33], -v[36:37]
	v_cndmask_b32_e64 v39, 0, 0x40100000, vcc_lo
	v_add_f64 v[52:53], v[32:33], -v[34:35]
	v_add_f64 v[19:20], v[19:20], -v[34:35]
	v_add_f64 v[32:33], v[32:33], -v[54:55]
	v_add_f64 v[24:25], v[24:25], v[38:39]
	v_add_f64 v[34:35], v[36:37], -v[52:53]
	v_add_f64 v[8:9], v[8:9], v[32:33]
	v_add_f64 v[50:51], v[28:29], v[24:25]
	;; [unrolled: 1-line block ×3, first 2 shown]
	v_cvt_i32_f64_e32 v39, v[50:51]
	v_add_f64 v[8:9], v[19:20], v[8:9]
	v_add_f64 v[19:20], v[26:27], -v[22:23]
	v_cvt_f64_i32_e32 v[48:49], v39
	v_add_f64 v[6:7], v[6:7], v[8:9]
	v_add_f64 v[24:25], v[24:25], -v[48:49]
	v_add_f64 v[6:7], v[19:20], v[6:7]
	v_add_f64 v[30:31], v[28:29], v[24:25]
	v_add_f64 v[8:9], v[30:31], -v[24:25]
	v_cmp_le_f64_e32 vcc_lo, 0.5, v[30:31]
	v_add_f64 v[8:9], v[28:29], -v[8:9]
	v_add_co_ci_u32_e64 v19, null, 0, v39, vcc_lo
	v_cndmask_b32_e64 v39, 0, 0x3ff00000, vcc_lo
	v_add_f64 v[6:7], v[6:7], v[8:9]
	v_add_f64 v[8:9], v[30:31], -v[38:39]
	v_add_f64 v[22:23], v[8:9], v[6:7]
	v_mul_f64 v[24:25], v[22:23], s[6:7]
	v_add_f64 v[8:9], v[22:23], -v[8:9]
	v_fma_f64 v[26:27], v[22:23], s[6:7], -v[24:25]
	v_add_f64 v[6:7], v[6:7], -v[8:9]
	v_fma_f64 v[8:9], v[22:23], s[14:15], v[26:27]
	v_fma_f64 v[8:9], v[6:7], s[6:7], v[8:9]
	v_add_f64 v[6:7], v[24:25], v[8:9]
	v_add_f64 v[22:23], v[6:7], -v[24:25]
	v_add_f64 v[8:9], v[8:9], -v[22:23]
.LBB20_126:
	s_andn2_saveexec_b32 s5, s5
	s_cbranch_execz .LBB20_128
; %bb.127:
	s_mov_b32 s6, 0x6dc9c883
	s_mov_b32 s7, 0x3fe45f30
	;; [unrolled: 1-line block ×3, first 2 shown]
	v_mul_f64 v[6:7], |v[2:3]|, s[6:7]
	s_mov_b32 s6, 0x54442d18
	s_mov_b32 s7, 0xbff921fb
	;; [unrolled: 1-line block ×3, first 2 shown]
	v_rndne_f64_e32 v[19:20], v[6:7]
	v_fma_f64 v[6:7], v[19:20], s[6:7], |v[2:3]|
	v_mul_f64 v[8:9], v[19:20], s[14:15]
	s_mov_b32 s6, 0x252049c0
	s_mov_b32 s7, 0xb97b839a
	v_fma_f64 v[24:25], v[19:20], s[14:15], v[6:7]
	v_add_f64 v[22:23], v[6:7], v[8:9]
	s_mov_b32 s15, 0x3c91a626
	v_add_f64 v[6:7], v[6:7], -v[22:23]
	v_add_f64 v[22:23], v[22:23], -v[24:25]
	v_add_f64 v[6:7], v[6:7], v[8:9]
	v_fma_f64 v[8:9], v[19:20], s[14:15], v[8:9]
	v_add_f64 v[6:7], v[22:23], v[6:7]
	v_add_f64 v[6:7], v[6:7], -v[8:9]
	v_fma_f64 v[8:9], v[19:20], s[6:7], v[6:7]
	v_cvt_i32_f64_e32 v19, v[19:20]
	v_add_f64 v[6:7], v[24:25], v[8:9]
	v_add_f64 v[22:23], v[6:7], -v[24:25]
	v_add_f64 v[8:9], v[8:9], -v[22:23]
.LBB20_128:
	s_or_b32 exec_lo, exec_lo, s5
	v_mul_f64 v[22:23], v[6:7], v[6:7]
	v_add_f64 v[24:25], v[8:9], v[8:9]
	s_mov_b32 s14, 0xa9a29f71
	s_mov_b32 s16, 0xc751c08c
	s_mov_b32 s15, 0xbf078809
	s_mov_b32 s17, 0x3ef5e089
	v_cmp_class_f64_e64 s5, v[2:3], 0x1f8
	v_and_b32_e32 v19, 1, v19
	v_and_b32_e32 v3, 0x80000000, v3
	v_sub_f32_e32 v21, 1.0, v21
	s_mov_b32 s6, exec_lo
	v_cmp_eq_u32_e32 vcc_lo, 0, v19
	v_fma_f64 v[26:27], v[6:7], v[6:7], -v[22:23]
	v_fma_f64 v[24:25], v[6:7], v[24:25], v[26:27]
	v_add_f64 v[22:23], v[22:23], v[24:25]
	v_fma_f64 v[24:25], v[22:23], s[16:17], s[14:15]
	s_mov_b32 s14, 0x90a8aae0
	s_mov_b32 s15, 0x3f17746f
	v_fma_f64 v[24:25], v[22:23], v[24:25], s[14:15]
	s_mov_b32 s14, 0xa6fbf144
	s_mov_b32 s15, 0xbefbb44d
	;; [unrolled: 3-line block ×13, first 2 shown]
	v_mul_f64 v[22:23], v[22:23], v[24:25]
	v_mul_f64 v[24:25], v[6:7], v[22:23]
	v_add_f64 v[26:27], v[6:7], v[24:25]
	v_fma_f64 v[22:23], v[6:7], v[22:23], -v[24:25]
	v_add_f64 v[6:7], v[26:27], -v[6:7]
	v_add_f64 v[8:9], v[8:9], v[22:23]
	v_add_f64 v[6:7], v[24:25], -v[6:7]
	v_add_f64 v[6:7], v[8:9], v[6:7]
	v_add_f64 v[8:9], v[26:27], v[6:7]
	v_rcp_f64_e32 v[22:23], v[8:9]
	v_fma_f64 v[24:25], -v[8:9], v[22:23], 1.0
	v_fma_f64 v[22:23], v[24:25], v[22:23], v[22:23]
	v_fma_f64 v[24:25], -v[8:9], v[22:23], 1.0
	v_fma_f64 v[22:23], v[24:25], v[22:23], v[22:23]
	v_add_f64 v[24:25], v[8:9], -v[26:27]
	v_mul_f64 v[26:27], v[8:9], v[22:23]
	v_add_f64 v[6:7], v[6:7], -v[24:25]
	v_fma_f64 v[24:25], v[22:23], v[8:9], -v[26:27]
	v_fma_f64 v[6:7], v[22:23], v[6:7], v[24:25]
	v_add_f64 v[24:25], v[26:27], v[6:7]
	v_add_f64 v[28:29], -v[24:25], 1.0
	v_add_f64 v[26:27], v[24:25], -v[26:27]
	v_add_f64 v[30:31], -v[28:29], 1.0
	v_add_f64 v[6:7], v[26:27], -v[6:7]
	v_add_f64 v[24:25], v[30:31], -v[24:25]
	v_add_f64 v[6:7], v[6:7], v[24:25]
	v_add_f64 v[6:7], v[28:29], v[6:7]
	v_mul_f64 v[6:7], v[22:23], v[6:7]
	v_add_f64 v[6:7], v[22:23], v[6:7]
	v_xor_b32_e32 v2, 0x80000000, v7
	v_cndmask_b32_e32 v6, v6, v8, vcc_lo
	v_cndmask_b32_e32 v2, v2, v9, vcc_lo
	v_xor_b32_e32 v3, v2, v3
	v_cndmask_b32_e64 v2, 0, v6, s5
	v_cndmask_b32_e64 v3, 0x7ff80000, v3, s5
	v_div_scale_f64 v[6:7], null, v[2:3], v[2:3], s[14:15]
	v_rcp_f64_e32 v[8:9], v[6:7]
	v_fma_f64 v[19:20], -v[6:7], v[8:9], 1.0
	v_fma_f64 v[8:9], v[8:9], v[19:20], v[8:9]
	v_fma_f64 v[19:20], -v[6:7], v[8:9], 1.0
	v_fma_f64 v[8:9], v[8:9], v[19:20], v[8:9]
	v_div_scale_f64 v[19:20], vcc_lo, s[14:15], v[2:3], s[14:15]
	v_mul_f64 v[22:23], v[19:20], v[8:9]
	v_fma_f64 v[6:7], -v[6:7], v[22:23], v[19:20]
	v_div_fmas_f64 v[6:7], v[6:7], v[8:9], v[22:23]
	v_div_fixup_f64 v[2:3], v[6:7], v[2:3], s[14:15]
	v_cvt_f32_f64_e32 v2, v[2:3]
.LBB20_129:
	s_or_b32 exec_lo, exec_lo, s12
	s_orn2_b32 s5, s6, exec_lo
.LBB20_130:
	s_or_b32 exec_lo, exec_lo, s11
	v_mov_b32_e32 v20, 0x7e00
	s_and_saveexec_b32 s7, s5
	s_cbranch_execz .LBB20_142
; %bb.131:
	s_mov_b32 s5, exec_lo
	v_cmpx_gt_f32_e32 0x41200000, v21
	s_cbranch_execz .LBB20_135
; %bb.132:
	s_mov_b32 s6, 0
	.p2align	6
.LBB20_133:                             ; =>This Inner Loop Header: Depth=1
	v_div_scale_f32 v3, null, v21, v21, 1.0
	v_div_scale_f32 v8, vcc_lo, 1.0, v21, 1.0
	v_rcp_f32_e32 v6, v3
	v_fma_f32 v7, -v3, v6, 1.0
	v_fmac_f32_e32 v6, v7, v6
	v_mul_f32_e32 v7, v8, v6
	v_fma_f32 v9, -v3, v7, v8
	v_fmac_f32_e32 v7, v9, v6
	v_fma_f32 v3, -v3, v7, v8
	v_div_fmas_f32 v3, v3, v6, v7
	v_div_fixup_f32 v3, v3, v21, 1.0
	v_add_f32_e32 v21, 1.0, v21
	v_sub_f32_e32 v2, v2, v3
	v_cmp_ngt_f32_e32 vcc_lo, 0x41200000, v21
	s_or_b32 s6, vcc_lo, s6
	s_andn2_b32 exec_lo, exec_lo, s6
	s_cbranch_execnz .LBB20_133
; %bb.134:
	s_or_b32 exec_lo, exec_lo, s6
.LBB20_135:
	s_or_b32 exec_lo, exec_lo, s5
                                        ; implicit-def: $vgpr20
	s_mov_b32 s5, exec_lo
	v_cmpx_neq_f32_e32 0x41200000, v21
	s_xor_b32 s11, exec_lo, s5
	s_cbranch_execz .LBB20_139
; %bb.136:
	v_cvt_f64_f32_e32 v[6:7], v21
	v_mov_b32_e32 v3, 0
	s_mov_b32 s12, 0x85d8a000
	s_mov_b32 s13, 0x43763457
	s_mov_b32 s5, exec_lo
	v_cmpx_gt_f64_e32 s[12:13], v[6:7]
	s_cbranch_execz .LBB20_138
; %bb.137:
	v_mul_f32_e32 v3, v21, v21
	v_div_scale_f32 v6, null, v3, v3, 1.0
	v_rcp_f32_e32 v7, v6
	v_fma_f32 v8, -v6, v7, 1.0
	v_fmac_f32_e32 v7, v8, v7
	v_div_scale_f32 v8, vcc_lo, 1.0, v3, 1.0
	v_mul_f32_e32 v9, v8, v7
	v_fma_f32 v19, -v6, v9, v8
	v_fmac_f32_e32 v9, v19, v7
	v_fma_f32 v6, -v6, v9, v8
	v_div_fmas_f32 v6, v6, v7, v9
	v_div_fixup_f32 v3, v6, v3, 1.0
	v_fmaak_f32 v6, 0, v3, 0x3daaaaab
	v_fmaak_f32 v6, v3, v6, 0xbcaccacd
	;; [unrolled: 1-line block ×7, first 2 shown]
	v_mul_f32_e32 v3, v3, v6
.LBB20_138:
	s_or_b32 exec_lo, exec_lo, s5
	v_cmp_gt_f32_e32 vcc_lo, 0x800000, v21
	v_div_scale_f32 v6, null, v21, v21, -0.5
	v_div_scale_f32 v19, s5, -0.5, v21, -0.5
	v_cndmask_b32_e64 v7, 0, 32, vcc_lo
	v_rcp_f32_e32 v8, v6
	v_ldexp_f32 v7, v21, v7
	v_log_f32_e32 v7, v7
	v_fma_f32 v9, -v6, v8, 1.0
	v_fmac_f32_e32 v8, v9, v8
	v_mul_f32_e32 v9, 0x3f317217, v7
	v_mul_f32_e32 v20, v19, v8
	v_cmp_gt_f32_e64 s6, 0x7f800000, |v7|
	v_fma_f32 v9, 0x3f317217, v7, -v9
	v_fma_f32 v22, -v6, v20, v19
	v_fmamk_f32 v9, v7, 0x3377d1cf, v9
	v_fmac_f32_e32 v20, v22, v8
	v_fmac_f32_e32 v9, 0x3f317217, v7
	v_fma_f32 v6, -v6, v20, v19
	v_cndmask_b32_e64 v7, v7, v9, s6
	v_cndmask_b32_e64 v9, 0, 0x41b17218, vcc_lo
	s_mov_b32 vcc_lo, s5
	v_div_fmas_f32 v6, v6, v8, v20
	v_sub_f32_e32 v7, v7, v9
	v_div_fixup_f32 v6, v6, v21, -0.5
	v_add_f32_e32 v6, v7, v6
	v_sub_f32_e32 v3, v6, v3
	v_add_f32_e32 v2, v2, v3
	v_cvt_f16_f32_e32 v20, v2
                                        ; implicit-def: $vgpr2
.LBB20_139:
	s_andn2_saveexec_b32 s5, s11
; %bb.140:
	v_add_f32_e32 v2, 0x40101cb7, v2
	v_cvt_f16_f32_e32 v20, v2
; %bb.141:
	s_or_b32 exec_lo, exec_lo, s5
.LBB20_142:
	s_or_b32 exec_lo, exec_lo, s7
                                        ; implicit-def: $vgpr21
.LBB20_143:
	s_andn2_saveexec_b32 s5, s10
; %bb.144:
	v_xor_b32_e32 v2, 0x80000000, v21
	s_movk_i32 s6, 0x7c00
	v_lshrrev_b32_e32 v2, 16, v2
	v_bfi_b32 v20, 0x7fff, s6, v2
; %bb.145:
	s_or_b32 exec_lo, exec_lo, s5
.LBB20_146:
	s_or_b32 exec_lo, exec_lo, s9
	v_add_nc_u32_e32 v2, 0x500, v10
	s_mov_b32 s9, exec_lo
                                        ; implicit-def: $vgpr19
	v_cmpx_lt_i32_e64 v2, v4
	s_cbranch_execz .LBB20_172
; %bb.147:
	s_waitcnt vmcnt(0) lgkmcnt(0)
	v_cvt_f32_f16_e32 v21, v16
                                        ; implicit-def: $vgpr19
	s_mov_b32 s5, exec_lo
	v_cmpx_neq_f16_e32 0, v16
	s_xor_b32 s10, exec_lo, s5
	s_cbranch_execz .LBB20_169
; %bb.148:
	v_mov_b32_e32 v2, 0
	s_mov_b32 s5, -1
	s_mov_b32 s11, exec_lo
	v_cmpx_gt_f16_e32 0, v16
	s_cbranch_execz .LBB20_156
; %bb.149:
	v_trunc_f32_e32 v2, v21
	s_mov_b32 s6, 0
	v_cmp_neq_f32_e32 vcc_lo, v2, v21
	v_mov_b32_e32 v2, 0
	s_and_saveexec_b32 s12, vcc_lo
	s_cbranch_execz .LBB20_155
; %bb.150:
	v_cvt_f32_f16_e32 v2, v16
	s_mov_b32 s7, 0xc00921fb
	s_mov_b32 s6, 0x54442d18
                                        ; implicit-def: $vgpr16
                                        ; implicit-def: $vgpr8_vgpr9
	v_cvt_f64_f32_e32 v[2:3], v2
	v_trunc_f64_e32 v[6:7], v[2:3]
	v_cmp_neq_f64_e64 vcc_lo, 0x7ff00000, |v[2:3]|
	v_add_f64 v[6:7], v[2:3], -v[6:7]
	v_mul_f64 v[6:7], |v[6:7]|, s[6:7]
	v_cndmask_b32_e32 v3, 0x80000000, v7, vcc_lo
	v_cndmask_b32_e32 v2, 0, v6, vcc_lo
                                        ; implicit-def: $vgpr6_vgpr7
	v_cmp_ngt_f64_e64 s5, 0x41d00000, |v[2:3]|
	s_and_saveexec_b32 s7, s5
	s_xor_b32 s5, exec_lo, s7
	s_cbranch_execz .LBB20_152
; %bb.151:
	v_ldexp_f64 v[6:7], |v[2:3]|, 0xffffff80
	v_cmp_le_f64_e64 vcc_lo, 0x7b000000, |v[2:3]|
	v_trig_preop_f64 v[8:9], |v[2:3]|, 0
	v_and_b32_e32 v16, 0x7fffffff, v3
	v_trig_preop_f64 v[22:23], |v[2:3]|, 1
	v_trig_preop_f64 v[32:33], |v[2:3]|, 2
	v_mov_b32_e32 v48, 0
	s_mov_b32 s7, 0x3ff921fb
	s_mov_b32 s14, 0x33145c07
	;; [unrolled: 1-line block ×3, first 2 shown]
	v_cndmask_b32_e32 v7, v16, v7, vcc_lo
	v_cndmask_b32_e32 v6, v2, v6, vcc_lo
	v_mul_f64 v[24:25], v[8:9], v[6:7]
	v_mul_f64 v[26:27], v[22:23], v[6:7]
	v_mul_f64 v[38:39], v[32:33], v[6:7]
	v_fma_f64 v[8:9], v[8:9], v[6:7], -v[24:25]
	v_fma_f64 v[22:23], v[22:23], v[6:7], -v[26:27]
	;; [unrolled: 1-line block ×3, first 2 shown]
	v_add_f64 v[28:29], v[26:27], v[8:9]
	v_add_f64 v[30:31], v[28:29], -v[26:27]
	v_add_f64 v[36:37], v[24:25], v[28:29]
	v_add_f64 v[34:35], v[28:29], -v[30:31]
	v_add_f64 v[8:9], v[8:9], -v[30:31]
	v_ldexp_f64 v[30:31], v[36:37], -2
	v_add_f64 v[24:25], v[36:37], -v[24:25]
	v_add_f64 v[26:27], v[26:27], -v[34:35]
	v_add_f64 v[34:35], v[38:39], v[22:23]
	v_cmp_neq_f64_e64 vcc_lo, 0x7ff00000, |v[30:31]|
	v_add_f64 v[24:25], v[28:29], -v[24:25]
	v_add_f64 v[8:9], v[8:9], v[26:27]
	v_fract_f64_e32 v[26:27], v[30:31]
	v_add_f64 v[28:29], v[34:35], v[8:9]
	v_ldexp_f64 v[26:27], v[26:27], 2
	v_add_f64 v[30:31], v[24:25], v[28:29]
	v_cndmask_b32_e32 v27, 0, v27, vcc_lo
	v_cndmask_b32_e32 v26, 0, v26, vcc_lo
	v_add_f64 v[36:37], v[30:31], v[26:27]
	v_add_f64 v[24:25], v[30:31], -v[24:25]
	v_cmp_gt_f64_e32 vcc_lo, 0, v[36:37]
	v_add_f64 v[36:37], v[34:35], -v[38:39]
	v_add_f64 v[24:25], v[28:29], -v[24:25]
	v_cndmask_b32_e64 v49, 0, 0x40100000, vcc_lo
	v_add_f64 v[53:54], v[34:35], -v[36:37]
	v_add_f64 v[22:23], v[22:23], -v[36:37]
	v_add_f64 v[26:27], v[26:27], v[48:49]
	v_add_f64 v[49:50], v[28:29], -v[34:35]
	v_add_f64 v[36:37], v[38:39], -v[53:54]
	v_add_f64 v[51:52], v[30:31], v[26:27]
	;; [unrolled: 3-line block ×3, first 2 shown]
	v_cvt_i32_f64_e32 v16, v[51:52]
	v_add_f64 v[34:35], v[34:35], -v[64:65]
	v_cvt_f64_i32_e32 v[49:50], v16
	v_add_f64 v[8:9], v[8:9], v[34:35]
	v_add_f64 v[26:27], v[26:27], -v[49:50]
	v_add_f64 v[8:9], v[22:23], v[8:9]
	v_add_f64 v[22:23], v[30:31], v[26:27]
	;; [unrolled: 1-line block ×3, first 2 shown]
	v_add_f64 v[8:9], v[22:23], -v[26:27]
	v_cmp_le_f64_e32 vcc_lo, 0.5, v[22:23]
	v_add_f64 v[6:7], v[24:25], v[6:7]
	v_add_f64 v[8:9], v[30:31], -v[8:9]
	v_cndmask_b32_e64 v49, 0, 0x3ff00000, vcc_lo
	v_add_co_ci_u32_e64 v16, null, 0, v16, vcc_lo
	v_add_f64 v[6:7], v[6:7], v[8:9]
	v_add_f64 v[8:9], v[22:23], -v[48:49]
	v_add_f64 v[22:23], v[8:9], v[6:7]
	v_mul_f64 v[24:25], v[22:23], s[6:7]
	v_add_f64 v[8:9], v[22:23], -v[8:9]
	v_fma_f64 v[26:27], v[22:23], s[6:7], -v[24:25]
	v_add_f64 v[6:7], v[6:7], -v[8:9]
	v_fma_f64 v[8:9], v[22:23], s[14:15], v[26:27]
	v_fma_f64 v[8:9], v[6:7], s[6:7], v[8:9]
	v_add_f64 v[6:7], v[24:25], v[8:9]
	v_add_f64 v[22:23], v[6:7], -v[24:25]
	v_add_f64 v[8:9], v[8:9], -v[22:23]
.LBB20_152:
	s_andn2_saveexec_b32 s5, s5
	s_cbranch_execz .LBB20_154
; %bb.153:
	s_mov_b32 s6, 0x6dc9c883
	s_mov_b32 s7, 0x3fe45f30
	;; [unrolled: 1-line block ×3, first 2 shown]
	v_mul_f64 v[6:7], |v[2:3]|, s[6:7]
	s_mov_b32 s6, 0x54442d18
	s_mov_b32 s7, 0xbff921fb
	;; [unrolled: 1-line block ×3, first 2 shown]
	v_rndne_f64_e32 v[22:23], v[6:7]
	v_fma_f64 v[6:7], v[22:23], s[6:7], |v[2:3]|
	v_mul_f64 v[8:9], v[22:23], s[14:15]
	s_mov_b32 s6, 0x252049c0
	s_mov_b32 s7, 0xb97b839a
	v_cvt_i32_f64_e32 v16, v[22:23]
	v_fma_f64 v[26:27], v[22:23], s[14:15], v[6:7]
	v_add_f64 v[24:25], v[6:7], v[8:9]
	s_mov_b32 s15, 0x3c91a626
	v_add_f64 v[6:7], v[6:7], -v[24:25]
	v_add_f64 v[24:25], v[24:25], -v[26:27]
	v_add_f64 v[6:7], v[6:7], v[8:9]
	v_fma_f64 v[8:9], v[22:23], s[14:15], v[8:9]
	v_add_f64 v[6:7], v[24:25], v[6:7]
	v_add_f64 v[6:7], v[6:7], -v[8:9]
	v_fma_f64 v[8:9], v[22:23], s[6:7], v[6:7]
	v_add_f64 v[6:7], v[26:27], v[8:9]
	v_add_f64 v[24:25], v[6:7], -v[26:27]
	v_add_f64 v[8:9], v[8:9], -v[24:25]
.LBB20_154:
	s_or_b32 exec_lo, exec_lo, s5
	v_mul_f64 v[22:23], v[6:7], v[6:7]
	v_add_f64 v[24:25], v[8:9], v[8:9]
	s_mov_b32 s14, 0xa9a29f71
	s_mov_b32 s16, 0xc751c08c
	s_mov_b32 s15, 0xbf078809
	s_mov_b32 s17, 0x3ef5e089
	v_cmp_class_f64_e64 s5, v[2:3], 0x1f8
	v_and_b32_e32 v16, 1, v16
	v_and_b32_e32 v3, 0x80000000, v3
	v_sub_f32_e32 v21, 1.0, v21
	s_mov_b32 s6, exec_lo
	v_cmp_eq_u32_e32 vcc_lo, 0, v16
	v_fma_f64 v[26:27], v[6:7], v[6:7], -v[22:23]
	v_fma_f64 v[24:25], v[6:7], v[24:25], v[26:27]
	v_add_f64 v[22:23], v[22:23], v[24:25]
	v_fma_f64 v[24:25], v[22:23], s[16:17], s[14:15]
	s_mov_b32 s14, 0x90a8aae0
	s_mov_b32 s15, 0x3f17746f
	v_fma_f64 v[24:25], v[22:23], v[24:25], s[14:15]
	s_mov_b32 s14, 0xa6fbf144
	s_mov_b32 s15, 0xbefbb44d
	;; [unrolled: 3-line block ×13, first 2 shown]
	v_mul_f64 v[22:23], v[22:23], v[24:25]
	v_mul_f64 v[24:25], v[6:7], v[22:23]
	v_add_f64 v[26:27], v[6:7], v[24:25]
	v_fma_f64 v[22:23], v[6:7], v[22:23], -v[24:25]
	v_add_f64 v[6:7], v[26:27], -v[6:7]
	v_add_f64 v[8:9], v[8:9], v[22:23]
	v_add_f64 v[6:7], v[24:25], -v[6:7]
	v_add_f64 v[6:7], v[8:9], v[6:7]
	v_add_f64 v[8:9], v[26:27], v[6:7]
	v_rcp_f64_e32 v[22:23], v[8:9]
	v_fma_f64 v[24:25], -v[8:9], v[22:23], 1.0
	v_fma_f64 v[22:23], v[24:25], v[22:23], v[22:23]
	v_fma_f64 v[24:25], -v[8:9], v[22:23], 1.0
	v_fma_f64 v[22:23], v[24:25], v[22:23], v[22:23]
	v_add_f64 v[24:25], v[8:9], -v[26:27]
	v_mul_f64 v[26:27], v[8:9], v[22:23]
	v_add_f64 v[6:7], v[6:7], -v[24:25]
	v_fma_f64 v[24:25], v[22:23], v[8:9], -v[26:27]
	v_fma_f64 v[6:7], v[22:23], v[6:7], v[24:25]
	v_add_f64 v[24:25], v[26:27], v[6:7]
	v_add_f64 v[28:29], -v[24:25], 1.0
	v_add_f64 v[26:27], v[24:25], -v[26:27]
	v_add_f64 v[30:31], -v[28:29], 1.0
	v_add_f64 v[6:7], v[26:27], -v[6:7]
	v_add_f64 v[24:25], v[30:31], -v[24:25]
	v_add_f64 v[6:7], v[6:7], v[24:25]
	v_add_f64 v[6:7], v[28:29], v[6:7]
	v_mul_f64 v[6:7], v[22:23], v[6:7]
	v_add_f64 v[6:7], v[22:23], v[6:7]
	v_xor_b32_e32 v2, 0x80000000, v7
	v_cndmask_b32_e32 v6, v6, v8, vcc_lo
	v_cndmask_b32_e32 v2, v2, v9, vcc_lo
	v_xor_b32_e32 v3, v2, v3
	v_cndmask_b32_e64 v2, 0, v6, s5
	v_cndmask_b32_e64 v3, 0x7ff80000, v3, s5
	v_div_scale_f64 v[6:7], null, v[2:3], v[2:3], s[14:15]
	v_rcp_f64_e32 v[8:9], v[6:7]
	v_fma_f64 v[22:23], -v[6:7], v[8:9], 1.0
	v_fma_f64 v[8:9], v[8:9], v[22:23], v[8:9]
	v_fma_f64 v[22:23], -v[6:7], v[8:9], 1.0
	v_fma_f64 v[8:9], v[8:9], v[22:23], v[8:9]
	v_div_scale_f64 v[22:23], vcc_lo, s[14:15], v[2:3], s[14:15]
	v_mul_f64 v[24:25], v[22:23], v[8:9]
	v_fma_f64 v[6:7], -v[6:7], v[24:25], v[22:23]
	v_div_fmas_f64 v[6:7], v[6:7], v[8:9], v[24:25]
	v_div_fixup_f64 v[2:3], v[6:7], v[2:3], s[14:15]
	v_cvt_f32_f64_e32 v2, v[2:3]
.LBB20_155:
	s_or_b32 exec_lo, exec_lo, s12
	s_orn2_b32 s5, s6, exec_lo
.LBB20_156:
	s_or_b32 exec_lo, exec_lo, s11
	v_mov_b32_e32 v19, 0x7e00
	s_and_saveexec_b32 s7, s5
	s_cbranch_execz .LBB20_168
; %bb.157:
	s_mov_b32 s5, exec_lo
	v_cmpx_gt_f32_e32 0x41200000, v21
	s_cbranch_execz .LBB20_161
; %bb.158:
	s_mov_b32 s6, 0
	.p2align	6
.LBB20_159:                             ; =>This Inner Loop Header: Depth=1
	v_div_scale_f32 v3, null, v21, v21, 1.0
	v_div_scale_f32 v8, vcc_lo, 1.0, v21, 1.0
	v_rcp_f32_e32 v6, v3
	v_fma_f32 v7, -v3, v6, 1.0
	v_fmac_f32_e32 v6, v7, v6
	v_mul_f32_e32 v7, v8, v6
	v_fma_f32 v9, -v3, v7, v8
	v_fmac_f32_e32 v7, v9, v6
	v_fma_f32 v3, -v3, v7, v8
	v_div_fmas_f32 v3, v3, v6, v7
	v_div_fixup_f32 v3, v3, v21, 1.0
	v_add_f32_e32 v21, 1.0, v21
	v_sub_f32_e32 v2, v2, v3
	v_cmp_ngt_f32_e32 vcc_lo, 0x41200000, v21
	s_or_b32 s6, vcc_lo, s6
	s_andn2_b32 exec_lo, exec_lo, s6
	s_cbranch_execnz .LBB20_159
; %bb.160:
	s_or_b32 exec_lo, exec_lo, s6
.LBB20_161:
	s_or_b32 exec_lo, exec_lo, s5
                                        ; implicit-def: $vgpr19
	s_mov_b32 s5, exec_lo
	v_cmpx_neq_f32_e32 0x41200000, v21
	s_xor_b32 s11, exec_lo, s5
	s_cbranch_execz .LBB20_165
; %bb.162:
	v_cvt_f64_f32_e32 v[6:7], v21
	v_mov_b32_e32 v3, 0
	s_mov_b32 s12, 0x85d8a000
	s_mov_b32 s13, 0x43763457
	s_mov_b32 s5, exec_lo
	v_cmpx_gt_f64_e32 s[12:13], v[6:7]
	s_cbranch_execz .LBB20_164
; %bb.163:
	v_mul_f32_e32 v3, v21, v21
	v_div_scale_f32 v6, null, v3, v3, 1.0
	v_rcp_f32_e32 v7, v6
	v_fma_f32 v8, -v6, v7, 1.0
	v_fmac_f32_e32 v7, v8, v7
	v_div_scale_f32 v8, vcc_lo, 1.0, v3, 1.0
	v_mul_f32_e32 v9, v8, v7
	v_fma_f32 v16, -v6, v9, v8
	v_fmac_f32_e32 v9, v16, v7
	v_fma_f32 v6, -v6, v9, v8
	v_div_fmas_f32 v6, v6, v7, v9
	v_div_fixup_f32 v3, v6, v3, 1.0
	v_fmaak_f32 v6, 0, v3, 0x3daaaaab
	v_fmaak_f32 v6, v3, v6, 0xbcaccacd
	;; [unrolled: 1-line block ×7, first 2 shown]
	v_mul_f32_e32 v3, v3, v6
.LBB20_164:
	s_or_b32 exec_lo, exec_lo, s5
	v_cmp_gt_f32_e32 vcc_lo, 0x800000, v21
	v_div_scale_f32 v6, null, v21, v21, -0.5
	v_div_scale_f32 v16, s5, -0.5, v21, -0.5
	v_cndmask_b32_e64 v7, 0, 32, vcc_lo
	v_rcp_f32_e32 v8, v6
	v_ldexp_f32 v7, v21, v7
	v_log_f32_e32 v7, v7
	v_fma_f32 v9, -v6, v8, 1.0
	v_fmac_f32_e32 v8, v9, v8
	v_mul_f32_e32 v9, 0x3f317217, v7
	v_mul_f32_e32 v19, v16, v8
	v_cmp_gt_f32_e64 s6, 0x7f800000, |v7|
	v_fma_f32 v9, 0x3f317217, v7, -v9
	v_fma_f32 v22, -v6, v19, v16
	v_fmamk_f32 v9, v7, 0x3377d1cf, v9
	v_fmac_f32_e32 v19, v22, v8
	v_fmac_f32_e32 v9, 0x3f317217, v7
	v_fma_f32 v6, -v6, v19, v16
	v_cndmask_b32_e64 v7, v7, v9, s6
	v_cndmask_b32_e64 v9, 0, 0x41b17218, vcc_lo
	s_mov_b32 vcc_lo, s5
	v_div_fmas_f32 v6, v6, v8, v19
	v_sub_f32_e32 v7, v7, v9
	v_div_fixup_f32 v6, v6, v21, -0.5
	v_add_f32_e32 v6, v7, v6
	v_sub_f32_e32 v3, v6, v3
	v_add_f32_e32 v2, v2, v3
	v_cvt_f16_f32_e32 v19, v2
                                        ; implicit-def: $vgpr2
.LBB20_165:
	s_andn2_saveexec_b32 s5, s11
; %bb.166:
	v_add_f32_e32 v2, 0x40101cb7, v2
	v_cvt_f16_f32_e32 v19, v2
; %bb.167:
	s_or_b32 exec_lo, exec_lo, s5
.LBB20_168:
	s_or_b32 exec_lo, exec_lo, s7
                                        ; implicit-def: $vgpr21
.LBB20_169:
	s_andn2_saveexec_b32 s5, s10
; %bb.170:
	v_xor_b32_e32 v2, 0x80000000, v21
	s_movk_i32 s6, 0x7c00
	v_lshrrev_b32_e32 v2, 16, v2
	v_bfi_b32 v19, 0x7fff, s6, v2
; %bb.171:
	s_or_b32 exec_lo, exec_lo, s5
.LBB20_172:
	s_or_b32 exec_lo, exec_lo, s9
	v_add_nc_u32_e32 v2, 0x600, v10
	s_mov_b32 s9, exec_lo
                                        ; implicit-def: $vgpr16
	v_cmpx_lt_i32_e64 v2, v4
	s_cbranch_execz .LBB20_198
; %bb.173:
	s_waitcnt vmcnt(0) lgkmcnt(0)
	v_cvt_f32_f16_e32 v21, v15
                                        ; implicit-def: $vgpr16
	s_mov_b32 s5, exec_lo
	v_cmpx_neq_f16_e32 0, v15
	s_xor_b32 s10, exec_lo, s5
	s_cbranch_execz .LBB20_195
; %bb.174:
	v_mov_b32_e32 v2, 0
	s_mov_b32 s5, -1
	s_mov_b32 s11, exec_lo
	v_cmpx_gt_f16_e32 0, v15
	s_cbranch_execz .LBB20_182
; %bb.175:
	v_trunc_f32_e32 v2, v21
	s_mov_b32 s6, 0
	v_cmp_neq_f32_e32 vcc_lo, v2, v21
	v_mov_b32_e32 v2, 0
	s_and_saveexec_b32 s12, vcc_lo
	s_cbranch_execz .LBB20_181
; %bb.176:
	v_cvt_f32_f16_e32 v2, v15
	s_mov_b32 s7, 0xc00921fb
	s_mov_b32 s6, 0x54442d18
                                        ; implicit-def: $vgpr15
                                        ; implicit-def: $vgpr8_vgpr9
	v_cvt_f64_f32_e32 v[2:3], v2
	v_trunc_f64_e32 v[6:7], v[2:3]
	v_cmp_neq_f64_e64 vcc_lo, 0x7ff00000, |v[2:3]|
	v_add_f64 v[6:7], v[2:3], -v[6:7]
	v_mul_f64 v[6:7], |v[6:7]|, s[6:7]
	v_cndmask_b32_e32 v3, 0x80000000, v7, vcc_lo
	v_cndmask_b32_e32 v2, 0, v6, vcc_lo
                                        ; implicit-def: $vgpr6_vgpr7
	v_cmp_ngt_f64_e64 s5, 0x41d00000, |v[2:3]|
	s_and_saveexec_b32 s7, s5
	s_xor_b32 s5, exec_lo, s7
	s_cbranch_execz .LBB20_178
; %bb.177:
	v_ldexp_f64 v[6:7], |v[2:3]|, 0xffffff80
	v_cmp_le_f64_e64 vcc_lo, 0x7b000000, |v[2:3]|
	v_trig_preop_f64 v[8:9], |v[2:3]|, 0
	v_and_b32_e32 v15, 0x7fffffff, v3
	v_trig_preop_f64 v[30:31], |v[2:3]|, 2
	v_mov_b32_e32 v38, 0
	s_mov_b32 s7, 0x3ff921fb
	s_mov_b32 s14, 0x33145c07
	;; [unrolled: 1-line block ×3, first 2 shown]
	v_cndmask_b32_e32 v7, v15, v7, vcc_lo
	v_cndmask_b32_e32 v6, v2, v6, vcc_lo
	v_trig_preop_f64 v[15:16], |v[2:3]|, 1
	v_mul_f64 v[22:23], v[8:9], v[6:7]
	v_mul_f64 v[36:37], v[30:31], v[6:7]
	v_mul_f64 v[24:25], v[15:16], v[6:7]
	v_fma_f64 v[8:9], v[8:9], v[6:7], -v[22:23]
	v_fma_f64 v[15:16], v[15:16], v[6:7], -v[24:25]
	;; [unrolled: 1-line block ×3, first 2 shown]
	v_add_f64 v[26:27], v[24:25], v[8:9]
	v_add_f64 v[28:29], v[26:27], -v[24:25]
	v_add_f64 v[34:35], v[22:23], v[26:27]
	v_add_f64 v[32:33], v[26:27], -v[28:29]
	v_add_f64 v[8:9], v[8:9], -v[28:29]
	v_ldexp_f64 v[28:29], v[34:35], -2
	v_add_f64 v[22:23], v[34:35], -v[22:23]
	v_add_f64 v[24:25], v[24:25], -v[32:33]
	v_add_f64 v[32:33], v[36:37], v[15:16]
	v_cmp_neq_f64_e64 vcc_lo, 0x7ff00000, |v[28:29]|
	v_add_f64 v[22:23], v[26:27], -v[22:23]
	v_add_f64 v[8:9], v[8:9], v[24:25]
	v_fract_f64_e32 v[24:25], v[28:29]
	v_add_f64 v[26:27], v[32:33], v[8:9]
	v_ldexp_f64 v[24:25], v[24:25], 2
	v_add_f64 v[28:29], v[22:23], v[26:27]
	v_cndmask_b32_e32 v25, 0, v25, vcc_lo
	v_cndmask_b32_e32 v24, 0, v24, vcc_lo
	v_add_f64 v[48:49], v[26:27], -v[32:33]
	v_add_f64 v[34:35], v[28:29], v[24:25]
	v_add_f64 v[22:23], v[28:29], -v[22:23]
	v_add_f64 v[54:55], v[26:27], -v[48:49]
	v_add_f64 v[8:9], v[8:9], -v[48:49]
	v_cmp_gt_f64_e32 vcc_lo, 0, v[34:35]
	v_add_f64 v[34:35], v[32:33], -v[36:37]
	v_cndmask_b32_e64 v39, 0, 0x40100000, vcc_lo
	v_add_f64 v[52:53], v[32:33], -v[34:35]
	v_add_f64 v[15:16], v[15:16], -v[34:35]
	;; [unrolled: 1-line block ×3, first 2 shown]
	v_add_f64 v[24:25], v[24:25], v[38:39]
	v_add_f64 v[34:35], v[36:37], -v[52:53]
	v_add_f64 v[8:9], v[8:9], v[32:33]
	v_add_f64 v[50:51], v[28:29], v[24:25]
	;; [unrolled: 1-line block ×3, first 2 shown]
	v_cvt_i32_f64_e32 v39, v[50:51]
	v_add_f64 v[8:9], v[15:16], v[8:9]
	v_add_f64 v[15:16], v[26:27], -v[22:23]
	v_cvt_f64_i32_e32 v[48:49], v39
	v_add_f64 v[6:7], v[6:7], v[8:9]
	v_add_f64 v[24:25], v[24:25], -v[48:49]
	v_add_f64 v[6:7], v[15:16], v[6:7]
	v_add_f64 v[30:31], v[28:29], v[24:25]
	v_add_f64 v[8:9], v[30:31], -v[24:25]
	v_cmp_le_f64_e32 vcc_lo, 0.5, v[30:31]
	v_add_f64 v[8:9], v[28:29], -v[8:9]
	v_add_co_ci_u32_e64 v15, null, 0, v39, vcc_lo
	v_cndmask_b32_e64 v39, 0, 0x3ff00000, vcc_lo
	v_add_f64 v[6:7], v[6:7], v[8:9]
	v_add_f64 v[8:9], v[30:31], -v[38:39]
	v_add_f64 v[22:23], v[8:9], v[6:7]
	v_mul_f64 v[24:25], v[22:23], s[6:7]
	v_add_f64 v[8:9], v[22:23], -v[8:9]
	v_fma_f64 v[26:27], v[22:23], s[6:7], -v[24:25]
	v_add_f64 v[6:7], v[6:7], -v[8:9]
	v_fma_f64 v[8:9], v[22:23], s[14:15], v[26:27]
	v_fma_f64 v[8:9], v[6:7], s[6:7], v[8:9]
	v_add_f64 v[6:7], v[24:25], v[8:9]
	v_add_f64 v[22:23], v[6:7], -v[24:25]
	v_add_f64 v[8:9], v[8:9], -v[22:23]
.LBB20_178:
	s_andn2_saveexec_b32 s5, s5
	s_cbranch_execz .LBB20_180
; %bb.179:
	s_mov_b32 s6, 0x6dc9c883
	s_mov_b32 s7, 0x3fe45f30
	;; [unrolled: 1-line block ×3, first 2 shown]
	v_mul_f64 v[6:7], |v[2:3]|, s[6:7]
	s_mov_b32 s6, 0x54442d18
	s_mov_b32 s7, 0xbff921fb
	;; [unrolled: 1-line block ×3, first 2 shown]
	v_rndne_f64_e32 v[15:16], v[6:7]
	v_fma_f64 v[6:7], v[15:16], s[6:7], |v[2:3]|
	v_mul_f64 v[8:9], v[15:16], s[14:15]
	s_mov_b32 s6, 0x252049c0
	s_mov_b32 s7, 0xb97b839a
	v_fma_f64 v[24:25], v[15:16], s[14:15], v[6:7]
	v_add_f64 v[22:23], v[6:7], v[8:9]
	s_mov_b32 s15, 0x3c91a626
	v_add_f64 v[6:7], v[6:7], -v[22:23]
	v_add_f64 v[22:23], v[22:23], -v[24:25]
	v_add_f64 v[6:7], v[6:7], v[8:9]
	v_fma_f64 v[8:9], v[15:16], s[14:15], v[8:9]
	v_add_f64 v[6:7], v[22:23], v[6:7]
	v_add_f64 v[6:7], v[6:7], -v[8:9]
	v_fma_f64 v[8:9], v[15:16], s[6:7], v[6:7]
	v_cvt_i32_f64_e32 v15, v[15:16]
	v_add_f64 v[6:7], v[24:25], v[8:9]
	v_add_f64 v[22:23], v[6:7], -v[24:25]
	v_add_f64 v[8:9], v[8:9], -v[22:23]
.LBB20_180:
	s_or_b32 exec_lo, exec_lo, s5
	v_mul_f64 v[22:23], v[6:7], v[6:7]
	v_add_f64 v[24:25], v[8:9], v[8:9]
	s_mov_b32 s14, 0xa9a29f71
	s_mov_b32 s16, 0xc751c08c
	;; [unrolled: 1-line block ×4, first 2 shown]
	v_cmp_class_f64_e64 s5, v[2:3], 0x1f8
	v_and_b32_e32 v15, 1, v15
	v_and_b32_e32 v3, 0x80000000, v3
	v_sub_f32_e32 v21, 1.0, v21
	s_mov_b32 s6, exec_lo
	v_cmp_eq_u32_e32 vcc_lo, 0, v15
	v_fma_f64 v[26:27], v[6:7], v[6:7], -v[22:23]
	v_fma_f64 v[24:25], v[6:7], v[24:25], v[26:27]
	v_add_f64 v[22:23], v[22:23], v[24:25]
	v_fma_f64 v[24:25], v[22:23], s[16:17], s[14:15]
	s_mov_b32 s14, 0x90a8aae0
	s_mov_b32 s15, 0x3f17746f
	v_fma_f64 v[24:25], v[22:23], v[24:25], s[14:15]
	s_mov_b32 s14, 0xa6fbf144
	s_mov_b32 s15, 0xbefbb44d
	;; [unrolled: 3-line block ×13, first 2 shown]
	v_mul_f64 v[22:23], v[22:23], v[24:25]
	v_mul_f64 v[24:25], v[6:7], v[22:23]
	v_add_f64 v[26:27], v[6:7], v[24:25]
	v_fma_f64 v[22:23], v[6:7], v[22:23], -v[24:25]
	v_add_f64 v[6:7], v[26:27], -v[6:7]
	v_add_f64 v[8:9], v[8:9], v[22:23]
	v_add_f64 v[6:7], v[24:25], -v[6:7]
	v_add_f64 v[6:7], v[8:9], v[6:7]
	v_add_f64 v[8:9], v[26:27], v[6:7]
	v_rcp_f64_e32 v[22:23], v[8:9]
	v_fma_f64 v[24:25], -v[8:9], v[22:23], 1.0
	v_fma_f64 v[22:23], v[24:25], v[22:23], v[22:23]
	v_fma_f64 v[24:25], -v[8:9], v[22:23], 1.0
	v_fma_f64 v[22:23], v[24:25], v[22:23], v[22:23]
	v_add_f64 v[24:25], v[8:9], -v[26:27]
	v_mul_f64 v[26:27], v[8:9], v[22:23]
	v_add_f64 v[6:7], v[6:7], -v[24:25]
	v_fma_f64 v[24:25], v[22:23], v[8:9], -v[26:27]
	v_fma_f64 v[6:7], v[22:23], v[6:7], v[24:25]
	v_add_f64 v[24:25], v[26:27], v[6:7]
	v_add_f64 v[28:29], -v[24:25], 1.0
	v_add_f64 v[26:27], v[24:25], -v[26:27]
	v_add_f64 v[30:31], -v[28:29], 1.0
	v_add_f64 v[6:7], v[26:27], -v[6:7]
	v_add_f64 v[24:25], v[30:31], -v[24:25]
	v_add_f64 v[6:7], v[6:7], v[24:25]
	v_add_f64 v[6:7], v[28:29], v[6:7]
	v_mul_f64 v[6:7], v[22:23], v[6:7]
	v_add_f64 v[6:7], v[22:23], v[6:7]
	v_xor_b32_e32 v2, 0x80000000, v7
	v_cndmask_b32_e32 v6, v6, v8, vcc_lo
	v_cndmask_b32_e32 v2, v2, v9, vcc_lo
	v_xor_b32_e32 v3, v2, v3
	v_cndmask_b32_e64 v2, 0, v6, s5
	v_cndmask_b32_e64 v3, 0x7ff80000, v3, s5
	v_div_scale_f64 v[6:7], null, v[2:3], v[2:3], s[14:15]
	v_rcp_f64_e32 v[8:9], v[6:7]
	v_fma_f64 v[15:16], -v[6:7], v[8:9], 1.0
	v_fma_f64 v[8:9], v[8:9], v[15:16], v[8:9]
	v_fma_f64 v[15:16], -v[6:7], v[8:9], 1.0
	v_fma_f64 v[8:9], v[8:9], v[15:16], v[8:9]
	v_div_scale_f64 v[15:16], vcc_lo, s[14:15], v[2:3], s[14:15]
	v_mul_f64 v[22:23], v[15:16], v[8:9]
	v_fma_f64 v[6:7], -v[6:7], v[22:23], v[15:16]
	v_div_fmas_f64 v[6:7], v[6:7], v[8:9], v[22:23]
	v_div_fixup_f64 v[2:3], v[6:7], v[2:3], s[14:15]
	v_cvt_f32_f64_e32 v2, v[2:3]
.LBB20_181:
	s_or_b32 exec_lo, exec_lo, s12
	s_orn2_b32 s5, s6, exec_lo
.LBB20_182:
	s_or_b32 exec_lo, exec_lo, s11
	v_mov_b32_e32 v16, 0x7e00
	s_and_saveexec_b32 s7, s5
	s_cbranch_execz .LBB20_194
; %bb.183:
	s_mov_b32 s5, exec_lo
	v_cmpx_gt_f32_e32 0x41200000, v21
	s_cbranch_execz .LBB20_187
; %bb.184:
	s_mov_b32 s6, 0
	.p2align	6
.LBB20_185:                             ; =>This Inner Loop Header: Depth=1
	v_div_scale_f32 v3, null, v21, v21, 1.0
	v_div_scale_f32 v8, vcc_lo, 1.0, v21, 1.0
	v_rcp_f32_e32 v6, v3
	v_fma_f32 v7, -v3, v6, 1.0
	v_fmac_f32_e32 v6, v7, v6
	v_mul_f32_e32 v7, v8, v6
	v_fma_f32 v9, -v3, v7, v8
	v_fmac_f32_e32 v7, v9, v6
	v_fma_f32 v3, -v3, v7, v8
	v_div_fmas_f32 v3, v3, v6, v7
	v_div_fixup_f32 v3, v3, v21, 1.0
	v_add_f32_e32 v21, 1.0, v21
	v_sub_f32_e32 v2, v2, v3
	v_cmp_ngt_f32_e32 vcc_lo, 0x41200000, v21
	s_or_b32 s6, vcc_lo, s6
	s_andn2_b32 exec_lo, exec_lo, s6
	s_cbranch_execnz .LBB20_185
; %bb.186:
	s_or_b32 exec_lo, exec_lo, s6
.LBB20_187:
	s_or_b32 exec_lo, exec_lo, s5
                                        ; implicit-def: $vgpr16
	s_mov_b32 s5, exec_lo
	v_cmpx_neq_f32_e32 0x41200000, v21
	s_xor_b32 s11, exec_lo, s5
	s_cbranch_execz .LBB20_191
; %bb.188:
	v_cvt_f64_f32_e32 v[6:7], v21
	v_mov_b32_e32 v3, 0
	s_mov_b32 s12, 0x85d8a000
	s_mov_b32 s13, 0x43763457
	s_mov_b32 s5, exec_lo
	v_cmpx_gt_f64_e32 s[12:13], v[6:7]
	s_cbranch_execz .LBB20_190
; %bb.189:
	v_mul_f32_e32 v3, v21, v21
	v_div_scale_f32 v6, null, v3, v3, 1.0
	v_rcp_f32_e32 v7, v6
	v_fma_f32 v8, -v6, v7, 1.0
	v_fmac_f32_e32 v7, v8, v7
	v_div_scale_f32 v8, vcc_lo, 1.0, v3, 1.0
	v_mul_f32_e32 v9, v8, v7
	v_fma_f32 v15, -v6, v9, v8
	v_fmac_f32_e32 v9, v15, v7
	v_fma_f32 v6, -v6, v9, v8
	v_div_fmas_f32 v6, v6, v7, v9
	v_div_fixup_f32 v3, v6, v3, 1.0
	v_fmaak_f32 v6, 0, v3, 0x3daaaaab
	v_fmaak_f32 v6, v3, v6, 0xbcaccacd
	;; [unrolled: 1-line block ×7, first 2 shown]
	v_mul_f32_e32 v3, v3, v6
.LBB20_190:
	s_or_b32 exec_lo, exec_lo, s5
	v_cmp_gt_f32_e32 vcc_lo, 0x800000, v21
	v_div_scale_f32 v6, null, v21, v21, -0.5
	v_div_scale_f32 v15, s5, -0.5, v21, -0.5
	v_cndmask_b32_e64 v7, 0, 32, vcc_lo
	v_rcp_f32_e32 v8, v6
	v_ldexp_f32 v7, v21, v7
	v_log_f32_e32 v7, v7
	v_fma_f32 v9, -v6, v8, 1.0
	v_fmac_f32_e32 v8, v9, v8
	v_mul_f32_e32 v9, 0x3f317217, v7
	v_mul_f32_e32 v16, v15, v8
	v_cmp_gt_f32_e64 s6, 0x7f800000, |v7|
	v_fma_f32 v9, 0x3f317217, v7, -v9
	v_fma_f32 v22, -v6, v16, v15
	v_fmamk_f32 v9, v7, 0x3377d1cf, v9
	v_fmac_f32_e32 v16, v22, v8
	v_fmac_f32_e32 v9, 0x3f317217, v7
	v_fma_f32 v6, -v6, v16, v15
	v_cndmask_b32_e64 v7, v7, v9, s6
	v_cndmask_b32_e64 v9, 0, 0x41b17218, vcc_lo
	s_mov_b32 vcc_lo, s5
	v_div_fmas_f32 v6, v6, v8, v16
	v_sub_f32_e32 v7, v7, v9
	v_div_fixup_f32 v6, v6, v21, -0.5
	v_add_f32_e32 v6, v7, v6
	v_sub_f32_e32 v3, v6, v3
	v_add_f32_e32 v2, v2, v3
	v_cvt_f16_f32_e32 v16, v2
                                        ; implicit-def: $vgpr2
.LBB20_191:
	s_andn2_saveexec_b32 s5, s11
; %bb.192:
	v_add_f32_e32 v2, 0x40101cb7, v2
	v_cvt_f16_f32_e32 v16, v2
; %bb.193:
	s_or_b32 exec_lo, exec_lo, s5
.LBB20_194:
	s_or_b32 exec_lo, exec_lo, s7
                                        ; implicit-def: $vgpr21
.LBB20_195:
	s_andn2_saveexec_b32 s5, s10
; %bb.196:
	v_xor_b32_e32 v2, 0x80000000, v21
	s_movk_i32 s6, 0x7c00
	v_lshrrev_b32_e32 v2, 16, v2
	v_bfi_b32 v16, 0x7fff, s6, v2
; %bb.197:
	s_or_b32 exec_lo, exec_lo, s5
.LBB20_198:
	s_or_b32 exec_lo, exec_lo, s9
	v_add_nc_u32_e32 v2, 0x700, v10
	v_cmp_lt_i32_e32 vcc_lo, v2, v4
                                        ; implicit-def: $vgpr2
	s_and_saveexec_b32 s9, vcc_lo
	s_cbranch_execz .LBB20_232
; %bb.199:
	s_waitcnt vmcnt(0) lgkmcnt(0)
	v_cvt_f32_f16_e32 v15, v13
                                        ; implicit-def: $vgpr2
	s_mov_b32 s5, exec_lo
	v_cmpx_neq_f16_e32 0, v13
	s_xor_b32 s10, exec_lo, s5
	s_cbranch_execz .LBB20_221
; %bb.200:
	v_mov_b32_e32 v3, 0
	s_mov_b32 s5, -1
	s_mov_b32 s11, exec_lo
	v_cmpx_gt_f16_e32 0, v13
	s_cbranch_execz .LBB20_208
; %bb.201:
	v_trunc_f32_e32 v2, v15
	v_mov_b32_e32 v3, 0
	s_mov_b32 s6, 0
	s_mov_b32 s12, exec_lo
	v_cmpx_neq_f32_e32 v2, v15
	s_cbranch_execz .LBB20_207
; %bb.202:
	v_cvt_f32_f16_e32 v2, v13
	s_mov_b32 s7, 0xc00921fb
	s_mov_b32 s6, 0x54442d18
                                        ; implicit-def: $vgpr13
                                        ; implicit-def: $vgpr8_vgpr9
	v_cvt_f64_f32_e32 v[2:3], v2
	v_trunc_f64_e32 v[6:7], v[2:3]
	v_cmp_neq_f64_e64 vcc_lo, 0x7ff00000, |v[2:3]|
	v_add_f64 v[6:7], v[2:3], -v[6:7]
	v_mul_f64 v[6:7], |v[6:7]|, s[6:7]
	v_cndmask_b32_e32 v3, 0x80000000, v7, vcc_lo
	v_cndmask_b32_e32 v2, 0, v6, vcc_lo
                                        ; implicit-def: $vgpr6_vgpr7
	v_cmp_ngt_f64_e64 s5, 0x41d00000, |v[2:3]|
	s_and_saveexec_b32 s7, s5
	s_xor_b32 s5, exec_lo, s7
	s_cbranch_execz .LBB20_204
; %bb.203:
	v_ldexp_f64 v[6:7], |v[2:3]|, 0xffffff80
	v_cmp_le_f64_e64 vcc_lo, 0x7b000000, |v[2:3]|
	v_trig_preop_f64 v[8:9], |v[2:3]|, 0
	v_and_b32_e32 v13, 0x7fffffff, v3
	v_trig_preop_f64 v[21:22], |v[2:3]|, 1
	v_trig_preop_f64 v[31:32], |v[2:3]|, 2
	v_mov_b32_e32 v48, 0
	s_mov_b32 s7, 0x3ff921fb
	s_mov_b32 s14, 0x33145c07
	;; [unrolled: 1-line block ×3, first 2 shown]
	v_cndmask_b32_e32 v7, v13, v7, vcc_lo
	v_cndmask_b32_e32 v6, v2, v6, vcc_lo
	v_mul_f64 v[23:24], v[8:9], v[6:7]
	v_mul_f64 v[25:26], v[21:22], v[6:7]
	;; [unrolled: 1-line block ×3, first 2 shown]
	v_fma_f64 v[8:9], v[8:9], v[6:7], -v[23:24]
	v_fma_f64 v[21:22], v[21:22], v[6:7], -v[25:26]
	;; [unrolled: 1-line block ×3, first 2 shown]
	v_add_f64 v[27:28], v[25:26], v[8:9]
	v_add_f64 v[29:30], v[27:28], -v[25:26]
	v_add_f64 v[35:36], v[23:24], v[27:28]
	v_add_f64 v[33:34], v[27:28], -v[29:30]
	v_add_f64 v[8:9], v[8:9], -v[29:30]
	v_ldexp_f64 v[29:30], v[35:36], -2
	v_add_f64 v[23:24], v[35:36], -v[23:24]
	v_add_f64 v[25:26], v[25:26], -v[33:34]
	v_add_f64 v[33:34], v[37:38], v[21:22]
	v_cmp_neq_f64_e64 vcc_lo, 0x7ff00000, |v[29:30]|
	v_add_f64 v[23:24], v[27:28], -v[23:24]
	v_add_f64 v[8:9], v[8:9], v[25:26]
	v_fract_f64_e32 v[25:26], v[29:30]
	v_add_f64 v[27:28], v[33:34], v[8:9]
	v_ldexp_f64 v[25:26], v[25:26], 2
	v_add_f64 v[29:30], v[23:24], v[27:28]
	v_cndmask_b32_e32 v26, 0, v26, vcc_lo
	v_cndmask_b32_e32 v25, 0, v25, vcc_lo
	v_add_f64 v[35:36], v[29:30], v[25:26]
	v_add_f64 v[23:24], v[29:30], -v[23:24]
	v_cmp_gt_f64_e32 vcc_lo, 0, v[35:36]
	v_add_f64 v[35:36], v[33:34], -v[37:38]
	v_add_f64 v[23:24], v[27:28], -v[23:24]
	v_cndmask_b32_e64 v49, 0, 0x40100000, vcc_lo
	v_add_f64 v[53:54], v[33:34], -v[35:36]
	v_add_f64 v[21:22], v[21:22], -v[35:36]
	v_add_f64 v[25:26], v[25:26], v[48:49]
	v_add_f64 v[49:50], v[27:28], -v[33:34]
	v_add_f64 v[35:36], v[37:38], -v[53:54]
	v_add_f64 v[51:52], v[29:30], v[25:26]
	;; [unrolled: 3-line block ×3, first 2 shown]
	v_cvt_i32_f64_e32 v13, v[51:52]
	v_add_f64 v[33:34], v[33:34], -v[64:65]
	v_cvt_f64_i32_e32 v[49:50], v13
	v_add_f64 v[8:9], v[8:9], v[33:34]
	v_add_f64 v[25:26], v[25:26], -v[49:50]
	v_add_f64 v[8:9], v[21:22], v[8:9]
	v_add_f64 v[21:22], v[29:30], v[25:26]
	;; [unrolled: 1-line block ×3, first 2 shown]
	v_add_f64 v[8:9], v[21:22], -v[25:26]
	v_cmp_le_f64_e32 vcc_lo, 0.5, v[21:22]
	v_add_f64 v[6:7], v[23:24], v[6:7]
	v_add_f64 v[8:9], v[29:30], -v[8:9]
	v_cndmask_b32_e64 v49, 0, 0x3ff00000, vcc_lo
	v_add_co_ci_u32_e64 v13, null, 0, v13, vcc_lo
	v_add_f64 v[6:7], v[6:7], v[8:9]
	v_add_f64 v[8:9], v[21:22], -v[48:49]
	v_add_f64 v[21:22], v[8:9], v[6:7]
	v_mul_f64 v[23:24], v[21:22], s[6:7]
	v_add_f64 v[8:9], v[21:22], -v[8:9]
	v_fma_f64 v[25:26], v[21:22], s[6:7], -v[23:24]
	v_add_f64 v[6:7], v[6:7], -v[8:9]
	v_fma_f64 v[8:9], v[21:22], s[14:15], v[25:26]
	v_fma_f64 v[8:9], v[6:7], s[6:7], v[8:9]
	v_add_f64 v[6:7], v[23:24], v[8:9]
	v_add_f64 v[21:22], v[6:7], -v[23:24]
	v_add_f64 v[8:9], v[8:9], -v[21:22]
.LBB20_204:
	s_andn2_saveexec_b32 s5, s5
	s_cbranch_execz .LBB20_206
; %bb.205:
	s_mov_b32 s6, 0x6dc9c883
	s_mov_b32 s7, 0x3fe45f30
	;; [unrolled: 1-line block ×3, first 2 shown]
	v_mul_f64 v[6:7], |v[2:3]|, s[6:7]
	s_mov_b32 s6, 0x54442d18
	s_mov_b32 s7, 0xbff921fb
	;; [unrolled: 1-line block ×3, first 2 shown]
	v_rndne_f64_e32 v[21:22], v[6:7]
	v_fma_f64 v[6:7], v[21:22], s[6:7], |v[2:3]|
	v_mul_f64 v[8:9], v[21:22], s[14:15]
	s_mov_b32 s6, 0x252049c0
	s_mov_b32 s7, 0xb97b839a
	v_cvt_i32_f64_e32 v13, v[21:22]
	v_fma_f64 v[25:26], v[21:22], s[14:15], v[6:7]
	v_add_f64 v[23:24], v[6:7], v[8:9]
	s_mov_b32 s15, 0x3c91a626
	v_add_f64 v[6:7], v[6:7], -v[23:24]
	v_add_f64 v[23:24], v[23:24], -v[25:26]
	v_add_f64 v[6:7], v[6:7], v[8:9]
	v_fma_f64 v[8:9], v[21:22], s[14:15], v[8:9]
	v_add_f64 v[6:7], v[23:24], v[6:7]
	v_add_f64 v[6:7], v[6:7], -v[8:9]
	v_fma_f64 v[8:9], v[21:22], s[6:7], v[6:7]
	v_add_f64 v[6:7], v[25:26], v[8:9]
	v_add_f64 v[23:24], v[6:7], -v[25:26]
	v_add_f64 v[8:9], v[8:9], -v[23:24]
.LBB20_206:
	s_or_b32 exec_lo, exec_lo, s5
	v_mul_f64 v[21:22], v[6:7], v[6:7]
	v_add_f64 v[23:24], v[8:9], v[8:9]
	s_mov_b32 s14, 0xa9a29f71
	s_mov_b32 s16, 0xc751c08c
	;; [unrolled: 1-line block ×4, first 2 shown]
	v_cmp_class_f64_e64 s5, v[2:3], 0x1f8
	v_and_b32_e32 v13, 1, v13
	v_and_b32_e32 v3, 0x80000000, v3
	v_sub_f32_e32 v15, 1.0, v15
	s_mov_b32 s6, exec_lo
	v_cmp_eq_u32_e32 vcc_lo, 0, v13
	v_fma_f64 v[25:26], v[6:7], v[6:7], -v[21:22]
	v_fma_f64 v[23:24], v[6:7], v[23:24], v[25:26]
	v_add_f64 v[21:22], v[21:22], v[23:24]
	v_fma_f64 v[23:24], v[21:22], s[16:17], s[14:15]
	s_mov_b32 s14, 0x90a8aae0
	s_mov_b32 s15, 0x3f17746f
	v_fma_f64 v[23:24], v[21:22], v[23:24], s[14:15]
	s_mov_b32 s14, 0xa6fbf144
	s_mov_b32 s15, 0xbefbb44d
	;; [unrolled: 3-line block ×13, first 2 shown]
	v_mul_f64 v[21:22], v[21:22], v[23:24]
	v_mul_f64 v[23:24], v[6:7], v[21:22]
	v_add_f64 v[25:26], v[6:7], v[23:24]
	v_fma_f64 v[21:22], v[6:7], v[21:22], -v[23:24]
	v_add_f64 v[6:7], v[25:26], -v[6:7]
	v_add_f64 v[8:9], v[8:9], v[21:22]
	v_add_f64 v[6:7], v[23:24], -v[6:7]
	v_add_f64 v[6:7], v[8:9], v[6:7]
	v_add_f64 v[8:9], v[25:26], v[6:7]
	v_rcp_f64_e32 v[21:22], v[8:9]
	v_fma_f64 v[23:24], -v[8:9], v[21:22], 1.0
	v_fma_f64 v[21:22], v[23:24], v[21:22], v[21:22]
	v_fma_f64 v[23:24], -v[8:9], v[21:22], 1.0
	v_fma_f64 v[21:22], v[23:24], v[21:22], v[21:22]
	v_add_f64 v[23:24], v[8:9], -v[25:26]
	v_mul_f64 v[25:26], v[8:9], v[21:22]
	v_add_f64 v[6:7], v[6:7], -v[23:24]
	v_fma_f64 v[23:24], v[21:22], v[8:9], -v[25:26]
	v_fma_f64 v[6:7], v[21:22], v[6:7], v[23:24]
	v_add_f64 v[23:24], v[25:26], v[6:7]
	v_add_f64 v[27:28], -v[23:24], 1.0
	v_add_f64 v[25:26], v[23:24], -v[25:26]
	v_add_f64 v[29:30], -v[27:28], 1.0
	v_add_f64 v[6:7], v[25:26], -v[6:7]
	v_add_f64 v[23:24], v[29:30], -v[23:24]
	v_add_f64 v[6:7], v[6:7], v[23:24]
	v_add_f64 v[6:7], v[27:28], v[6:7]
	v_mul_f64 v[6:7], v[21:22], v[6:7]
	v_add_f64 v[6:7], v[21:22], v[6:7]
	v_xor_b32_e32 v2, 0x80000000, v7
	v_cndmask_b32_e32 v6, v6, v8, vcc_lo
	v_cndmask_b32_e32 v2, v2, v9, vcc_lo
	v_xor_b32_e32 v3, v2, v3
	v_cndmask_b32_e64 v2, 0, v6, s5
	v_cndmask_b32_e64 v3, 0x7ff80000, v3, s5
	v_div_scale_f64 v[6:7], null, v[2:3], v[2:3], s[14:15]
	v_rcp_f64_e32 v[8:9], v[6:7]
	v_fma_f64 v[21:22], -v[6:7], v[8:9], 1.0
	v_fma_f64 v[8:9], v[8:9], v[21:22], v[8:9]
	v_fma_f64 v[21:22], -v[6:7], v[8:9], 1.0
	v_fma_f64 v[8:9], v[8:9], v[21:22], v[8:9]
	v_div_scale_f64 v[21:22], vcc_lo, s[14:15], v[2:3], s[14:15]
	v_mul_f64 v[23:24], v[21:22], v[8:9]
	v_fma_f64 v[6:7], -v[6:7], v[23:24], v[21:22]
	v_div_fmas_f64 v[6:7], v[6:7], v[8:9], v[23:24]
	v_div_fixup_f64 v[2:3], v[6:7], v[2:3], s[14:15]
	v_cvt_f32_f64_e32 v3, v[2:3]
.LBB20_207:
	s_or_b32 exec_lo, exec_lo, s12
	s_orn2_b32 s5, s6, exec_lo
.LBB20_208:
	s_or_b32 exec_lo, exec_lo, s11
	v_mov_b32_e32 v2, 0x7e00
	s_and_saveexec_b32 s7, s5
	s_cbranch_execz .LBB20_220
; %bb.209:
	s_mov_b32 s5, exec_lo
	v_cmpx_gt_f32_e32 0x41200000, v15
	s_cbranch_execz .LBB20_213
; %bb.210:
	s_mov_b32 s6, 0
	.p2align	6
.LBB20_211:                             ; =>This Inner Loop Header: Depth=1
	v_div_scale_f32 v2, null, v15, v15, 1.0
	v_div_scale_f32 v8, vcc_lo, 1.0, v15, 1.0
	v_rcp_f32_e32 v6, v2
	v_fma_f32 v7, -v2, v6, 1.0
	v_fmac_f32_e32 v6, v7, v6
	v_mul_f32_e32 v7, v8, v6
	v_fma_f32 v9, -v2, v7, v8
	v_fmac_f32_e32 v7, v9, v6
	v_fma_f32 v2, -v2, v7, v8
	v_div_fmas_f32 v2, v2, v6, v7
	v_div_fixup_f32 v2, v2, v15, 1.0
	v_add_f32_e32 v15, 1.0, v15
	v_sub_f32_e32 v3, v3, v2
	v_cmp_ngt_f32_e32 vcc_lo, 0x41200000, v15
	s_or_b32 s6, vcc_lo, s6
	s_andn2_b32 exec_lo, exec_lo, s6
	s_cbranch_execnz .LBB20_211
; %bb.212:
	s_or_b32 exec_lo, exec_lo, s6
.LBB20_213:
	s_or_b32 exec_lo, exec_lo, s5
                                        ; implicit-def: $vgpr2
	s_mov_b32 s5, exec_lo
	v_cmpx_neq_f32_e32 0x41200000, v15
	s_xor_b32 s11, exec_lo, s5
	s_cbranch_execz .LBB20_217
; %bb.214:
	v_cvt_f64_f32_e32 v[6:7], v15
	v_mov_b32_e32 v2, 0
	s_mov_b32 s12, 0x85d8a000
	s_mov_b32 s13, 0x43763457
	s_mov_b32 s5, exec_lo
	v_cmpx_gt_f64_e32 s[12:13], v[6:7]
	s_cbranch_execz .LBB20_216
; %bb.215:
	v_mul_f32_e32 v2, v15, v15
	v_div_scale_f32 v6, null, v2, v2, 1.0
	v_rcp_f32_e32 v7, v6
	v_fma_f32 v8, -v6, v7, 1.0
	v_fmac_f32_e32 v7, v8, v7
	v_div_scale_f32 v8, vcc_lo, 1.0, v2, 1.0
	v_mul_f32_e32 v9, v8, v7
	v_fma_f32 v13, -v6, v9, v8
	v_fmac_f32_e32 v9, v13, v7
	v_fma_f32 v6, -v6, v9, v8
	v_div_fmas_f32 v6, v6, v7, v9
	v_div_fixup_f32 v2, v6, v2, 1.0
	v_fmaak_f32 v6, 0, v2, 0x3daaaaab
	v_fmaak_f32 v6, v2, v6, 0xbcaccacd
	v_fmaak_f32 v6, v2, v6, 0x3bf83e10
	v_fmaak_f32 v6, v2, v6, 0xbb888889
	v_fmaak_f32 v6, v2, v6, 0x3b820821
	v_fmaak_f32 v6, v2, v6, 0xbc088889
	v_fmaak_f32 v6, v2, v6, 0x3daaaaab
	v_mul_f32_e32 v2, v2, v6
.LBB20_216:
	s_or_b32 exec_lo, exec_lo, s5
	v_cmp_gt_f32_e32 vcc_lo, 0x800000, v15
	v_div_scale_f32 v6, null, v15, v15, -0.5
	v_div_scale_f32 v13, s5, -0.5, v15, -0.5
	v_cndmask_b32_e64 v7, 0, 32, vcc_lo
	v_rcp_f32_e32 v8, v6
	v_ldexp_f32 v7, v15, v7
	v_log_f32_e32 v7, v7
	v_fma_f32 v9, -v6, v8, 1.0
	v_fmac_f32_e32 v8, v9, v8
	v_mul_f32_e32 v9, 0x3f317217, v7
	v_mul_f32_e32 v21, v13, v8
	v_cmp_gt_f32_e64 s6, 0x7f800000, |v7|
	v_fma_f32 v9, 0x3f317217, v7, -v9
	v_fma_f32 v22, -v6, v21, v13
	v_fmamk_f32 v9, v7, 0x3377d1cf, v9
	v_fmac_f32_e32 v21, v22, v8
	v_fmac_f32_e32 v9, 0x3f317217, v7
	v_fma_f32 v6, -v6, v21, v13
	v_cndmask_b32_e64 v7, v7, v9, s6
	v_cndmask_b32_e64 v9, 0, 0x41b17218, vcc_lo
	s_mov_b32 vcc_lo, s5
	v_div_fmas_f32 v6, v6, v8, v21
	v_sub_f32_e32 v7, v7, v9
	v_div_fixup_f32 v6, v6, v15, -0.5
	v_add_f32_e32 v6, v7, v6
	v_sub_f32_e32 v2, v6, v2
	v_add_f32_e32 v2, v3, v2
                                        ; implicit-def: $vgpr3
	v_cvt_f16_f32_e32 v2, v2
.LBB20_217:
	s_andn2_saveexec_b32 s5, s11
; %bb.218:
	v_add_f32_e32 v2, 0x40101cb7, v3
	v_cvt_f16_f32_e32 v2, v2
; %bb.219:
	s_or_b32 exec_lo, exec_lo, s5
.LBB20_220:
	s_or_b32 exec_lo, exec_lo, s7
                                        ; implicit-def: $vgpr15
.LBB20_221:
	s_andn2_saveexec_b32 s5, s10
; %bb.222:
	v_xor_b32_e32 v2, 0x80000000, v15
	s_movk_i32 s6, 0x7c00
	v_lshrrev_b32_e32 v2, 16, v2
	v_bfi_b32 v2, 0x7fff, s6, v2
; %bb.223:
	s_or_b32 exec_lo, exec_lo, s5
	s_or_b32 exec_lo, exec_lo, s9
	s_and_saveexec_b32 s5, s4
	s_xor_b32 s4, exec_lo, s5
	s_cbranch_execnz .LBB20_233
.LBB20_224:
	s_or_b32 exec_lo, exec_lo, s4
	s_mov_b32 s4, exec_lo
	v_cmpx_lt_i32_e64 v10, v4
	s_cbranch_execz .LBB20_234
.LBB20_225:
	v_add_nc_u32_e32 v5, s8, v10
	s_waitcnt vmcnt(0) lgkmcnt(0)
	v_mov_b32_e32 v6, 0
	v_add_nc_u32_e32 v10, 0x100, v10
	v_lshlrev_b64 v[5:6], 1, v[5:6]
	v_add_co_u32 v5, vcc_lo, v0, v5
	v_add_co_ci_u32_e64 v6, null, v1, v6, vcc_lo
	flat_store_short v[5:6], v14
	s_or_b32 exec_lo, exec_lo, s4
	s_mov_b32 s4, exec_lo
	v_cmpx_lt_i32_e64 v10, v4
	s_cbranch_execnz .LBB20_235
.LBB20_226:
	s_or_b32 exec_lo, exec_lo, s4
	s_mov_b32 s4, exec_lo
	v_cmpx_lt_i32_e64 v10, v4
	s_cbranch_execz .LBB20_236
.LBB20_227:
	v_add_nc_u32_e32 v5, s8, v10
	s_waitcnt vmcnt(0) lgkmcnt(0)
	v_mov_b32_e32 v6, 0
	v_add_nc_u32_e32 v10, 0x100, v10
	v_lshlrev_b64 v[5:6], 1, v[5:6]
	v_add_co_u32 v5, vcc_lo, v0, v5
	v_add_co_ci_u32_e64 v6, null, v1, v6, vcc_lo
	flat_store_short v[5:6], v18
	s_or_b32 exec_lo, exec_lo, s4
	s_mov_b32 s4, exec_lo
	v_cmpx_lt_i32_e64 v10, v4
	s_cbranch_execnz .LBB20_237
.LBB20_228:
	s_or_b32 exec_lo, exec_lo, s4
	s_mov_b32 s4, exec_lo
	v_cmpx_lt_i32_e64 v10, v4
	s_cbranch_execz .LBB20_238
.LBB20_229:
	v_add_nc_u32_e32 v5, s8, v10
	s_waitcnt vmcnt(0) lgkmcnt(0)
	v_mov_b32_e32 v6, 0
	v_add_nc_u32_e32 v10, 0x100, v10
	v_lshlrev_b64 v[5:6], 1, v[5:6]
	v_add_co_u32 v5, vcc_lo, v0, v5
	v_add_co_ci_u32_e64 v6, null, v1, v6, vcc_lo
	flat_store_short v[5:6], v19
	s_or_b32 exec_lo, exec_lo, s4
	s_mov_b32 s4, exec_lo
	v_cmpx_lt_i32_e64 v10, v4
	s_cbranch_execnz .LBB20_239
.LBB20_230:
	s_or_b32 exec_lo, exec_lo, s4
	s_mov_b32 s4, exec_lo
	v_cmpx_lt_i32_e64 v10, v4
	s_cbranch_execz .LBB20_240
.LBB20_231:
	v_add_nc_u32_e32 v3, s8, v10
	v_mov_b32_e32 v4, 0
	v_lshlrev_b64 v[3:4], 1, v[3:4]
	v_add_co_u32 v0, vcc_lo, v0, v3
	v_add_co_ci_u32_e64 v1, null, v1, v4, vcc_lo
	flat_store_short v[0:1], v2
	s_or_b32 exec_lo, exec_lo, s4
	s_waitcnt vmcnt(0) lgkmcnt(0)
	s_setpc_b64 s[30:31]
.LBB20_232:
	s_or_b32 exec_lo, exec_lo, s9
	s_and_saveexec_b32 s5, s4
	s_xor_b32 s4, exec_lo, s5
	s_cbranch_execz .LBB20_224
.LBB20_233:
	s_waitcnt vmcnt(0) lgkmcnt(0)
	v_mov_b32_e32 v6, 0
	v_mov_b32_e32 v10, v11
	v_lshlrev_b64 v[5:6], 1, v[5:6]
	v_add_co_u32 v5, vcc_lo, v0, v5
	v_add_co_ci_u32_e64 v6, null, v1, v6, vcc_lo
	flat_store_short v[5:6], v12
	s_or_b32 exec_lo, exec_lo, s4
	s_mov_b32 s4, exec_lo
	v_cmpx_lt_i32_e64 v10, v4
	s_cbranch_execnz .LBB20_225
.LBB20_234:
	s_or_b32 exec_lo, exec_lo, s4
	s_mov_b32 s4, exec_lo
	v_cmpx_lt_i32_e64 v10, v4
	s_cbranch_execz .LBB20_226
.LBB20_235:
	v_add_nc_u32_e32 v5, s8, v10
	s_waitcnt vmcnt(0) lgkmcnt(0)
	v_mov_b32_e32 v6, 0
	v_add_nc_u32_e32 v10, 0x100, v10
	v_lshlrev_b64 v[5:6], 1, v[5:6]
	v_add_co_u32 v5, vcc_lo, v0, v5
	v_add_co_ci_u32_e64 v6, null, v1, v6, vcc_lo
	flat_store_short v[5:6], v17
	s_or_b32 exec_lo, exec_lo, s4
	s_mov_b32 s4, exec_lo
	v_cmpx_lt_i32_e64 v10, v4
	s_cbranch_execnz .LBB20_227
.LBB20_236:
	s_or_b32 exec_lo, exec_lo, s4
	s_mov_b32 s4, exec_lo
	v_cmpx_lt_i32_e64 v10, v4
	s_cbranch_execz .LBB20_228
.LBB20_237:
	v_add_nc_u32_e32 v5, s8, v10
	s_waitcnt vmcnt(0) lgkmcnt(0)
	v_mov_b32_e32 v6, 0
	v_add_nc_u32_e32 v10, 0x100, v10
	v_lshlrev_b64 v[5:6], 1, v[5:6]
	v_add_co_u32 v5, vcc_lo, v0, v5
	v_add_co_ci_u32_e64 v6, null, v1, v6, vcc_lo
	flat_store_short v[5:6], v20
	s_or_b32 exec_lo, exec_lo, s4
	s_mov_b32 s4, exec_lo
	v_cmpx_lt_i32_e64 v10, v4
	s_cbranch_execnz .LBB20_229
.LBB20_238:
	s_or_b32 exec_lo, exec_lo, s4
	s_mov_b32 s4, exec_lo
	v_cmpx_lt_i32_e64 v10, v4
	s_cbranch_execz .LBB20_230
.LBB20_239:
	v_add_nc_u32_e32 v5, s8, v10
	s_waitcnt vmcnt(0) lgkmcnt(0)
	v_mov_b32_e32 v6, 0
	v_add_nc_u32_e32 v10, 0x100, v10
	v_lshlrev_b64 v[5:6], 1, v[5:6]
	v_add_co_u32 v5, vcc_lo, v0, v5
	v_add_co_ci_u32_e64 v6, null, v1, v6, vcc_lo
	flat_store_short v[5:6], v16
	s_or_b32 exec_lo, exec_lo, s4
	s_mov_b32 s4, exec_lo
	v_cmpx_lt_i32_e64 v10, v4
	s_cbranch_execnz .LBB20_231
.LBB20_240:
	s_or_b32 exec_lo, exec_lo, s4
	s_waitcnt vmcnt(0) lgkmcnt(0)
	s_setpc_b64 s[30:31]
.Lfunc_end20:
	.size	_ZN2at6native25elementwise_kernel_helperILb0EZZZNS0_19digamma_kernel_cudaERNS_18TensorIteratorBaseEENKUlvE_clEvENKUlvE1_clEvEUlN3c104HalfEE_NS0_6memory8policies11unroll_baseILi256ESt5arrayIPcLm2EE23TrivialOffsetCalculatorILi1EjESG_NS9_15LoadWithoutCastENS9_16StoreWithoutCastELi8ELi1EEEEEvT0_T1_, .Lfunc_end20-_ZN2at6native25elementwise_kernel_helperILb0EZZZNS0_19digamma_kernel_cudaERNS_18TensorIteratorBaseEENKUlvE_clEvENKUlvE1_clEvEUlN3c104HalfEE_NS0_6memory8policies11unroll_baseILi256ESt5arrayIPcLm2EE23TrivialOffsetCalculatorILi1EjESG_NS9_15LoadWithoutCastENS9_16StoreWithoutCastELi8ELi1EEEEEvT0_T1_
                                        ; -- End function
	.set .L_ZN2at6native25elementwise_kernel_helperILb0EZZZNS0_19digamma_kernel_cudaERNS_18TensorIteratorBaseEENKUlvE_clEvENKUlvE1_clEvEUlN3c104HalfEE_NS0_6memory8policies11unroll_baseILi256ESt5arrayIPcLm2EE23TrivialOffsetCalculatorILi1EjESG_NS9_15LoadWithoutCastENS9_16StoreWithoutCastELi8ELi1EEEEEvT0_T1_.num_vgpr, 66
	.set .L_ZN2at6native25elementwise_kernel_helperILb0EZZZNS0_19digamma_kernel_cudaERNS_18TensorIteratorBaseEENKUlvE_clEvENKUlvE1_clEvEUlN3c104HalfEE_NS0_6memory8policies11unroll_baseILi256ESt5arrayIPcLm2EE23TrivialOffsetCalculatorILi1EjESG_NS9_15LoadWithoutCastENS9_16StoreWithoutCastELi8ELi1EEEEEvT0_T1_.num_agpr, 0
	.set .L_ZN2at6native25elementwise_kernel_helperILb0EZZZNS0_19digamma_kernel_cudaERNS_18TensorIteratorBaseEENKUlvE_clEvENKUlvE1_clEvEUlN3c104HalfEE_NS0_6memory8policies11unroll_baseILi256ESt5arrayIPcLm2EE23TrivialOffsetCalculatorILi1EjESG_NS9_15LoadWithoutCastENS9_16StoreWithoutCastELi8ELi1EEEEEvT0_T1_.numbered_sgpr, 32
	.set .L_ZN2at6native25elementwise_kernel_helperILb0EZZZNS0_19digamma_kernel_cudaERNS_18TensorIteratorBaseEENKUlvE_clEvENKUlvE1_clEvEUlN3c104HalfEE_NS0_6memory8policies11unroll_baseILi256ESt5arrayIPcLm2EE23TrivialOffsetCalculatorILi1EjESG_NS9_15LoadWithoutCastENS9_16StoreWithoutCastELi8ELi1EEEEEvT0_T1_.num_named_barrier, 0
	.set .L_ZN2at6native25elementwise_kernel_helperILb0EZZZNS0_19digamma_kernel_cudaERNS_18TensorIteratorBaseEENKUlvE_clEvENKUlvE1_clEvEUlN3c104HalfEE_NS0_6memory8policies11unroll_baseILi256ESt5arrayIPcLm2EE23TrivialOffsetCalculatorILi1EjESG_NS9_15LoadWithoutCastENS9_16StoreWithoutCastELi8ELi1EEEEEvT0_T1_.private_seg_size, 0
	.set .L_ZN2at6native25elementwise_kernel_helperILb0EZZZNS0_19digamma_kernel_cudaERNS_18TensorIteratorBaseEENKUlvE_clEvENKUlvE1_clEvEUlN3c104HalfEE_NS0_6memory8policies11unroll_baseILi256ESt5arrayIPcLm2EE23TrivialOffsetCalculatorILi1EjESG_NS9_15LoadWithoutCastENS9_16StoreWithoutCastELi8ELi1EEEEEvT0_T1_.uses_vcc, 1
	.set .L_ZN2at6native25elementwise_kernel_helperILb0EZZZNS0_19digamma_kernel_cudaERNS_18TensorIteratorBaseEENKUlvE_clEvENKUlvE1_clEvEUlN3c104HalfEE_NS0_6memory8policies11unroll_baseILi256ESt5arrayIPcLm2EE23TrivialOffsetCalculatorILi1EjESG_NS9_15LoadWithoutCastENS9_16StoreWithoutCastELi8ELi1EEEEEvT0_T1_.uses_flat_scratch, 0
	.set .L_ZN2at6native25elementwise_kernel_helperILb0EZZZNS0_19digamma_kernel_cudaERNS_18TensorIteratorBaseEENKUlvE_clEvENKUlvE1_clEvEUlN3c104HalfEE_NS0_6memory8policies11unroll_baseILi256ESt5arrayIPcLm2EE23TrivialOffsetCalculatorILi1EjESG_NS9_15LoadWithoutCastENS9_16StoreWithoutCastELi8ELi1EEEEEvT0_T1_.has_dyn_sized_stack, 0
	.set .L_ZN2at6native25elementwise_kernel_helperILb0EZZZNS0_19digamma_kernel_cudaERNS_18TensorIteratorBaseEENKUlvE_clEvENKUlvE1_clEvEUlN3c104HalfEE_NS0_6memory8policies11unroll_baseILi256ESt5arrayIPcLm2EE23TrivialOffsetCalculatorILi1EjESG_NS9_15LoadWithoutCastENS9_16StoreWithoutCastELi8ELi1EEEEEvT0_T1_.has_recursion, 0
	.set .L_ZN2at6native25elementwise_kernel_helperILb0EZZZNS0_19digamma_kernel_cudaERNS_18TensorIteratorBaseEENKUlvE_clEvENKUlvE1_clEvEUlN3c104HalfEE_NS0_6memory8policies11unroll_baseILi256ESt5arrayIPcLm2EE23TrivialOffsetCalculatorILi1EjESG_NS9_15LoadWithoutCastENS9_16StoreWithoutCastELi8ELi1EEEEEvT0_T1_.has_indirect_call, 0
	.section	.AMDGPU.csdata,"",@progbits
; Function info:
; codeLenInByte = 20744
; TotalNumSgprs: 34
; NumVgprs: 66
; ScratchSize: 0
; MemoryBound: 0
	.text
	.p2align	2                               ; -- Begin function _ZN2at6native25elementwise_kernel_helperILb0EZZZNS0_19digamma_kernel_cudaERNS_18TensorIteratorBaseEENKUlvE_clEvENKUlvE1_clEvEUlN3c104HalfEE_NS0_6memory8policies10vectorizedILi8ESt5arrayIPcLm2EELi8EEEEEvT0_T1_
	.type	_ZN2at6native25elementwise_kernel_helperILb0EZZZNS0_19digamma_kernel_cudaERNS_18TensorIteratorBaseEENKUlvE_clEvENKUlvE1_clEvEUlN3c104HalfEE_NS0_6memory8policies10vectorizedILi8ESt5arrayIPcLm2EELi8EEEEEvT0_T1_,@function
_ZN2at6native25elementwise_kernel_helperILb0EZZZNS0_19digamma_kernel_cudaERNS_18TensorIteratorBaseEENKUlvE_clEvENKUlvE1_clEvEUlN3c104HalfEE_NS0_6memory8policies10vectorizedILi8ESt5arrayIPcLm2EELi8EEEEEvT0_T1_: ; @_ZN2at6native25elementwise_kernel_helperILb0EZZZNS0_19digamma_kernel_cudaERNS_18TensorIteratorBaseEENKUlvE_clEvENKUlvE1_clEvEUlN3c104HalfEE_NS0_6memory8policies10vectorizedILi8ESt5arrayIPcLm2EELi8EEEEEvT0_T1_
; %bb.0:
	s_waitcnt vmcnt(0) expcnt(0) lgkmcnt(0)
	s_lshl_b32 s4, s12, 11
	v_and_b32_e32 v4, 0x3ff, v31
	s_ashr_i32 s5, s4, 31
	v_mov_b32_e32 v6, 0
	s_lshl_b64 s[6:7], s[4:5], 1
                                        ; implicit-def: $vgpr13
	s_mov_b32 s4, exec_lo
	v_lshlrev_b32_e32 v12, 4, v4
	v_add_co_u32 v2, vcc_lo, v2, s6
	v_add_co_ci_u32_e64 v3, null, s7, v3, vcc_lo
	v_add_co_u32 v2, vcc_lo, v2, v12
	v_add_co_ci_u32_e64 v3, null, 0, v3, vcc_lo
	flat_load_dwordx4 v[2:5], v[2:3]
	s_waitcnt vmcnt(0) lgkmcnt(0)
	v_cvt_f32_f16_e32 v14, v2
	v_cmpx_neq_f16_e32 0, v2
	s_xor_b32 s8, exec_lo, s4
	s_cbranch_execz .LBB21_22
; %bb.1:
	s_mov_b32 s4, -1
	s_mov_b32 s9, exec_lo
	v_cmpx_gt_f16_e32 0, v2
	s_cbranch_execz .LBB21_9
; %bb.2:
	v_trunc_f32_e32 v6, v14
	s_mov_b32 s5, 0
	v_cmp_neq_f32_e32 vcc_lo, v6, v14
	v_mov_b32_e32 v6, 0
	s_and_saveexec_b32 s10, vcc_lo
	s_cbranch_execz .LBB21_8
; %bb.3:
	v_cvt_f32_f16_e32 v6, v2
	s_mov_b32 s5, 0xc00921fb
	s_mov_b32 s4, 0x54442d18
	s_mov_b32 s11, exec_lo
                                        ; implicit-def: $vgpr13
                                        ; implicit-def: $vgpr10_vgpr11
	v_cvt_f64_f32_e32 v[6:7], v6
	v_trunc_f64_e32 v[8:9], v[6:7]
	v_cmp_neq_f64_e64 vcc_lo, 0x7ff00000, |v[6:7]|
	v_add_f64 v[8:9], v[6:7], -v[8:9]
	v_mul_f64 v[8:9], |v[8:9]|, s[4:5]
	v_cndmask_b32_e32 v7, 0x80000000, v9, vcc_lo
	v_cndmask_b32_e32 v6, 0, v8, vcc_lo
                                        ; implicit-def: $vgpr8_vgpr9
	v_cmpx_ngt_f64_e64 0x41d00000, |v[6:7]|
	s_xor_b32 s11, exec_lo, s11
	s_cbranch_execz .LBB21_5
; %bb.4:
	v_ldexp_f64 v[8:9], |v[6:7]|, 0xffffff80
	v_cmp_le_f64_e64 vcc_lo, 0x7b000000, |v[6:7]|
	v_trig_preop_f64 v[10:11], |v[6:7]|, 0
	v_and_b32_e32 v13, 0x7fffffff, v7
	v_trig_preop_f64 v[15:16], |v[6:7]|, 1
	v_trig_preop_f64 v[25:26], |v[6:7]|, 2
	v_mov_b32_e32 v33, 0
	s_mov_b32 s5, 0x3ff921fb
	s_mov_b32 s12, 0x33145c07
	;; [unrolled: 1-line block ×3, first 2 shown]
	v_cndmask_b32_e32 v9, v13, v9, vcc_lo
	v_cndmask_b32_e32 v8, v6, v8, vcc_lo
	v_mul_f64 v[17:18], v[10:11], v[8:9]
	v_mul_f64 v[19:20], v[15:16], v[8:9]
	;; [unrolled: 1-line block ×3, first 2 shown]
	v_fma_f64 v[10:11], v[10:11], v[8:9], -v[17:18]
	v_fma_f64 v[15:16], v[15:16], v[8:9], -v[19:20]
	;; [unrolled: 1-line block ×3, first 2 shown]
	v_add_f64 v[21:22], v[19:20], v[10:11]
	v_add_f64 v[23:24], v[21:22], -v[19:20]
	v_add_f64 v[29:30], v[17:18], v[21:22]
	v_add_f64 v[27:28], v[21:22], -v[23:24]
	v_add_f64 v[10:11], v[10:11], -v[23:24]
	v_ldexp_f64 v[23:24], v[29:30], -2
	v_add_f64 v[17:18], v[29:30], -v[17:18]
	v_add_f64 v[19:20], v[19:20], -v[27:28]
	v_add_f64 v[27:28], v[31:32], v[15:16]
	v_cmp_neq_f64_e64 vcc_lo, 0x7ff00000, |v[23:24]|
	v_add_f64 v[17:18], v[21:22], -v[17:18]
	v_add_f64 v[10:11], v[10:11], v[19:20]
	v_fract_f64_e32 v[19:20], v[23:24]
	v_add_f64 v[21:22], v[27:28], v[10:11]
	v_ldexp_f64 v[19:20], v[19:20], 2
	v_add_f64 v[23:24], v[17:18], v[21:22]
	v_cndmask_b32_e32 v20, 0, v20, vcc_lo
	v_cndmask_b32_e32 v19, 0, v19, vcc_lo
	v_add_f64 v[29:30], v[23:24], v[19:20]
	v_add_f64 v[17:18], v[23:24], -v[17:18]
	v_cmp_gt_f64_e32 vcc_lo, 0, v[29:30]
	v_add_f64 v[29:30], v[27:28], -v[31:32]
	v_add_f64 v[17:18], v[21:22], -v[17:18]
	v_cndmask_b32_e64 v34, 0, 0x40100000, vcc_lo
	v_add_f64 v[38:39], v[27:28], -v[29:30]
	v_add_f64 v[15:16], v[15:16], -v[29:30]
	v_add_f64 v[19:20], v[19:20], v[33:34]
	v_add_f64 v[34:35], v[21:22], -v[27:28]
	v_add_f64 v[29:30], v[31:32], -v[38:39]
	v_add_f64 v[36:37], v[23:24], v[19:20]
	;; [unrolled: 3-line block ×3, first 2 shown]
	v_cvt_i32_f64_e32 v13, v[36:37]
	v_add_f64 v[27:28], v[27:28], -v[48:49]
	v_cvt_f64_i32_e32 v[34:35], v13
	v_add_f64 v[10:11], v[10:11], v[27:28]
	v_add_f64 v[19:20], v[19:20], -v[34:35]
	v_add_f64 v[10:11], v[15:16], v[10:11]
	v_add_f64 v[15:16], v[23:24], v[19:20]
	v_add_f64 v[8:9], v[8:9], v[10:11]
	v_add_f64 v[10:11], v[15:16], -v[19:20]
	v_cmp_le_f64_e32 vcc_lo, 0.5, v[15:16]
	v_add_f64 v[8:9], v[17:18], v[8:9]
	v_add_f64 v[10:11], v[23:24], -v[10:11]
	v_cndmask_b32_e64 v34, 0, 0x3ff00000, vcc_lo
	v_add_co_ci_u32_e64 v13, null, 0, v13, vcc_lo
	v_add_f64 v[8:9], v[8:9], v[10:11]
	v_add_f64 v[10:11], v[15:16], -v[33:34]
	v_add_f64 v[15:16], v[10:11], v[8:9]
	v_mul_f64 v[17:18], v[15:16], s[4:5]
	v_add_f64 v[10:11], v[15:16], -v[10:11]
	v_fma_f64 v[19:20], v[15:16], s[4:5], -v[17:18]
	v_add_f64 v[8:9], v[8:9], -v[10:11]
	v_fma_f64 v[10:11], v[15:16], s[12:13], v[19:20]
	v_fma_f64 v[10:11], v[8:9], s[4:5], v[10:11]
	v_add_f64 v[8:9], v[17:18], v[10:11]
	v_add_f64 v[15:16], v[8:9], -v[17:18]
	v_add_f64 v[10:11], v[10:11], -v[15:16]
.LBB21_5:
	s_andn2_saveexec_b32 s4, s11
	s_cbranch_execz .LBB21_7
; %bb.6:
	s_mov_b32 s12, 0x6dc9c883
	s_mov_b32 s13, 0x3fe45f30
	;; [unrolled: 1-line block ×3, first 2 shown]
	v_mul_f64 v[8:9], |v[6:7]|, s[12:13]
	s_mov_b32 s12, 0x54442d18
	s_mov_b32 s13, 0xbff921fb
	;; [unrolled: 1-line block ×3, first 2 shown]
	v_rndne_f64_e32 v[15:16], v[8:9]
	v_fma_f64 v[8:9], v[15:16], s[12:13], |v[6:7]|
	v_mul_f64 v[10:11], v[15:16], s[14:15]
	s_mov_b32 s12, 0x252049c0
	s_mov_b32 s13, 0xb97b839a
	v_cvt_i32_f64_e32 v13, v[15:16]
	v_fma_f64 v[19:20], v[15:16], s[14:15], v[8:9]
	v_add_f64 v[17:18], v[8:9], v[10:11]
	s_mov_b32 s15, 0x3c91a626
	v_add_f64 v[8:9], v[8:9], -v[17:18]
	v_add_f64 v[17:18], v[17:18], -v[19:20]
	v_add_f64 v[8:9], v[8:9], v[10:11]
	v_fma_f64 v[10:11], v[15:16], s[14:15], v[10:11]
	v_add_f64 v[8:9], v[17:18], v[8:9]
	v_add_f64 v[8:9], v[8:9], -v[10:11]
	v_fma_f64 v[10:11], v[15:16], s[12:13], v[8:9]
	v_add_f64 v[8:9], v[19:20], v[10:11]
	v_add_f64 v[17:18], v[8:9], -v[19:20]
	v_add_f64 v[10:11], v[10:11], -v[17:18]
.LBB21_7:
	s_or_b32 exec_lo, exec_lo, s4
	v_mul_f64 v[15:16], v[8:9], v[8:9]
	v_add_f64 v[17:18], v[10:11], v[10:11]
	s_mov_b32 s12, 0xa9a29f71
	s_mov_b32 s14, 0xc751c08c
	;; [unrolled: 1-line block ×4, first 2 shown]
	v_cmp_class_f64_e64 s4, v[6:7], 0x1f8
	v_and_b32_e32 v13, 1, v13
	v_and_b32_e32 v7, 0x80000000, v7
	v_sub_f32_e32 v14, 1.0, v14
	s_mov_b32 s5, exec_lo
	v_cmp_eq_u32_e32 vcc_lo, 0, v13
	v_fma_f64 v[19:20], v[8:9], v[8:9], -v[15:16]
	v_fma_f64 v[17:18], v[8:9], v[17:18], v[19:20]
	v_add_f64 v[15:16], v[15:16], v[17:18]
	v_fma_f64 v[17:18], v[15:16], s[14:15], s[12:13]
	s_mov_b32 s12, 0x90a8aae0
	s_mov_b32 s13, 0x3f17746f
	v_fma_f64 v[17:18], v[15:16], v[17:18], s[12:13]
	s_mov_b32 s12, 0xa6fbf144
	s_mov_b32 s13, 0xbefbb44d
	;; [unrolled: 3-line block ×13, first 2 shown]
	v_mul_f64 v[15:16], v[15:16], v[17:18]
	v_mul_f64 v[17:18], v[8:9], v[15:16]
	v_add_f64 v[19:20], v[8:9], v[17:18]
	v_fma_f64 v[15:16], v[8:9], v[15:16], -v[17:18]
	v_add_f64 v[8:9], v[19:20], -v[8:9]
	v_add_f64 v[10:11], v[10:11], v[15:16]
	v_add_f64 v[8:9], v[17:18], -v[8:9]
	v_add_f64 v[8:9], v[10:11], v[8:9]
	v_add_f64 v[10:11], v[19:20], v[8:9]
	v_rcp_f64_e32 v[15:16], v[10:11]
	v_fma_f64 v[17:18], -v[10:11], v[15:16], 1.0
	v_fma_f64 v[15:16], v[17:18], v[15:16], v[15:16]
	v_fma_f64 v[17:18], -v[10:11], v[15:16], 1.0
	v_fma_f64 v[15:16], v[17:18], v[15:16], v[15:16]
	v_add_f64 v[17:18], v[10:11], -v[19:20]
	v_mul_f64 v[19:20], v[10:11], v[15:16]
	v_add_f64 v[8:9], v[8:9], -v[17:18]
	v_fma_f64 v[17:18], v[15:16], v[10:11], -v[19:20]
	v_fma_f64 v[8:9], v[15:16], v[8:9], v[17:18]
	v_add_f64 v[17:18], v[19:20], v[8:9]
	v_add_f64 v[21:22], -v[17:18], 1.0
	v_add_f64 v[19:20], v[17:18], -v[19:20]
	v_add_f64 v[23:24], -v[21:22], 1.0
	v_add_f64 v[8:9], v[19:20], -v[8:9]
	v_add_f64 v[17:18], v[23:24], -v[17:18]
	v_add_f64 v[8:9], v[8:9], v[17:18]
	v_add_f64 v[8:9], v[21:22], v[8:9]
	v_mul_f64 v[8:9], v[15:16], v[8:9]
	v_add_f64 v[8:9], v[15:16], v[8:9]
	v_xor_b32_e32 v6, 0x80000000, v9
	v_cndmask_b32_e32 v8, v8, v10, vcc_lo
	v_cndmask_b32_e32 v6, v6, v11, vcc_lo
	v_xor_b32_e32 v7, v6, v7
	v_cndmask_b32_e64 v6, 0, v8, s4
	v_cndmask_b32_e64 v7, 0x7ff80000, v7, s4
	v_div_scale_f64 v[8:9], null, v[6:7], v[6:7], s[12:13]
	v_rcp_f64_e32 v[10:11], v[8:9]
	v_fma_f64 v[15:16], -v[8:9], v[10:11], 1.0
	v_fma_f64 v[10:11], v[10:11], v[15:16], v[10:11]
	v_fma_f64 v[15:16], -v[8:9], v[10:11], 1.0
	v_fma_f64 v[10:11], v[10:11], v[15:16], v[10:11]
	v_div_scale_f64 v[15:16], vcc_lo, s[12:13], v[6:7], s[12:13]
	v_mul_f64 v[17:18], v[15:16], v[10:11]
	v_fma_f64 v[8:9], -v[8:9], v[17:18], v[15:16]
	v_div_fmas_f64 v[8:9], v[8:9], v[10:11], v[17:18]
	v_div_fixup_f64 v[6:7], v[8:9], v[6:7], s[12:13]
	v_cvt_f32_f64_e32 v6, v[6:7]
.LBB21_8:
	s_or_b32 exec_lo, exec_lo, s10
	s_orn2_b32 s4, s5, exec_lo
.LBB21_9:
	s_or_b32 exec_lo, exec_lo, s9
	v_mov_b32_e32 v13, 0x7e00
	s_and_saveexec_b32 s9, s4
	s_cbranch_execz .LBB21_21
; %bb.10:
	s_mov_b32 s4, exec_lo
	v_cmpx_gt_f32_e32 0x41200000, v14
	s_cbranch_execz .LBB21_14
; %bb.11:
	s_mov_b32 s5, 0
	.p2align	6
.LBB21_12:                              ; =>This Inner Loop Header: Depth=1
	v_div_scale_f32 v7, null, v14, v14, 1.0
	v_div_scale_f32 v10, vcc_lo, 1.0, v14, 1.0
	v_rcp_f32_e32 v8, v7
	v_fma_f32 v9, -v7, v8, 1.0
	v_fmac_f32_e32 v8, v9, v8
	v_mul_f32_e32 v9, v10, v8
	v_fma_f32 v11, -v7, v9, v10
	v_fmac_f32_e32 v9, v11, v8
	v_fma_f32 v7, -v7, v9, v10
	v_div_fmas_f32 v7, v7, v8, v9
	v_div_fixup_f32 v7, v7, v14, 1.0
	v_add_f32_e32 v14, 1.0, v14
	v_sub_f32_e32 v6, v6, v7
	v_cmp_ngt_f32_e32 vcc_lo, 0x41200000, v14
	s_or_b32 s5, vcc_lo, s5
	s_andn2_b32 exec_lo, exec_lo, s5
	s_cbranch_execnz .LBB21_12
; %bb.13:
	s_or_b32 exec_lo, exec_lo, s5
.LBB21_14:
	s_or_b32 exec_lo, exec_lo, s4
                                        ; implicit-def: $vgpr13
	s_mov_b32 s4, exec_lo
	v_cmpx_neq_f32_e32 0x41200000, v14
	s_xor_b32 s10, exec_lo, s4
	s_cbranch_execz .LBB21_18
; %bb.15:
	v_cvt_f64_f32_e32 v[7:8], v14
	s_mov_b32 s4, 0x85d8a000
	s_mov_b32 s5, 0x43763457
	v_cmp_gt_f64_e32 vcc_lo, s[4:5], v[7:8]
	v_mov_b32_e32 v7, 0
	s_and_saveexec_b32 s4, vcc_lo
	s_cbranch_execz .LBB21_17
; %bb.16:
	v_mul_f32_e32 v7, v14, v14
	v_div_scale_f32 v8, null, v7, v7, 1.0
	v_rcp_f32_e32 v9, v8
	v_fma_f32 v10, -v8, v9, 1.0
	v_fmac_f32_e32 v9, v10, v9
	v_div_scale_f32 v10, vcc_lo, 1.0, v7, 1.0
	v_mul_f32_e32 v11, v10, v9
	v_fma_f32 v13, -v8, v11, v10
	v_fmac_f32_e32 v11, v13, v9
	v_fma_f32 v8, -v8, v11, v10
	v_div_fmas_f32 v8, v8, v9, v11
	v_div_fixup_f32 v7, v8, v7, 1.0
	v_fmaak_f32 v8, 0, v7, 0x3daaaaab
	v_fmaak_f32 v8, v7, v8, 0xbcaccacd
	;; [unrolled: 1-line block ×7, first 2 shown]
	v_mul_f32_e32 v7, v7, v8
.LBB21_17:
	s_or_b32 exec_lo, exec_lo, s4
	v_cmp_gt_f32_e32 vcc_lo, 0x800000, v14
	v_div_scale_f32 v8, null, v14, v14, -0.5
	v_div_scale_f32 v13, s4, -0.5, v14, -0.5
	v_cndmask_b32_e64 v9, 0, 32, vcc_lo
	v_rcp_f32_e32 v10, v8
	v_ldexp_f32 v9, v14, v9
	v_log_f32_e32 v9, v9
	v_fma_f32 v11, -v8, v10, 1.0
	v_fmac_f32_e32 v10, v11, v10
	v_mul_f32_e32 v11, 0x3f317217, v9
	v_mul_f32_e32 v15, v13, v10
	v_cmp_gt_f32_e64 s5, 0x7f800000, |v9|
	v_fma_f32 v11, 0x3f317217, v9, -v11
	v_fma_f32 v16, -v8, v15, v13
	v_fmamk_f32 v11, v9, 0x3377d1cf, v11
	v_fmac_f32_e32 v15, v16, v10
	v_fmac_f32_e32 v11, 0x3f317217, v9
	v_fma_f32 v8, -v8, v15, v13
	v_cndmask_b32_e64 v9, v9, v11, s5
	v_cndmask_b32_e64 v11, 0, 0x41b17218, vcc_lo
	s_mov_b32 vcc_lo, s4
	v_div_fmas_f32 v8, v8, v10, v15
	v_sub_f32_e32 v9, v9, v11
	v_div_fixup_f32 v8, v8, v14, -0.5
	v_add_f32_e32 v8, v9, v8
	v_sub_f32_e32 v7, v8, v7
	v_add_f32_e32 v6, v6, v7
	v_cvt_f16_f32_e32 v13, v6
                                        ; implicit-def: $vgpr6
.LBB21_18:
	s_andn2_saveexec_b32 s4, s10
; %bb.19:
	v_add_f32_e32 v6, 0x40101cb7, v6
	v_cvt_f16_f32_e32 v13, v6
; %bb.20:
	s_or_b32 exec_lo, exec_lo, s4
.LBB21_21:
	s_or_b32 exec_lo, exec_lo, s9
                                        ; implicit-def: $vgpr14
.LBB21_22:
	s_andn2_saveexec_b32 s4, s8
; %bb.23:
	v_xor_b32_e32 v6, 0x80000000, v14
	s_movk_i32 s5, 0x7c00
	v_lshrrev_b32_e32 v6, 16, v6
	v_bfi_b32 v13, 0x7fff, s5, v6
; %bb.24:
	s_or_b32 exec_lo, exec_lo, s4
	v_mov_b32_e32 v6, 0
	v_cvt_f32_f16_sdwa v15, v2 dst_sel:DWORD dst_unused:UNUSED_PAD src0_sel:WORD_1
                                        ; implicit-def: $vgpr14
	v_cmp_neq_f16_sdwa s4, v2, v6 src0_sel:WORD_1 src1_sel:DWORD
	s_and_saveexec_b32 s5, s4
	s_xor_b32 s8, exec_lo, s5
	s_cbranch_execz .LBB21_46
; %bb.25:
	v_cmp_lt_f16_sdwa s5, v2, v6 src0_sel:WORD_1 src1_sel:DWORD
	s_mov_b32 s4, -1
	s_and_saveexec_b32 s9, s5
	s_cbranch_execz .LBB21_33
; %bb.26:
	v_trunc_f32_e32 v6, v15
	s_mov_b32 s5, 0
	v_cmp_neq_f32_e32 vcc_lo, v6, v15
	v_mov_b32_e32 v6, 0
	s_and_saveexec_b32 s10, vcc_lo
	s_cbranch_execz .LBB21_32
; %bb.27:
	v_cvt_f32_f16_sdwa v2, v2 dst_sel:DWORD dst_unused:UNUSED_PAD src0_sel:WORD_1
	s_mov_b32 s5, 0xc00921fb
	s_mov_b32 s4, 0x54442d18
	s_mov_b32 s11, exec_lo
                                        ; implicit-def: $vgpr10_vgpr11
	v_cvt_f64_f32_e32 v[6:7], v2
                                        ; implicit-def: $vgpr2
	v_trunc_f64_e32 v[8:9], v[6:7]
	v_cmp_neq_f64_e64 vcc_lo, 0x7ff00000, |v[6:7]|
	v_add_f64 v[8:9], v[6:7], -v[8:9]
	v_mul_f64 v[8:9], |v[8:9]|, s[4:5]
	v_cndmask_b32_e32 v7, 0x80000000, v9, vcc_lo
	v_cndmask_b32_e32 v6, 0, v8, vcc_lo
                                        ; implicit-def: $vgpr8_vgpr9
	v_cmpx_ngt_f64_e64 0x41d00000, |v[6:7]|
	s_xor_b32 s11, exec_lo, s11
	s_cbranch_execz .LBB21_29
; %bb.28:
	v_ldexp_f64 v[8:9], |v[6:7]|, 0xffffff80
	v_cmp_le_f64_e64 vcc_lo, 0x7b000000, |v[6:7]|
	v_trig_preop_f64 v[10:11], |v[6:7]|, 0
	v_and_b32_e32 v2, 0x7fffffff, v7
	v_trig_preop_f64 v[16:17], |v[6:7]|, 1
	v_trig_preop_f64 v[26:27], |v[6:7]|, 2
	v_mov_b32_e32 v34, 0
	s_mov_b32 s5, 0x3ff921fb
	s_mov_b32 s12, 0x33145c07
	;; [unrolled: 1-line block ×3, first 2 shown]
	v_cndmask_b32_e32 v9, v2, v9, vcc_lo
	v_cndmask_b32_e32 v8, v6, v8, vcc_lo
	v_mul_f64 v[18:19], v[10:11], v[8:9]
	v_mul_f64 v[20:21], v[16:17], v[8:9]
	v_mul_f64 v[32:33], v[26:27], v[8:9]
	v_fma_f64 v[10:11], v[10:11], v[8:9], -v[18:19]
	v_fma_f64 v[16:17], v[16:17], v[8:9], -v[20:21]
	;; [unrolled: 1-line block ×3, first 2 shown]
	v_add_f64 v[22:23], v[20:21], v[10:11]
	v_add_f64 v[24:25], v[22:23], -v[20:21]
	v_add_f64 v[30:31], v[18:19], v[22:23]
	v_add_f64 v[28:29], v[22:23], -v[24:25]
	v_add_f64 v[10:11], v[10:11], -v[24:25]
	v_ldexp_f64 v[24:25], v[30:31], -2
	v_add_f64 v[18:19], v[30:31], -v[18:19]
	v_add_f64 v[20:21], v[20:21], -v[28:29]
	v_add_f64 v[28:29], v[32:33], v[16:17]
	v_cmp_neq_f64_e64 vcc_lo, 0x7ff00000, |v[24:25]|
	v_add_f64 v[18:19], v[22:23], -v[18:19]
	v_add_f64 v[10:11], v[10:11], v[20:21]
	v_fract_f64_e32 v[20:21], v[24:25]
	v_add_f64 v[22:23], v[28:29], v[10:11]
	v_ldexp_f64 v[20:21], v[20:21], 2
	v_add_f64 v[24:25], v[18:19], v[22:23]
	v_cndmask_b32_e32 v21, 0, v21, vcc_lo
	v_cndmask_b32_e32 v20, 0, v20, vcc_lo
	v_add_f64 v[30:31], v[24:25], v[20:21]
	v_add_f64 v[18:19], v[24:25], -v[18:19]
	v_cmp_gt_f64_e32 vcc_lo, 0, v[30:31]
	v_add_f64 v[30:31], v[28:29], -v[32:33]
	v_add_f64 v[18:19], v[22:23], -v[18:19]
	v_cndmask_b32_e64 v35, 0, 0x40100000, vcc_lo
	v_add_f64 v[48:49], v[28:29], -v[30:31]
	v_add_f64 v[16:17], v[16:17], -v[30:31]
	v_add_f64 v[20:21], v[20:21], v[34:35]
	v_add_f64 v[35:36], v[22:23], -v[28:29]
	v_add_f64 v[30:31], v[32:33], -v[48:49]
	v_add_f64 v[37:38], v[24:25], v[20:21]
	;; [unrolled: 3-line block ×3, first 2 shown]
	v_cvt_i32_f64_e32 v2, v[37:38]
	v_add_f64 v[28:29], v[28:29], -v[50:51]
	v_cvt_f64_i32_e32 v[35:36], v2
	v_add_f64 v[10:11], v[10:11], v[28:29]
	v_add_f64 v[20:21], v[20:21], -v[35:36]
	v_add_f64 v[10:11], v[16:17], v[10:11]
	v_add_f64 v[16:17], v[24:25], v[20:21]
	;; [unrolled: 1-line block ×3, first 2 shown]
	v_add_f64 v[10:11], v[16:17], -v[20:21]
	v_cmp_le_f64_e32 vcc_lo, 0.5, v[16:17]
	v_add_f64 v[8:9], v[18:19], v[8:9]
	v_add_f64 v[10:11], v[24:25], -v[10:11]
	v_cndmask_b32_e64 v35, 0, 0x3ff00000, vcc_lo
	v_add_co_ci_u32_e64 v2, null, 0, v2, vcc_lo
	v_add_f64 v[8:9], v[8:9], v[10:11]
	v_add_f64 v[10:11], v[16:17], -v[34:35]
	v_add_f64 v[16:17], v[10:11], v[8:9]
	v_mul_f64 v[18:19], v[16:17], s[4:5]
	v_add_f64 v[10:11], v[16:17], -v[10:11]
	v_fma_f64 v[20:21], v[16:17], s[4:5], -v[18:19]
	v_add_f64 v[8:9], v[8:9], -v[10:11]
	v_fma_f64 v[10:11], v[16:17], s[12:13], v[20:21]
	v_fma_f64 v[10:11], v[8:9], s[4:5], v[10:11]
	v_add_f64 v[8:9], v[18:19], v[10:11]
	v_add_f64 v[16:17], v[8:9], -v[18:19]
	v_add_f64 v[10:11], v[10:11], -v[16:17]
.LBB21_29:
	s_andn2_saveexec_b32 s4, s11
	s_cbranch_execz .LBB21_31
; %bb.30:
	s_mov_b32 s12, 0x6dc9c883
	s_mov_b32 s13, 0x3fe45f30
	;; [unrolled: 1-line block ×3, first 2 shown]
	v_mul_f64 v[8:9], |v[6:7]|, s[12:13]
	s_mov_b32 s12, 0x54442d18
	s_mov_b32 s13, 0xbff921fb
	;; [unrolled: 1-line block ×3, first 2 shown]
	v_rndne_f64_e32 v[16:17], v[8:9]
	v_fma_f64 v[8:9], v[16:17], s[12:13], |v[6:7]|
	v_mul_f64 v[10:11], v[16:17], s[14:15]
	s_mov_b32 s12, 0x252049c0
	s_mov_b32 s13, 0xb97b839a
	v_cvt_i32_f64_e32 v2, v[16:17]
	v_fma_f64 v[20:21], v[16:17], s[14:15], v[8:9]
	v_add_f64 v[18:19], v[8:9], v[10:11]
	s_mov_b32 s15, 0x3c91a626
	v_add_f64 v[8:9], v[8:9], -v[18:19]
	v_add_f64 v[18:19], v[18:19], -v[20:21]
	v_add_f64 v[8:9], v[8:9], v[10:11]
	v_fma_f64 v[10:11], v[16:17], s[14:15], v[10:11]
	v_add_f64 v[8:9], v[18:19], v[8:9]
	v_add_f64 v[8:9], v[8:9], -v[10:11]
	v_fma_f64 v[10:11], v[16:17], s[12:13], v[8:9]
	v_add_f64 v[8:9], v[20:21], v[10:11]
	v_add_f64 v[18:19], v[8:9], -v[20:21]
	v_add_f64 v[10:11], v[10:11], -v[18:19]
.LBB21_31:
	s_or_b32 exec_lo, exec_lo, s4
	v_mul_f64 v[16:17], v[8:9], v[8:9]
	v_add_f64 v[18:19], v[10:11], v[10:11]
	s_mov_b32 s12, 0xa9a29f71
	s_mov_b32 s14, 0xc751c08c
	;; [unrolled: 1-line block ×4, first 2 shown]
	v_cmp_class_f64_e64 s4, v[6:7], 0x1f8
	v_and_b32_e32 v2, 1, v2
	v_and_b32_e32 v7, 0x80000000, v7
	v_sub_f32_e32 v15, 1.0, v15
	s_mov_b32 s5, exec_lo
	v_cmp_eq_u32_e32 vcc_lo, 0, v2
	v_fma_f64 v[20:21], v[8:9], v[8:9], -v[16:17]
	v_fma_f64 v[18:19], v[8:9], v[18:19], v[20:21]
	v_add_f64 v[16:17], v[16:17], v[18:19]
	v_fma_f64 v[18:19], v[16:17], s[14:15], s[12:13]
	s_mov_b32 s12, 0x90a8aae0
	s_mov_b32 s13, 0x3f17746f
	v_fma_f64 v[18:19], v[16:17], v[18:19], s[12:13]
	s_mov_b32 s12, 0xa6fbf144
	s_mov_b32 s13, 0xbefbb44d
	;; [unrolled: 3-line block ×13, first 2 shown]
	v_mul_f64 v[16:17], v[16:17], v[18:19]
	v_mul_f64 v[18:19], v[8:9], v[16:17]
	v_add_f64 v[20:21], v[8:9], v[18:19]
	v_fma_f64 v[16:17], v[8:9], v[16:17], -v[18:19]
	v_add_f64 v[8:9], v[20:21], -v[8:9]
	v_add_f64 v[10:11], v[10:11], v[16:17]
	v_add_f64 v[8:9], v[18:19], -v[8:9]
	v_add_f64 v[8:9], v[10:11], v[8:9]
	v_add_f64 v[10:11], v[20:21], v[8:9]
	v_rcp_f64_e32 v[16:17], v[10:11]
	v_fma_f64 v[18:19], -v[10:11], v[16:17], 1.0
	v_fma_f64 v[16:17], v[18:19], v[16:17], v[16:17]
	v_fma_f64 v[18:19], -v[10:11], v[16:17], 1.0
	v_fma_f64 v[16:17], v[18:19], v[16:17], v[16:17]
	v_add_f64 v[18:19], v[10:11], -v[20:21]
	v_mul_f64 v[20:21], v[10:11], v[16:17]
	v_add_f64 v[8:9], v[8:9], -v[18:19]
	v_fma_f64 v[18:19], v[16:17], v[10:11], -v[20:21]
	v_fma_f64 v[8:9], v[16:17], v[8:9], v[18:19]
	v_add_f64 v[18:19], v[20:21], v[8:9]
	v_add_f64 v[22:23], -v[18:19], 1.0
	v_add_f64 v[20:21], v[18:19], -v[20:21]
	v_add_f64 v[24:25], -v[22:23], 1.0
	v_add_f64 v[8:9], v[20:21], -v[8:9]
	v_add_f64 v[18:19], v[24:25], -v[18:19]
	v_add_f64 v[8:9], v[8:9], v[18:19]
	v_add_f64 v[8:9], v[22:23], v[8:9]
	v_mul_f64 v[8:9], v[16:17], v[8:9]
	v_add_f64 v[8:9], v[16:17], v[8:9]
	v_xor_b32_e32 v6, 0x80000000, v9
	v_cndmask_b32_e32 v2, v8, v10, vcc_lo
	v_cndmask_b32_e32 v6, v6, v11, vcc_lo
	v_xor_b32_e32 v7, v6, v7
	v_cndmask_b32_e64 v6, 0, v2, s4
	v_cndmask_b32_e64 v7, 0x7ff80000, v7, s4
	v_div_scale_f64 v[8:9], null, v[6:7], v[6:7], s[12:13]
	v_rcp_f64_e32 v[10:11], v[8:9]
	v_fma_f64 v[16:17], -v[8:9], v[10:11], 1.0
	v_fma_f64 v[10:11], v[10:11], v[16:17], v[10:11]
	v_fma_f64 v[16:17], -v[8:9], v[10:11], 1.0
	v_fma_f64 v[10:11], v[10:11], v[16:17], v[10:11]
	v_div_scale_f64 v[16:17], vcc_lo, s[12:13], v[6:7], s[12:13]
	v_mul_f64 v[18:19], v[16:17], v[10:11]
	v_fma_f64 v[8:9], -v[8:9], v[18:19], v[16:17]
	v_div_fmas_f64 v[8:9], v[8:9], v[10:11], v[18:19]
	v_div_fixup_f64 v[6:7], v[8:9], v[6:7], s[12:13]
	v_cvt_f32_f64_e32 v6, v[6:7]
.LBB21_32:
	s_or_b32 exec_lo, exec_lo, s10
	s_orn2_b32 s4, s5, exec_lo
.LBB21_33:
	s_or_b32 exec_lo, exec_lo, s9
	v_mov_b32_e32 v14, 0x7e00
	s_and_saveexec_b32 s9, s4
	s_cbranch_execz .LBB21_45
; %bb.34:
	s_mov_b32 s4, exec_lo
	v_cmpx_gt_f32_e32 0x41200000, v15
	s_cbranch_execz .LBB21_38
; %bb.35:
	s_mov_b32 s5, 0
	.p2align	6
.LBB21_36:                              ; =>This Inner Loop Header: Depth=1
	v_div_scale_f32 v2, null, v15, v15, 1.0
	v_div_scale_f32 v9, vcc_lo, 1.0, v15, 1.0
	v_rcp_f32_e32 v7, v2
	v_fma_f32 v8, -v2, v7, 1.0
	v_fmac_f32_e32 v7, v8, v7
	v_mul_f32_e32 v8, v9, v7
	v_fma_f32 v10, -v2, v8, v9
	v_fmac_f32_e32 v8, v10, v7
	v_fma_f32 v2, -v2, v8, v9
	v_div_fmas_f32 v2, v2, v7, v8
	v_div_fixup_f32 v2, v2, v15, 1.0
	v_add_f32_e32 v15, 1.0, v15
	v_sub_f32_e32 v6, v6, v2
	v_cmp_ngt_f32_e32 vcc_lo, 0x41200000, v15
	s_or_b32 s5, vcc_lo, s5
	s_andn2_b32 exec_lo, exec_lo, s5
	s_cbranch_execnz .LBB21_36
; %bb.37:
	s_or_b32 exec_lo, exec_lo, s5
.LBB21_38:
	s_or_b32 exec_lo, exec_lo, s4
                                        ; implicit-def: $vgpr14
	s_mov_b32 s4, exec_lo
	v_cmpx_neq_f32_e32 0x41200000, v15
	s_xor_b32 s10, exec_lo, s4
	s_cbranch_execz .LBB21_42
; %bb.39:
	v_cvt_f64_f32_e32 v[7:8], v15
	s_mov_b32 s4, 0x85d8a000
	s_mov_b32 s5, 0x43763457
	v_mov_b32_e32 v2, 0
	v_cmp_gt_f64_e32 vcc_lo, s[4:5], v[7:8]
	s_and_saveexec_b32 s4, vcc_lo
	s_cbranch_execz .LBB21_41
; %bb.40:
	v_mul_f32_e32 v2, v15, v15
	v_div_scale_f32 v7, null, v2, v2, 1.0
	v_rcp_f32_e32 v8, v7
	v_fma_f32 v9, -v7, v8, 1.0
	v_fmac_f32_e32 v8, v9, v8
	v_div_scale_f32 v9, vcc_lo, 1.0, v2, 1.0
	v_mul_f32_e32 v10, v9, v8
	v_fma_f32 v11, -v7, v10, v9
	v_fmac_f32_e32 v10, v11, v8
	v_fma_f32 v7, -v7, v10, v9
	v_div_fmas_f32 v7, v7, v8, v10
	v_div_fixup_f32 v2, v7, v2, 1.0
	v_fmaak_f32 v7, 0, v2, 0x3daaaaab
	v_fmaak_f32 v7, v2, v7, 0xbcaccacd
	;; [unrolled: 1-line block ×7, first 2 shown]
	v_mul_f32_e32 v2, v2, v7
.LBB21_41:
	s_or_b32 exec_lo, exec_lo, s4
	v_cmp_gt_f32_e32 vcc_lo, 0x800000, v15
	v_div_scale_f32 v7, null, v15, v15, -0.5
	v_div_scale_f32 v11, s4, -0.5, v15, -0.5
	v_cndmask_b32_e64 v8, 0, 32, vcc_lo
	v_rcp_f32_e32 v9, v7
	v_ldexp_f32 v8, v15, v8
	v_log_f32_e32 v8, v8
	v_fma_f32 v10, -v7, v9, 1.0
	v_fmac_f32_e32 v9, v10, v9
	v_mul_f32_e32 v10, 0x3f317217, v8
	v_mul_f32_e32 v14, v11, v9
	v_cmp_gt_f32_e64 s5, 0x7f800000, |v8|
	v_fma_f32 v10, 0x3f317217, v8, -v10
	v_fma_f32 v16, -v7, v14, v11
	v_fmamk_f32 v10, v8, 0x3377d1cf, v10
	v_fmac_f32_e32 v14, v16, v9
	v_fmac_f32_e32 v10, 0x3f317217, v8
	v_fma_f32 v7, -v7, v14, v11
	v_cndmask_b32_e64 v8, v8, v10, s5
	v_cndmask_b32_e64 v10, 0, 0x41b17218, vcc_lo
	s_mov_b32 vcc_lo, s4
	v_div_fmas_f32 v7, v7, v9, v14
	v_sub_f32_e32 v8, v8, v10
	v_div_fixup_f32 v7, v7, v15, -0.5
	v_add_f32_e32 v7, v8, v7
	v_sub_f32_e32 v2, v7, v2
	v_add_f32_e32 v2, v6, v2
                                        ; implicit-def: $vgpr6
	v_cvt_f16_f32_e32 v14, v2
.LBB21_42:
	s_andn2_saveexec_b32 s4, s10
; %bb.43:
	v_add_f32_e32 v2, 0x40101cb7, v6
	v_cvt_f16_f32_e32 v14, v2
; %bb.44:
	s_or_b32 exec_lo, exec_lo, s4
.LBB21_45:
	s_or_b32 exec_lo, exec_lo, s9
                                        ; implicit-def: $vgpr15
.LBB21_46:
	s_andn2_saveexec_b32 s4, s8
; %bb.47:
	v_xor_b32_e32 v2, 0x80000000, v15
	s_movk_i32 s5, 0x7c00
	v_lshrrev_b32_e32 v2, 16, v2
	v_bfi_b32 v14, 0x7fff, s5, v2
; %bb.48:
	s_or_b32 exec_lo, exec_lo, s4
	v_cvt_f32_f16_e32 v2, v3
                                        ; implicit-def: $vgpr10
	s_mov_b32 s4, exec_lo
	v_cmpx_neq_f16_e32 0, v3
	s_xor_b32 s8, exec_lo, s4
	s_cbranch_execz .LBB21_70
; %bb.49:
	v_mov_b32_e32 v6, 0
	s_mov_b32 s4, -1
	s_mov_b32 s9, exec_lo
	v_cmpx_gt_f16_e32 0, v3
	s_cbranch_execz .LBB21_57
; %bb.50:
	v_trunc_f32_e32 v6, v2
	s_mov_b32 s5, 0
	v_cmp_neq_f32_e32 vcc_lo, v6, v2
	v_mov_b32_e32 v6, 0
	s_and_saveexec_b32 s10, vcc_lo
	s_cbranch_execz .LBB21_56
; %bb.51:
	v_cvt_f32_f16_e32 v6, v3
	s_mov_b32 s5, 0xc00921fb
	s_mov_b32 s4, 0x54442d18
	s_mov_b32 s11, exec_lo
                                        ; implicit-def: $vgpr15
                                        ; implicit-def: $vgpr10_vgpr11
	v_cvt_f64_f32_e32 v[6:7], v6
	v_trunc_f64_e32 v[8:9], v[6:7]
	v_cmp_neq_f64_e64 vcc_lo, 0x7ff00000, |v[6:7]|
	v_add_f64 v[8:9], v[6:7], -v[8:9]
	v_mul_f64 v[8:9], |v[8:9]|, s[4:5]
	v_cndmask_b32_e32 v7, 0x80000000, v9, vcc_lo
	v_cndmask_b32_e32 v6, 0, v8, vcc_lo
                                        ; implicit-def: $vgpr8_vgpr9
	v_cmpx_ngt_f64_e64 0x41d00000, |v[6:7]|
	s_xor_b32 s11, exec_lo, s11
	s_cbranch_execz .LBB21_53
; %bb.52:
	v_ldexp_f64 v[8:9], |v[6:7]|, 0xffffff80
	v_cmp_le_f64_e64 vcc_lo, 0x7b000000, |v[6:7]|
	v_trig_preop_f64 v[10:11], |v[6:7]|, 0
	v_and_b32_e32 v15, 0x7fffffff, v7
	v_trig_preop_f64 v[25:26], |v[6:7]|, 2
	v_mov_b32_e32 v33, 0
	s_mov_b32 s5, 0x3ff921fb
	s_mov_b32 s12, 0x33145c07
	;; [unrolled: 1-line block ×3, first 2 shown]
	v_cndmask_b32_e32 v9, v15, v9, vcc_lo
	v_cndmask_b32_e32 v8, v6, v8, vcc_lo
	v_trig_preop_f64 v[15:16], |v[6:7]|, 1
	v_mul_f64 v[17:18], v[10:11], v[8:9]
	v_mul_f64 v[31:32], v[25:26], v[8:9]
	;; [unrolled: 1-line block ×3, first 2 shown]
	v_fma_f64 v[10:11], v[10:11], v[8:9], -v[17:18]
	v_fma_f64 v[15:16], v[15:16], v[8:9], -v[19:20]
	;; [unrolled: 1-line block ×3, first 2 shown]
	v_add_f64 v[21:22], v[19:20], v[10:11]
	v_add_f64 v[23:24], v[21:22], -v[19:20]
	v_add_f64 v[29:30], v[17:18], v[21:22]
	v_add_f64 v[27:28], v[21:22], -v[23:24]
	v_add_f64 v[10:11], v[10:11], -v[23:24]
	v_ldexp_f64 v[23:24], v[29:30], -2
	v_add_f64 v[17:18], v[29:30], -v[17:18]
	v_add_f64 v[19:20], v[19:20], -v[27:28]
	v_add_f64 v[27:28], v[31:32], v[15:16]
	v_cmp_neq_f64_e64 vcc_lo, 0x7ff00000, |v[23:24]|
	v_add_f64 v[17:18], v[21:22], -v[17:18]
	v_add_f64 v[10:11], v[10:11], v[19:20]
	v_fract_f64_e32 v[19:20], v[23:24]
	v_add_f64 v[21:22], v[27:28], v[10:11]
	v_ldexp_f64 v[19:20], v[19:20], 2
	v_add_f64 v[23:24], v[17:18], v[21:22]
	v_cndmask_b32_e32 v20, 0, v20, vcc_lo
	v_cndmask_b32_e32 v19, 0, v19, vcc_lo
	v_add_f64 v[29:30], v[23:24], v[19:20]
	v_add_f64 v[17:18], v[23:24], -v[17:18]
	v_cmp_gt_f64_e32 vcc_lo, 0, v[29:30]
	v_add_f64 v[29:30], v[27:28], -v[31:32]
	v_cndmask_b32_e64 v34, 0, 0x40100000, vcc_lo
	v_add_f64 v[38:39], v[27:28], -v[29:30]
	v_add_f64 v[15:16], v[15:16], -v[29:30]
	v_add_f64 v[19:20], v[19:20], v[33:34]
	v_add_f64 v[34:35], v[21:22], -v[27:28]
	v_add_f64 v[29:30], v[31:32], -v[38:39]
	v_add_f64 v[36:37], v[23:24], v[19:20]
	;; [unrolled: 3-line block ×3, first 2 shown]
	v_cvt_i32_f64_e32 v36, v[36:37]
	v_add_f64 v[27:28], v[27:28], -v[48:49]
	v_cvt_f64_i32_e32 v[34:35], v36
	v_add_f64 v[10:11], v[10:11], v[27:28]
	v_add_f64 v[19:20], v[19:20], -v[34:35]
	v_add_f64 v[10:11], v[15:16], v[10:11]
	v_add_f64 v[15:16], v[21:22], -v[17:18]
	v_add_f64 v[25:26], v[23:24], v[19:20]
	v_add_f64 v[8:9], v[8:9], v[10:11]
	v_add_f64 v[10:11], v[25:26], -v[19:20]
	v_cmp_le_f64_e32 vcc_lo, 0.5, v[25:26]
	v_add_f64 v[8:9], v[15:16], v[8:9]
	v_add_f64 v[10:11], v[23:24], -v[10:11]
	v_cndmask_b32_e64 v34, 0, 0x3ff00000, vcc_lo
	v_add_co_ci_u32_e64 v15, null, 0, v36, vcc_lo
	v_add_f64 v[8:9], v[8:9], v[10:11]
	v_add_f64 v[10:11], v[25:26], -v[33:34]
	v_add_f64 v[16:17], v[10:11], v[8:9]
	v_mul_f64 v[18:19], v[16:17], s[4:5]
	v_add_f64 v[10:11], v[16:17], -v[10:11]
	v_fma_f64 v[20:21], v[16:17], s[4:5], -v[18:19]
	v_add_f64 v[8:9], v[8:9], -v[10:11]
	v_fma_f64 v[10:11], v[16:17], s[12:13], v[20:21]
	v_fma_f64 v[10:11], v[8:9], s[4:5], v[10:11]
	v_add_f64 v[8:9], v[18:19], v[10:11]
	v_add_f64 v[16:17], v[8:9], -v[18:19]
	v_add_f64 v[10:11], v[10:11], -v[16:17]
.LBB21_53:
	s_andn2_saveexec_b32 s4, s11
	s_cbranch_execz .LBB21_55
; %bb.54:
	s_mov_b32 s12, 0x6dc9c883
	s_mov_b32 s13, 0x3fe45f30
	;; [unrolled: 1-line block ×3, first 2 shown]
	v_mul_f64 v[8:9], |v[6:7]|, s[12:13]
	s_mov_b32 s12, 0x54442d18
	s_mov_b32 s13, 0xbff921fb
	;; [unrolled: 1-line block ×3, first 2 shown]
	v_rndne_f64_e32 v[15:16], v[8:9]
	v_fma_f64 v[8:9], v[15:16], s[12:13], |v[6:7]|
	v_mul_f64 v[10:11], v[15:16], s[14:15]
	s_mov_b32 s12, 0x252049c0
	s_mov_b32 s13, 0xb97b839a
	v_fma_f64 v[19:20], v[15:16], s[14:15], v[8:9]
	v_add_f64 v[17:18], v[8:9], v[10:11]
	s_mov_b32 s15, 0x3c91a626
	v_add_f64 v[8:9], v[8:9], -v[17:18]
	v_add_f64 v[17:18], v[17:18], -v[19:20]
	v_add_f64 v[8:9], v[8:9], v[10:11]
	v_fma_f64 v[10:11], v[15:16], s[14:15], v[10:11]
	v_add_f64 v[8:9], v[17:18], v[8:9]
	v_add_f64 v[8:9], v[8:9], -v[10:11]
	v_fma_f64 v[10:11], v[15:16], s[12:13], v[8:9]
	v_cvt_i32_f64_e32 v15, v[15:16]
	v_add_f64 v[8:9], v[19:20], v[10:11]
	v_add_f64 v[17:18], v[8:9], -v[19:20]
	v_add_f64 v[10:11], v[10:11], -v[17:18]
.LBB21_55:
	s_or_b32 exec_lo, exec_lo, s4
	v_mul_f64 v[16:17], v[8:9], v[8:9]
	v_add_f64 v[18:19], v[10:11], v[10:11]
	s_mov_b32 s12, 0xa9a29f71
	s_mov_b32 s14, 0xc751c08c
	;; [unrolled: 1-line block ×4, first 2 shown]
	v_cmp_class_f64_e64 s4, v[6:7], 0x1f8
	v_and_b32_e32 v15, 1, v15
	v_and_b32_e32 v7, 0x80000000, v7
	v_sub_f32_e32 v2, 1.0, v2
	s_mov_b32 s5, exec_lo
	v_cmp_eq_u32_e32 vcc_lo, 0, v15
	v_fma_f64 v[20:21], v[8:9], v[8:9], -v[16:17]
	v_fma_f64 v[18:19], v[8:9], v[18:19], v[20:21]
	v_add_f64 v[16:17], v[16:17], v[18:19]
	v_fma_f64 v[18:19], v[16:17], s[14:15], s[12:13]
	s_mov_b32 s12, 0x90a8aae0
	s_mov_b32 s13, 0x3f17746f
	v_fma_f64 v[18:19], v[16:17], v[18:19], s[12:13]
	s_mov_b32 s12, 0xa6fbf144
	s_mov_b32 s13, 0xbefbb44d
	;; [unrolled: 3-line block ×13, first 2 shown]
	v_mul_f64 v[16:17], v[16:17], v[18:19]
	v_mul_f64 v[18:19], v[8:9], v[16:17]
	v_add_f64 v[20:21], v[8:9], v[18:19]
	v_fma_f64 v[16:17], v[8:9], v[16:17], -v[18:19]
	v_add_f64 v[8:9], v[20:21], -v[8:9]
	v_add_f64 v[10:11], v[10:11], v[16:17]
	v_add_f64 v[8:9], v[18:19], -v[8:9]
	v_add_f64 v[8:9], v[10:11], v[8:9]
	v_add_f64 v[10:11], v[20:21], v[8:9]
	v_rcp_f64_e32 v[16:17], v[10:11]
	v_fma_f64 v[18:19], -v[10:11], v[16:17], 1.0
	v_fma_f64 v[16:17], v[18:19], v[16:17], v[16:17]
	v_fma_f64 v[18:19], -v[10:11], v[16:17], 1.0
	v_fma_f64 v[16:17], v[18:19], v[16:17], v[16:17]
	v_add_f64 v[18:19], v[10:11], -v[20:21]
	v_mul_f64 v[20:21], v[10:11], v[16:17]
	v_add_f64 v[8:9], v[8:9], -v[18:19]
	v_fma_f64 v[18:19], v[16:17], v[10:11], -v[20:21]
	v_fma_f64 v[8:9], v[16:17], v[8:9], v[18:19]
	v_add_f64 v[18:19], v[20:21], v[8:9]
	v_add_f64 v[22:23], -v[18:19], 1.0
	v_add_f64 v[20:21], v[18:19], -v[20:21]
	v_add_f64 v[24:25], -v[22:23], 1.0
	v_add_f64 v[8:9], v[20:21], -v[8:9]
	v_add_f64 v[18:19], v[24:25], -v[18:19]
	v_add_f64 v[8:9], v[8:9], v[18:19]
	v_add_f64 v[8:9], v[22:23], v[8:9]
	v_mul_f64 v[8:9], v[16:17], v[8:9]
	v_add_f64 v[8:9], v[16:17], v[8:9]
	v_xor_b32_e32 v6, 0x80000000, v9
	v_cndmask_b32_e32 v8, v8, v10, vcc_lo
	v_cndmask_b32_e32 v6, v6, v11, vcc_lo
	v_xor_b32_e32 v7, v6, v7
	v_cndmask_b32_e64 v6, 0, v8, s4
	v_cndmask_b32_e64 v7, 0x7ff80000, v7, s4
	v_div_scale_f64 v[8:9], null, v[6:7], v[6:7], s[12:13]
	v_rcp_f64_e32 v[10:11], v[8:9]
	v_fma_f64 v[15:16], -v[8:9], v[10:11], 1.0
	v_fma_f64 v[10:11], v[10:11], v[15:16], v[10:11]
	v_fma_f64 v[15:16], -v[8:9], v[10:11], 1.0
	v_fma_f64 v[10:11], v[10:11], v[15:16], v[10:11]
	v_div_scale_f64 v[15:16], vcc_lo, s[12:13], v[6:7], s[12:13]
	v_mul_f64 v[17:18], v[15:16], v[10:11]
	v_fma_f64 v[8:9], -v[8:9], v[17:18], v[15:16]
	v_div_fmas_f64 v[8:9], v[8:9], v[10:11], v[17:18]
	v_div_fixup_f64 v[6:7], v[8:9], v[6:7], s[12:13]
	v_cvt_f32_f64_e32 v6, v[6:7]
.LBB21_56:
	s_or_b32 exec_lo, exec_lo, s10
	s_orn2_b32 s4, s5, exec_lo
.LBB21_57:
	s_or_b32 exec_lo, exec_lo, s9
	v_mov_b32_e32 v10, 0x7e00
	s_and_saveexec_b32 s9, s4
	s_cbranch_execz .LBB21_69
; %bb.58:
	s_mov_b32 s4, exec_lo
	v_cmpx_gt_f32_e32 0x41200000, v2
	s_cbranch_execz .LBB21_62
; %bb.59:
	s_mov_b32 s5, 0
	.p2align	6
.LBB21_60:                              ; =>This Inner Loop Header: Depth=1
	v_div_scale_f32 v7, null, v2, v2, 1.0
	v_div_scale_f32 v10, vcc_lo, 1.0, v2, 1.0
	v_rcp_f32_e32 v8, v7
	v_fma_f32 v9, -v7, v8, 1.0
	v_fmac_f32_e32 v8, v9, v8
	v_mul_f32_e32 v9, v10, v8
	v_fma_f32 v11, -v7, v9, v10
	v_fmac_f32_e32 v9, v11, v8
	v_fma_f32 v7, -v7, v9, v10
	v_div_fmas_f32 v7, v7, v8, v9
	v_div_fixup_f32 v7, v7, v2, 1.0
	v_add_f32_e32 v2, 1.0, v2
	v_sub_f32_e32 v6, v6, v7
	v_cmp_ngt_f32_e32 vcc_lo, 0x41200000, v2
	s_or_b32 s5, vcc_lo, s5
	s_andn2_b32 exec_lo, exec_lo, s5
	s_cbranch_execnz .LBB21_60
; %bb.61:
	s_or_b32 exec_lo, exec_lo, s5
.LBB21_62:
	s_or_b32 exec_lo, exec_lo, s4
                                        ; implicit-def: $vgpr10
	s_mov_b32 s4, exec_lo
	v_cmpx_neq_f32_e32 0x41200000, v2
	s_xor_b32 s10, exec_lo, s4
	s_cbranch_execz .LBB21_66
; %bb.63:
	v_cvt_f64_f32_e32 v[7:8], v2
	s_mov_b32 s4, 0x85d8a000
	s_mov_b32 s5, 0x43763457
	v_cmp_gt_f64_e32 vcc_lo, s[4:5], v[7:8]
	v_mov_b32_e32 v7, 0
	s_and_saveexec_b32 s4, vcc_lo
	s_cbranch_execz .LBB21_65
; %bb.64:
	v_mul_f32_e32 v7, v2, v2
	v_div_scale_f32 v8, null, v7, v7, 1.0
	v_rcp_f32_e32 v9, v8
	v_fma_f32 v10, -v8, v9, 1.0
	v_fmac_f32_e32 v9, v10, v9
	v_div_scale_f32 v10, vcc_lo, 1.0, v7, 1.0
	v_mul_f32_e32 v11, v10, v9
	v_fma_f32 v15, -v8, v11, v10
	v_fmac_f32_e32 v11, v15, v9
	v_fma_f32 v8, -v8, v11, v10
	v_div_fmas_f32 v8, v8, v9, v11
	v_div_fixup_f32 v7, v8, v7, 1.0
	v_fmaak_f32 v8, 0, v7, 0x3daaaaab
	v_fmaak_f32 v8, v7, v8, 0xbcaccacd
	;; [unrolled: 1-line block ×7, first 2 shown]
	v_mul_f32_e32 v7, v7, v8
.LBB21_65:
	s_or_b32 exec_lo, exec_lo, s4
	v_cmp_gt_f32_e32 vcc_lo, 0x800000, v2
	v_div_scale_f32 v8, null, v2, v2, -0.5
	v_div_scale_f32 v15, s4, -0.5, v2, -0.5
	v_cndmask_b32_e64 v9, 0, 32, vcc_lo
	v_rcp_f32_e32 v10, v8
	v_ldexp_f32 v9, v2, v9
	v_log_f32_e32 v9, v9
	v_fma_f32 v11, -v8, v10, 1.0
	v_fmac_f32_e32 v10, v11, v10
	v_mul_f32_e32 v11, 0x3f317217, v9
	v_mul_f32_e32 v16, v15, v10
	v_cmp_gt_f32_e64 s5, 0x7f800000, |v9|
	v_fma_f32 v11, 0x3f317217, v9, -v11
	v_fma_f32 v17, -v8, v16, v15
	v_fmamk_f32 v11, v9, 0x3377d1cf, v11
	v_fmac_f32_e32 v16, v17, v10
	v_fmac_f32_e32 v11, 0x3f317217, v9
	v_fma_f32 v8, -v8, v16, v15
	v_cndmask_b32_e64 v9, v9, v11, s5
	v_cndmask_b32_e64 v11, 0, 0x41b17218, vcc_lo
	s_mov_b32 vcc_lo, s4
	v_div_fmas_f32 v8, v8, v10, v16
	v_sub_f32_e32 v9, v9, v11
	v_div_fixup_f32 v2, v8, v2, -0.5
	v_add_f32_e32 v2, v9, v2
	v_sub_f32_e32 v2, v2, v7
	v_add_f32_e32 v2, v6, v2
                                        ; implicit-def: $vgpr6
	v_cvt_f16_f32_e32 v10, v2
.LBB21_66:
	s_andn2_saveexec_b32 s4, s10
; %bb.67:
	v_add_f32_e32 v2, 0x40101cb7, v6
	v_cvt_f16_f32_e32 v10, v2
; %bb.68:
	s_or_b32 exec_lo, exec_lo, s4
.LBB21_69:
	s_or_b32 exec_lo, exec_lo, s9
                                        ; implicit-def: $vgpr2
.LBB21_70:
	s_andn2_saveexec_b32 s4, s8
; %bb.71:
	v_xor_b32_e32 v2, 0x80000000, v2
	s_movk_i32 s5, 0x7c00
	v_lshrrev_b32_e32 v2, 16, v2
	v_bfi_b32 v10, 0x7fff, s5, v2
; %bb.72:
	s_or_b32 exec_lo, exec_lo, s4
	v_mov_b32_e32 v2, 0
	v_cvt_f32_f16_sdwa v15, v3 dst_sel:DWORD dst_unused:UNUSED_PAD src0_sel:WORD_1
                                        ; implicit-def: $vgpr11
	v_cmp_neq_f16_sdwa s4, v3, v2 src0_sel:WORD_1 src1_sel:DWORD
	s_and_saveexec_b32 s5, s4
	s_xor_b32 s8, exec_lo, s5
	s_cbranch_execz .LBB21_94
; %bb.73:
	v_cmp_lt_f16_sdwa s5, v3, v2 src0_sel:WORD_1 src1_sel:DWORD
	s_mov_b32 s4, -1
	s_and_saveexec_b32 s9, s5
	s_cbranch_execz .LBB21_81
; %bb.74:
	v_trunc_f32_e32 v2, v15
	s_mov_b32 s5, 0
	v_cmp_neq_f32_e32 vcc_lo, v2, v15
	v_mov_b32_e32 v2, 0
	s_and_saveexec_b32 s10, vcc_lo
	s_cbranch_execz .LBB21_80
; %bb.75:
	v_cvt_f32_f16_sdwa v2, v3 dst_sel:DWORD dst_unused:UNUSED_PAD src0_sel:WORD_1
	s_mov_b32 s5, 0xc00921fb
	s_mov_b32 s4, 0x54442d18
	s_mov_b32 s11, exec_lo
                                        ; implicit-def: $vgpr11
                                        ; implicit-def: $vgpr8_vgpr9
	v_cvt_f64_f32_e32 v[2:3], v2
	v_trunc_f64_e32 v[6:7], v[2:3]
	v_cmp_neq_f64_e64 vcc_lo, 0x7ff00000, |v[2:3]|
	v_add_f64 v[6:7], v[2:3], -v[6:7]
	v_mul_f64 v[6:7], |v[6:7]|, s[4:5]
	v_cndmask_b32_e32 v3, 0x80000000, v7, vcc_lo
	v_cndmask_b32_e32 v2, 0, v6, vcc_lo
                                        ; implicit-def: $vgpr6_vgpr7
	v_cmpx_ngt_f64_e64 0x41d00000, |v[2:3]|
	s_xor_b32 s11, exec_lo, s11
	s_cbranch_execz .LBB21_77
; %bb.76:
	v_ldexp_f64 v[6:7], |v[2:3]|, 0xffffff80
	v_cmp_le_f64_e64 vcc_lo, 0x7b000000, |v[2:3]|
	v_trig_preop_f64 v[8:9], |v[2:3]|, 0
	v_and_b32_e32 v11, 0x7fffffff, v3
	v_trig_preop_f64 v[16:17], |v[2:3]|, 1
	v_trig_preop_f64 v[26:27], |v[2:3]|, 2
	v_mov_b32_e32 v34, 0
	s_mov_b32 s5, 0x3ff921fb
	s_mov_b32 s12, 0x33145c07
	;; [unrolled: 1-line block ×3, first 2 shown]
	v_cndmask_b32_e32 v7, v11, v7, vcc_lo
	v_cndmask_b32_e32 v6, v2, v6, vcc_lo
	v_mul_f64 v[18:19], v[8:9], v[6:7]
	v_mul_f64 v[20:21], v[16:17], v[6:7]
	;; [unrolled: 1-line block ×3, first 2 shown]
	v_fma_f64 v[8:9], v[8:9], v[6:7], -v[18:19]
	v_fma_f64 v[16:17], v[16:17], v[6:7], -v[20:21]
	v_fma_f64 v[6:7], v[26:27], v[6:7], -v[32:33]
	v_add_f64 v[22:23], v[20:21], v[8:9]
	v_add_f64 v[24:25], v[22:23], -v[20:21]
	v_add_f64 v[30:31], v[18:19], v[22:23]
	v_add_f64 v[28:29], v[22:23], -v[24:25]
	v_add_f64 v[8:9], v[8:9], -v[24:25]
	v_ldexp_f64 v[24:25], v[30:31], -2
	v_add_f64 v[18:19], v[30:31], -v[18:19]
	v_add_f64 v[20:21], v[20:21], -v[28:29]
	v_add_f64 v[28:29], v[32:33], v[16:17]
	v_cmp_neq_f64_e64 vcc_lo, 0x7ff00000, |v[24:25]|
	v_add_f64 v[18:19], v[22:23], -v[18:19]
	v_add_f64 v[8:9], v[8:9], v[20:21]
	v_fract_f64_e32 v[20:21], v[24:25]
	v_add_f64 v[22:23], v[28:29], v[8:9]
	v_ldexp_f64 v[20:21], v[20:21], 2
	v_add_f64 v[24:25], v[18:19], v[22:23]
	v_cndmask_b32_e32 v21, 0, v21, vcc_lo
	v_cndmask_b32_e32 v20, 0, v20, vcc_lo
	v_add_f64 v[30:31], v[24:25], v[20:21]
	v_add_f64 v[18:19], v[24:25], -v[18:19]
	v_cmp_gt_f64_e32 vcc_lo, 0, v[30:31]
	v_add_f64 v[30:31], v[28:29], -v[32:33]
	v_add_f64 v[18:19], v[22:23], -v[18:19]
	v_cndmask_b32_e64 v35, 0, 0x40100000, vcc_lo
	v_add_f64 v[48:49], v[28:29], -v[30:31]
	v_add_f64 v[16:17], v[16:17], -v[30:31]
	v_add_f64 v[20:21], v[20:21], v[34:35]
	v_add_f64 v[35:36], v[22:23], -v[28:29]
	v_add_f64 v[30:31], v[32:33], -v[48:49]
	v_add_f64 v[37:38], v[24:25], v[20:21]
	;; [unrolled: 3-line block ×3, first 2 shown]
	v_cvt_i32_f64_e32 v11, v[37:38]
	v_add_f64 v[28:29], v[28:29], -v[50:51]
	v_cvt_f64_i32_e32 v[35:36], v11
	v_add_f64 v[8:9], v[8:9], v[28:29]
	v_add_f64 v[20:21], v[20:21], -v[35:36]
	v_add_f64 v[8:9], v[16:17], v[8:9]
	v_add_f64 v[16:17], v[24:25], v[20:21]
	;; [unrolled: 1-line block ×3, first 2 shown]
	v_add_f64 v[8:9], v[16:17], -v[20:21]
	v_cmp_le_f64_e32 vcc_lo, 0.5, v[16:17]
	v_add_f64 v[6:7], v[18:19], v[6:7]
	v_add_f64 v[8:9], v[24:25], -v[8:9]
	v_cndmask_b32_e64 v35, 0, 0x3ff00000, vcc_lo
	v_add_co_ci_u32_e64 v11, null, 0, v11, vcc_lo
	v_add_f64 v[6:7], v[6:7], v[8:9]
	v_add_f64 v[8:9], v[16:17], -v[34:35]
	v_add_f64 v[16:17], v[8:9], v[6:7]
	v_mul_f64 v[18:19], v[16:17], s[4:5]
	v_add_f64 v[8:9], v[16:17], -v[8:9]
	v_fma_f64 v[20:21], v[16:17], s[4:5], -v[18:19]
	v_add_f64 v[6:7], v[6:7], -v[8:9]
	v_fma_f64 v[8:9], v[16:17], s[12:13], v[20:21]
	v_fma_f64 v[8:9], v[6:7], s[4:5], v[8:9]
	v_add_f64 v[6:7], v[18:19], v[8:9]
	v_add_f64 v[16:17], v[6:7], -v[18:19]
	v_add_f64 v[8:9], v[8:9], -v[16:17]
.LBB21_77:
	s_andn2_saveexec_b32 s4, s11
	s_cbranch_execz .LBB21_79
; %bb.78:
	s_mov_b32 s12, 0x6dc9c883
	s_mov_b32 s13, 0x3fe45f30
	;; [unrolled: 1-line block ×3, first 2 shown]
	v_mul_f64 v[6:7], |v[2:3]|, s[12:13]
	s_mov_b32 s12, 0x54442d18
	s_mov_b32 s13, 0xbff921fb
	;; [unrolled: 1-line block ×3, first 2 shown]
	v_rndne_f64_e32 v[16:17], v[6:7]
	v_fma_f64 v[6:7], v[16:17], s[12:13], |v[2:3]|
	v_mul_f64 v[8:9], v[16:17], s[14:15]
	s_mov_b32 s12, 0x252049c0
	s_mov_b32 s13, 0xb97b839a
	v_cvt_i32_f64_e32 v11, v[16:17]
	v_fma_f64 v[20:21], v[16:17], s[14:15], v[6:7]
	v_add_f64 v[18:19], v[6:7], v[8:9]
	s_mov_b32 s15, 0x3c91a626
	v_add_f64 v[6:7], v[6:7], -v[18:19]
	v_add_f64 v[18:19], v[18:19], -v[20:21]
	v_add_f64 v[6:7], v[6:7], v[8:9]
	v_fma_f64 v[8:9], v[16:17], s[14:15], v[8:9]
	v_add_f64 v[6:7], v[18:19], v[6:7]
	v_add_f64 v[6:7], v[6:7], -v[8:9]
	v_fma_f64 v[8:9], v[16:17], s[12:13], v[6:7]
	v_add_f64 v[6:7], v[20:21], v[8:9]
	v_add_f64 v[18:19], v[6:7], -v[20:21]
	v_add_f64 v[8:9], v[8:9], -v[18:19]
.LBB21_79:
	s_or_b32 exec_lo, exec_lo, s4
	v_mul_f64 v[16:17], v[6:7], v[6:7]
	v_add_f64 v[18:19], v[8:9], v[8:9]
	s_mov_b32 s12, 0xa9a29f71
	s_mov_b32 s14, 0xc751c08c
	s_mov_b32 s13, 0xbf078809
	s_mov_b32 s15, 0x3ef5e089
	v_cmp_class_f64_e64 s4, v[2:3], 0x1f8
	v_and_b32_e32 v11, 1, v11
	v_and_b32_e32 v3, 0x80000000, v3
	v_sub_f32_e32 v15, 1.0, v15
	s_mov_b32 s5, exec_lo
	v_cmp_eq_u32_e32 vcc_lo, 0, v11
	v_fma_f64 v[20:21], v[6:7], v[6:7], -v[16:17]
	v_fma_f64 v[18:19], v[6:7], v[18:19], v[20:21]
	v_add_f64 v[16:17], v[16:17], v[18:19]
	v_fma_f64 v[18:19], v[16:17], s[14:15], s[12:13]
	s_mov_b32 s12, 0x90a8aae0
	s_mov_b32 s13, 0x3f17746f
	v_fma_f64 v[18:19], v[16:17], v[18:19], s[12:13]
	s_mov_b32 s12, 0xa6fbf144
	s_mov_b32 s13, 0xbefbb44d
	;; [unrolled: 3-line block ×13, first 2 shown]
	v_mul_f64 v[16:17], v[16:17], v[18:19]
	v_mul_f64 v[18:19], v[6:7], v[16:17]
	v_add_f64 v[20:21], v[6:7], v[18:19]
	v_fma_f64 v[16:17], v[6:7], v[16:17], -v[18:19]
	v_add_f64 v[6:7], v[20:21], -v[6:7]
	v_add_f64 v[8:9], v[8:9], v[16:17]
	v_add_f64 v[6:7], v[18:19], -v[6:7]
	v_add_f64 v[6:7], v[8:9], v[6:7]
	v_add_f64 v[8:9], v[20:21], v[6:7]
	v_rcp_f64_e32 v[16:17], v[8:9]
	v_fma_f64 v[18:19], -v[8:9], v[16:17], 1.0
	v_fma_f64 v[16:17], v[18:19], v[16:17], v[16:17]
	v_fma_f64 v[18:19], -v[8:9], v[16:17], 1.0
	v_fma_f64 v[16:17], v[18:19], v[16:17], v[16:17]
	v_add_f64 v[18:19], v[8:9], -v[20:21]
	v_mul_f64 v[20:21], v[8:9], v[16:17]
	v_add_f64 v[6:7], v[6:7], -v[18:19]
	v_fma_f64 v[18:19], v[16:17], v[8:9], -v[20:21]
	v_fma_f64 v[6:7], v[16:17], v[6:7], v[18:19]
	v_add_f64 v[18:19], v[20:21], v[6:7]
	v_add_f64 v[22:23], -v[18:19], 1.0
	v_add_f64 v[20:21], v[18:19], -v[20:21]
	v_add_f64 v[24:25], -v[22:23], 1.0
	v_add_f64 v[6:7], v[20:21], -v[6:7]
	v_add_f64 v[18:19], v[24:25], -v[18:19]
	v_add_f64 v[6:7], v[6:7], v[18:19]
	v_add_f64 v[6:7], v[22:23], v[6:7]
	v_mul_f64 v[6:7], v[16:17], v[6:7]
	v_add_f64 v[6:7], v[16:17], v[6:7]
	v_xor_b32_e32 v2, 0x80000000, v7
	v_cndmask_b32_e32 v6, v6, v8, vcc_lo
	v_cndmask_b32_e32 v2, v2, v9, vcc_lo
	v_xor_b32_e32 v3, v2, v3
	v_cndmask_b32_e64 v2, 0, v6, s4
	v_cndmask_b32_e64 v3, 0x7ff80000, v3, s4
	v_div_scale_f64 v[6:7], null, v[2:3], v[2:3], s[12:13]
	v_rcp_f64_e32 v[8:9], v[6:7]
	v_fma_f64 v[16:17], -v[6:7], v[8:9], 1.0
	v_fma_f64 v[8:9], v[8:9], v[16:17], v[8:9]
	v_fma_f64 v[16:17], -v[6:7], v[8:9], 1.0
	v_fma_f64 v[8:9], v[8:9], v[16:17], v[8:9]
	v_div_scale_f64 v[16:17], vcc_lo, s[12:13], v[2:3], s[12:13]
	v_mul_f64 v[18:19], v[16:17], v[8:9]
	v_fma_f64 v[6:7], -v[6:7], v[18:19], v[16:17]
	v_div_fmas_f64 v[6:7], v[6:7], v[8:9], v[18:19]
	v_div_fixup_f64 v[2:3], v[6:7], v[2:3], s[12:13]
	v_cvt_f32_f64_e32 v2, v[2:3]
.LBB21_80:
	s_or_b32 exec_lo, exec_lo, s10
	s_orn2_b32 s4, s5, exec_lo
.LBB21_81:
	s_or_b32 exec_lo, exec_lo, s9
	v_mov_b32_e32 v11, 0x7e00
	s_and_saveexec_b32 s9, s4
	s_cbranch_execz .LBB21_93
; %bb.82:
	s_mov_b32 s4, exec_lo
	v_cmpx_gt_f32_e32 0x41200000, v15
	s_cbranch_execz .LBB21_86
; %bb.83:
	s_mov_b32 s5, 0
	.p2align	6
.LBB21_84:                              ; =>This Inner Loop Header: Depth=1
	v_div_scale_f32 v3, null, v15, v15, 1.0
	v_div_scale_f32 v8, vcc_lo, 1.0, v15, 1.0
	v_rcp_f32_e32 v6, v3
	v_fma_f32 v7, -v3, v6, 1.0
	v_fmac_f32_e32 v6, v7, v6
	v_mul_f32_e32 v7, v8, v6
	v_fma_f32 v9, -v3, v7, v8
	v_fmac_f32_e32 v7, v9, v6
	v_fma_f32 v3, -v3, v7, v8
	v_div_fmas_f32 v3, v3, v6, v7
	v_div_fixup_f32 v3, v3, v15, 1.0
	v_add_f32_e32 v15, 1.0, v15
	v_sub_f32_e32 v2, v2, v3
	v_cmp_ngt_f32_e32 vcc_lo, 0x41200000, v15
	s_or_b32 s5, vcc_lo, s5
	s_andn2_b32 exec_lo, exec_lo, s5
	s_cbranch_execnz .LBB21_84
; %bb.85:
	s_or_b32 exec_lo, exec_lo, s5
.LBB21_86:
	s_or_b32 exec_lo, exec_lo, s4
                                        ; implicit-def: $vgpr11
	s_mov_b32 s4, exec_lo
	v_cmpx_neq_f32_e32 0x41200000, v15
	s_xor_b32 s10, exec_lo, s4
	s_cbranch_execz .LBB21_90
; %bb.87:
	v_cvt_f64_f32_e32 v[6:7], v15
	s_mov_b32 s4, 0x85d8a000
	s_mov_b32 s5, 0x43763457
	v_mov_b32_e32 v3, 0
	v_cmp_gt_f64_e32 vcc_lo, s[4:5], v[6:7]
	s_and_saveexec_b32 s4, vcc_lo
	s_cbranch_execz .LBB21_89
; %bb.88:
	v_mul_f32_e32 v3, v15, v15
	v_div_scale_f32 v6, null, v3, v3, 1.0
	v_rcp_f32_e32 v7, v6
	v_fma_f32 v8, -v6, v7, 1.0
	v_fmac_f32_e32 v7, v8, v7
	v_div_scale_f32 v8, vcc_lo, 1.0, v3, 1.0
	v_mul_f32_e32 v9, v8, v7
	v_fma_f32 v11, -v6, v9, v8
	v_fmac_f32_e32 v9, v11, v7
	v_fma_f32 v6, -v6, v9, v8
	v_div_fmas_f32 v6, v6, v7, v9
	v_div_fixup_f32 v3, v6, v3, 1.0
	v_fmaak_f32 v6, 0, v3, 0x3daaaaab
	v_fmaak_f32 v6, v3, v6, 0xbcaccacd
	;; [unrolled: 1-line block ×7, first 2 shown]
	v_mul_f32_e32 v3, v3, v6
.LBB21_89:
	s_or_b32 exec_lo, exec_lo, s4
	v_cmp_gt_f32_e32 vcc_lo, 0x800000, v15
	v_div_scale_f32 v6, null, v15, v15, -0.5
	v_div_scale_f32 v11, s4, -0.5, v15, -0.5
	v_cndmask_b32_e64 v7, 0, 32, vcc_lo
	v_rcp_f32_e32 v8, v6
	v_ldexp_f32 v7, v15, v7
	v_log_f32_e32 v7, v7
	v_fma_f32 v9, -v6, v8, 1.0
	v_fmac_f32_e32 v8, v9, v8
	v_mul_f32_e32 v9, 0x3f317217, v7
	v_mul_f32_e32 v16, v11, v8
	v_cmp_gt_f32_e64 s5, 0x7f800000, |v7|
	v_fma_f32 v9, 0x3f317217, v7, -v9
	v_fma_f32 v17, -v6, v16, v11
	v_fmamk_f32 v9, v7, 0x3377d1cf, v9
	v_fmac_f32_e32 v16, v17, v8
	v_fmac_f32_e32 v9, 0x3f317217, v7
	v_fma_f32 v6, -v6, v16, v11
	v_cndmask_b32_e64 v7, v7, v9, s5
	v_cndmask_b32_e64 v9, 0, 0x41b17218, vcc_lo
	s_mov_b32 vcc_lo, s4
	v_div_fmas_f32 v6, v6, v8, v16
	v_sub_f32_e32 v7, v7, v9
	v_div_fixup_f32 v6, v6, v15, -0.5
	v_add_f32_e32 v6, v7, v6
	v_sub_f32_e32 v3, v6, v3
	v_add_f32_e32 v2, v2, v3
	v_cvt_f16_f32_e32 v11, v2
                                        ; implicit-def: $vgpr2
.LBB21_90:
	s_andn2_saveexec_b32 s4, s10
; %bb.91:
	v_add_f32_e32 v2, 0x40101cb7, v2
	v_cvt_f16_f32_e32 v11, v2
; %bb.92:
	s_or_b32 exec_lo, exec_lo, s4
.LBB21_93:
	s_or_b32 exec_lo, exec_lo, s9
                                        ; implicit-def: $vgpr15
.LBB21_94:
	s_andn2_saveexec_b32 s4, s8
; %bb.95:
	v_xor_b32_e32 v2, 0x80000000, v15
	s_movk_i32 s5, 0x7c00
	v_lshrrev_b32_e32 v2, 16, v2
	v_bfi_b32 v11, 0x7fff, s5, v2
; %bb.96:
	s_or_b32 exec_lo, exec_lo, s4
	v_cvt_f32_f16_e32 v16, v4
                                        ; implicit-def: $vgpr15
	s_mov_b32 s4, exec_lo
	v_cmpx_neq_f16_e32 0, v4
	s_xor_b32 s8, exec_lo, s4
	s_cbranch_execz .LBB21_118
; %bb.97:
	v_mov_b32_e32 v2, 0
	s_mov_b32 s4, -1
	s_mov_b32 s9, exec_lo
	v_cmpx_gt_f16_e32 0, v4
	s_cbranch_execz .LBB21_105
; %bb.98:
	v_trunc_f32_e32 v2, v16
	s_mov_b32 s5, 0
	v_cmp_neq_f32_e32 vcc_lo, v2, v16
	v_mov_b32_e32 v2, 0
	s_and_saveexec_b32 s10, vcc_lo
	s_cbranch_execz .LBB21_104
; %bb.99:
	v_cvt_f32_f16_e32 v2, v4
	s_mov_b32 s5, 0xc00921fb
	s_mov_b32 s4, 0x54442d18
	s_mov_b32 s11, exec_lo
                                        ; implicit-def: $vgpr15
                                        ; implicit-def: $vgpr8_vgpr9
	v_cvt_f64_f32_e32 v[2:3], v2
	v_trunc_f64_e32 v[6:7], v[2:3]
	v_cmp_neq_f64_e64 vcc_lo, 0x7ff00000, |v[2:3]|
	v_add_f64 v[6:7], v[2:3], -v[6:7]
	v_mul_f64 v[6:7], |v[6:7]|, s[4:5]
	v_cndmask_b32_e32 v3, 0x80000000, v7, vcc_lo
	v_cndmask_b32_e32 v2, 0, v6, vcc_lo
                                        ; implicit-def: $vgpr6_vgpr7
	v_cmpx_ngt_f64_e64 0x41d00000, |v[2:3]|
	s_xor_b32 s11, exec_lo, s11
	s_cbranch_execz .LBB21_101
; %bb.100:
	v_ldexp_f64 v[6:7], |v[2:3]|, 0xffffff80
	v_cmp_le_f64_e64 vcc_lo, 0x7b000000, |v[2:3]|
	v_trig_preop_f64 v[8:9], |v[2:3]|, 0
	v_and_b32_e32 v15, 0x7fffffff, v3
	v_trig_preop_f64 v[17:18], |v[2:3]|, 1
	v_trig_preop_f64 v[27:28], |v[2:3]|, 2
	v_mov_b32_e32 v35, 0
	s_mov_b32 s5, 0x3ff921fb
	s_mov_b32 s12, 0x33145c07
	;; [unrolled: 1-line block ×3, first 2 shown]
	v_cndmask_b32_e32 v7, v15, v7, vcc_lo
	v_cndmask_b32_e32 v6, v2, v6, vcc_lo
	v_mul_f64 v[19:20], v[8:9], v[6:7]
	v_mul_f64 v[21:22], v[17:18], v[6:7]
	;; [unrolled: 1-line block ×3, first 2 shown]
	v_fma_f64 v[8:9], v[8:9], v[6:7], -v[19:20]
	v_fma_f64 v[17:18], v[17:18], v[6:7], -v[21:22]
	v_fma_f64 v[6:7], v[27:28], v[6:7], -v[33:34]
	v_add_f64 v[23:24], v[21:22], v[8:9]
	v_add_f64 v[25:26], v[23:24], -v[21:22]
	v_add_f64 v[31:32], v[19:20], v[23:24]
	v_add_f64 v[29:30], v[23:24], -v[25:26]
	v_add_f64 v[8:9], v[8:9], -v[25:26]
	v_ldexp_f64 v[25:26], v[31:32], -2
	v_add_f64 v[19:20], v[31:32], -v[19:20]
	v_add_f64 v[21:22], v[21:22], -v[29:30]
	v_add_f64 v[29:30], v[33:34], v[17:18]
	v_cmp_neq_f64_e64 vcc_lo, 0x7ff00000, |v[25:26]|
	v_add_f64 v[19:20], v[23:24], -v[19:20]
	v_add_f64 v[8:9], v[8:9], v[21:22]
	v_fract_f64_e32 v[21:22], v[25:26]
	v_add_f64 v[23:24], v[29:30], v[8:9]
	v_ldexp_f64 v[21:22], v[21:22], 2
	v_add_f64 v[25:26], v[19:20], v[23:24]
	v_cndmask_b32_e32 v22, 0, v22, vcc_lo
	v_cndmask_b32_e32 v21, 0, v21, vcc_lo
	v_add_f64 v[31:32], v[25:26], v[21:22]
	v_add_f64 v[19:20], v[25:26], -v[19:20]
	v_cmp_gt_f64_e32 vcc_lo, 0, v[31:32]
	v_add_f64 v[31:32], v[29:30], -v[33:34]
	v_add_f64 v[19:20], v[23:24], -v[19:20]
	v_cndmask_b32_e64 v36, 0, 0x40100000, vcc_lo
	v_add_f64 v[48:49], v[29:30], -v[31:32]
	v_add_f64 v[17:18], v[17:18], -v[31:32]
	v_add_f64 v[21:22], v[21:22], v[35:36]
	v_add_f64 v[36:37], v[23:24], -v[29:30]
	v_add_f64 v[31:32], v[33:34], -v[48:49]
	v_add_f64 v[38:39], v[25:26], v[21:22]
	;; [unrolled: 3-line block ×3, first 2 shown]
	v_cvt_i32_f64_e32 v15, v[38:39]
	v_add_f64 v[29:30], v[29:30], -v[50:51]
	v_cvt_f64_i32_e32 v[36:37], v15
	v_add_f64 v[8:9], v[8:9], v[29:30]
	v_add_f64 v[21:22], v[21:22], -v[36:37]
	v_add_f64 v[8:9], v[17:18], v[8:9]
	v_add_f64 v[17:18], v[25:26], v[21:22]
	;; [unrolled: 1-line block ×3, first 2 shown]
	v_add_f64 v[8:9], v[17:18], -v[21:22]
	v_cmp_le_f64_e32 vcc_lo, 0.5, v[17:18]
	v_add_f64 v[6:7], v[19:20], v[6:7]
	v_add_f64 v[8:9], v[25:26], -v[8:9]
	v_cndmask_b32_e64 v36, 0, 0x3ff00000, vcc_lo
	v_add_co_ci_u32_e64 v15, null, 0, v15, vcc_lo
	v_add_f64 v[6:7], v[6:7], v[8:9]
	v_add_f64 v[8:9], v[17:18], -v[35:36]
	v_add_f64 v[17:18], v[8:9], v[6:7]
	v_mul_f64 v[19:20], v[17:18], s[4:5]
	v_add_f64 v[8:9], v[17:18], -v[8:9]
	v_fma_f64 v[21:22], v[17:18], s[4:5], -v[19:20]
	v_add_f64 v[6:7], v[6:7], -v[8:9]
	v_fma_f64 v[8:9], v[17:18], s[12:13], v[21:22]
	v_fma_f64 v[8:9], v[6:7], s[4:5], v[8:9]
	v_add_f64 v[6:7], v[19:20], v[8:9]
	v_add_f64 v[17:18], v[6:7], -v[19:20]
	v_add_f64 v[8:9], v[8:9], -v[17:18]
.LBB21_101:
	s_andn2_saveexec_b32 s4, s11
	s_cbranch_execz .LBB21_103
; %bb.102:
	s_mov_b32 s12, 0x6dc9c883
	s_mov_b32 s13, 0x3fe45f30
	s_mov_b32 s15, 0xbc91a626
	v_mul_f64 v[6:7], |v[2:3]|, s[12:13]
	s_mov_b32 s12, 0x54442d18
	s_mov_b32 s13, 0xbff921fb
	;; [unrolled: 1-line block ×3, first 2 shown]
	v_rndne_f64_e32 v[17:18], v[6:7]
	v_fma_f64 v[6:7], v[17:18], s[12:13], |v[2:3]|
	v_mul_f64 v[8:9], v[17:18], s[14:15]
	s_mov_b32 s12, 0x252049c0
	s_mov_b32 s13, 0xb97b839a
	v_cvt_i32_f64_e32 v15, v[17:18]
	v_fma_f64 v[21:22], v[17:18], s[14:15], v[6:7]
	v_add_f64 v[19:20], v[6:7], v[8:9]
	s_mov_b32 s15, 0x3c91a626
	v_add_f64 v[6:7], v[6:7], -v[19:20]
	v_add_f64 v[19:20], v[19:20], -v[21:22]
	v_add_f64 v[6:7], v[6:7], v[8:9]
	v_fma_f64 v[8:9], v[17:18], s[14:15], v[8:9]
	v_add_f64 v[6:7], v[19:20], v[6:7]
	v_add_f64 v[6:7], v[6:7], -v[8:9]
	v_fma_f64 v[8:9], v[17:18], s[12:13], v[6:7]
	v_add_f64 v[6:7], v[21:22], v[8:9]
	v_add_f64 v[19:20], v[6:7], -v[21:22]
	v_add_f64 v[8:9], v[8:9], -v[19:20]
.LBB21_103:
	s_or_b32 exec_lo, exec_lo, s4
	v_mul_f64 v[17:18], v[6:7], v[6:7]
	v_add_f64 v[19:20], v[8:9], v[8:9]
	s_mov_b32 s12, 0xa9a29f71
	s_mov_b32 s14, 0xc751c08c
	s_mov_b32 s13, 0xbf078809
	s_mov_b32 s15, 0x3ef5e089
	v_cmp_class_f64_e64 s4, v[2:3], 0x1f8
	v_and_b32_e32 v15, 1, v15
	v_and_b32_e32 v3, 0x80000000, v3
	v_sub_f32_e32 v16, 1.0, v16
	s_mov_b32 s5, exec_lo
	v_cmp_eq_u32_e32 vcc_lo, 0, v15
	v_fma_f64 v[21:22], v[6:7], v[6:7], -v[17:18]
	v_fma_f64 v[19:20], v[6:7], v[19:20], v[21:22]
	v_add_f64 v[17:18], v[17:18], v[19:20]
	v_fma_f64 v[19:20], v[17:18], s[14:15], s[12:13]
	s_mov_b32 s12, 0x90a8aae0
	s_mov_b32 s13, 0x3f17746f
	v_fma_f64 v[19:20], v[17:18], v[19:20], s[12:13]
	s_mov_b32 s12, 0xa6fbf144
	s_mov_b32 s13, 0xbefbb44d
	;; [unrolled: 3-line block ×13, first 2 shown]
	v_mul_f64 v[17:18], v[17:18], v[19:20]
	v_mul_f64 v[19:20], v[6:7], v[17:18]
	v_add_f64 v[21:22], v[6:7], v[19:20]
	v_fma_f64 v[17:18], v[6:7], v[17:18], -v[19:20]
	v_add_f64 v[6:7], v[21:22], -v[6:7]
	v_add_f64 v[8:9], v[8:9], v[17:18]
	v_add_f64 v[6:7], v[19:20], -v[6:7]
	v_add_f64 v[6:7], v[8:9], v[6:7]
	v_add_f64 v[8:9], v[21:22], v[6:7]
	v_rcp_f64_e32 v[17:18], v[8:9]
	v_fma_f64 v[19:20], -v[8:9], v[17:18], 1.0
	v_fma_f64 v[17:18], v[19:20], v[17:18], v[17:18]
	v_fma_f64 v[19:20], -v[8:9], v[17:18], 1.0
	v_fma_f64 v[17:18], v[19:20], v[17:18], v[17:18]
	v_add_f64 v[19:20], v[8:9], -v[21:22]
	v_mul_f64 v[21:22], v[8:9], v[17:18]
	v_add_f64 v[6:7], v[6:7], -v[19:20]
	v_fma_f64 v[19:20], v[17:18], v[8:9], -v[21:22]
	v_fma_f64 v[6:7], v[17:18], v[6:7], v[19:20]
	v_add_f64 v[19:20], v[21:22], v[6:7]
	v_add_f64 v[23:24], -v[19:20], 1.0
	v_add_f64 v[21:22], v[19:20], -v[21:22]
	v_add_f64 v[25:26], -v[23:24], 1.0
	v_add_f64 v[6:7], v[21:22], -v[6:7]
	v_add_f64 v[19:20], v[25:26], -v[19:20]
	v_add_f64 v[6:7], v[6:7], v[19:20]
	v_add_f64 v[6:7], v[23:24], v[6:7]
	v_mul_f64 v[6:7], v[17:18], v[6:7]
	v_add_f64 v[6:7], v[17:18], v[6:7]
	v_xor_b32_e32 v2, 0x80000000, v7
	v_cndmask_b32_e32 v6, v6, v8, vcc_lo
	v_cndmask_b32_e32 v2, v2, v9, vcc_lo
	v_xor_b32_e32 v3, v2, v3
	v_cndmask_b32_e64 v2, 0, v6, s4
	v_cndmask_b32_e64 v3, 0x7ff80000, v3, s4
	v_div_scale_f64 v[6:7], null, v[2:3], v[2:3], s[12:13]
	v_rcp_f64_e32 v[8:9], v[6:7]
	v_fma_f64 v[17:18], -v[6:7], v[8:9], 1.0
	v_fma_f64 v[8:9], v[8:9], v[17:18], v[8:9]
	v_fma_f64 v[17:18], -v[6:7], v[8:9], 1.0
	v_fma_f64 v[8:9], v[8:9], v[17:18], v[8:9]
	v_div_scale_f64 v[17:18], vcc_lo, s[12:13], v[2:3], s[12:13]
	v_mul_f64 v[19:20], v[17:18], v[8:9]
	v_fma_f64 v[6:7], -v[6:7], v[19:20], v[17:18]
	v_div_fmas_f64 v[6:7], v[6:7], v[8:9], v[19:20]
	v_div_fixup_f64 v[2:3], v[6:7], v[2:3], s[12:13]
	v_cvt_f32_f64_e32 v2, v[2:3]
.LBB21_104:
	s_or_b32 exec_lo, exec_lo, s10
	s_orn2_b32 s4, s5, exec_lo
.LBB21_105:
	s_or_b32 exec_lo, exec_lo, s9
	v_mov_b32_e32 v15, 0x7e00
	s_and_saveexec_b32 s9, s4
	s_cbranch_execz .LBB21_117
; %bb.106:
	s_mov_b32 s4, exec_lo
	v_cmpx_gt_f32_e32 0x41200000, v16
	s_cbranch_execz .LBB21_110
; %bb.107:
	s_mov_b32 s5, 0
	.p2align	6
.LBB21_108:                             ; =>This Inner Loop Header: Depth=1
	v_div_scale_f32 v3, null, v16, v16, 1.0
	v_div_scale_f32 v8, vcc_lo, 1.0, v16, 1.0
	v_rcp_f32_e32 v6, v3
	v_fma_f32 v7, -v3, v6, 1.0
	v_fmac_f32_e32 v6, v7, v6
	v_mul_f32_e32 v7, v8, v6
	v_fma_f32 v9, -v3, v7, v8
	v_fmac_f32_e32 v7, v9, v6
	v_fma_f32 v3, -v3, v7, v8
	v_div_fmas_f32 v3, v3, v6, v7
	v_div_fixup_f32 v3, v3, v16, 1.0
	v_add_f32_e32 v16, 1.0, v16
	v_sub_f32_e32 v2, v2, v3
	v_cmp_ngt_f32_e32 vcc_lo, 0x41200000, v16
	s_or_b32 s5, vcc_lo, s5
	s_andn2_b32 exec_lo, exec_lo, s5
	s_cbranch_execnz .LBB21_108
; %bb.109:
	s_or_b32 exec_lo, exec_lo, s5
.LBB21_110:
	s_or_b32 exec_lo, exec_lo, s4
                                        ; implicit-def: $vgpr15
	s_mov_b32 s4, exec_lo
	v_cmpx_neq_f32_e32 0x41200000, v16
	s_xor_b32 s10, exec_lo, s4
	s_cbranch_execz .LBB21_114
; %bb.111:
	v_cvt_f64_f32_e32 v[6:7], v16
	s_mov_b32 s4, 0x85d8a000
	s_mov_b32 s5, 0x43763457
	v_mov_b32_e32 v3, 0
	v_cmp_gt_f64_e32 vcc_lo, s[4:5], v[6:7]
	s_and_saveexec_b32 s4, vcc_lo
	s_cbranch_execz .LBB21_113
; %bb.112:
	v_mul_f32_e32 v3, v16, v16
	v_div_scale_f32 v6, null, v3, v3, 1.0
	v_rcp_f32_e32 v7, v6
	v_fma_f32 v8, -v6, v7, 1.0
	v_fmac_f32_e32 v7, v8, v7
	v_div_scale_f32 v8, vcc_lo, 1.0, v3, 1.0
	v_mul_f32_e32 v9, v8, v7
	v_fma_f32 v15, -v6, v9, v8
	v_fmac_f32_e32 v9, v15, v7
	v_fma_f32 v6, -v6, v9, v8
	v_div_fmas_f32 v6, v6, v7, v9
	v_div_fixup_f32 v3, v6, v3, 1.0
	v_fmaak_f32 v6, 0, v3, 0x3daaaaab
	v_fmaak_f32 v6, v3, v6, 0xbcaccacd
	;; [unrolled: 1-line block ×7, first 2 shown]
	v_mul_f32_e32 v3, v3, v6
.LBB21_113:
	s_or_b32 exec_lo, exec_lo, s4
	v_cmp_gt_f32_e32 vcc_lo, 0x800000, v16
	v_div_scale_f32 v6, null, v16, v16, -0.5
	v_div_scale_f32 v15, s4, -0.5, v16, -0.5
	v_cndmask_b32_e64 v7, 0, 32, vcc_lo
	v_rcp_f32_e32 v8, v6
	v_ldexp_f32 v7, v16, v7
	v_log_f32_e32 v7, v7
	v_fma_f32 v9, -v6, v8, 1.0
	v_fmac_f32_e32 v8, v9, v8
	v_mul_f32_e32 v9, 0x3f317217, v7
	v_mul_f32_e32 v17, v15, v8
	v_cmp_gt_f32_e64 s5, 0x7f800000, |v7|
	v_fma_f32 v9, 0x3f317217, v7, -v9
	v_fma_f32 v18, -v6, v17, v15
	v_fmamk_f32 v9, v7, 0x3377d1cf, v9
	v_fmac_f32_e32 v17, v18, v8
	v_fmac_f32_e32 v9, 0x3f317217, v7
	v_fma_f32 v6, -v6, v17, v15
	v_cndmask_b32_e64 v7, v7, v9, s5
	v_cndmask_b32_e64 v9, 0, 0x41b17218, vcc_lo
	s_mov_b32 vcc_lo, s4
	v_div_fmas_f32 v6, v6, v8, v17
	v_sub_f32_e32 v7, v7, v9
	v_div_fixup_f32 v6, v6, v16, -0.5
	v_add_f32_e32 v6, v7, v6
	v_sub_f32_e32 v3, v6, v3
	v_add_f32_e32 v2, v2, v3
	v_cvt_f16_f32_e32 v15, v2
                                        ; implicit-def: $vgpr2
.LBB21_114:
	s_andn2_saveexec_b32 s4, s10
; %bb.115:
	v_add_f32_e32 v2, 0x40101cb7, v2
	v_cvt_f16_f32_e32 v15, v2
; %bb.116:
	s_or_b32 exec_lo, exec_lo, s4
.LBB21_117:
	s_or_b32 exec_lo, exec_lo, s9
                                        ; implicit-def: $vgpr16
.LBB21_118:
	s_andn2_saveexec_b32 s4, s8
; %bb.119:
	v_xor_b32_e32 v2, 0x80000000, v16
	s_movk_i32 s5, 0x7c00
	v_lshrrev_b32_e32 v2, 16, v2
	v_bfi_b32 v15, 0x7fff, s5, v2
; %bb.120:
	s_or_b32 exec_lo, exec_lo, s4
	v_mov_b32_e32 v2, 0
	v_cvt_f32_f16_sdwa v17, v4 dst_sel:DWORD dst_unused:UNUSED_PAD src0_sel:WORD_1
                                        ; implicit-def: $vgpr16
	v_cmp_neq_f16_sdwa s4, v4, v2 src0_sel:WORD_1 src1_sel:DWORD
	s_and_saveexec_b32 s5, s4
	s_xor_b32 s8, exec_lo, s5
	s_cbranch_execz .LBB21_142
; %bb.121:
	v_cmp_lt_f16_sdwa s5, v4, v2 src0_sel:WORD_1 src1_sel:DWORD
	s_mov_b32 s4, -1
	s_and_saveexec_b32 s9, s5
	s_cbranch_execz .LBB21_129
; %bb.122:
	v_trunc_f32_e32 v2, v17
	s_mov_b32 s5, 0
	v_cmp_neq_f32_e32 vcc_lo, v2, v17
	v_mov_b32_e32 v2, 0
	s_and_saveexec_b32 s10, vcc_lo
	s_cbranch_execz .LBB21_128
; %bb.123:
	v_cvt_f32_f16_sdwa v2, v4 dst_sel:DWORD dst_unused:UNUSED_PAD src0_sel:WORD_1
	s_mov_b32 s5, 0xc00921fb
	s_mov_b32 s4, 0x54442d18
	s_mov_b32 s11, exec_lo
                                        ; implicit-def: $vgpr4
                                        ; implicit-def: $vgpr8_vgpr9
	v_cvt_f64_f32_e32 v[2:3], v2
	v_trunc_f64_e32 v[6:7], v[2:3]
	v_cmp_neq_f64_e64 vcc_lo, 0x7ff00000, |v[2:3]|
	v_add_f64 v[6:7], v[2:3], -v[6:7]
	v_mul_f64 v[6:7], |v[6:7]|, s[4:5]
	v_cndmask_b32_e32 v3, 0x80000000, v7, vcc_lo
	v_cndmask_b32_e32 v2, 0, v6, vcc_lo
                                        ; implicit-def: $vgpr6_vgpr7
	v_cmpx_ngt_f64_e64 0x41d00000, |v[2:3]|
	s_xor_b32 s11, exec_lo, s11
	s_cbranch_execz .LBB21_125
; %bb.124:
	v_ldexp_f64 v[6:7], |v[2:3]|, 0xffffff80
	v_cmp_le_f64_e64 vcc_lo, 0x7b000000, |v[2:3]|
	v_trig_preop_f64 v[8:9], |v[2:3]|, 0
	v_and_b32_e32 v4, 0x7fffffff, v3
	v_trig_preop_f64 v[18:19], |v[2:3]|, 1
	v_trig_preop_f64 v[28:29], |v[2:3]|, 2
	v_mov_b32_e32 v36, 0
	s_mov_b32 s5, 0x3ff921fb
	s_mov_b32 s12, 0x33145c07
	s_mov_b32 s13, 0x3c91a626
	v_cndmask_b32_e32 v7, v4, v7, vcc_lo
	v_cndmask_b32_e32 v6, v2, v6, vcc_lo
	v_mul_f64 v[20:21], v[8:9], v[6:7]
	v_mul_f64 v[22:23], v[18:19], v[6:7]
	;; [unrolled: 1-line block ×3, first 2 shown]
	v_fma_f64 v[8:9], v[8:9], v[6:7], -v[20:21]
	v_fma_f64 v[18:19], v[18:19], v[6:7], -v[22:23]
	v_fma_f64 v[6:7], v[28:29], v[6:7], -v[34:35]
	v_add_f64 v[24:25], v[22:23], v[8:9]
	v_add_f64 v[26:27], v[24:25], -v[22:23]
	v_add_f64 v[32:33], v[20:21], v[24:25]
	v_add_f64 v[30:31], v[24:25], -v[26:27]
	v_add_f64 v[8:9], v[8:9], -v[26:27]
	v_ldexp_f64 v[26:27], v[32:33], -2
	v_add_f64 v[20:21], v[32:33], -v[20:21]
	v_add_f64 v[22:23], v[22:23], -v[30:31]
	v_add_f64 v[30:31], v[34:35], v[18:19]
	v_cmp_neq_f64_e64 vcc_lo, 0x7ff00000, |v[26:27]|
	v_add_f64 v[20:21], v[24:25], -v[20:21]
	v_add_f64 v[8:9], v[8:9], v[22:23]
	v_fract_f64_e32 v[22:23], v[26:27]
	v_add_f64 v[24:25], v[30:31], v[8:9]
	v_ldexp_f64 v[22:23], v[22:23], 2
	v_add_f64 v[26:27], v[20:21], v[24:25]
	v_cndmask_b32_e32 v23, 0, v23, vcc_lo
	v_cndmask_b32_e32 v22, 0, v22, vcc_lo
	v_add_f64 v[32:33], v[26:27], v[22:23]
	v_add_f64 v[20:21], v[26:27], -v[20:21]
	v_cmp_gt_f64_e32 vcc_lo, 0, v[32:33]
	v_add_f64 v[32:33], v[30:31], -v[34:35]
	v_add_f64 v[20:21], v[24:25], -v[20:21]
	v_cndmask_b32_e64 v37, 0, 0x40100000, vcc_lo
	v_add_f64 v[50:51], v[30:31], -v[32:33]
	v_add_f64 v[18:19], v[18:19], -v[32:33]
	v_add_f64 v[22:23], v[22:23], v[36:37]
	v_add_f64 v[37:38], v[24:25], -v[30:31]
	v_add_f64 v[32:33], v[34:35], -v[50:51]
	v_add_f64 v[48:49], v[26:27], v[22:23]
	;; [unrolled: 3-line block ×3, first 2 shown]
	v_cvt_i32_f64_e32 v4, v[48:49]
	v_add_f64 v[30:31], v[30:31], -v[52:53]
	v_cvt_f64_i32_e32 v[37:38], v4
	v_add_f64 v[8:9], v[8:9], v[30:31]
	v_add_f64 v[22:23], v[22:23], -v[37:38]
	v_add_f64 v[8:9], v[18:19], v[8:9]
	v_add_f64 v[18:19], v[26:27], v[22:23]
	;; [unrolled: 1-line block ×3, first 2 shown]
	v_add_f64 v[8:9], v[18:19], -v[22:23]
	v_cmp_le_f64_e32 vcc_lo, 0.5, v[18:19]
	v_add_f64 v[6:7], v[20:21], v[6:7]
	v_add_f64 v[8:9], v[26:27], -v[8:9]
	v_cndmask_b32_e64 v37, 0, 0x3ff00000, vcc_lo
	v_add_co_ci_u32_e64 v4, null, 0, v4, vcc_lo
	v_add_f64 v[6:7], v[6:7], v[8:9]
	v_add_f64 v[8:9], v[18:19], -v[36:37]
	v_add_f64 v[18:19], v[8:9], v[6:7]
	v_mul_f64 v[20:21], v[18:19], s[4:5]
	v_add_f64 v[8:9], v[18:19], -v[8:9]
	v_fma_f64 v[22:23], v[18:19], s[4:5], -v[20:21]
	v_add_f64 v[6:7], v[6:7], -v[8:9]
	v_fma_f64 v[8:9], v[18:19], s[12:13], v[22:23]
	v_fma_f64 v[8:9], v[6:7], s[4:5], v[8:9]
	v_add_f64 v[6:7], v[20:21], v[8:9]
	v_add_f64 v[18:19], v[6:7], -v[20:21]
	v_add_f64 v[8:9], v[8:9], -v[18:19]
.LBB21_125:
	s_andn2_saveexec_b32 s4, s11
	s_cbranch_execz .LBB21_127
; %bb.126:
	s_mov_b32 s12, 0x6dc9c883
	s_mov_b32 s13, 0x3fe45f30
	;; [unrolled: 1-line block ×3, first 2 shown]
	v_mul_f64 v[6:7], |v[2:3]|, s[12:13]
	s_mov_b32 s12, 0x54442d18
	s_mov_b32 s13, 0xbff921fb
	;; [unrolled: 1-line block ×3, first 2 shown]
	v_rndne_f64_e32 v[18:19], v[6:7]
	v_fma_f64 v[6:7], v[18:19], s[12:13], |v[2:3]|
	v_mul_f64 v[8:9], v[18:19], s[14:15]
	s_mov_b32 s12, 0x252049c0
	s_mov_b32 s13, 0xb97b839a
	v_cvt_i32_f64_e32 v4, v[18:19]
	v_fma_f64 v[22:23], v[18:19], s[14:15], v[6:7]
	v_add_f64 v[20:21], v[6:7], v[8:9]
	s_mov_b32 s15, 0x3c91a626
	v_add_f64 v[6:7], v[6:7], -v[20:21]
	v_add_f64 v[20:21], v[20:21], -v[22:23]
	v_add_f64 v[6:7], v[6:7], v[8:9]
	v_fma_f64 v[8:9], v[18:19], s[14:15], v[8:9]
	v_add_f64 v[6:7], v[20:21], v[6:7]
	v_add_f64 v[6:7], v[6:7], -v[8:9]
	v_fma_f64 v[8:9], v[18:19], s[12:13], v[6:7]
	v_add_f64 v[6:7], v[22:23], v[8:9]
	v_add_f64 v[20:21], v[6:7], -v[22:23]
	v_add_f64 v[8:9], v[8:9], -v[20:21]
.LBB21_127:
	s_or_b32 exec_lo, exec_lo, s4
	v_mul_f64 v[18:19], v[6:7], v[6:7]
	v_add_f64 v[20:21], v[8:9], v[8:9]
	s_mov_b32 s12, 0xa9a29f71
	s_mov_b32 s14, 0xc751c08c
	;; [unrolled: 1-line block ×4, first 2 shown]
	v_cmp_class_f64_e64 s4, v[2:3], 0x1f8
	v_and_b32_e32 v4, 1, v4
	v_and_b32_e32 v3, 0x80000000, v3
	v_sub_f32_e32 v17, 1.0, v17
	s_mov_b32 s5, exec_lo
	v_cmp_eq_u32_e32 vcc_lo, 0, v4
	v_fma_f64 v[22:23], v[6:7], v[6:7], -v[18:19]
	v_fma_f64 v[20:21], v[6:7], v[20:21], v[22:23]
	v_add_f64 v[18:19], v[18:19], v[20:21]
	v_fma_f64 v[20:21], v[18:19], s[14:15], s[12:13]
	s_mov_b32 s12, 0x90a8aae0
	s_mov_b32 s13, 0x3f17746f
	v_fma_f64 v[20:21], v[18:19], v[20:21], s[12:13]
	s_mov_b32 s12, 0xa6fbf144
	s_mov_b32 s13, 0xbefbb44d
	v_fma_f64 v[20:21], v[18:19], v[20:21], s[12:13]
	s_mov_b32 s12, 0xa7943acf
	s_mov_b32 s13, 0x3f21e634
	v_fma_f64 v[20:21], v[18:19], v[20:21], s[12:13]
	s_mov_b32 s12, 0xdeb68feb
	s_mov_b32 s13, 0x3f2d250f
	v_fma_f64 v[20:21], v[18:19], v[20:21], s[12:13]
	s_mov_b32 s12, 0xb58c4d95
	s_mov_b32 s13, 0x3f437fd9
	v_fma_f64 v[20:21], v[18:19], v[20:21], s[12:13]
	s_mov_b32 s12, 0x15120e2c
	s_mov_b32 s13, 0x3f57d5af
	v_fma_f64 v[20:21], v[18:19], v[20:21], s[12:13]
	s_mov_b32 s12, 0xe09491df
	s_mov_b32 s13, 0x3f6d6d93
	v_fma_f64 v[20:21], v[18:19], v[20:21], s[12:13]
	s_mov_b32 s12, 0x2033784d
	s_mov_b32 s13, 0x3f8226e1
	v_fma_f64 v[20:21], v[18:19], v[20:21], s[12:13]
	s_mov_b32 s12, 0x9ac36ae2
	s_mov_b32 s13, 0x3f9664f4
	v_fma_f64 v[20:21], v[18:19], v[20:21], s[12:13]
	s_mov_b32 s12, 0x1b451c21
	s_mov_b32 s13, 0x3faba1ba
	v_fma_f64 v[20:21], v[18:19], v[20:21], s[12:13]
	s_mov_b32 s12, 0x111185b7
	s_mov_b32 s13, 0x3fc11111
	v_fma_f64 v[20:21], v[18:19], v[20:21], s[12:13]
	s_mov_b32 s12, 0x555554ee
	s_mov_b32 s13, 0x3fd55555
	v_fma_f64 v[20:21], v[18:19], v[20:21], s[12:13]
	s_mov_b32 s12, 0x54442d18
	s_mov_b32 s13, 0xc00921fb
	v_mul_f64 v[18:19], v[18:19], v[20:21]
	v_mul_f64 v[20:21], v[6:7], v[18:19]
	v_add_f64 v[22:23], v[6:7], v[20:21]
	v_fma_f64 v[18:19], v[6:7], v[18:19], -v[20:21]
	v_add_f64 v[6:7], v[22:23], -v[6:7]
	v_add_f64 v[8:9], v[8:9], v[18:19]
	v_add_f64 v[6:7], v[20:21], -v[6:7]
	v_add_f64 v[6:7], v[8:9], v[6:7]
	v_add_f64 v[8:9], v[22:23], v[6:7]
	v_rcp_f64_e32 v[18:19], v[8:9]
	v_fma_f64 v[20:21], -v[8:9], v[18:19], 1.0
	v_fma_f64 v[18:19], v[20:21], v[18:19], v[18:19]
	v_fma_f64 v[20:21], -v[8:9], v[18:19], 1.0
	v_fma_f64 v[18:19], v[20:21], v[18:19], v[18:19]
	v_add_f64 v[20:21], v[8:9], -v[22:23]
	v_mul_f64 v[22:23], v[8:9], v[18:19]
	v_add_f64 v[6:7], v[6:7], -v[20:21]
	v_fma_f64 v[20:21], v[18:19], v[8:9], -v[22:23]
	v_fma_f64 v[6:7], v[18:19], v[6:7], v[20:21]
	v_add_f64 v[20:21], v[22:23], v[6:7]
	v_add_f64 v[24:25], -v[20:21], 1.0
	v_add_f64 v[22:23], v[20:21], -v[22:23]
	v_add_f64 v[26:27], -v[24:25], 1.0
	v_add_f64 v[6:7], v[22:23], -v[6:7]
	v_add_f64 v[20:21], v[26:27], -v[20:21]
	v_add_f64 v[6:7], v[6:7], v[20:21]
	v_add_f64 v[6:7], v[24:25], v[6:7]
	v_mul_f64 v[6:7], v[18:19], v[6:7]
	v_add_f64 v[6:7], v[18:19], v[6:7]
	v_xor_b32_e32 v2, 0x80000000, v7
	v_cndmask_b32_e32 v4, v6, v8, vcc_lo
	v_cndmask_b32_e32 v2, v2, v9, vcc_lo
	v_xor_b32_e32 v3, v2, v3
	v_cndmask_b32_e64 v2, 0, v4, s4
	v_cndmask_b32_e64 v3, 0x7ff80000, v3, s4
	v_div_scale_f64 v[6:7], null, v[2:3], v[2:3], s[12:13]
	v_rcp_f64_e32 v[8:9], v[6:7]
	v_fma_f64 v[18:19], -v[6:7], v[8:9], 1.0
	v_fma_f64 v[8:9], v[8:9], v[18:19], v[8:9]
	v_fma_f64 v[18:19], -v[6:7], v[8:9], 1.0
	v_fma_f64 v[8:9], v[8:9], v[18:19], v[8:9]
	v_div_scale_f64 v[18:19], vcc_lo, s[12:13], v[2:3], s[12:13]
	v_mul_f64 v[20:21], v[18:19], v[8:9]
	v_fma_f64 v[6:7], -v[6:7], v[20:21], v[18:19]
	v_div_fmas_f64 v[6:7], v[6:7], v[8:9], v[20:21]
	v_div_fixup_f64 v[2:3], v[6:7], v[2:3], s[12:13]
	v_cvt_f32_f64_e32 v2, v[2:3]
.LBB21_128:
	s_or_b32 exec_lo, exec_lo, s10
	s_orn2_b32 s4, s5, exec_lo
.LBB21_129:
	s_or_b32 exec_lo, exec_lo, s9
	v_mov_b32_e32 v16, 0x7e00
	s_and_saveexec_b32 s9, s4
	s_cbranch_execz .LBB21_141
; %bb.130:
	s_mov_b32 s4, exec_lo
	v_cmpx_gt_f32_e32 0x41200000, v17
	s_cbranch_execz .LBB21_134
; %bb.131:
	s_mov_b32 s5, 0
	.p2align	6
.LBB21_132:                             ; =>This Inner Loop Header: Depth=1
	v_div_scale_f32 v3, null, v17, v17, 1.0
	v_div_scale_f32 v7, vcc_lo, 1.0, v17, 1.0
	v_rcp_f32_e32 v4, v3
	v_fma_f32 v6, -v3, v4, 1.0
	v_fmac_f32_e32 v4, v6, v4
	v_mul_f32_e32 v6, v7, v4
	v_fma_f32 v8, -v3, v6, v7
	v_fmac_f32_e32 v6, v8, v4
	v_fma_f32 v3, -v3, v6, v7
	v_div_fmas_f32 v3, v3, v4, v6
	v_div_fixup_f32 v3, v3, v17, 1.0
	v_add_f32_e32 v17, 1.0, v17
	v_sub_f32_e32 v2, v2, v3
	v_cmp_ngt_f32_e32 vcc_lo, 0x41200000, v17
	s_or_b32 s5, vcc_lo, s5
	s_andn2_b32 exec_lo, exec_lo, s5
	s_cbranch_execnz .LBB21_132
; %bb.133:
	s_or_b32 exec_lo, exec_lo, s5
.LBB21_134:
	s_or_b32 exec_lo, exec_lo, s4
                                        ; implicit-def: $vgpr16
	s_mov_b32 s4, exec_lo
	v_cmpx_neq_f32_e32 0x41200000, v17
	s_xor_b32 s10, exec_lo, s4
	s_cbranch_execz .LBB21_138
; %bb.135:
	v_cvt_f64_f32_e32 v[3:4], v17
	s_mov_b32 s4, 0x85d8a000
	s_mov_b32 s5, 0x43763457
	v_cmp_gt_f64_e32 vcc_lo, s[4:5], v[3:4]
	v_mov_b32_e32 v3, 0
	s_and_saveexec_b32 s4, vcc_lo
	s_cbranch_execz .LBB21_137
; %bb.136:
	v_mul_f32_e32 v3, v17, v17
	v_div_scale_f32 v4, null, v3, v3, 1.0
	v_rcp_f32_e32 v6, v4
	v_fma_f32 v7, -v4, v6, 1.0
	v_fmac_f32_e32 v6, v7, v6
	v_div_scale_f32 v7, vcc_lo, 1.0, v3, 1.0
	v_mul_f32_e32 v8, v7, v6
	v_fma_f32 v9, -v4, v8, v7
	v_fmac_f32_e32 v8, v9, v6
	v_fma_f32 v4, -v4, v8, v7
	v_div_fmas_f32 v4, v4, v6, v8
	v_div_fixup_f32 v3, v4, v3, 1.0
	v_fmaak_f32 v4, 0, v3, 0x3daaaaab
	v_fmaak_f32 v4, v3, v4, 0xbcaccacd
	;; [unrolled: 1-line block ×7, first 2 shown]
	v_mul_f32_e32 v3, v3, v4
.LBB21_137:
	s_or_b32 exec_lo, exec_lo, s4
	v_cmp_gt_f32_e32 vcc_lo, 0x800000, v17
	v_div_scale_f32 v4, null, v17, v17, -0.5
	v_div_scale_f32 v9, s4, -0.5, v17, -0.5
	v_cndmask_b32_e64 v6, 0, 32, vcc_lo
	v_rcp_f32_e32 v7, v4
	v_ldexp_f32 v6, v17, v6
	v_log_f32_e32 v6, v6
	v_fma_f32 v8, -v4, v7, 1.0
	v_fmac_f32_e32 v7, v8, v7
	v_mul_f32_e32 v8, 0x3f317217, v6
	v_mul_f32_e32 v16, v9, v7
	v_cmp_gt_f32_e64 s5, 0x7f800000, |v6|
	v_fma_f32 v8, 0x3f317217, v6, -v8
	v_fma_f32 v18, -v4, v16, v9
	v_fmamk_f32 v8, v6, 0x3377d1cf, v8
	v_fmac_f32_e32 v16, v18, v7
	v_fmac_f32_e32 v8, 0x3f317217, v6
	v_fma_f32 v4, -v4, v16, v9
	v_cndmask_b32_e64 v6, v6, v8, s5
	v_cndmask_b32_e64 v8, 0, 0x41b17218, vcc_lo
	s_mov_b32 vcc_lo, s4
	v_div_fmas_f32 v4, v4, v7, v16
	v_sub_f32_e32 v6, v6, v8
	v_div_fixup_f32 v4, v4, v17, -0.5
	v_add_f32_e32 v4, v6, v4
	v_sub_f32_e32 v3, v4, v3
	v_add_f32_e32 v2, v2, v3
	v_cvt_f16_f32_e32 v16, v2
                                        ; implicit-def: $vgpr2
.LBB21_138:
	s_andn2_saveexec_b32 s4, s10
; %bb.139:
	v_add_f32_e32 v2, 0x40101cb7, v2
	v_cvt_f16_f32_e32 v16, v2
; %bb.140:
	s_or_b32 exec_lo, exec_lo, s4
.LBB21_141:
	s_or_b32 exec_lo, exec_lo, s9
                                        ; implicit-def: $vgpr17
.LBB21_142:
	s_andn2_saveexec_b32 s4, s8
; %bb.143:
	v_xor_b32_e32 v2, 0x80000000, v17
	s_movk_i32 s5, 0x7c00
	v_lshrrev_b32_e32 v2, 16, v2
	v_bfi_b32 v16, 0x7fff, s5, v2
; %bb.144:
	s_or_b32 exec_lo, exec_lo, s4
	v_cvt_f32_f16_e32 v4, v5
                                        ; implicit-def: $vgpr8
	s_mov_b32 s4, exec_lo
	v_cmpx_neq_f16_e32 0, v5
	s_xor_b32 s8, exec_lo, s4
	s_cbranch_execz .LBB21_166
; %bb.145:
	v_mov_b32_e32 v2, 0
	s_mov_b32 s4, -1
	s_mov_b32 s9, exec_lo
	v_cmpx_gt_f16_e32 0, v5
	s_cbranch_execz .LBB21_153
; %bb.146:
	v_trunc_f32_e32 v2, v4
	s_mov_b32 s5, 0
	v_cmp_neq_f32_e32 vcc_lo, v2, v4
	v_mov_b32_e32 v2, 0
	s_and_saveexec_b32 s10, vcc_lo
	s_cbranch_execz .LBB21_152
; %bb.147:
	v_cvt_f32_f16_e32 v2, v5
	s_mov_b32 s5, 0xc00921fb
	s_mov_b32 s4, 0x54442d18
	s_mov_b32 s11, exec_lo
                                        ; implicit-def: $vgpr17
                                        ; implicit-def: $vgpr8_vgpr9
	v_cvt_f64_f32_e32 v[2:3], v2
	v_trunc_f64_e32 v[6:7], v[2:3]
	v_cmp_neq_f64_e64 vcc_lo, 0x7ff00000, |v[2:3]|
	v_add_f64 v[6:7], v[2:3], -v[6:7]
	v_mul_f64 v[6:7], |v[6:7]|, s[4:5]
	v_cndmask_b32_e32 v3, 0x80000000, v7, vcc_lo
	v_cndmask_b32_e32 v2, 0, v6, vcc_lo
                                        ; implicit-def: $vgpr6_vgpr7
	v_cmpx_ngt_f64_e64 0x41d00000, |v[2:3]|
	s_xor_b32 s11, exec_lo, s11
	s_cbranch_execz .LBB21_149
; %bb.148:
	v_ldexp_f64 v[6:7], |v[2:3]|, 0xffffff80
	v_cmp_le_f64_e64 vcc_lo, 0x7b000000, |v[2:3]|
	v_trig_preop_f64 v[8:9], |v[2:3]|, 0
	v_and_b32_e32 v17, 0x7fffffff, v3
	v_trig_preop_f64 v[27:28], |v[2:3]|, 2
	v_mov_b32_e32 v35, 0
	s_mov_b32 s5, 0x3ff921fb
	s_mov_b32 s12, 0x33145c07
	;; [unrolled: 1-line block ×3, first 2 shown]
	v_cndmask_b32_e32 v7, v17, v7, vcc_lo
	v_cndmask_b32_e32 v6, v2, v6, vcc_lo
	v_trig_preop_f64 v[17:18], |v[2:3]|, 1
	v_mul_f64 v[19:20], v[8:9], v[6:7]
	v_mul_f64 v[33:34], v[27:28], v[6:7]
	;; [unrolled: 1-line block ×3, first 2 shown]
	v_fma_f64 v[8:9], v[8:9], v[6:7], -v[19:20]
	v_fma_f64 v[17:18], v[17:18], v[6:7], -v[21:22]
	;; [unrolled: 1-line block ×3, first 2 shown]
	v_add_f64 v[23:24], v[21:22], v[8:9]
	v_add_f64 v[25:26], v[23:24], -v[21:22]
	v_add_f64 v[31:32], v[19:20], v[23:24]
	v_add_f64 v[29:30], v[23:24], -v[25:26]
	v_add_f64 v[8:9], v[8:9], -v[25:26]
	v_ldexp_f64 v[25:26], v[31:32], -2
	v_add_f64 v[19:20], v[31:32], -v[19:20]
	v_add_f64 v[21:22], v[21:22], -v[29:30]
	v_add_f64 v[29:30], v[33:34], v[17:18]
	v_cmp_neq_f64_e64 vcc_lo, 0x7ff00000, |v[25:26]|
	v_add_f64 v[19:20], v[23:24], -v[19:20]
	v_add_f64 v[8:9], v[8:9], v[21:22]
	v_fract_f64_e32 v[21:22], v[25:26]
	v_add_f64 v[23:24], v[29:30], v[8:9]
	v_ldexp_f64 v[21:22], v[21:22], 2
	v_add_f64 v[25:26], v[19:20], v[23:24]
	v_cndmask_b32_e32 v22, 0, v22, vcc_lo
	v_cndmask_b32_e32 v21, 0, v21, vcc_lo
	v_add_f64 v[31:32], v[25:26], v[21:22]
	v_add_f64 v[19:20], v[25:26], -v[19:20]
	v_cmp_gt_f64_e32 vcc_lo, 0, v[31:32]
	v_add_f64 v[31:32], v[29:30], -v[33:34]
	v_cndmask_b32_e64 v36, 0, 0x40100000, vcc_lo
	v_add_f64 v[48:49], v[29:30], -v[31:32]
	v_add_f64 v[17:18], v[17:18], -v[31:32]
	v_add_f64 v[21:22], v[21:22], v[35:36]
	v_add_f64 v[36:37], v[23:24], -v[29:30]
	v_add_f64 v[31:32], v[33:34], -v[48:49]
	v_add_f64 v[38:39], v[25:26], v[21:22]
	;; [unrolled: 3-line block ×3, first 2 shown]
	v_cvt_i32_f64_e32 v38, v[38:39]
	v_add_f64 v[29:30], v[29:30], -v[50:51]
	v_cvt_f64_i32_e32 v[36:37], v38
	v_add_f64 v[8:9], v[8:9], v[29:30]
	v_add_f64 v[21:22], v[21:22], -v[36:37]
	v_add_f64 v[8:9], v[17:18], v[8:9]
	v_add_f64 v[17:18], v[23:24], -v[19:20]
	v_add_f64 v[27:28], v[25:26], v[21:22]
	v_add_f64 v[6:7], v[6:7], v[8:9]
	v_add_f64 v[8:9], v[27:28], -v[21:22]
	v_cmp_le_f64_e32 vcc_lo, 0.5, v[27:28]
	v_add_f64 v[6:7], v[17:18], v[6:7]
	v_add_f64 v[8:9], v[25:26], -v[8:9]
	v_cndmask_b32_e64 v36, 0, 0x3ff00000, vcc_lo
	v_add_co_ci_u32_e64 v17, null, 0, v38, vcc_lo
	v_add_f64 v[6:7], v[6:7], v[8:9]
	v_add_f64 v[8:9], v[27:28], -v[35:36]
	v_add_f64 v[18:19], v[8:9], v[6:7]
	v_mul_f64 v[20:21], v[18:19], s[4:5]
	v_add_f64 v[8:9], v[18:19], -v[8:9]
	v_fma_f64 v[22:23], v[18:19], s[4:5], -v[20:21]
	v_add_f64 v[6:7], v[6:7], -v[8:9]
	v_fma_f64 v[8:9], v[18:19], s[12:13], v[22:23]
	v_fma_f64 v[8:9], v[6:7], s[4:5], v[8:9]
	v_add_f64 v[6:7], v[20:21], v[8:9]
	v_add_f64 v[18:19], v[6:7], -v[20:21]
	v_add_f64 v[8:9], v[8:9], -v[18:19]
.LBB21_149:
	s_andn2_saveexec_b32 s4, s11
	s_cbranch_execz .LBB21_151
; %bb.150:
	s_mov_b32 s12, 0x6dc9c883
	s_mov_b32 s13, 0x3fe45f30
	;; [unrolled: 1-line block ×3, first 2 shown]
	v_mul_f64 v[6:7], |v[2:3]|, s[12:13]
	s_mov_b32 s12, 0x54442d18
	s_mov_b32 s13, 0xbff921fb
	;; [unrolled: 1-line block ×3, first 2 shown]
	v_rndne_f64_e32 v[17:18], v[6:7]
	v_fma_f64 v[6:7], v[17:18], s[12:13], |v[2:3]|
	v_mul_f64 v[8:9], v[17:18], s[14:15]
	s_mov_b32 s12, 0x252049c0
	s_mov_b32 s13, 0xb97b839a
	v_fma_f64 v[21:22], v[17:18], s[14:15], v[6:7]
	v_add_f64 v[19:20], v[6:7], v[8:9]
	s_mov_b32 s15, 0x3c91a626
	v_add_f64 v[6:7], v[6:7], -v[19:20]
	v_add_f64 v[19:20], v[19:20], -v[21:22]
	v_add_f64 v[6:7], v[6:7], v[8:9]
	v_fma_f64 v[8:9], v[17:18], s[14:15], v[8:9]
	v_add_f64 v[6:7], v[19:20], v[6:7]
	v_add_f64 v[6:7], v[6:7], -v[8:9]
	v_fma_f64 v[8:9], v[17:18], s[12:13], v[6:7]
	v_cvt_i32_f64_e32 v17, v[17:18]
	v_add_f64 v[6:7], v[21:22], v[8:9]
	v_add_f64 v[19:20], v[6:7], -v[21:22]
	v_add_f64 v[8:9], v[8:9], -v[19:20]
.LBB21_151:
	s_or_b32 exec_lo, exec_lo, s4
	v_mul_f64 v[18:19], v[6:7], v[6:7]
	v_add_f64 v[20:21], v[8:9], v[8:9]
	s_mov_b32 s12, 0xa9a29f71
	s_mov_b32 s14, 0xc751c08c
	;; [unrolled: 1-line block ×4, first 2 shown]
	v_cmp_class_f64_e64 s4, v[2:3], 0x1f8
	v_and_b32_e32 v17, 1, v17
	v_and_b32_e32 v3, 0x80000000, v3
	v_sub_f32_e32 v4, 1.0, v4
	s_mov_b32 s5, exec_lo
	v_cmp_eq_u32_e32 vcc_lo, 0, v17
	v_fma_f64 v[22:23], v[6:7], v[6:7], -v[18:19]
	v_fma_f64 v[20:21], v[6:7], v[20:21], v[22:23]
	v_add_f64 v[18:19], v[18:19], v[20:21]
	v_fma_f64 v[20:21], v[18:19], s[14:15], s[12:13]
	s_mov_b32 s12, 0x90a8aae0
	s_mov_b32 s13, 0x3f17746f
	v_fma_f64 v[20:21], v[18:19], v[20:21], s[12:13]
	s_mov_b32 s12, 0xa6fbf144
	s_mov_b32 s13, 0xbefbb44d
	;; [unrolled: 3-line block ×13, first 2 shown]
	v_mul_f64 v[18:19], v[18:19], v[20:21]
	v_mul_f64 v[20:21], v[6:7], v[18:19]
	v_add_f64 v[22:23], v[6:7], v[20:21]
	v_fma_f64 v[18:19], v[6:7], v[18:19], -v[20:21]
	v_add_f64 v[6:7], v[22:23], -v[6:7]
	v_add_f64 v[8:9], v[8:9], v[18:19]
	v_add_f64 v[6:7], v[20:21], -v[6:7]
	v_add_f64 v[6:7], v[8:9], v[6:7]
	v_add_f64 v[8:9], v[22:23], v[6:7]
	v_rcp_f64_e32 v[18:19], v[8:9]
	v_fma_f64 v[20:21], -v[8:9], v[18:19], 1.0
	v_fma_f64 v[18:19], v[20:21], v[18:19], v[18:19]
	v_fma_f64 v[20:21], -v[8:9], v[18:19], 1.0
	v_fma_f64 v[18:19], v[20:21], v[18:19], v[18:19]
	v_add_f64 v[20:21], v[8:9], -v[22:23]
	v_mul_f64 v[22:23], v[8:9], v[18:19]
	v_add_f64 v[6:7], v[6:7], -v[20:21]
	v_fma_f64 v[20:21], v[18:19], v[8:9], -v[22:23]
	v_fma_f64 v[6:7], v[18:19], v[6:7], v[20:21]
	v_add_f64 v[20:21], v[22:23], v[6:7]
	v_add_f64 v[24:25], -v[20:21], 1.0
	v_add_f64 v[22:23], v[20:21], -v[22:23]
	v_add_f64 v[26:27], -v[24:25], 1.0
	v_add_f64 v[6:7], v[22:23], -v[6:7]
	v_add_f64 v[20:21], v[26:27], -v[20:21]
	v_add_f64 v[6:7], v[6:7], v[20:21]
	v_add_f64 v[6:7], v[24:25], v[6:7]
	v_mul_f64 v[6:7], v[18:19], v[6:7]
	v_add_f64 v[6:7], v[18:19], v[6:7]
	v_xor_b32_e32 v2, 0x80000000, v7
	v_cndmask_b32_e32 v6, v6, v8, vcc_lo
	v_cndmask_b32_e32 v2, v2, v9, vcc_lo
	v_xor_b32_e32 v3, v2, v3
	v_cndmask_b32_e64 v2, 0, v6, s4
	v_cndmask_b32_e64 v3, 0x7ff80000, v3, s4
	v_div_scale_f64 v[6:7], null, v[2:3], v[2:3], s[12:13]
	v_rcp_f64_e32 v[8:9], v[6:7]
	v_fma_f64 v[17:18], -v[6:7], v[8:9], 1.0
	v_fma_f64 v[8:9], v[8:9], v[17:18], v[8:9]
	v_fma_f64 v[17:18], -v[6:7], v[8:9], 1.0
	v_fma_f64 v[8:9], v[8:9], v[17:18], v[8:9]
	v_div_scale_f64 v[17:18], vcc_lo, s[12:13], v[2:3], s[12:13]
	v_mul_f64 v[19:20], v[17:18], v[8:9]
	v_fma_f64 v[6:7], -v[6:7], v[19:20], v[17:18]
	v_div_fmas_f64 v[6:7], v[6:7], v[8:9], v[19:20]
	v_div_fixup_f64 v[2:3], v[6:7], v[2:3], s[12:13]
	v_cvt_f32_f64_e32 v2, v[2:3]
.LBB21_152:
	s_or_b32 exec_lo, exec_lo, s10
	s_orn2_b32 s4, s5, exec_lo
.LBB21_153:
	s_or_b32 exec_lo, exec_lo, s9
	v_mov_b32_e32 v8, 0x7e00
	s_and_saveexec_b32 s9, s4
	s_cbranch_execz .LBB21_165
; %bb.154:
	s_mov_b32 s4, exec_lo
	v_cmpx_gt_f32_e32 0x41200000, v4
	s_cbranch_execz .LBB21_158
; %bb.155:
	s_mov_b32 s5, 0
	.p2align	6
.LBB21_156:                             ; =>This Inner Loop Header: Depth=1
	v_div_scale_f32 v3, null, v4, v4, 1.0
	v_div_scale_f32 v8, vcc_lo, 1.0, v4, 1.0
	v_rcp_f32_e32 v6, v3
	v_fma_f32 v7, -v3, v6, 1.0
	v_fmac_f32_e32 v6, v7, v6
	v_mul_f32_e32 v7, v8, v6
	v_fma_f32 v9, -v3, v7, v8
	v_fmac_f32_e32 v7, v9, v6
	v_fma_f32 v3, -v3, v7, v8
	v_div_fmas_f32 v3, v3, v6, v7
	v_div_fixup_f32 v3, v3, v4, 1.0
	v_add_f32_e32 v4, 1.0, v4
	v_sub_f32_e32 v2, v2, v3
	v_cmp_ngt_f32_e32 vcc_lo, 0x41200000, v4
	s_or_b32 s5, vcc_lo, s5
	s_andn2_b32 exec_lo, exec_lo, s5
	s_cbranch_execnz .LBB21_156
; %bb.157:
	s_or_b32 exec_lo, exec_lo, s5
.LBB21_158:
	s_or_b32 exec_lo, exec_lo, s4
                                        ; implicit-def: $vgpr8
	s_mov_b32 s4, exec_lo
	v_cmpx_neq_f32_e32 0x41200000, v4
	s_xor_b32 s10, exec_lo, s4
	s_cbranch_execz .LBB21_162
; %bb.159:
	v_cvt_f64_f32_e32 v[6:7], v4
	s_mov_b32 s4, 0x85d8a000
	s_mov_b32 s5, 0x43763457
	v_mov_b32_e32 v3, 0
	v_cmp_gt_f64_e32 vcc_lo, s[4:5], v[6:7]
	s_and_saveexec_b32 s4, vcc_lo
	s_cbranch_execz .LBB21_161
; %bb.160:
	v_mul_f32_e32 v3, v4, v4
	v_div_scale_f32 v6, null, v3, v3, 1.0
	v_rcp_f32_e32 v7, v6
	v_fma_f32 v8, -v6, v7, 1.0
	v_fmac_f32_e32 v7, v8, v7
	v_div_scale_f32 v8, vcc_lo, 1.0, v3, 1.0
	v_mul_f32_e32 v9, v8, v7
	v_fma_f32 v17, -v6, v9, v8
	v_fmac_f32_e32 v9, v17, v7
	v_fma_f32 v6, -v6, v9, v8
	v_div_fmas_f32 v6, v6, v7, v9
	v_div_fixup_f32 v3, v6, v3, 1.0
	v_fmaak_f32 v6, 0, v3, 0x3daaaaab
	v_fmaak_f32 v6, v3, v6, 0xbcaccacd
	v_fmaak_f32 v6, v3, v6, 0x3bf83e10
	v_fmaak_f32 v6, v3, v6, 0xbb888889
	v_fmaak_f32 v6, v3, v6, 0x3b820821
	v_fmaak_f32 v6, v3, v6, 0xbc088889
	v_fmaak_f32 v6, v3, v6, 0x3daaaaab
	v_mul_f32_e32 v3, v3, v6
.LBB21_161:
	s_or_b32 exec_lo, exec_lo, s4
	v_cmp_gt_f32_e32 vcc_lo, 0x800000, v4
	v_div_scale_f32 v6, null, v4, v4, -0.5
	v_div_scale_f32 v17, s4, -0.5, v4, -0.5
	v_cndmask_b32_e64 v7, 0, 32, vcc_lo
	v_rcp_f32_e32 v8, v6
	v_ldexp_f32 v7, v4, v7
	v_log_f32_e32 v7, v7
	v_fma_f32 v9, -v6, v8, 1.0
	v_fmac_f32_e32 v8, v9, v8
	v_mul_f32_e32 v9, 0x3f317217, v7
	v_mul_f32_e32 v18, v17, v8
	v_cmp_gt_f32_e64 s5, 0x7f800000, |v7|
	v_fma_f32 v9, 0x3f317217, v7, -v9
	v_fma_f32 v19, -v6, v18, v17
	v_fmamk_f32 v9, v7, 0x3377d1cf, v9
	v_fmac_f32_e32 v18, v19, v8
	v_fmac_f32_e32 v9, 0x3f317217, v7
	v_fma_f32 v6, -v6, v18, v17
	v_cndmask_b32_e64 v7, v7, v9, s5
	v_cndmask_b32_e64 v9, 0, 0x41b17218, vcc_lo
	s_mov_b32 vcc_lo, s4
	v_div_fmas_f32 v6, v6, v8, v18
	v_sub_f32_e32 v7, v7, v9
	v_div_fixup_f32 v4, v6, v4, -0.5
	v_add_f32_e32 v4, v7, v4
	v_sub_f32_e32 v3, v4, v3
	v_add_f32_e32 v2, v2, v3
	v_cvt_f16_f32_e32 v8, v2
                                        ; implicit-def: $vgpr2
.LBB21_162:
	s_andn2_saveexec_b32 s4, s10
; %bb.163:
	v_add_f32_e32 v2, 0x40101cb7, v2
	v_cvt_f16_f32_e32 v8, v2
; %bb.164:
	s_or_b32 exec_lo, exec_lo, s4
.LBB21_165:
	s_or_b32 exec_lo, exec_lo, s9
                                        ; implicit-def: $vgpr4
.LBB21_166:
	s_andn2_saveexec_b32 s4, s8
; %bb.167:
	v_xor_b32_e32 v2, 0x80000000, v4
	s_movk_i32 s5, 0x7c00
	v_lshrrev_b32_e32 v2, 16, v2
	v_bfi_b32 v8, 0x7fff, s5, v2
; %bb.168:
	s_or_b32 exec_lo, exec_lo, s4
	v_mov_b32_e32 v2, 0
	v_cvt_f32_f16_sdwa v9, v5 dst_sel:DWORD dst_unused:UNUSED_PAD src0_sel:WORD_1
                                        ; implicit-def: $vgpr3
	v_cmp_neq_f16_sdwa s4, v5, v2 src0_sel:WORD_1 src1_sel:DWORD
	s_and_saveexec_b32 s5, s4
	s_xor_b32 s8, exec_lo, s5
	s_cbranch_execz .LBB21_190
; %bb.169:
	v_cmp_lt_f16_sdwa s5, v5, v2 src0_sel:WORD_1 src1_sel:DWORD
	s_mov_b32 s4, -1
	s_and_saveexec_b32 s9, s5
	s_cbranch_execz .LBB21_177
; %bb.170:
	v_trunc_f32_e32 v2, v9
	s_mov_b32 s5, 0
	v_cmp_neq_f32_e32 vcc_lo, v2, v9
	v_mov_b32_e32 v2, 0
	s_and_saveexec_b32 s10, vcc_lo
	s_cbranch_execz .LBB21_176
; %bb.171:
	v_cvt_f32_f16_sdwa v2, v5 dst_sel:DWORD dst_unused:UNUSED_PAD src0_sel:WORD_1
	s_mov_b32 s5, 0xc00921fb
	s_mov_b32 s4, 0x54442d18
	s_mov_b32 s11, exec_lo
                                        ; implicit-def: $vgpr17
                                        ; implicit-def: $vgpr6_vgpr7
	v_cvt_f64_f32_e32 v[2:3], v2
	v_trunc_f64_e32 v[4:5], v[2:3]
	v_cmp_neq_f64_e64 vcc_lo, 0x7ff00000, |v[2:3]|
	v_add_f64 v[4:5], v[2:3], -v[4:5]
	v_mul_f64 v[4:5], |v[4:5]|, s[4:5]
	v_cndmask_b32_e32 v3, 0x80000000, v5, vcc_lo
	v_cndmask_b32_e32 v2, 0, v4, vcc_lo
                                        ; implicit-def: $vgpr4_vgpr5
	v_cmpx_ngt_f64_e64 0x41d00000, |v[2:3]|
	s_xor_b32 s11, exec_lo, s11
	s_cbranch_execz .LBB21_173
; %bb.172:
	v_ldexp_f64 v[4:5], |v[2:3]|, 0xffffff80
	v_cmp_le_f64_e64 vcc_lo, 0x7b000000, |v[2:3]|
	v_trig_preop_f64 v[6:7], |v[2:3]|, 0
	v_and_b32_e32 v17, 0x7fffffff, v3
	v_trig_preop_f64 v[27:28], |v[2:3]|, 2
	v_mov_b32_e32 v35, 0
	s_mov_b32 s5, 0x3ff921fb
	s_mov_b32 s12, 0x33145c07
	;; [unrolled: 1-line block ×3, first 2 shown]
	v_cndmask_b32_e32 v5, v17, v5, vcc_lo
	v_cndmask_b32_e32 v4, v2, v4, vcc_lo
	v_trig_preop_f64 v[17:18], |v[2:3]|, 1
	v_mul_f64 v[19:20], v[6:7], v[4:5]
	v_mul_f64 v[33:34], v[27:28], v[4:5]
	;; [unrolled: 1-line block ×3, first 2 shown]
	v_fma_f64 v[6:7], v[6:7], v[4:5], -v[19:20]
	v_fma_f64 v[17:18], v[17:18], v[4:5], -v[21:22]
	;; [unrolled: 1-line block ×3, first 2 shown]
	v_add_f64 v[23:24], v[21:22], v[6:7]
	v_add_f64 v[25:26], v[23:24], -v[21:22]
	v_add_f64 v[31:32], v[19:20], v[23:24]
	v_add_f64 v[29:30], v[23:24], -v[25:26]
	v_add_f64 v[6:7], v[6:7], -v[25:26]
	v_ldexp_f64 v[25:26], v[31:32], -2
	v_add_f64 v[19:20], v[31:32], -v[19:20]
	v_add_f64 v[21:22], v[21:22], -v[29:30]
	v_add_f64 v[29:30], v[33:34], v[17:18]
	v_cmp_neq_f64_e64 vcc_lo, 0x7ff00000, |v[25:26]|
	v_add_f64 v[19:20], v[23:24], -v[19:20]
	v_add_f64 v[6:7], v[6:7], v[21:22]
	v_fract_f64_e32 v[21:22], v[25:26]
	v_add_f64 v[23:24], v[29:30], v[6:7]
	v_ldexp_f64 v[21:22], v[21:22], 2
	v_add_f64 v[25:26], v[19:20], v[23:24]
	v_cndmask_b32_e32 v22, 0, v22, vcc_lo
	v_cndmask_b32_e32 v21, 0, v21, vcc_lo
	v_add_f64 v[31:32], v[25:26], v[21:22]
	v_add_f64 v[19:20], v[25:26], -v[19:20]
	v_cmp_gt_f64_e32 vcc_lo, 0, v[31:32]
	v_add_f64 v[31:32], v[29:30], -v[33:34]
	v_cndmask_b32_e64 v36, 0, 0x40100000, vcc_lo
	v_add_f64 v[48:49], v[29:30], -v[31:32]
	v_add_f64 v[17:18], v[17:18], -v[31:32]
	v_add_f64 v[21:22], v[21:22], v[35:36]
	v_add_f64 v[36:37], v[23:24], -v[29:30]
	v_add_f64 v[31:32], v[33:34], -v[48:49]
	v_add_f64 v[38:39], v[25:26], v[21:22]
	;; [unrolled: 3-line block ×3, first 2 shown]
	v_cvt_i32_f64_e32 v38, v[38:39]
	v_add_f64 v[29:30], v[29:30], -v[50:51]
	v_cvt_f64_i32_e32 v[36:37], v38
	v_add_f64 v[6:7], v[6:7], v[29:30]
	v_add_f64 v[21:22], v[21:22], -v[36:37]
	v_add_f64 v[6:7], v[17:18], v[6:7]
	v_add_f64 v[17:18], v[23:24], -v[19:20]
	v_add_f64 v[27:28], v[25:26], v[21:22]
	v_add_f64 v[4:5], v[4:5], v[6:7]
	v_add_f64 v[6:7], v[27:28], -v[21:22]
	v_cmp_le_f64_e32 vcc_lo, 0.5, v[27:28]
	v_add_f64 v[4:5], v[17:18], v[4:5]
	v_add_f64 v[6:7], v[25:26], -v[6:7]
	v_cndmask_b32_e64 v36, 0, 0x3ff00000, vcc_lo
	v_add_co_ci_u32_e64 v17, null, 0, v38, vcc_lo
	v_add_f64 v[4:5], v[4:5], v[6:7]
	v_add_f64 v[6:7], v[27:28], -v[35:36]
	v_add_f64 v[18:19], v[6:7], v[4:5]
	v_mul_f64 v[20:21], v[18:19], s[4:5]
	v_add_f64 v[6:7], v[18:19], -v[6:7]
	v_fma_f64 v[22:23], v[18:19], s[4:5], -v[20:21]
	v_add_f64 v[4:5], v[4:5], -v[6:7]
	v_fma_f64 v[6:7], v[18:19], s[12:13], v[22:23]
	v_fma_f64 v[6:7], v[4:5], s[4:5], v[6:7]
	v_add_f64 v[4:5], v[20:21], v[6:7]
	v_add_f64 v[18:19], v[4:5], -v[20:21]
	v_add_f64 v[6:7], v[6:7], -v[18:19]
.LBB21_173:
	s_andn2_saveexec_b32 s4, s11
	s_cbranch_execz .LBB21_175
; %bb.174:
	s_mov_b32 s12, 0x6dc9c883
	s_mov_b32 s13, 0x3fe45f30
	;; [unrolled: 1-line block ×3, first 2 shown]
	v_mul_f64 v[4:5], |v[2:3]|, s[12:13]
	s_mov_b32 s12, 0x54442d18
	s_mov_b32 s13, 0xbff921fb
	;; [unrolled: 1-line block ×3, first 2 shown]
	v_rndne_f64_e32 v[17:18], v[4:5]
	v_fma_f64 v[4:5], v[17:18], s[12:13], |v[2:3]|
	v_mul_f64 v[6:7], v[17:18], s[14:15]
	s_mov_b32 s12, 0x252049c0
	s_mov_b32 s13, 0xb97b839a
	v_fma_f64 v[21:22], v[17:18], s[14:15], v[4:5]
	v_add_f64 v[19:20], v[4:5], v[6:7]
	s_mov_b32 s15, 0x3c91a626
	v_add_f64 v[4:5], v[4:5], -v[19:20]
	v_add_f64 v[19:20], v[19:20], -v[21:22]
	v_add_f64 v[4:5], v[4:5], v[6:7]
	v_fma_f64 v[6:7], v[17:18], s[14:15], v[6:7]
	v_add_f64 v[4:5], v[19:20], v[4:5]
	v_add_f64 v[4:5], v[4:5], -v[6:7]
	v_fma_f64 v[6:7], v[17:18], s[12:13], v[4:5]
	v_cvt_i32_f64_e32 v17, v[17:18]
	v_add_f64 v[4:5], v[21:22], v[6:7]
	v_add_f64 v[19:20], v[4:5], -v[21:22]
	v_add_f64 v[6:7], v[6:7], -v[19:20]
.LBB21_175:
	s_or_b32 exec_lo, exec_lo, s4
	v_mul_f64 v[18:19], v[4:5], v[4:5]
	v_add_f64 v[20:21], v[6:7], v[6:7]
	s_mov_b32 s12, 0xa9a29f71
	s_mov_b32 s14, 0xc751c08c
	s_mov_b32 s13, 0xbf078809
	s_mov_b32 s15, 0x3ef5e089
	v_cmp_class_f64_e64 s4, v[2:3], 0x1f8
	v_and_b32_e32 v17, 1, v17
	v_and_b32_e32 v3, 0x80000000, v3
	v_sub_f32_e32 v9, 1.0, v9
	s_mov_b32 s5, exec_lo
	v_cmp_eq_u32_e32 vcc_lo, 0, v17
	v_fma_f64 v[22:23], v[4:5], v[4:5], -v[18:19]
	v_fma_f64 v[20:21], v[4:5], v[20:21], v[22:23]
	v_add_f64 v[18:19], v[18:19], v[20:21]
	v_fma_f64 v[20:21], v[18:19], s[14:15], s[12:13]
	s_mov_b32 s12, 0x90a8aae0
	s_mov_b32 s13, 0x3f17746f
	v_fma_f64 v[20:21], v[18:19], v[20:21], s[12:13]
	s_mov_b32 s12, 0xa6fbf144
	s_mov_b32 s13, 0xbefbb44d
	;; [unrolled: 3-line block ×13, first 2 shown]
	v_mul_f64 v[18:19], v[18:19], v[20:21]
	v_mul_f64 v[20:21], v[4:5], v[18:19]
	v_add_f64 v[22:23], v[4:5], v[20:21]
	v_fma_f64 v[18:19], v[4:5], v[18:19], -v[20:21]
	v_add_f64 v[4:5], v[22:23], -v[4:5]
	v_add_f64 v[6:7], v[6:7], v[18:19]
	v_add_f64 v[4:5], v[20:21], -v[4:5]
	v_add_f64 v[4:5], v[6:7], v[4:5]
	v_add_f64 v[6:7], v[22:23], v[4:5]
	v_rcp_f64_e32 v[18:19], v[6:7]
	v_fma_f64 v[20:21], -v[6:7], v[18:19], 1.0
	v_fma_f64 v[18:19], v[20:21], v[18:19], v[18:19]
	v_fma_f64 v[20:21], -v[6:7], v[18:19], 1.0
	v_fma_f64 v[18:19], v[20:21], v[18:19], v[18:19]
	v_add_f64 v[20:21], v[6:7], -v[22:23]
	v_mul_f64 v[22:23], v[6:7], v[18:19]
	v_add_f64 v[4:5], v[4:5], -v[20:21]
	v_fma_f64 v[20:21], v[18:19], v[6:7], -v[22:23]
	v_fma_f64 v[4:5], v[18:19], v[4:5], v[20:21]
	v_add_f64 v[20:21], v[22:23], v[4:5]
	v_add_f64 v[24:25], -v[20:21], 1.0
	v_add_f64 v[22:23], v[20:21], -v[22:23]
	v_add_f64 v[26:27], -v[24:25], 1.0
	v_add_f64 v[4:5], v[22:23], -v[4:5]
	v_add_f64 v[20:21], v[26:27], -v[20:21]
	v_add_f64 v[4:5], v[4:5], v[20:21]
	v_add_f64 v[4:5], v[24:25], v[4:5]
	v_mul_f64 v[4:5], v[18:19], v[4:5]
	v_add_f64 v[4:5], v[18:19], v[4:5]
	v_xor_b32_e32 v2, 0x80000000, v5
	v_cndmask_b32_e32 v4, v4, v6, vcc_lo
	v_cndmask_b32_e32 v2, v2, v7, vcc_lo
	v_xor_b32_e32 v3, v2, v3
	v_cndmask_b32_e64 v2, 0, v4, s4
	v_cndmask_b32_e64 v3, 0x7ff80000, v3, s4
	v_div_scale_f64 v[4:5], null, v[2:3], v[2:3], s[12:13]
	v_rcp_f64_e32 v[6:7], v[4:5]
	v_fma_f64 v[17:18], -v[4:5], v[6:7], 1.0
	v_fma_f64 v[6:7], v[6:7], v[17:18], v[6:7]
	v_fma_f64 v[17:18], -v[4:5], v[6:7], 1.0
	v_fma_f64 v[6:7], v[6:7], v[17:18], v[6:7]
	v_div_scale_f64 v[17:18], vcc_lo, s[12:13], v[2:3], s[12:13]
	v_mul_f64 v[19:20], v[17:18], v[6:7]
	v_fma_f64 v[4:5], -v[4:5], v[19:20], v[17:18]
	v_div_fmas_f64 v[4:5], v[4:5], v[6:7], v[19:20]
	v_div_fixup_f64 v[2:3], v[4:5], v[2:3], s[12:13]
	v_cvt_f32_f64_e32 v2, v[2:3]
.LBB21_176:
	s_or_b32 exec_lo, exec_lo, s10
	s_orn2_b32 s4, s5, exec_lo
.LBB21_177:
	s_or_b32 exec_lo, exec_lo, s9
	v_mov_b32_e32 v3, 0x7e00
	s_and_saveexec_b32 s9, s4
	s_cbranch_execz .LBB21_189
; %bb.178:
	s_mov_b32 s4, exec_lo
	v_cmpx_gt_f32_e32 0x41200000, v9
	s_cbranch_execz .LBB21_182
; %bb.179:
	s_mov_b32 s5, 0
	.p2align	6
.LBB21_180:                             ; =>This Inner Loop Header: Depth=1
	v_div_scale_f32 v3, null, v9, v9, 1.0
	v_div_scale_f32 v6, vcc_lo, 1.0, v9, 1.0
	v_rcp_f32_e32 v4, v3
	v_fma_f32 v5, -v3, v4, 1.0
	v_fmac_f32_e32 v4, v5, v4
	v_mul_f32_e32 v5, v6, v4
	v_fma_f32 v7, -v3, v5, v6
	v_fmac_f32_e32 v5, v7, v4
	v_fma_f32 v3, -v3, v5, v6
	v_div_fmas_f32 v3, v3, v4, v5
	v_div_fixup_f32 v3, v3, v9, 1.0
	v_add_f32_e32 v9, 1.0, v9
	v_sub_f32_e32 v2, v2, v3
	v_cmp_ngt_f32_e32 vcc_lo, 0x41200000, v9
	s_or_b32 s5, vcc_lo, s5
	s_andn2_b32 exec_lo, exec_lo, s5
	s_cbranch_execnz .LBB21_180
; %bb.181:
	s_or_b32 exec_lo, exec_lo, s5
.LBB21_182:
	s_or_b32 exec_lo, exec_lo, s4
                                        ; implicit-def: $vgpr3
	s_mov_b32 s4, exec_lo
	v_cmpx_neq_f32_e32 0x41200000, v9
	s_xor_b32 s10, exec_lo, s4
	s_cbranch_execz .LBB21_186
; %bb.183:
	v_cvt_f64_f32_e32 v[3:4], v9
	s_mov_b32 s4, 0x85d8a000
	s_mov_b32 s5, 0x43763457
	v_cmp_gt_f64_e32 vcc_lo, s[4:5], v[3:4]
	v_mov_b32_e32 v3, 0
	s_and_saveexec_b32 s4, vcc_lo
	s_cbranch_execz .LBB21_185
; %bb.184:
	v_mul_f32_e32 v3, v9, v9
	v_div_scale_f32 v4, null, v3, v3, 1.0
	v_rcp_f32_e32 v5, v4
	v_fma_f32 v6, -v4, v5, 1.0
	v_fmac_f32_e32 v5, v6, v5
	v_div_scale_f32 v6, vcc_lo, 1.0, v3, 1.0
	v_mul_f32_e32 v7, v6, v5
	v_fma_f32 v17, -v4, v7, v6
	v_fmac_f32_e32 v7, v17, v5
	v_fma_f32 v4, -v4, v7, v6
	v_div_fmas_f32 v4, v4, v5, v7
	v_div_fixup_f32 v3, v4, v3, 1.0
	v_fmaak_f32 v4, 0, v3, 0x3daaaaab
	v_fmaak_f32 v4, v3, v4, 0xbcaccacd
	v_fmaak_f32 v4, v3, v4, 0x3bf83e10
	v_fmaak_f32 v4, v3, v4, 0xbb888889
	v_fmaak_f32 v4, v3, v4, 0x3b820821
	v_fmaak_f32 v4, v3, v4, 0xbc088889
	v_fmaak_f32 v4, v3, v4, 0x3daaaaab
	v_mul_f32_e32 v3, v3, v4
.LBB21_185:
	s_or_b32 exec_lo, exec_lo, s4
	v_cmp_gt_f32_e32 vcc_lo, 0x800000, v9
	v_div_scale_f32 v4, null, v9, v9, -0.5
	v_div_scale_f32 v17, s4, -0.5, v9, -0.5
	v_cndmask_b32_e64 v5, 0, 32, vcc_lo
	v_rcp_f32_e32 v6, v4
	v_ldexp_f32 v5, v9, v5
	v_log_f32_e32 v5, v5
	v_fma_f32 v7, -v4, v6, 1.0
	v_fmac_f32_e32 v6, v7, v6
	v_mul_f32_e32 v7, 0x3f317217, v5
	v_mul_f32_e32 v18, v17, v6
	v_cmp_gt_f32_e64 s5, 0x7f800000, |v5|
	v_fma_f32 v7, 0x3f317217, v5, -v7
	v_fma_f32 v19, -v4, v18, v17
	v_fmamk_f32 v7, v5, 0x3377d1cf, v7
	v_fmac_f32_e32 v18, v19, v6
	v_fmac_f32_e32 v7, 0x3f317217, v5
	v_fma_f32 v4, -v4, v18, v17
	v_cndmask_b32_e64 v5, v5, v7, s5
	v_cndmask_b32_e64 v7, 0, 0x41b17218, vcc_lo
	s_mov_b32 vcc_lo, s4
	v_div_fmas_f32 v4, v4, v6, v18
	v_sub_f32_e32 v5, v5, v7
	v_div_fixup_f32 v4, v4, v9, -0.5
	v_add_f32_e32 v4, v5, v4
	v_sub_f32_e32 v3, v4, v3
	v_add_f32_e32 v2, v2, v3
	v_cvt_f16_f32_e32 v3, v2
                                        ; implicit-def: $vgpr2
.LBB21_186:
	s_andn2_saveexec_b32 s4, s10
; %bb.187:
	v_add_f32_e32 v2, 0x40101cb7, v2
	v_cvt_f16_f32_e32 v3, v2
; %bb.188:
	s_or_b32 exec_lo, exec_lo, s4
.LBB21_189:
	s_or_b32 exec_lo, exec_lo, s9
                                        ; implicit-def: $vgpr9
.LBB21_190:
	s_andn2_saveexec_b32 s4, s8
; %bb.191:
	v_xor_b32_e32 v2, 0x80000000, v9
	s_movk_i32 s5, 0x7c00
	v_lshrrev_b32_e32 v2, 16, v2
	v_bfi_b32 v3, 0x7fff, s5, v2
; %bb.192:
	s_or_b32 exec_lo, exec_lo, s4
	v_add_co_u32 v0, vcc_lo, v0, s6
	v_add_co_ci_u32_e64 v1, null, s7, v1, vcc_lo
	v_perm_b32 v3, v3, v8, 0x5040100
	v_add_co_u32 v4, vcc_lo, v0, v12
	v_add_co_ci_u32_e64 v5, null, 0, v1, vcc_lo
	v_perm_b32 v2, v16, v15, 0x5040100
	v_perm_b32 v1, v11, v10, 0x5040100
	;; [unrolled: 1-line block ×3, first 2 shown]
	flat_store_dwordx4 v[4:5], v[0:3]
	s_waitcnt lgkmcnt(0)
	s_setpc_b64 s[30:31]
.Lfunc_end21:
	.size	_ZN2at6native25elementwise_kernel_helperILb0EZZZNS0_19digamma_kernel_cudaERNS_18TensorIteratorBaseEENKUlvE_clEvENKUlvE1_clEvEUlN3c104HalfEE_NS0_6memory8policies10vectorizedILi8ESt5arrayIPcLm2EELi8EEEEEvT0_T1_, .Lfunc_end21-_ZN2at6native25elementwise_kernel_helperILb0EZZZNS0_19digamma_kernel_cudaERNS_18TensorIteratorBaseEENKUlvE_clEvENKUlvE1_clEvEUlN3c104HalfEE_NS0_6memory8policies10vectorizedILi8ESt5arrayIPcLm2EELi8EEEEEvT0_T1_
                                        ; -- End function
	.set .L_ZN2at6native25elementwise_kernel_helperILb0EZZZNS0_19digamma_kernel_cudaERNS_18TensorIteratorBaseEENKUlvE_clEvENKUlvE1_clEvEUlN3c104HalfEE_NS0_6memory8policies10vectorizedILi8ESt5arrayIPcLm2EELi8EEEEEvT0_T1_.num_vgpr, 54
	.set .L_ZN2at6native25elementwise_kernel_helperILb0EZZZNS0_19digamma_kernel_cudaERNS_18TensorIteratorBaseEENKUlvE_clEvENKUlvE1_clEvEUlN3c104HalfEE_NS0_6memory8policies10vectorizedILi8ESt5arrayIPcLm2EELi8EEEEEvT0_T1_.num_agpr, 0
	.set .L_ZN2at6native25elementwise_kernel_helperILb0EZZZNS0_19digamma_kernel_cudaERNS_18TensorIteratorBaseEENKUlvE_clEvENKUlvE1_clEvEUlN3c104HalfEE_NS0_6memory8policies10vectorizedILi8ESt5arrayIPcLm2EELi8EEEEEvT0_T1_.numbered_sgpr, 32
	.set .L_ZN2at6native25elementwise_kernel_helperILb0EZZZNS0_19digamma_kernel_cudaERNS_18TensorIteratorBaseEENKUlvE_clEvENKUlvE1_clEvEUlN3c104HalfEE_NS0_6memory8policies10vectorizedILi8ESt5arrayIPcLm2EELi8EEEEEvT0_T1_.num_named_barrier, 0
	.set .L_ZN2at6native25elementwise_kernel_helperILb0EZZZNS0_19digamma_kernel_cudaERNS_18TensorIteratorBaseEENKUlvE_clEvENKUlvE1_clEvEUlN3c104HalfEE_NS0_6memory8policies10vectorizedILi8ESt5arrayIPcLm2EELi8EEEEEvT0_T1_.private_seg_size, 0
	.set .L_ZN2at6native25elementwise_kernel_helperILb0EZZZNS0_19digamma_kernel_cudaERNS_18TensorIteratorBaseEENKUlvE_clEvENKUlvE1_clEvEUlN3c104HalfEE_NS0_6memory8policies10vectorizedILi8ESt5arrayIPcLm2EELi8EEEEEvT0_T1_.uses_vcc, 1
	.set .L_ZN2at6native25elementwise_kernel_helperILb0EZZZNS0_19digamma_kernel_cudaERNS_18TensorIteratorBaseEENKUlvE_clEvENKUlvE1_clEvEUlN3c104HalfEE_NS0_6memory8policies10vectorizedILi8ESt5arrayIPcLm2EELi8EEEEEvT0_T1_.uses_flat_scratch, 0
	.set .L_ZN2at6native25elementwise_kernel_helperILb0EZZZNS0_19digamma_kernel_cudaERNS_18TensorIteratorBaseEENKUlvE_clEvENKUlvE1_clEvEUlN3c104HalfEE_NS0_6memory8policies10vectorizedILi8ESt5arrayIPcLm2EELi8EEEEEvT0_T1_.has_dyn_sized_stack, 0
	.set .L_ZN2at6native25elementwise_kernel_helperILb0EZZZNS0_19digamma_kernel_cudaERNS_18TensorIteratorBaseEENKUlvE_clEvENKUlvE1_clEvEUlN3c104HalfEE_NS0_6memory8policies10vectorizedILi8ESt5arrayIPcLm2EELi8EEEEEvT0_T1_.has_recursion, 0
	.set .L_ZN2at6native25elementwise_kernel_helperILb0EZZZNS0_19digamma_kernel_cudaERNS_18TensorIteratorBaseEENKUlvE_clEvENKUlvE1_clEvEUlN3c104HalfEE_NS0_6memory8policies10vectorizedILi8ESt5arrayIPcLm2EELi8EEEEEvT0_T1_.has_indirect_call, 0
	.section	.AMDGPU.csdata,"",@progbits
; Function info:
; codeLenInByte = 19148
; TotalNumSgprs: 34
; NumVgprs: 54
; ScratchSize: 0
; MemoryBound: 0
	.section	.text._ZN2at6native29vectorized_elementwise_kernelILi16EZZZNS0_19digamma_kernel_cudaERNS_18TensorIteratorBaseEENKUlvE_clEvENKUlvE1_clEvEUlN3c104HalfEE_St5arrayIPcLm2EEEEviT0_T1_,"axG",@progbits,_ZN2at6native29vectorized_elementwise_kernelILi16EZZZNS0_19digamma_kernel_cudaERNS_18TensorIteratorBaseEENKUlvE_clEvENKUlvE1_clEvEUlN3c104HalfEE_St5arrayIPcLm2EEEEviT0_T1_,comdat
	.globl	_ZN2at6native29vectorized_elementwise_kernelILi16EZZZNS0_19digamma_kernel_cudaERNS_18TensorIteratorBaseEENKUlvE_clEvENKUlvE1_clEvEUlN3c104HalfEE_St5arrayIPcLm2EEEEviT0_T1_ ; -- Begin function _ZN2at6native29vectorized_elementwise_kernelILi16EZZZNS0_19digamma_kernel_cudaERNS_18TensorIteratorBaseEENKUlvE_clEvENKUlvE1_clEvEUlN3c104HalfEE_St5arrayIPcLm2EEEEviT0_T1_
	.p2align	8
	.type	_ZN2at6native29vectorized_elementwise_kernelILi16EZZZNS0_19digamma_kernel_cudaERNS_18TensorIteratorBaseEENKUlvE_clEvENKUlvE1_clEvEUlN3c104HalfEE_St5arrayIPcLm2EEEEviT0_T1_,@function
_ZN2at6native29vectorized_elementwise_kernelILi16EZZZNS0_19digamma_kernel_cudaERNS_18TensorIteratorBaseEENKUlvE_clEvENKUlvE1_clEvEUlN3c104HalfEE_St5arrayIPcLm2EEEEviT0_T1_: ; @_ZN2at6native29vectorized_elementwise_kernelILi16EZZZNS0_19digamma_kernel_cudaERNS_18TensorIteratorBaseEENKUlvE_clEvENKUlvE1_clEvEUlN3c104HalfEE_St5arrayIPcLm2EEEEviT0_T1_
; %bb.0:
	s_mov_b32 s16, s6
	s_clause 0x1
	s_load_dword s6, s[4:5], 0x0
	s_load_dwordx4 s[20:23], s[4:5], 0x8
	s_add_u32 s0, s0, s7
	s_addc_u32 s1, s1, 0
	s_lshl_b32 s4, s16, 11
	v_mov_b32_e32 v40, v0
	s_mov_b32 s32, 0
	s_waitcnt lgkmcnt(0)
	s_sub_i32 s17, s6, s4
	s_mov_b32 s4, -1
	s_cmpk_gt_i32 s17, 0x7ff
	s_cbranch_scc1 .LBB22_3
; %bb.1:
	s_andn2_b32 vcc_lo, exec_lo, s4
	s_cbranch_vccz .LBB22_4
.LBB22_2:
	s_endpgm
.LBB22_3:
	v_mov_b32_e32 v31, v40
	v_mov_b32_e32 v0, s20
	;; [unrolled: 1-line block ×5, first 2 shown]
	s_getpc_b64 s[4:5]
	s_add_u32 s4, s4, _ZN2at6native25elementwise_kernel_helperILb0EZZZNS0_19digamma_kernel_cudaERNS_18TensorIteratorBaseEENKUlvE_clEvENKUlvE1_clEvEUlN3c104HalfEE_NS0_6memory8policies10vectorizedILi8ESt5arrayIPcLm2EELi8EEEEEvT0_T1_@rel32@lo+4
	s_addc_u32 s5, s5, _ZN2at6native25elementwise_kernel_helperILb0EZZZNS0_19digamma_kernel_cudaERNS_18TensorIteratorBaseEENKUlvE_clEvENKUlvE1_clEvEUlN3c104HalfEE_NS0_6memory8policies10vectorizedILi8ESt5arrayIPcLm2EELi8EEEEEvT0_T1_@rel32@hi+12
	s_mov_b32 s12, s16
	s_swappc_b64 s[30:31], s[4:5]
	s_cbranch_execnz .LBB22_2
.LBB22_4:
	v_mov_b32_e32 v31, v40
	v_mov_b32_e32 v0, s20
	v_mov_b32_e32 v1, s21
	v_mov_b32_e32 v2, s22
	v_mov_b32_e32 v3, s23
	v_mov_b32_e32 v4, s17
	s_getpc_b64 s[4:5]
	s_add_u32 s4, s4, _ZN2at6native25elementwise_kernel_helperILb0EZZZNS0_19digamma_kernel_cudaERNS_18TensorIteratorBaseEENKUlvE_clEvENKUlvE1_clEvEUlN3c104HalfEE_NS0_6memory8policies11unroll_baseILi256ESt5arrayIPcLm2EE23TrivialOffsetCalculatorILi1EjESG_NS9_15LoadWithoutCastENS9_16StoreWithoutCastELi8ELi1EEEEEvT0_T1_@rel32@lo+4
	s_addc_u32 s5, s5, _ZN2at6native25elementwise_kernel_helperILb0EZZZNS0_19digamma_kernel_cudaERNS_18TensorIteratorBaseEENKUlvE_clEvENKUlvE1_clEvEUlN3c104HalfEE_NS0_6memory8policies11unroll_baseILi256ESt5arrayIPcLm2EE23TrivialOffsetCalculatorILi1EjESG_NS9_15LoadWithoutCastENS9_16StoreWithoutCastELi8ELi1EEEEEvT0_T1_@rel32@hi+12
	s_mov_b32 s12, s16
	s_swappc_b64 s[30:31], s[4:5]
	s_endpgm
	.section	.rodata,"a",@progbits
	.p2align	6, 0x0
	.amdhsa_kernel _ZN2at6native29vectorized_elementwise_kernelILi16EZZZNS0_19digamma_kernel_cudaERNS_18TensorIteratorBaseEENKUlvE_clEvENKUlvE1_clEvEUlN3c104HalfEE_St5arrayIPcLm2EEEEviT0_T1_
		.amdhsa_group_segment_fixed_size 0
		.amdhsa_private_segment_fixed_size 0
		.amdhsa_kernarg_size 24
		.amdhsa_user_sgpr_count 6
		.amdhsa_user_sgpr_private_segment_buffer 1
		.amdhsa_user_sgpr_dispatch_ptr 0
		.amdhsa_user_sgpr_queue_ptr 0
		.amdhsa_user_sgpr_kernarg_segment_ptr 1
		.amdhsa_user_sgpr_dispatch_id 0
		.amdhsa_user_sgpr_flat_scratch_init 0
		.amdhsa_user_sgpr_private_segment_size 0
		.amdhsa_wavefront_size32 1
		.amdhsa_uses_dynamic_stack 0
		.amdhsa_system_sgpr_private_segment_wavefront_offset 0
		.amdhsa_system_sgpr_workgroup_id_x 1
		.amdhsa_system_sgpr_workgroup_id_y 0
		.amdhsa_system_sgpr_workgroup_id_z 0
		.amdhsa_system_sgpr_workgroup_info 0
		.amdhsa_system_vgpr_workitem_id 0
		.amdhsa_next_free_vgpr 66
		.amdhsa_next_free_sgpr 33
		.amdhsa_reserve_vcc 1
		.amdhsa_reserve_flat_scratch 0
		.amdhsa_float_round_mode_32 0
		.amdhsa_float_round_mode_16_64 0
		.amdhsa_float_denorm_mode_32 3
		.amdhsa_float_denorm_mode_16_64 3
		.amdhsa_dx10_clamp 1
		.amdhsa_ieee_mode 1
		.amdhsa_fp16_overflow 0
		.amdhsa_workgroup_processor_mode 1
		.amdhsa_memory_ordered 1
		.amdhsa_forward_progress 1
		.amdhsa_shared_vgpr_count 0
		.amdhsa_exception_fp_ieee_invalid_op 0
		.amdhsa_exception_fp_denorm_src 0
		.amdhsa_exception_fp_ieee_div_zero 0
		.amdhsa_exception_fp_ieee_overflow 0
		.amdhsa_exception_fp_ieee_underflow 0
		.amdhsa_exception_fp_ieee_inexact 0
		.amdhsa_exception_int_div_zero 0
	.end_amdhsa_kernel
	.section	.text._ZN2at6native29vectorized_elementwise_kernelILi16EZZZNS0_19digamma_kernel_cudaERNS_18TensorIteratorBaseEENKUlvE_clEvENKUlvE1_clEvEUlN3c104HalfEE_St5arrayIPcLm2EEEEviT0_T1_,"axG",@progbits,_ZN2at6native29vectorized_elementwise_kernelILi16EZZZNS0_19digamma_kernel_cudaERNS_18TensorIteratorBaseEENKUlvE_clEvENKUlvE1_clEvEUlN3c104HalfEE_St5arrayIPcLm2EEEEviT0_T1_,comdat
.Lfunc_end22:
	.size	_ZN2at6native29vectorized_elementwise_kernelILi16EZZZNS0_19digamma_kernel_cudaERNS_18TensorIteratorBaseEENKUlvE_clEvENKUlvE1_clEvEUlN3c104HalfEE_St5arrayIPcLm2EEEEviT0_T1_, .Lfunc_end22-_ZN2at6native29vectorized_elementwise_kernelILi16EZZZNS0_19digamma_kernel_cudaERNS_18TensorIteratorBaseEENKUlvE_clEvENKUlvE1_clEvEUlN3c104HalfEE_St5arrayIPcLm2EEEEviT0_T1_
                                        ; -- End function
	.set _ZN2at6native29vectorized_elementwise_kernelILi16EZZZNS0_19digamma_kernel_cudaERNS_18TensorIteratorBaseEENKUlvE_clEvENKUlvE1_clEvEUlN3c104HalfEE_St5arrayIPcLm2EEEEviT0_T1_.num_vgpr, max(41, .L_ZN2at6native25elementwise_kernel_helperILb0EZZZNS0_19digamma_kernel_cudaERNS_18TensorIteratorBaseEENKUlvE_clEvENKUlvE1_clEvEUlN3c104HalfEE_NS0_6memory8policies10vectorizedILi8ESt5arrayIPcLm2EELi8EEEEEvT0_T1_.num_vgpr, .L_ZN2at6native25elementwise_kernel_helperILb0EZZZNS0_19digamma_kernel_cudaERNS_18TensorIteratorBaseEENKUlvE_clEvENKUlvE1_clEvEUlN3c104HalfEE_NS0_6memory8policies11unroll_baseILi256ESt5arrayIPcLm2EE23TrivialOffsetCalculatorILi1EjESG_NS9_15LoadWithoutCastENS9_16StoreWithoutCastELi8ELi1EEEEEvT0_T1_.num_vgpr)
	.set _ZN2at6native29vectorized_elementwise_kernelILi16EZZZNS0_19digamma_kernel_cudaERNS_18TensorIteratorBaseEENKUlvE_clEvENKUlvE1_clEvEUlN3c104HalfEE_St5arrayIPcLm2EEEEviT0_T1_.num_agpr, max(0, .L_ZN2at6native25elementwise_kernel_helperILb0EZZZNS0_19digamma_kernel_cudaERNS_18TensorIteratorBaseEENKUlvE_clEvENKUlvE1_clEvEUlN3c104HalfEE_NS0_6memory8policies10vectorizedILi8ESt5arrayIPcLm2EELi8EEEEEvT0_T1_.num_agpr, .L_ZN2at6native25elementwise_kernel_helperILb0EZZZNS0_19digamma_kernel_cudaERNS_18TensorIteratorBaseEENKUlvE_clEvENKUlvE1_clEvEUlN3c104HalfEE_NS0_6memory8policies11unroll_baseILi256ESt5arrayIPcLm2EE23TrivialOffsetCalculatorILi1EjESG_NS9_15LoadWithoutCastENS9_16StoreWithoutCastELi8ELi1EEEEEvT0_T1_.num_agpr)
	.set _ZN2at6native29vectorized_elementwise_kernelILi16EZZZNS0_19digamma_kernel_cudaERNS_18TensorIteratorBaseEENKUlvE_clEvENKUlvE1_clEvEUlN3c104HalfEE_St5arrayIPcLm2EEEEviT0_T1_.numbered_sgpr, max(33, .L_ZN2at6native25elementwise_kernel_helperILb0EZZZNS0_19digamma_kernel_cudaERNS_18TensorIteratorBaseEENKUlvE_clEvENKUlvE1_clEvEUlN3c104HalfEE_NS0_6memory8policies10vectorizedILi8ESt5arrayIPcLm2EELi8EEEEEvT0_T1_.numbered_sgpr, .L_ZN2at6native25elementwise_kernel_helperILb0EZZZNS0_19digamma_kernel_cudaERNS_18TensorIteratorBaseEENKUlvE_clEvENKUlvE1_clEvEUlN3c104HalfEE_NS0_6memory8policies11unroll_baseILi256ESt5arrayIPcLm2EE23TrivialOffsetCalculatorILi1EjESG_NS9_15LoadWithoutCastENS9_16StoreWithoutCastELi8ELi1EEEEEvT0_T1_.numbered_sgpr)
	.set _ZN2at6native29vectorized_elementwise_kernelILi16EZZZNS0_19digamma_kernel_cudaERNS_18TensorIteratorBaseEENKUlvE_clEvENKUlvE1_clEvEUlN3c104HalfEE_St5arrayIPcLm2EEEEviT0_T1_.num_named_barrier, max(0, .L_ZN2at6native25elementwise_kernel_helperILb0EZZZNS0_19digamma_kernel_cudaERNS_18TensorIteratorBaseEENKUlvE_clEvENKUlvE1_clEvEUlN3c104HalfEE_NS0_6memory8policies10vectorizedILi8ESt5arrayIPcLm2EELi8EEEEEvT0_T1_.num_named_barrier, .L_ZN2at6native25elementwise_kernel_helperILb0EZZZNS0_19digamma_kernel_cudaERNS_18TensorIteratorBaseEENKUlvE_clEvENKUlvE1_clEvEUlN3c104HalfEE_NS0_6memory8policies11unroll_baseILi256ESt5arrayIPcLm2EE23TrivialOffsetCalculatorILi1EjESG_NS9_15LoadWithoutCastENS9_16StoreWithoutCastELi8ELi1EEEEEvT0_T1_.num_named_barrier)
	.set _ZN2at6native29vectorized_elementwise_kernelILi16EZZZNS0_19digamma_kernel_cudaERNS_18TensorIteratorBaseEENKUlvE_clEvENKUlvE1_clEvEUlN3c104HalfEE_St5arrayIPcLm2EEEEviT0_T1_.private_seg_size, 0+max(.L_ZN2at6native25elementwise_kernel_helperILb0EZZZNS0_19digamma_kernel_cudaERNS_18TensorIteratorBaseEENKUlvE_clEvENKUlvE1_clEvEUlN3c104HalfEE_NS0_6memory8policies10vectorizedILi8ESt5arrayIPcLm2EELi8EEEEEvT0_T1_.private_seg_size, .L_ZN2at6native25elementwise_kernel_helperILb0EZZZNS0_19digamma_kernel_cudaERNS_18TensorIteratorBaseEENKUlvE_clEvENKUlvE1_clEvEUlN3c104HalfEE_NS0_6memory8policies11unroll_baseILi256ESt5arrayIPcLm2EE23TrivialOffsetCalculatorILi1EjESG_NS9_15LoadWithoutCastENS9_16StoreWithoutCastELi8ELi1EEEEEvT0_T1_.private_seg_size)
	.set _ZN2at6native29vectorized_elementwise_kernelILi16EZZZNS0_19digamma_kernel_cudaERNS_18TensorIteratorBaseEENKUlvE_clEvENKUlvE1_clEvEUlN3c104HalfEE_St5arrayIPcLm2EEEEviT0_T1_.uses_vcc, or(1, .L_ZN2at6native25elementwise_kernel_helperILb0EZZZNS0_19digamma_kernel_cudaERNS_18TensorIteratorBaseEENKUlvE_clEvENKUlvE1_clEvEUlN3c104HalfEE_NS0_6memory8policies10vectorizedILi8ESt5arrayIPcLm2EELi8EEEEEvT0_T1_.uses_vcc, .L_ZN2at6native25elementwise_kernel_helperILb0EZZZNS0_19digamma_kernel_cudaERNS_18TensorIteratorBaseEENKUlvE_clEvENKUlvE1_clEvEUlN3c104HalfEE_NS0_6memory8policies11unroll_baseILi256ESt5arrayIPcLm2EE23TrivialOffsetCalculatorILi1EjESG_NS9_15LoadWithoutCastENS9_16StoreWithoutCastELi8ELi1EEEEEvT0_T1_.uses_vcc)
	.set _ZN2at6native29vectorized_elementwise_kernelILi16EZZZNS0_19digamma_kernel_cudaERNS_18TensorIteratorBaseEENKUlvE_clEvENKUlvE1_clEvEUlN3c104HalfEE_St5arrayIPcLm2EEEEviT0_T1_.uses_flat_scratch, or(0, .L_ZN2at6native25elementwise_kernel_helperILb0EZZZNS0_19digamma_kernel_cudaERNS_18TensorIteratorBaseEENKUlvE_clEvENKUlvE1_clEvEUlN3c104HalfEE_NS0_6memory8policies10vectorizedILi8ESt5arrayIPcLm2EELi8EEEEEvT0_T1_.uses_flat_scratch, .L_ZN2at6native25elementwise_kernel_helperILb0EZZZNS0_19digamma_kernel_cudaERNS_18TensorIteratorBaseEENKUlvE_clEvENKUlvE1_clEvEUlN3c104HalfEE_NS0_6memory8policies11unroll_baseILi256ESt5arrayIPcLm2EE23TrivialOffsetCalculatorILi1EjESG_NS9_15LoadWithoutCastENS9_16StoreWithoutCastELi8ELi1EEEEEvT0_T1_.uses_flat_scratch)
	.set _ZN2at6native29vectorized_elementwise_kernelILi16EZZZNS0_19digamma_kernel_cudaERNS_18TensorIteratorBaseEENKUlvE_clEvENKUlvE1_clEvEUlN3c104HalfEE_St5arrayIPcLm2EEEEviT0_T1_.has_dyn_sized_stack, or(0, .L_ZN2at6native25elementwise_kernel_helperILb0EZZZNS0_19digamma_kernel_cudaERNS_18TensorIteratorBaseEENKUlvE_clEvENKUlvE1_clEvEUlN3c104HalfEE_NS0_6memory8policies10vectorizedILi8ESt5arrayIPcLm2EELi8EEEEEvT0_T1_.has_dyn_sized_stack, .L_ZN2at6native25elementwise_kernel_helperILb0EZZZNS0_19digamma_kernel_cudaERNS_18TensorIteratorBaseEENKUlvE_clEvENKUlvE1_clEvEUlN3c104HalfEE_NS0_6memory8policies11unroll_baseILi256ESt5arrayIPcLm2EE23TrivialOffsetCalculatorILi1EjESG_NS9_15LoadWithoutCastENS9_16StoreWithoutCastELi8ELi1EEEEEvT0_T1_.has_dyn_sized_stack)
	.set _ZN2at6native29vectorized_elementwise_kernelILi16EZZZNS0_19digamma_kernel_cudaERNS_18TensorIteratorBaseEENKUlvE_clEvENKUlvE1_clEvEUlN3c104HalfEE_St5arrayIPcLm2EEEEviT0_T1_.has_recursion, or(0, .L_ZN2at6native25elementwise_kernel_helperILb0EZZZNS0_19digamma_kernel_cudaERNS_18TensorIteratorBaseEENKUlvE_clEvENKUlvE1_clEvEUlN3c104HalfEE_NS0_6memory8policies10vectorizedILi8ESt5arrayIPcLm2EELi8EEEEEvT0_T1_.has_recursion, .L_ZN2at6native25elementwise_kernel_helperILb0EZZZNS0_19digamma_kernel_cudaERNS_18TensorIteratorBaseEENKUlvE_clEvENKUlvE1_clEvEUlN3c104HalfEE_NS0_6memory8policies11unroll_baseILi256ESt5arrayIPcLm2EE23TrivialOffsetCalculatorILi1EjESG_NS9_15LoadWithoutCastENS9_16StoreWithoutCastELi8ELi1EEEEEvT0_T1_.has_recursion)
	.set _ZN2at6native29vectorized_elementwise_kernelILi16EZZZNS0_19digamma_kernel_cudaERNS_18TensorIteratorBaseEENKUlvE_clEvENKUlvE1_clEvEUlN3c104HalfEE_St5arrayIPcLm2EEEEviT0_T1_.has_indirect_call, or(0, .L_ZN2at6native25elementwise_kernel_helperILb0EZZZNS0_19digamma_kernel_cudaERNS_18TensorIteratorBaseEENKUlvE_clEvENKUlvE1_clEvEUlN3c104HalfEE_NS0_6memory8policies10vectorizedILi8ESt5arrayIPcLm2EELi8EEEEEvT0_T1_.has_indirect_call, .L_ZN2at6native25elementwise_kernel_helperILb0EZZZNS0_19digamma_kernel_cudaERNS_18TensorIteratorBaseEENKUlvE_clEvENKUlvE1_clEvEUlN3c104HalfEE_NS0_6memory8policies11unroll_baseILi256ESt5arrayIPcLm2EE23TrivialOffsetCalculatorILi1EjESG_NS9_15LoadWithoutCastENS9_16StoreWithoutCastELi8ELi1EEEEEvT0_T1_.has_indirect_call)
	.section	.AMDGPU.csdata,"",@progbits
; Kernel info:
; codeLenInByte = 184
; TotalNumSgprs: 35
; NumVgprs: 66
; ScratchSize: 0
; MemoryBound: 0
; FloatMode: 240
; IeeeMode: 1
; LDSByteSize: 0 bytes/workgroup (compile time only)
; SGPRBlocks: 0
; VGPRBlocks: 8
; NumSGPRsForWavesPerEU: 35
; NumVGPRsForWavesPerEU: 66
; Occupancy: 12
; WaveLimiterHint : 0
; COMPUTE_PGM_RSRC2:SCRATCH_EN: 0
; COMPUTE_PGM_RSRC2:USER_SGPR: 6
; COMPUTE_PGM_RSRC2:TRAP_HANDLER: 0
; COMPUTE_PGM_RSRC2:TGID_X_EN: 1
; COMPUTE_PGM_RSRC2:TGID_Y_EN: 0
; COMPUTE_PGM_RSRC2:TGID_Z_EN: 0
; COMPUTE_PGM_RSRC2:TIDIG_COMP_CNT: 0
	.section	.text._ZN2at6native29vectorized_elementwise_kernelILi8EZZZNS0_19digamma_kernel_cudaERNS_18TensorIteratorBaseEENKUlvE_clEvENKUlvE1_clEvEUlN3c104HalfEE_St5arrayIPcLm2EEEEviT0_T1_,"axG",@progbits,_ZN2at6native29vectorized_elementwise_kernelILi8EZZZNS0_19digamma_kernel_cudaERNS_18TensorIteratorBaseEENKUlvE_clEvENKUlvE1_clEvEUlN3c104HalfEE_St5arrayIPcLm2EEEEviT0_T1_,comdat
	.globl	_ZN2at6native29vectorized_elementwise_kernelILi8EZZZNS0_19digamma_kernel_cudaERNS_18TensorIteratorBaseEENKUlvE_clEvENKUlvE1_clEvEUlN3c104HalfEE_St5arrayIPcLm2EEEEviT0_T1_ ; -- Begin function _ZN2at6native29vectorized_elementwise_kernelILi8EZZZNS0_19digamma_kernel_cudaERNS_18TensorIteratorBaseEENKUlvE_clEvENKUlvE1_clEvEUlN3c104HalfEE_St5arrayIPcLm2EEEEviT0_T1_
	.p2align	8
	.type	_ZN2at6native29vectorized_elementwise_kernelILi8EZZZNS0_19digamma_kernel_cudaERNS_18TensorIteratorBaseEENKUlvE_clEvENKUlvE1_clEvEUlN3c104HalfEE_St5arrayIPcLm2EEEEviT0_T1_,@function
_ZN2at6native29vectorized_elementwise_kernelILi8EZZZNS0_19digamma_kernel_cudaERNS_18TensorIteratorBaseEENKUlvE_clEvENKUlvE1_clEvEUlN3c104HalfEE_St5arrayIPcLm2EEEEviT0_T1_: ; @_ZN2at6native29vectorized_elementwise_kernelILi8EZZZNS0_19digamma_kernel_cudaERNS_18TensorIteratorBaseEENKUlvE_clEvENKUlvE1_clEvEUlN3c104HalfEE_St5arrayIPcLm2EEEEviT0_T1_
; %bb.0:
	s_mov_b32 s16, s6
	s_clause 0x1
	s_load_dword s6, s[4:5], 0x0
	s_load_dwordx4 s[20:23], s[4:5], 0x8
	s_add_u32 s0, s0, s7
	s_addc_u32 s1, s1, 0
	s_lshl_b32 s4, s16, 11
	v_mov_b32_e32 v40, v0
	s_mov_b32 s32, 0
	s_waitcnt lgkmcnt(0)
	s_sub_i32 s17, s6, s4
	s_mov_b32 s4, -1
	s_cmpk_gt_i32 s17, 0x7ff
	s_cbranch_scc1 .LBB23_3
; %bb.1:
	s_andn2_b32 vcc_lo, exec_lo, s4
	s_cbranch_vccz .LBB23_4
.LBB23_2:
	s_endpgm
.LBB23_3:
	v_mov_b32_e32 v31, v40
	v_mov_b32_e32 v0, s20
	;; [unrolled: 1-line block ×5, first 2 shown]
	s_getpc_b64 s[4:5]
	s_add_u32 s4, s4, _ZN2at6native25elementwise_kernel_helperILb0EZZZNS0_19digamma_kernel_cudaERNS_18TensorIteratorBaseEENKUlvE_clEvENKUlvE1_clEvEUlN3c104HalfEE_NS0_6memory8policies10vectorizedILi8ESt5arrayIPcLm2EELi8EEEEEvT0_T1_@rel32@lo+4
	s_addc_u32 s5, s5, _ZN2at6native25elementwise_kernel_helperILb0EZZZNS0_19digamma_kernel_cudaERNS_18TensorIteratorBaseEENKUlvE_clEvENKUlvE1_clEvEUlN3c104HalfEE_NS0_6memory8policies10vectorizedILi8ESt5arrayIPcLm2EELi8EEEEEvT0_T1_@rel32@hi+12
	s_mov_b32 s12, s16
	s_swappc_b64 s[30:31], s[4:5]
	s_cbranch_execnz .LBB23_2
.LBB23_4:
	v_mov_b32_e32 v31, v40
	v_mov_b32_e32 v0, s20
	;; [unrolled: 1-line block ×6, first 2 shown]
	s_getpc_b64 s[4:5]
	s_add_u32 s4, s4, _ZN2at6native25elementwise_kernel_helperILb0EZZZNS0_19digamma_kernel_cudaERNS_18TensorIteratorBaseEENKUlvE_clEvENKUlvE1_clEvEUlN3c104HalfEE_NS0_6memory8policies11unroll_baseILi256ESt5arrayIPcLm2EE23TrivialOffsetCalculatorILi1EjESG_NS9_15LoadWithoutCastENS9_16StoreWithoutCastELi8ELi1EEEEEvT0_T1_@rel32@lo+4
	s_addc_u32 s5, s5, _ZN2at6native25elementwise_kernel_helperILb0EZZZNS0_19digamma_kernel_cudaERNS_18TensorIteratorBaseEENKUlvE_clEvENKUlvE1_clEvEUlN3c104HalfEE_NS0_6memory8policies11unroll_baseILi256ESt5arrayIPcLm2EE23TrivialOffsetCalculatorILi1EjESG_NS9_15LoadWithoutCastENS9_16StoreWithoutCastELi8ELi1EEEEEvT0_T1_@rel32@hi+12
	s_mov_b32 s12, s16
	s_swappc_b64 s[30:31], s[4:5]
	s_endpgm
	.section	.rodata,"a",@progbits
	.p2align	6, 0x0
	.amdhsa_kernel _ZN2at6native29vectorized_elementwise_kernelILi8EZZZNS0_19digamma_kernel_cudaERNS_18TensorIteratorBaseEENKUlvE_clEvENKUlvE1_clEvEUlN3c104HalfEE_St5arrayIPcLm2EEEEviT0_T1_
		.amdhsa_group_segment_fixed_size 0
		.amdhsa_private_segment_fixed_size 0
		.amdhsa_kernarg_size 24
		.amdhsa_user_sgpr_count 6
		.amdhsa_user_sgpr_private_segment_buffer 1
		.amdhsa_user_sgpr_dispatch_ptr 0
		.amdhsa_user_sgpr_queue_ptr 0
		.amdhsa_user_sgpr_kernarg_segment_ptr 1
		.amdhsa_user_sgpr_dispatch_id 0
		.amdhsa_user_sgpr_flat_scratch_init 0
		.amdhsa_user_sgpr_private_segment_size 0
		.amdhsa_wavefront_size32 1
		.amdhsa_uses_dynamic_stack 0
		.amdhsa_system_sgpr_private_segment_wavefront_offset 0
		.amdhsa_system_sgpr_workgroup_id_x 1
		.amdhsa_system_sgpr_workgroup_id_y 0
		.amdhsa_system_sgpr_workgroup_id_z 0
		.amdhsa_system_sgpr_workgroup_info 0
		.amdhsa_system_vgpr_workitem_id 0
		.amdhsa_next_free_vgpr 66
		.amdhsa_next_free_sgpr 33
		.amdhsa_reserve_vcc 1
		.amdhsa_reserve_flat_scratch 0
		.amdhsa_float_round_mode_32 0
		.amdhsa_float_round_mode_16_64 0
		.amdhsa_float_denorm_mode_32 3
		.amdhsa_float_denorm_mode_16_64 3
		.amdhsa_dx10_clamp 1
		.amdhsa_ieee_mode 1
		.amdhsa_fp16_overflow 0
		.amdhsa_workgroup_processor_mode 1
		.amdhsa_memory_ordered 1
		.amdhsa_forward_progress 1
		.amdhsa_shared_vgpr_count 0
		.amdhsa_exception_fp_ieee_invalid_op 0
		.amdhsa_exception_fp_denorm_src 0
		.amdhsa_exception_fp_ieee_div_zero 0
		.amdhsa_exception_fp_ieee_overflow 0
		.amdhsa_exception_fp_ieee_underflow 0
		.amdhsa_exception_fp_ieee_inexact 0
		.amdhsa_exception_int_div_zero 0
	.end_amdhsa_kernel
	.section	.text._ZN2at6native29vectorized_elementwise_kernelILi8EZZZNS0_19digamma_kernel_cudaERNS_18TensorIteratorBaseEENKUlvE_clEvENKUlvE1_clEvEUlN3c104HalfEE_St5arrayIPcLm2EEEEviT0_T1_,"axG",@progbits,_ZN2at6native29vectorized_elementwise_kernelILi8EZZZNS0_19digamma_kernel_cudaERNS_18TensorIteratorBaseEENKUlvE_clEvENKUlvE1_clEvEUlN3c104HalfEE_St5arrayIPcLm2EEEEviT0_T1_,comdat
.Lfunc_end23:
	.size	_ZN2at6native29vectorized_elementwise_kernelILi8EZZZNS0_19digamma_kernel_cudaERNS_18TensorIteratorBaseEENKUlvE_clEvENKUlvE1_clEvEUlN3c104HalfEE_St5arrayIPcLm2EEEEviT0_T1_, .Lfunc_end23-_ZN2at6native29vectorized_elementwise_kernelILi8EZZZNS0_19digamma_kernel_cudaERNS_18TensorIteratorBaseEENKUlvE_clEvENKUlvE1_clEvEUlN3c104HalfEE_St5arrayIPcLm2EEEEviT0_T1_
                                        ; -- End function
	.set _ZN2at6native29vectorized_elementwise_kernelILi8EZZZNS0_19digamma_kernel_cudaERNS_18TensorIteratorBaseEENKUlvE_clEvENKUlvE1_clEvEUlN3c104HalfEE_St5arrayIPcLm2EEEEviT0_T1_.num_vgpr, max(41, .L_ZN2at6native25elementwise_kernel_helperILb0EZZZNS0_19digamma_kernel_cudaERNS_18TensorIteratorBaseEENKUlvE_clEvENKUlvE1_clEvEUlN3c104HalfEE_NS0_6memory8policies10vectorizedILi8ESt5arrayIPcLm2EELi8EEEEEvT0_T1_.num_vgpr, .L_ZN2at6native25elementwise_kernel_helperILb0EZZZNS0_19digamma_kernel_cudaERNS_18TensorIteratorBaseEENKUlvE_clEvENKUlvE1_clEvEUlN3c104HalfEE_NS0_6memory8policies11unroll_baseILi256ESt5arrayIPcLm2EE23TrivialOffsetCalculatorILi1EjESG_NS9_15LoadWithoutCastENS9_16StoreWithoutCastELi8ELi1EEEEEvT0_T1_.num_vgpr)
	.set _ZN2at6native29vectorized_elementwise_kernelILi8EZZZNS0_19digamma_kernel_cudaERNS_18TensorIteratorBaseEENKUlvE_clEvENKUlvE1_clEvEUlN3c104HalfEE_St5arrayIPcLm2EEEEviT0_T1_.num_agpr, max(0, .L_ZN2at6native25elementwise_kernel_helperILb0EZZZNS0_19digamma_kernel_cudaERNS_18TensorIteratorBaseEENKUlvE_clEvENKUlvE1_clEvEUlN3c104HalfEE_NS0_6memory8policies10vectorizedILi8ESt5arrayIPcLm2EELi8EEEEEvT0_T1_.num_agpr, .L_ZN2at6native25elementwise_kernel_helperILb0EZZZNS0_19digamma_kernel_cudaERNS_18TensorIteratorBaseEENKUlvE_clEvENKUlvE1_clEvEUlN3c104HalfEE_NS0_6memory8policies11unroll_baseILi256ESt5arrayIPcLm2EE23TrivialOffsetCalculatorILi1EjESG_NS9_15LoadWithoutCastENS9_16StoreWithoutCastELi8ELi1EEEEEvT0_T1_.num_agpr)
	.set _ZN2at6native29vectorized_elementwise_kernelILi8EZZZNS0_19digamma_kernel_cudaERNS_18TensorIteratorBaseEENKUlvE_clEvENKUlvE1_clEvEUlN3c104HalfEE_St5arrayIPcLm2EEEEviT0_T1_.numbered_sgpr, max(33, .L_ZN2at6native25elementwise_kernel_helperILb0EZZZNS0_19digamma_kernel_cudaERNS_18TensorIteratorBaseEENKUlvE_clEvENKUlvE1_clEvEUlN3c104HalfEE_NS0_6memory8policies10vectorizedILi8ESt5arrayIPcLm2EELi8EEEEEvT0_T1_.numbered_sgpr, .L_ZN2at6native25elementwise_kernel_helperILb0EZZZNS0_19digamma_kernel_cudaERNS_18TensorIteratorBaseEENKUlvE_clEvENKUlvE1_clEvEUlN3c104HalfEE_NS0_6memory8policies11unroll_baseILi256ESt5arrayIPcLm2EE23TrivialOffsetCalculatorILi1EjESG_NS9_15LoadWithoutCastENS9_16StoreWithoutCastELi8ELi1EEEEEvT0_T1_.numbered_sgpr)
	.set _ZN2at6native29vectorized_elementwise_kernelILi8EZZZNS0_19digamma_kernel_cudaERNS_18TensorIteratorBaseEENKUlvE_clEvENKUlvE1_clEvEUlN3c104HalfEE_St5arrayIPcLm2EEEEviT0_T1_.num_named_barrier, max(0, .L_ZN2at6native25elementwise_kernel_helperILb0EZZZNS0_19digamma_kernel_cudaERNS_18TensorIteratorBaseEENKUlvE_clEvENKUlvE1_clEvEUlN3c104HalfEE_NS0_6memory8policies10vectorizedILi8ESt5arrayIPcLm2EELi8EEEEEvT0_T1_.num_named_barrier, .L_ZN2at6native25elementwise_kernel_helperILb0EZZZNS0_19digamma_kernel_cudaERNS_18TensorIteratorBaseEENKUlvE_clEvENKUlvE1_clEvEUlN3c104HalfEE_NS0_6memory8policies11unroll_baseILi256ESt5arrayIPcLm2EE23TrivialOffsetCalculatorILi1EjESG_NS9_15LoadWithoutCastENS9_16StoreWithoutCastELi8ELi1EEEEEvT0_T1_.num_named_barrier)
	.set _ZN2at6native29vectorized_elementwise_kernelILi8EZZZNS0_19digamma_kernel_cudaERNS_18TensorIteratorBaseEENKUlvE_clEvENKUlvE1_clEvEUlN3c104HalfEE_St5arrayIPcLm2EEEEviT0_T1_.private_seg_size, 0+max(.L_ZN2at6native25elementwise_kernel_helperILb0EZZZNS0_19digamma_kernel_cudaERNS_18TensorIteratorBaseEENKUlvE_clEvENKUlvE1_clEvEUlN3c104HalfEE_NS0_6memory8policies10vectorizedILi8ESt5arrayIPcLm2EELi8EEEEEvT0_T1_.private_seg_size, .L_ZN2at6native25elementwise_kernel_helperILb0EZZZNS0_19digamma_kernel_cudaERNS_18TensorIteratorBaseEENKUlvE_clEvENKUlvE1_clEvEUlN3c104HalfEE_NS0_6memory8policies11unroll_baseILi256ESt5arrayIPcLm2EE23TrivialOffsetCalculatorILi1EjESG_NS9_15LoadWithoutCastENS9_16StoreWithoutCastELi8ELi1EEEEEvT0_T1_.private_seg_size)
	.set _ZN2at6native29vectorized_elementwise_kernelILi8EZZZNS0_19digamma_kernel_cudaERNS_18TensorIteratorBaseEENKUlvE_clEvENKUlvE1_clEvEUlN3c104HalfEE_St5arrayIPcLm2EEEEviT0_T1_.uses_vcc, or(1, .L_ZN2at6native25elementwise_kernel_helperILb0EZZZNS0_19digamma_kernel_cudaERNS_18TensorIteratorBaseEENKUlvE_clEvENKUlvE1_clEvEUlN3c104HalfEE_NS0_6memory8policies10vectorizedILi8ESt5arrayIPcLm2EELi8EEEEEvT0_T1_.uses_vcc, .L_ZN2at6native25elementwise_kernel_helperILb0EZZZNS0_19digamma_kernel_cudaERNS_18TensorIteratorBaseEENKUlvE_clEvENKUlvE1_clEvEUlN3c104HalfEE_NS0_6memory8policies11unroll_baseILi256ESt5arrayIPcLm2EE23TrivialOffsetCalculatorILi1EjESG_NS9_15LoadWithoutCastENS9_16StoreWithoutCastELi8ELi1EEEEEvT0_T1_.uses_vcc)
	.set _ZN2at6native29vectorized_elementwise_kernelILi8EZZZNS0_19digamma_kernel_cudaERNS_18TensorIteratorBaseEENKUlvE_clEvENKUlvE1_clEvEUlN3c104HalfEE_St5arrayIPcLm2EEEEviT0_T1_.uses_flat_scratch, or(0, .L_ZN2at6native25elementwise_kernel_helperILb0EZZZNS0_19digamma_kernel_cudaERNS_18TensorIteratorBaseEENKUlvE_clEvENKUlvE1_clEvEUlN3c104HalfEE_NS0_6memory8policies10vectorizedILi8ESt5arrayIPcLm2EELi8EEEEEvT0_T1_.uses_flat_scratch, .L_ZN2at6native25elementwise_kernel_helperILb0EZZZNS0_19digamma_kernel_cudaERNS_18TensorIteratorBaseEENKUlvE_clEvENKUlvE1_clEvEUlN3c104HalfEE_NS0_6memory8policies11unroll_baseILi256ESt5arrayIPcLm2EE23TrivialOffsetCalculatorILi1EjESG_NS9_15LoadWithoutCastENS9_16StoreWithoutCastELi8ELi1EEEEEvT0_T1_.uses_flat_scratch)
	.set _ZN2at6native29vectorized_elementwise_kernelILi8EZZZNS0_19digamma_kernel_cudaERNS_18TensorIteratorBaseEENKUlvE_clEvENKUlvE1_clEvEUlN3c104HalfEE_St5arrayIPcLm2EEEEviT0_T1_.has_dyn_sized_stack, or(0, .L_ZN2at6native25elementwise_kernel_helperILb0EZZZNS0_19digamma_kernel_cudaERNS_18TensorIteratorBaseEENKUlvE_clEvENKUlvE1_clEvEUlN3c104HalfEE_NS0_6memory8policies10vectorizedILi8ESt5arrayIPcLm2EELi8EEEEEvT0_T1_.has_dyn_sized_stack, .L_ZN2at6native25elementwise_kernel_helperILb0EZZZNS0_19digamma_kernel_cudaERNS_18TensorIteratorBaseEENKUlvE_clEvENKUlvE1_clEvEUlN3c104HalfEE_NS0_6memory8policies11unroll_baseILi256ESt5arrayIPcLm2EE23TrivialOffsetCalculatorILi1EjESG_NS9_15LoadWithoutCastENS9_16StoreWithoutCastELi8ELi1EEEEEvT0_T1_.has_dyn_sized_stack)
	.set _ZN2at6native29vectorized_elementwise_kernelILi8EZZZNS0_19digamma_kernel_cudaERNS_18TensorIteratorBaseEENKUlvE_clEvENKUlvE1_clEvEUlN3c104HalfEE_St5arrayIPcLm2EEEEviT0_T1_.has_recursion, or(0, .L_ZN2at6native25elementwise_kernel_helperILb0EZZZNS0_19digamma_kernel_cudaERNS_18TensorIteratorBaseEENKUlvE_clEvENKUlvE1_clEvEUlN3c104HalfEE_NS0_6memory8policies10vectorizedILi8ESt5arrayIPcLm2EELi8EEEEEvT0_T1_.has_recursion, .L_ZN2at6native25elementwise_kernel_helperILb0EZZZNS0_19digamma_kernel_cudaERNS_18TensorIteratorBaseEENKUlvE_clEvENKUlvE1_clEvEUlN3c104HalfEE_NS0_6memory8policies11unroll_baseILi256ESt5arrayIPcLm2EE23TrivialOffsetCalculatorILi1EjESG_NS9_15LoadWithoutCastENS9_16StoreWithoutCastELi8ELi1EEEEEvT0_T1_.has_recursion)
	.set _ZN2at6native29vectorized_elementwise_kernelILi8EZZZNS0_19digamma_kernel_cudaERNS_18TensorIteratorBaseEENKUlvE_clEvENKUlvE1_clEvEUlN3c104HalfEE_St5arrayIPcLm2EEEEviT0_T1_.has_indirect_call, or(0, .L_ZN2at6native25elementwise_kernel_helperILb0EZZZNS0_19digamma_kernel_cudaERNS_18TensorIteratorBaseEENKUlvE_clEvENKUlvE1_clEvEUlN3c104HalfEE_NS0_6memory8policies10vectorizedILi8ESt5arrayIPcLm2EELi8EEEEEvT0_T1_.has_indirect_call, .L_ZN2at6native25elementwise_kernel_helperILb0EZZZNS0_19digamma_kernel_cudaERNS_18TensorIteratorBaseEENKUlvE_clEvENKUlvE1_clEvEUlN3c104HalfEE_NS0_6memory8policies11unroll_baseILi256ESt5arrayIPcLm2EE23TrivialOffsetCalculatorILi1EjESG_NS9_15LoadWithoutCastENS9_16StoreWithoutCastELi8ELi1EEEEEvT0_T1_.has_indirect_call)
	.section	.AMDGPU.csdata,"",@progbits
; Kernel info:
; codeLenInByte = 184
; TotalNumSgprs: 35
; NumVgprs: 66
; ScratchSize: 0
; MemoryBound: 0
; FloatMode: 240
; IeeeMode: 1
; LDSByteSize: 0 bytes/workgroup (compile time only)
; SGPRBlocks: 0
; VGPRBlocks: 8
; NumSGPRsForWavesPerEU: 35
; NumVGPRsForWavesPerEU: 66
; Occupancy: 12
; WaveLimiterHint : 0
; COMPUTE_PGM_RSRC2:SCRATCH_EN: 0
; COMPUTE_PGM_RSRC2:USER_SGPR: 6
; COMPUTE_PGM_RSRC2:TRAP_HANDLER: 0
; COMPUTE_PGM_RSRC2:TGID_X_EN: 1
; COMPUTE_PGM_RSRC2:TGID_Y_EN: 0
; COMPUTE_PGM_RSRC2:TGID_Z_EN: 0
; COMPUTE_PGM_RSRC2:TIDIG_COMP_CNT: 0
	.section	.text._ZN2at6native29vectorized_elementwise_kernelILi4EZZZNS0_19digamma_kernel_cudaERNS_18TensorIteratorBaseEENKUlvE_clEvENKUlvE1_clEvEUlN3c104HalfEE_St5arrayIPcLm2EEEEviT0_T1_,"axG",@progbits,_ZN2at6native29vectorized_elementwise_kernelILi4EZZZNS0_19digamma_kernel_cudaERNS_18TensorIteratorBaseEENKUlvE_clEvENKUlvE1_clEvEUlN3c104HalfEE_St5arrayIPcLm2EEEEviT0_T1_,comdat
	.globl	_ZN2at6native29vectorized_elementwise_kernelILi4EZZZNS0_19digamma_kernel_cudaERNS_18TensorIteratorBaseEENKUlvE_clEvENKUlvE1_clEvEUlN3c104HalfEE_St5arrayIPcLm2EEEEviT0_T1_ ; -- Begin function _ZN2at6native29vectorized_elementwise_kernelILi4EZZZNS0_19digamma_kernel_cudaERNS_18TensorIteratorBaseEENKUlvE_clEvENKUlvE1_clEvEUlN3c104HalfEE_St5arrayIPcLm2EEEEviT0_T1_
	.p2align	8
	.type	_ZN2at6native29vectorized_elementwise_kernelILi4EZZZNS0_19digamma_kernel_cudaERNS_18TensorIteratorBaseEENKUlvE_clEvENKUlvE1_clEvEUlN3c104HalfEE_St5arrayIPcLm2EEEEviT0_T1_,@function
_ZN2at6native29vectorized_elementwise_kernelILi4EZZZNS0_19digamma_kernel_cudaERNS_18TensorIteratorBaseEENKUlvE_clEvENKUlvE1_clEvEUlN3c104HalfEE_St5arrayIPcLm2EEEEviT0_T1_: ; @_ZN2at6native29vectorized_elementwise_kernelILi4EZZZNS0_19digamma_kernel_cudaERNS_18TensorIteratorBaseEENKUlvE_clEvENKUlvE1_clEvEUlN3c104HalfEE_St5arrayIPcLm2EEEEviT0_T1_
; %bb.0:
	s_add_u32 s0, s0, s7
	s_clause 0x1
	s_load_dword s7, s[4:5], 0x0
	s_load_dwordx4 s[8:11], s[4:5], 0x8
	s_addc_u32 s1, s1, 0
	s_lshl_b32 s4, s6, 11
	s_mov_b32 s5, -1
	s_mov_b32 s32, 0
	s_waitcnt lgkmcnt(0)
	s_sub_i32 s7, s7, s4
	s_cmpk_gt_i32 s7, 0x7ff
	s_cbranch_scc1 .LBB24_3
; %bb.1:
	s_and_b32 vcc_lo, exec_lo, s5
	s_cbranch_vccnz .LBB24_196
.LBB24_2:
	s_endpgm
.LBB24_3:
	s_ashr_i32 s5, s4, 31
	v_lshlrev_b32_e32 v11, 3, v0
	s_lshl_b64 s[12:13], s[4:5], 1
	v_mov_b32_e32 v5, 0
	s_add_u32 s4, s10, s12
	s_addc_u32 s5, s11, s13
	v_add_co_u32 v1, s14, s4, v11
	v_add_co_ci_u32_e64 v2, null, s5, 0, s14
	global_load_dwordx2 v[3:4], v11, s[4:5]
	v_add_co_u32 v1, vcc_lo, 0x800, v1
	v_add_co_ci_u32_e64 v2, null, 0, v2, vcc_lo
                                        ; implicit-def: $vgpr12
	global_load_dwordx2 v[1:2], v[1:2], off
	s_mov_b32 s4, exec_lo
	s_waitcnt vmcnt(1)
	v_cvt_f32_f16_e32 v13, v3
	v_cmpx_neq_f16_e32 0, v3
	s_xor_b32 s14, exec_lo, s4
	s_cbranch_execz .LBB24_25
; %bb.4:
	s_mov_b32 s4, -1
	s_mov_b32 s15, exec_lo
	v_cmpx_gt_f16_e32 0, v3
	s_cbranch_execz .LBB24_12
; %bb.5:
	v_trunc_f32_e32 v5, v13
	s_mov_b32 s5, 0
	v_cmp_neq_f32_e32 vcc_lo, v5, v13
	v_mov_b32_e32 v5, 0
	s_and_saveexec_b32 s16, vcc_lo
	s_cbranch_execz .LBB24_11
; %bb.6:
	v_cvt_f32_f16_e32 v5, v3
	s_mov_b32 s5, 0xc00921fb
	s_mov_b32 s4, 0x54442d18
	s_mov_b32 s17, exec_lo
                                        ; implicit-def: $vgpr12
                                        ; implicit-def: $vgpr9_vgpr10
	v_cvt_f64_f32_e32 v[5:6], v5
	v_trunc_f64_e32 v[7:8], v[5:6]
	v_cmp_neq_f64_e64 vcc_lo, 0x7ff00000, |v[5:6]|
	v_add_f64 v[7:8], v[5:6], -v[7:8]
	v_mul_f64 v[7:8], |v[7:8]|, s[4:5]
	v_cndmask_b32_e32 v6, 0x80000000, v8, vcc_lo
	v_cndmask_b32_e32 v5, 0, v7, vcc_lo
                                        ; implicit-def: $vgpr7_vgpr8
	v_cmpx_ngt_f64_e64 0x41d00000, |v[5:6]|
	s_xor_b32 s17, exec_lo, s17
	s_cbranch_execz .LBB24_8
; %bb.7:
	v_ldexp_f64 v[7:8], |v[5:6]|, 0xffffff80
	v_cmp_le_f64_e64 vcc_lo, 0x7b000000, |v[5:6]|
	v_trig_preop_f64 v[9:10], |v[5:6]|, 0
	v_and_b32_e32 v12, 0x7fffffff, v6
	v_trig_preop_f64 v[14:15], |v[5:6]|, 1
	v_trig_preop_f64 v[24:25], |v[5:6]|, 2
	v_mov_b32_e32 v32, 0
	s_mov_b32 s5, 0x3ff921fb
	s_mov_b32 s18, 0x33145c07
	;; [unrolled: 1-line block ×3, first 2 shown]
	v_cndmask_b32_e32 v8, v12, v8, vcc_lo
	v_cndmask_b32_e32 v7, v5, v7, vcc_lo
	v_mul_f64 v[16:17], v[9:10], v[7:8]
	v_mul_f64 v[18:19], v[14:15], v[7:8]
	;; [unrolled: 1-line block ×3, first 2 shown]
	v_fma_f64 v[9:10], v[9:10], v[7:8], -v[16:17]
	v_fma_f64 v[14:15], v[14:15], v[7:8], -v[18:19]
	v_fma_f64 v[7:8], v[24:25], v[7:8], -v[30:31]
	v_add_f64 v[20:21], v[18:19], v[9:10]
	v_add_f64 v[22:23], v[20:21], -v[18:19]
	v_add_f64 v[28:29], v[16:17], v[20:21]
	v_add_f64 v[26:27], v[20:21], -v[22:23]
	v_add_f64 v[9:10], v[9:10], -v[22:23]
	v_ldexp_f64 v[22:23], v[28:29], -2
	v_add_f64 v[16:17], v[28:29], -v[16:17]
	v_add_f64 v[18:19], v[18:19], -v[26:27]
	v_add_f64 v[26:27], v[30:31], v[14:15]
	v_cmp_neq_f64_e64 vcc_lo, 0x7ff00000, |v[22:23]|
	v_add_f64 v[16:17], v[20:21], -v[16:17]
	v_add_f64 v[9:10], v[9:10], v[18:19]
	v_fract_f64_e32 v[18:19], v[22:23]
	v_add_f64 v[20:21], v[26:27], v[9:10]
	v_ldexp_f64 v[18:19], v[18:19], 2
	v_add_f64 v[22:23], v[16:17], v[20:21]
	v_cndmask_b32_e32 v19, 0, v19, vcc_lo
	v_cndmask_b32_e32 v18, 0, v18, vcc_lo
	v_add_f64 v[28:29], v[22:23], v[18:19]
	v_add_f64 v[16:17], v[22:23], -v[16:17]
	v_cmp_gt_f64_e32 vcc_lo, 0, v[28:29]
	v_add_f64 v[28:29], v[26:27], -v[30:31]
	v_add_f64 v[16:17], v[20:21], -v[16:17]
	v_cndmask_b32_e64 v33, 0, 0x40100000, vcc_lo
	v_add_f64 v[37:38], v[26:27], -v[28:29]
	v_add_f64 v[14:15], v[14:15], -v[28:29]
	v_add_f64 v[18:19], v[18:19], v[32:33]
	v_add_f64 v[33:34], v[20:21], -v[26:27]
	v_add_f64 v[28:29], v[30:31], -v[37:38]
	v_add_f64 v[35:36], v[22:23], v[18:19]
	;; [unrolled: 3-line block ×3, first 2 shown]
	v_cvt_i32_f64_e32 v12, v[35:36]
	v_add_f64 v[26:27], v[26:27], -v[39:40]
	v_cvt_f64_i32_e32 v[33:34], v12
	v_add_f64 v[9:10], v[9:10], v[26:27]
	v_add_f64 v[18:19], v[18:19], -v[33:34]
	v_add_f64 v[9:10], v[14:15], v[9:10]
	v_add_f64 v[14:15], v[22:23], v[18:19]
	;; [unrolled: 1-line block ×3, first 2 shown]
	v_add_f64 v[9:10], v[14:15], -v[18:19]
	v_cmp_le_f64_e32 vcc_lo, 0.5, v[14:15]
	v_add_f64 v[7:8], v[16:17], v[7:8]
	v_add_f64 v[9:10], v[22:23], -v[9:10]
	v_cndmask_b32_e64 v33, 0, 0x3ff00000, vcc_lo
	v_add_co_ci_u32_e64 v12, null, 0, v12, vcc_lo
	v_add_f64 v[7:8], v[7:8], v[9:10]
	v_add_f64 v[9:10], v[14:15], -v[32:33]
	v_add_f64 v[14:15], v[9:10], v[7:8]
	v_mul_f64 v[16:17], v[14:15], s[4:5]
	v_add_f64 v[9:10], v[14:15], -v[9:10]
	v_fma_f64 v[18:19], v[14:15], s[4:5], -v[16:17]
	v_add_f64 v[7:8], v[7:8], -v[9:10]
	v_fma_f64 v[9:10], v[14:15], s[18:19], v[18:19]
	v_fma_f64 v[9:10], v[7:8], s[4:5], v[9:10]
	v_add_f64 v[7:8], v[16:17], v[9:10]
	v_add_f64 v[14:15], v[7:8], -v[16:17]
	v_add_f64 v[9:10], v[9:10], -v[14:15]
.LBB24_8:
	s_andn2_saveexec_b32 s4, s17
	s_cbranch_execz .LBB24_10
; %bb.9:
	s_mov_b32 s18, 0x6dc9c883
	s_mov_b32 s19, 0x3fe45f30
	;; [unrolled: 1-line block ×3, first 2 shown]
	v_mul_f64 v[7:8], |v[5:6]|, s[18:19]
	s_mov_b32 s18, 0x54442d18
	s_mov_b32 s19, 0xbff921fb
	;; [unrolled: 1-line block ×3, first 2 shown]
	v_rndne_f64_e32 v[14:15], v[7:8]
	v_fma_f64 v[7:8], v[14:15], s[18:19], |v[5:6]|
	v_mul_f64 v[9:10], v[14:15], s[20:21]
	s_mov_b32 s18, 0x252049c0
	s_mov_b32 s19, 0xb97b839a
	v_cvt_i32_f64_e32 v12, v[14:15]
	v_fma_f64 v[18:19], v[14:15], s[20:21], v[7:8]
	v_add_f64 v[16:17], v[7:8], v[9:10]
	s_mov_b32 s21, 0x3c91a626
	v_add_f64 v[7:8], v[7:8], -v[16:17]
	v_add_f64 v[16:17], v[16:17], -v[18:19]
	v_add_f64 v[7:8], v[7:8], v[9:10]
	v_fma_f64 v[9:10], v[14:15], s[20:21], v[9:10]
	v_add_f64 v[7:8], v[16:17], v[7:8]
	v_add_f64 v[7:8], v[7:8], -v[9:10]
	v_fma_f64 v[9:10], v[14:15], s[18:19], v[7:8]
	v_add_f64 v[7:8], v[18:19], v[9:10]
	v_add_f64 v[16:17], v[7:8], -v[18:19]
	v_add_f64 v[9:10], v[9:10], -v[16:17]
.LBB24_10:
	s_or_b32 exec_lo, exec_lo, s4
	v_mul_f64 v[14:15], v[7:8], v[7:8]
	v_add_f64 v[16:17], v[9:10], v[9:10]
	s_mov_b32 s18, 0xa9a29f71
	s_mov_b32 s20, 0xc751c08c
	;; [unrolled: 1-line block ×4, first 2 shown]
	v_cmp_class_f64_e64 s4, v[5:6], 0x1f8
	v_and_b32_e32 v12, 1, v12
	v_and_b32_e32 v6, 0x80000000, v6
	v_sub_f32_e32 v13, 1.0, v13
	s_mov_b32 s5, exec_lo
	v_cmp_eq_u32_e32 vcc_lo, 0, v12
	v_fma_f64 v[18:19], v[7:8], v[7:8], -v[14:15]
	v_fma_f64 v[16:17], v[7:8], v[16:17], v[18:19]
	v_add_f64 v[14:15], v[14:15], v[16:17]
	v_fma_f64 v[16:17], v[14:15], s[20:21], s[18:19]
	s_mov_b32 s18, 0x90a8aae0
	s_mov_b32 s19, 0x3f17746f
	v_fma_f64 v[16:17], v[14:15], v[16:17], s[18:19]
	s_mov_b32 s18, 0xa6fbf144
	s_mov_b32 s19, 0xbefbb44d
	;; [unrolled: 3-line block ×13, first 2 shown]
	v_mul_f64 v[14:15], v[14:15], v[16:17]
	v_mul_f64 v[16:17], v[7:8], v[14:15]
	v_add_f64 v[18:19], v[7:8], v[16:17]
	v_fma_f64 v[14:15], v[7:8], v[14:15], -v[16:17]
	v_add_f64 v[7:8], v[18:19], -v[7:8]
	v_add_f64 v[9:10], v[9:10], v[14:15]
	v_add_f64 v[7:8], v[16:17], -v[7:8]
	v_add_f64 v[7:8], v[9:10], v[7:8]
	v_add_f64 v[9:10], v[18:19], v[7:8]
	v_rcp_f64_e32 v[14:15], v[9:10]
	v_fma_f64 v[16:17], -v[9:10], v[14:15], 1.0
	v_fma_f64 v[14:15], v[16:17], v[14:15], v[14:15]
	v_fma_f64 v[16:17], -v[9:10], v[14:15], 1.0
	v_fma_f64 v[14:15], v[16:17], v[14:15], v[14:15]
	v_add_f64 v[16:17], v[9:10], -v[18:19]
	v_mul_f64 v[18:19], v[9:10], v[14:15]
	v_add_f64 v[7:8], v[7:8], -v[16:17]
	v_fma_f64 v[16:17], v[14:15], v[9:10], -v[18:19]
	v_fma_f64 v[7:8], v[14:15], v[7:8], v[16:17]
	v_add_f64 v[16:17], v[18:19], v[7:8]
	v_add_f64 v[20:21], -v[16:17], 1.0
	v_add_f64 v[18:19], v[16:17], -v[18:19]
	v_add_f64 v[22:23], -v[20:21], 1.0
	v_add_f64 v[7:8], v[18:19], -v[7:8]
	v_add_f64 v[16:17], v[22:23], -v[16:17]
	v_add_f64 v[7:8], v[7:8], v[16:17]
	v_add_f64 v[7:8], v[20:21], v[7:8]
	v_mul_f64 v[7:8], v[14:15], v[7:8]
	v_add_f64 v[7:8], v[14:15], v[7:8]
	v_xor_b32_e32 v5, 0x80000000, v8
	v_cndmask_b32_e32 v7, v7, v9, vcc_lo
	v_cndmask_b32_e32 v5, v5, v10, vcc_lo
	v_xor_b32_e32 v6, v5, v6
	v_cndmask_b32_e64 v5, 0, v7, s4
	v_cndmask_b32_e64 v6, 0x7ff80000, v6, s4
	v_div_scale_f64 v[7:8], null, v[5:6], v[5:6], s[18:19]
	v_rcp_f64_e32 v[9:10], v[7:8]
	v_fma_f64 v[14:15], -v[7:8], v[9:10], 1.0
	v_fma_f64 v[9:10], v[9:10], v[14:15], v[9:10]
	v_fma_f64 v[14:15], -v[7:8], v[9:10], 1.0
	v_fma_f64 v[9:10], v[9:10], v[14:15], v[9:10]
	v_div_scale_f64 v[14:15], vcc_lo, s[18:19], v[5:6], s[18:19]
	v_mul_f64 v[16:17], v[14:15], v[9:10]
	v_fma_f64 v[7:8], -v[7:8], v[16:17], v[14:15]
	v_div_fmas_f64 v[7:8], v[7:8], v[9:10], v[16:17]
	v_div_fixup_f64 v[5:6], v[7:8], v[5:6], s[18:19]
	v_cvt_f32_f64_e32 v5, v[5:6]
.LBB24_11:
	s_or_b32 exec_lo, exec_lo, s16
	s_orn2_b32 s4, s5, exec_lo
.LBB24_12:
	s_or_b32 exec_lo, exec_lo, s15
	v_mov_b32_e32 v12, 0x7e00
	s_and_saveexec_b32 s15, s4
	s_cbranch_execz .LBB24_24
; %bb.13:
	s_mov_b32 s4, exec_lo
	v_cmpx_gt_f32_e32 0x41200000, v13
	s_cbranch_execz .LBB24_17
; %bb.14:
	s_mov_b32 s5, 0
	.p2align	6
.LBB24_15:                              ; =>This Inner Loop Header: Depth=1
	v_div_scale_f32 v6, null, v13, v13, 1.0
	v_div_scale_f32 v9, vcc_lo, 1.0, v13, 1.0
	v_rcp_f32_e32 v7, v6
	v_fma_f32 v8, -v6, v7, 1.0
	v_fmac_f32_e32 v7, v8, v7
	v_mul_f32_e32 v8, v9, v7
	v_fma_f32 v10, -v6, v8, v9
	v_fmac_f32_e32 v8, v10, v7
	v_fma_f32 v6, -v6, v8, v9
	v_div_fmas_f32 v6, v6, v7, v8
	v_div_fixup_f32 v6, v6, v13, 1.0
	v_add_f32_e32 v13, 1.0, v13
	v_sub_f32_e32 v5, v5, v6
	v_cmp_ngt_f32_e32 vcc_lo, 0x41200000, v13
	s_or_b32 s5, vcc_lo, s5
	s_andn2_b32 exec_lo, exec_lo, s5
	s_cbranch_execnz .LBB24_15
; %bb.16:
	s_or_b32 exec_lo, exec_lo, s5
.LBB24_17:
	s_or_b32 exec_lo, exec_lo, s4
                                        ; implicit-def: $vgpr12
	s_mov_b32 s4, exec_lo
	v_cmpx_neq_f32_e32 0x41200000, v13
	s_xor_b32 s16, exec_lo, s4
	s_cbranch_execz .LBB24_21
; %bb.18:
	v_cvt_f64_f32_e32 v[6:7], v13
	s_mov_b32 s4, 0x85d8a000
	s_mov_b32 s5, 0x43763457
	v_cmp_gt_f64_e32 vcc_lo, s[4:5], v[6:7]
	v_mov_b32_e32 v6, 0
	s_and_saveexec_b32 s4, vcc_lo
	s_cbranch_execz .LBB24_20
; %bb.19:
	v_mul_f32_e32 v6, v13, v13
	v_div_scale_f32 v7, null, v6, v6, 1.0
	v_rcp_f32_e32 v8, v7
	v_fma_f32 v9, -v7, v8, 1.0
	v_fmac_f32_e32 v8, v9, v8
	v_div_scale_f32 v9, vcc_lo, 1.0, v6, 1.0
	v_mul_f32_e32 v10, v9, v8
	v_fma_f32 v12, -v7, v10, v9
	v_fmac_f32_e32 v10, v12, v8
	v_fma_f32 v7, -v7, v10, v9
	v_div_fmas_f32 v7, v7, v8, v10
	v_div_fixup_f32 v6, v7, v6, 1.0
	v_fmaak_f32 v7, 0, v6, 0x3daaaaab
	v_fmaak_f32 v7, v6, v7, 0xbcaccacd
	;; [unrolled: 1-line block ×7, first 2 shown]
	v_mul_f32_e32 v6, v6, v7
.LBB24_20:
	s_or_b32 exec_lo, exec_lo, s4
	v_cmp_gt_f32_e32 vcc_lo, 0x800000, v13
	v_div_scale_f32 v7, null, v13, v13, -0.5
	v_div_scale_f32 v12, s4, -0.5, v13, -0.5
	v_cndmask_b32_e64 v8, 0, 32, vcc_lo
	v_rcp_f32_e32 v9, v7
	v_ldexp_f32 v8, v13, v8
	v_log_f32_e32 v8, v8
	v_fma_f32 v10, -v7, v9, 1.0
	v_fmac_f32_e32 v9, v10, v9
	v_mul_f32_e32 v10, 0x3f317217, v8
	v_mul_f32_e32 v14, v12, v9
	v_cmp_gt_f32_e64 s5, 0x7f800000, |v8|
	v_fma_f32 v10, 0x3f317217, v8, -v10
	v_fma_f32 v15, -v7, v14, v12
	v_fmamk_f32 v10, v8, 0x3377d1cf, v10
	v_fmac_f32_e32 v14, v15, v9
	v_fmac_f32_e32 v10, 0x3f317217, v8
	v_fma_f32 v7, -v7, v14, v12
	v_cndmask_b32_e64 v8, v8, v10, s5
	v_cndmask_b32_e64 v10, 0, 0x41b17218, vcc_lo
	s_mov_b32 vcc_lo, s4
	v_div_fmas_f32 v7, v7, v9, v14
	v_sub_f32_e32 v8, v8, v10
	v_div_fixup_f32 v7, v7, v13, -0.5
	v_add_f32_e32 v7, v8, v7
	v_sub_f32_e32 v6, v7, v6
	v_add_f32_e32 v5, v5, v6
	v_cvt_f16_f32_e32 v12, v5
                                        ; implicit-def: $vgpr5
.LBB24_21:
	s_andn2_saveexec_b32 s4, s16
; %bb.22:
	v_add_f32_e32 v5, 0x40101cb7, v5
	v_cvt_f16_f32_e32 v12, v5
; %bb.23:
	s_or_b32 exec_lo, exec_lo, s4
.LBB24_24:
	s_or_b32 exec_lo, exec_lo, s15
                                        ; implicit-def: $vgpr13
.LBB24_25:
	s_andn2_saveexec_b32 s4, s14
; %bb.26:
	v_xor_b32_e32 v5, 0x80000000, v13
	v_mov_b32_e32 v6, 0xffff8000
	v_and_b32_sdwa v5, v5, v6 dst_sel:DWORD dst_unused:UNUSED_PAD src0_sel:WORD_1 src1_sel:DWORD
	v_or_b32_e32 v12, 0x7c00, v5
; %bb.27:
	s_or_b32 exec_lo, exec_lo, s4
	v_mov_b32_e32 v5, 0
	v_cvt_f32_f16_sdwa v14, v3 dst_sel:DWORD dst_unused:UNUSED_PAD src0_sel:WORD_1
                                        ; implicit-def: $vgpr13
	v_cmp_neq_f16_sdwa s4, v3, v5 src0_sel:WORD_1 src1_sel:DWORD
	s_and_saveexec_b32 s5, s4
	s_xor_b32 s14, exec_lo, s5
	s_cbranch_execz .LBB24_49
; %bb.28:
	v_cmp_lt_f16_sdwa s5, v3, v5 src0_sel:WORD_1 src1_sel:DWORD
	s_mov_b32 s4, -1
	s_and_saveexec_b32 s15, s5
	s_cbranch_execz .LBB24_36
; %bb.29:
	v_trunc_f32_e32 v5, v14
	s_mov_b32 s5, 0
	v_cmp_neq_f32_e32 vcc_lo, v5, v14
	v_mov_b32_e32 v5, 0
	s_and_saveexec_b32 s16, vcc_lo
	s_cbranch_execz .LBB24_35
; %bb.30:
	v_cvt_f32_f16_sdwa v3, v3 dst_sel:DWORD dst_unused:UNUSED_PAD src0_sel:WORD_1
	s_mov_b32 s5, 0xc00921fb
	s_mov_b32 s4, 0x54442d18
	s_mov_b32 s17, exec_lo
                                        ; implicit-def: $vgpr9_vgpr10
	v_cvt_f64_f32_e32 v[5:6], v3
                                        ; implicit-def: $vgpr3
	v_trunc_f64_e32 v[7:8], v[5:6]
	v_cmp_neq_f64_e64 vcc_lo, 0x7ff00000, |v[5:6]|
	v_add_f64 v[7:8], v[5:6], -v[7:8]
	v_mul_f64 v[7:8], |v[7:8]|, s[4:5]
	v_cndmask_b32_e32 v6, 0x80000000, v8, vcc_lo
	v_cndmask_b32_e32 v5, 0, v7, vcc_lo
                                        ; implicit-def: $vgpr7_vgpr8
	v_cmpx_ngt_f64_e64 0x41d00000, |v[5:6]|
	s_xor_b32 s17, exec_lo, s17
	s_cbranch_execz .LBB24_32
; %bb.31:
	v_ldexp_f64 v[7:8], |v[5:6]|, 0xffffff80
	v_cmp_le_f64_e64 vcc_lo, 0x7b000000, |v[5:6]|
	v_trig_preop_f64 v[9:10], |v[5:6]|, 0
	v_and_b32_e32 v3, 0x7fffffff, v6
	v_trig_preop_f64 v[15:16], |v[5:6]|, 1
	v_trig_preop_f64 v[25:26], |v[5:6]|, 2
	v_mov_b32_e32 v33, 0
	s_mov_b32 s5, 0x3ff921fb
	s_mov_b32 s18, 0x33145c07
	;; [unrolled: 1-line block ×3, first 2 shown]
	v_cndmask_b32_e32 v8, v3, v8, vcc_lo
	v_cndmask_b32_e32 v7, v5, v7, vcc_lo
	v_mul_f64 v[17:18], v[9:10], v[7:8]
	v_mul_f64 v[19:20], v[15:16], v[7:8]
	;; [unrolled: 1-line block ×3, first 2 shown]
	v_fma_f64 v[9:10], v[9:10], v[7:8], -v[17:18]
	v_fma_f64 v[15:16], v[15:16], v[7:8], -v[19:20]
	;; [unrolled: 1-line block ×3, first 2 shown]
	v_add_f64 v[21:22], v[19:20], v[9:10]
	v_add_f64 v[23:24], v[21:22], -v[19:20]
	v_add_f64 v[29:30], v[17:18], v[21:22]
	v_add_f64 v[27:28], v[21:22], -v[23:24]
	v_add_f64 v[9:10], v[9:10], -v[23:24]
	v_ldexp_f64 v[23:24], v[29:30], -2
	v_add_f64 v[17:18], v[29:30], -v[17:18]
	v_add_f64 v[19:20], v[19:20], -v[27:28]
	v_add_f64 v[27:28], v[31:32], v[15:16]
	v_cmp_neq_f64_e64 vcc_lo, 0x7ff00000, |v[23:24]|
	v_add_f64 v[17:18], v[21:22], -v[17:18]
	v_add_f64 v[9:10], v[9:10], v[19:20]
	v_fract_f64_e32 v[19:20], v[23:24]
	v_add_f64 v[21:22], v[27:28], v[9:10]
	v_ldexp_f64 v[19:20], v[19:20], 2
	v_add_f64 v[23:24], v[17:18], v[21:22]
	v_cndmask_b32_e32 v20, 0, v20, vcc_lo
	v_cndmask_b32_e32 v19, 0, v19, vcc_lo
	v_add_f64 v[29:30], v[23:24], v[19:20]
	v_add_f64 v[17:18], v[23:24], -v[17:18]
	v_cmp_gt_f64_e32 vcc_lo, 0, v[29:30]
	v_add_f64 v[29:30], v[27:28], -v[31:32]
	v_add_f64 v[17:18], v[21:22], -v[17:18]
	v_cndmask_b32_e64 v34, 0, 0x40100000, vcc_lo
	v_add_f64 v[38:39], v[27:28], -v[29:30]
	v_add_f64 v[15:16], v[15:16], -v[29:30]
	v_add_f64 v[19:20], v[19:20], v[33:34]
	v_add_f64 v[34:35], v[21:22], -v[27:28]
	v_add_f64 v[29:30], v[31:32], -v[38:39]
	v_add_f64 v[36:37], v[23:24], v[19:20]
	;; [unrolled: 3-line block ×3, first 2 shown]
	v_cvt_i32_f64_e32 v3, v[36:37]
	v_add_f64 v[27:28], v[27:28], -v[40:41]
	v_cvt_f64_i32_e32 v[34:35], v3
	v_add_f64 v[9:10], v[9:10], v[27:28]
	v_add_f64 v[19:20], v[19:20], -v[34:35]
	v_add_f64 v[9:10], v[15:16], v[9:10]
	v_add_f64 v[15:16], v[23:24], v[19:20]
	v_add_f64 v[7:8], v[7:8], v[9:10]
	v_add_f64 v[9:10], v[15:16], -v[19:20]
	v_cmp_le_f64_e32 vcc_lo, 0.5, v[15:16]
	v_add_f64 v[7:8], v[17:18], v[7:8]
	v_add_f64 v[9:10], v[23:24], -v[9:10]
	v_cndmask_b32_e64 v34, 0, 0x3ff00000, vcc_lo
	v_add_co_ci_u32_e64 v3, null, 0, v3, vcc_lo
	v_add_f64 v[7:8], v[7:8], v[9:10]
	v_add_f64 v[9:10], v[15:16], -v[33:34]
	v_add_f64 v[15:16], v[9:10], v[7:8]
	v_mul_f64 v[17:18], v[15:16], s[4:5]
	v_add_f64 v[9:10], v[15:16], -v[9:10]
	v_fma_f64 v[19:20], v[15:16], s[4:5], -v[17:18]
	v_add_f64 v[7:8], v[7:8], -v[9:10]
	v_fma_f64 v[9:10], v[15:16], s[18:19], v[19:20]
	v_fma_f64 v[9:10], v[7:8], s[4:5], v[9:10]
	v_add_f64 v[7:8], v[17:18], v[9:10]
	v_add_f64 v[15:16], v[7:8], -v[17:18]
	v_add_f64 v[9:10], v[9:10], -v[15:16]
.LBB24_32:
	s_andn2_saveexec_b32 s4, s17
	s_cbranch_execz .LBB24_34
; %bb.33:
	s_mov_b32 s18, 0x6dc9c883
	s_mov_b32 s19, 0x3fe45f30
	;; [unrolled: 1-line block ×3, first 2 shown]
	v_mul_f64 v[7:8], |v[5:6]|, s[18:19]
	s_mov_b32 s18, 0x54442d18
	s_mov_b32 s19, 0xbff921fb
	;; [unrolled: 1-line block ×3, first 2 shown]
	v_rndne_f64_e32 v[15:16], v[7:8]
	v_fma_f64 v[7:8], v[15:16], s[18:19], |v[5:6]|
	v_mul_f64 v[9:10], v[15:16], s[20:21]
	s_mov_b32 s18, 0x252049c0
	s_mov_b32 s19, 0xb97b839a
	v_cvt_i32_f64_e32 v3, v[15:16]
	v_fma_f64 v[19:20], v[15:16], s[20:21], v[7:8]
	v_add_f64 v[17:18], v[7:8], v[9:10]
	s_mov_b32 s21, 0x3c91a626
	v_add_f64 v[7:8], v[7:8], -v[17:18]
	v_add_f64 v[17:18], v[17:18], -v[19:20]
	v_add_f64 v[7:8], v[7:8], v[9:10]
	v_fma_f64 v[9:10], v[15:16], s[20:21], v[9:10]
	v_add_f64 v[7:8], v[17:18], v[7:8]
	v_add_f64 v[7:8], v[7:8], -v[9:10]
	v_fma_f64 v[9:10], v[15:16], s[18:19], v[7:8]
	v_add_f64 v[7:8], v[19:20], v[9:10]
	v_add_f64 v[17:18], v[7:8], -v[19:20]
	v_add_f64 v[9:10], v[9:10], -v[17:18]
.LBB24_34:
	s_or_b32 exec_lo, exec_lo, s4
	v_mul_f64 v[15:16], v[7:8], v[7:8]
	v_add_f64 v[17:18], v[9:10], v[9:10]
	s_mov_b32 s18, 0xa9a29f71
	s_mov_b32 s20, 0xc751c08c
	;; [unrolled: 1-line block ×4, first 2 shown]
	v_cmp_class_f64_e64 s4, v[5:6], 0x1f8
	v_and_b32_e32 v3, 1, v3
	v_and_b32_e32 v6, 0x80000000, v6
	v_sub_f32_e32 v14, 1.0, v14
	s_mov_b32 s5, exec_lo
	v_cmp_eq_u32_e32 vcc_lo, 0, v3
	v_fma_f64 v[19:20], v[7:8], v[7:8], -v[15:16]
	v_fma_f64 v[17:18], v[7:8], v[17:18], v[19:20]
	v_add_f64 v[15:16], v[15:16], v[17:18]
	v_fma_f64 v[17:18], v[15:16], s[20:21], s[18:19]
	s_mov_b32 s18, 0x90a8aae0
	s_mov_b32 s19, 0x3f17746f
	v_fma_f64 v[17:18], v[15:16], v[17:18], s[18:19]
	s_mov_b32 s18, 0xa6fbf144
	s_mov_b32 s19, 0xbefbb44d
	;; [unrolled: 3-line block ×13, first 2 shown]
	v_mul_f64 v[15:16], v[15:16], v[17:18]
	v_mul_f64 v[17:18], v[7:8], v[15:16]
	v_add_f64 v[19:20], v[7:8], v[17:18]
	v_fma_f64 v[15:16], v[7:8], v[15:16], -v[17:18]
	v_add_f64 v[7:8], v[19:20], -v[7:8]
	v_add_f64 v[9:10], v[9:10], v[15:16]
	v_add_f64 v[7:8], v[17:18], -v[7:8]
	v_add_f64 v[7:8], v[9:10], v[7:8]
	v_add_f64 v[9:10], v[19:20], v[7:8]
	v_rcp_f64_e32 v[15:16], v[9:10]
	v_fma_f64 v[17:18], -v[9:10], v[15:16], 1.0
	v_fma_f64 v[15:16], v[17:18], v[15:16], v[15:16]
	v_fma_f64 v[17:18], -v[9:10], v[15:16], 1.0
	v_fma_f64 v[15:16], v[17:18], v[15:16], v[15:16]
	v_add_f64 v[17:18], v[9:10], -v[19:20]
	v_mul_f64 v[19:20], v[9:10], v[15:16]
	v_add_f64 v[7:8], v[7:8], -v[17:18]
	v_fma_f64 v[17:18], v[15:16], v[9:10], -v[19:20]
	v_fma_f64 v[7:8], v[15:16], v[7:8], v[17:18]
	v_add_f64 v[17:18], v[19:20], v[7:8]
	v_add_f64 v[21:22], -v[17:18], 1.0
	v_add_f64 v[19:20], v[17:18], -v[19:20]
	v_add_f64 v[23:24], -v[21:22], 1.0
	v_add_f64 v[7:8], v[19:20], -v[7:8]
	v_add_f64 v[17:18], v[23:24], -v[17:18]
	v_add_f64 v[7:8], v[7:8], v[17:18]
	v_add_f64 v[7:8], v[21:22], v[7:8]
	v_mul_f64 v[7:8], v[15:16], v[7:8]
	v_add_f64 v[7:8], v[15:16], v[7:8]
	v_xor_b32_e32 v5, 0x80000000, v8
	v_cndmask_b32_e32 v3, v7, v9, vcc_lo
	v_cndmask_b32_e32 v5, v5, v10, vcc_lo
	v_xor_b32_e32 v6, v5, v6
	v_cndmask_b32_e64 v5, 0, v3, s4
	v_cndmask_b32_e64 v6, 0x7ff80000, v6, s4
	v_div_scale_f64 v[7:8], null, v[5:6], v[5:6], s[18:19]
	v_rcp_f64_e32 v[9:10], v[7:8]
	v_fma_f64 v[15:16], -v[7:8], v[9:10], 1.0
	v_fma_f64 v[9:10], v[9:10], v[15:16], v[9:10]
	v_fma_f64 v[15:16], -v[7:8], v[9:10], 1.0
	v_fma_f64 v[9:10], v[9:10], v[15:16], v[9:10]
	v_div_scale_f64 v[15:16], vcc_lo, s[18:19], v[5:6], s[18:19]
	v_mul_f64 v[17:18], v[15:16], v[9:10]
	v_fma_f64 v[7:8], -v[7:8], v[17:18], v[15:16]
	v_div_fmas_f64 v[7:8], v[7:8], v[9:10], v[17:18]
	v_div_fixup_f64 v[5:6], v[7:8], v[5:6], s[18:19]
	v_cvt_f32_f64_e32 v5, v[5:6]
.LBB24_35:
	s_or_b32 exec_lo, exec_lo, s16
	s_orn2_b32 s4, s5, exec_lo
.LBB24_36:
	s_or_b32 exec_lo, exec_lo, s15
	v_mov_b32_e32 v13, 0x7e00
	s_and_saveexec_b32 s15, s4
	s_cbranch_execz .LBB24_48
; %bb.37:
	s_mov_b32 s4, exec_lo
	v_cmpx_gt_f32_e32 0x41200000, v14
	s_cbranch_execz .LBB24_41
; %bb.38:
	s_mov_b32 s5, 0
	.p2align	6
.LBB24_39:                              ; =>This Inner Loop Header: Depth=1
	v_div_scale_f32 v3, null, v14, v14, 1.0
	v_div_scale_f32 v8, vcc_lo, 1.0, v14, 1.0
	v_rcp_f32_e32 v6, v3
	v_fma_f32 v7, -v3, v6, 1.0
	v_fmac_f32_e32 v6, v7, v6
	v_mul_f32_e32 v7, v8, v6
	v_fma_f32 v9, -v3, v7, v8
	v_fmac_f32_e32 v7, v9, v6
	v_fma_f32 v3, -v3, v7, v8
	v_div_fmas_f32 v3, v3, v6, v7
	v_div_fixup_f32 v3, v3, v14, 1.0
	v_add_f32_e32 v14, 1.0, v14
	v_sub_f32_e32 v5, v5, v3
	v_cmp_ngt_f32_e32 vcc_lo, 0x41200000, v14
	s_or_b32 s5, vcc_lo, s5
	s_andn2_b32 exec_lo, exec_lo, s5
	s_cbranch_execnz .LBB24_39
; %bb.40:
	s_or_b32 exec_lo, exec_lo, s5
.LBB24_41:
	s_or_b32 exec_lo, exec_lo, s4
                                        ; implicit-def: $vgpr13
	s_mov_b32 s4, exec_lo
	v_cmpx_neq_f32_e32 0x41200000, v14
	s_xor_b32 s16, exec_lo, s4
	s_cbranch_execz .LBB24_45
; %bb.42:
	v_cvt_f64_f32_e32 v[6:7], v14
	s_mov_b32 s4, 0x85d8a000
	s_mov_b32 s5, 0x43763457
	v_mov_b32_e32 v3, 0
	v_cmp_gt_f64_e32 vcc_lo, s[4:5], v[6:7]
	s_and_saveexec_b32 s4, vcc_lo
	s_cbranch_execz .LBB24_44
; %bb.43:
	v_mul_f32_e32 v3, v14, v14
	v_div_scale_f32 v6, null, v3, v3, 1.0
	v_rcp_f32_e32 v7, v6
	v_fma_f32 v8, -v6, v7, 1.0
	v_fmac_f32_e32 v7, v8, v7
	v_div_scale_f32 v8, vcc_lo, 1.0, v3, 1.0
	v_mul_f32_e32 v9, v8, v7
	v_fma_f32 v10, -v6, v9, v8
	v_fmac_f32_e32 v9, v10, v7
	v_fma_f32 v6, -v6, v9, v8
	v_div_fmas_f32 v6, v6, v7, v9
	v_div_fixup_f32 v3, v6, v3, 1.0
	v_fmaak_f32 v6, 0, v3, 0x3daaaaab
	v_fmaak_f32 v6, v3, v6, 0xbcaccacd
	;; [unrolled: 1-line block ×7, first 2 shown]
	v_mul_f32_e32 v3, v3, v6
.LBB24_44:
	s_or_b32 exec_lo, exec_lo, s4
	v_cmp_gt_f32_e32 vcc_lo, 0x800000, v14
	v_div_scale_f32 v6, null, v14, v14, -0.5
	v_div_scale_f32 v10, s4, -0.5, v14, -0.5
	v_cndmask_b32_e64 v7, 0, 32, vcc_lo
	v_rcp_f32_e32 v8, v6
	v_ldexp_f32 v7, v14, v7
	v_log_f32_e32 v7, v7
	v_fma_f32 v9, -v6, v8, 1.0
	v_fmac_f32_e32 v8, v9, v8
	v_mul_f32_e32 v9, 0x3f317217, v7
	v_mul_f32_e32 v13, v10, v8
	v_cmp_gt_f32_e64 s5, 0x7f800000, |v7|
	v_fma_f32 v9, 0x3f317217, v7, -v9
	v_fma_f32 v15, -v6, v13, v10
	v_fmamk_f32 v9, v7, 0x3377d1cf, v9
	v_fmac_f32_e32 v13, v15, v8
	v_fmac_f32_e32 v9, 0x3f317217, v7
	v_fma_f32 v6, -v6, v13, v10
	v_cndmask_b32_e64 v7, v7, v9, s5
	v_cndmask_b32_e64 v9, 0, 0x41b17218, vcc_lo
	s_mov_b32 vcc_lo, s4
	v_div_fmas_f32 v6, v6, v8, v13
	v_sub_f32_e32 v7, v7, v9
	v_div_fixup_f32 v6, v6, v14, -0.5
	v_add_f32_e32 v6, v7, v6
	v_sub_f32_e32 v3, v6, v3
	v_add_f32_e32 v3, v5, v3
                                        ; implicit-def: $vgpr5
	v_cvt_f16_f32_e32 v13, v3
.LBB24_45:
	s_andn2_saveexec_b32 s4, s16
; %bb.46:
	v_add_f32_e32 v3, 0x40101cb7, v5
	v_cvt_f16_f32_e32 v13, v3
; %bb.47:
	s_or_b32 exec_lo, exec_lo, s4
.LBB24_48:
	s_or_b32 exec_lo, exec_lo, s15
                                        ; implicit-def: $vgpr14
.LBB24_49:
	s_andn2_saveexec_b32 s4, s14
; %bb.50:
	v_xor_b32_e32 v3, 0x80000000, v14
	v_mov_b32_e32 v5, 0xffff8000
	v_and_b32_sdwa v3, v3, v5 dst_sel:DWORD dst_unused:UNUSED_PAD src0_sel:WORD_1 src1_sel:DWORD
	v_or_b32_e32 v13, 0x7c00, v3
; %bb.51:
	s_or_b32 exec_lo, exec_lo, s4
	v_cvt_f32_f16_e32 v3, v4
                                        ; implicit-def: $vgpr9
	s_mov_b32 s4, exec_lo
	v_cmpx_neq_f16_e32 0, v4
	s_xor_b32 s14, exec_lo, s4
	s_cbranch_execz .LBB24_73
; %bb.52:
	v_mov_b32_e32 v5, 0
	s_mov_b32 s4, -1
	s_mov_b32 s15, exec_lo
	v_cmpx_gt_f16_e32 0, v4
	s_cbranch_execz .LBB24_60
; %bb.53:
	v_trunc_f32_e32 v5, v3
	s_mov_b32 s5, 0
	v_cmp_neq_f32_e32 vcc_lo, v5, v3
	v_mov_b32_e32 v5, 0
	s_and_saveexec_b32 s16, vcc_lo
	s_cbranch_execz .LBB24_59
; %bb.54:
	v_cvt_f32_f16_e32 v5, v4
	s_mov_b32 s5, 0xc00921fb
	s_mov_b32 s4, 0x54442d18
	s_mov_b32 s17, exec_lo
                                        ; implicit-def: $vgpr14
                                        ; implicit-def: $vgpr9_vgpr10
	v_cvt_f64_f32_e32 v[5:6], v5
	v_trunc_f64_e32 v[7:8], v[5:6]
	v_cmp_neq_f64_e64 vcc_lo, 0x7ff00000, |v[5:6]|
	v_add_f64 v[7:8], v[5:6], -v[7:8]
	v_mul_f64 v[7:8], |v[7:8]|, s[4:5]
	v_cndmask_b32_e32 v6, 0x80000000, v8, vcc_lo
	v_cndmask_b32_e32 v5, 0, v7, vcc_lo
                                        ; implicit-def: $vgpr7_vgpr8
	v_cmpx_ngt_f64_e64 0x41d00000, |v[5:6]|
	s_xor_b32 s17, exec_lo, s17
	s_cbranch_execz .LBB24_56
; %bb.55:
	v_ldexp_f64 v[7:8], |v[5:6]|, 0xffffff80
	v_cmp_le_f64_e64 vcc_lo, 0x7b000000, |v[5:6]|
	v_trig_preop_f64 v[9:10], |v[5:6]|, 0
	v_and_b32_e32 v14, 0x7fffffff, v6
	v_trig_preop_f64 v[24:25], |v[5:6]|, 2
	v_mov_b32_e32 v32, 0
	s_mov_b32 s5, 0x3ff921fb
	s_mov_b32 s18, 0x33145c07
	;; [unrolled: 1-line block ×3, first 2 shown]
	v_cndmask_b32_e32 v8, v14, v8, vcc_lo
	v_cndmask_b32_e32 v7, v5, v7, vcc_lo
	v_trig_preop_f64 v[14:15], |v[5:6]|, 1
	v_mul_f64 v[16:17], v[9:10], v[7:8]
	v_mul_f64 v[30:31], v[24:25], v[7:8]
	;; [unrolled: 1-line block ×3, first 2 shown]
	v_fma_f64 v[9:10], v[9:10], v[7:8], -v[16:17]
	v_fma_f64 v[14:15], v[14:15], v[7:8], -v[18:19]
	;; [unrolled: 1-line block ×3, first 2 shown]
	v_add_f64 v[20:21], v[18:19], v[9:10]
	v_add_f64 v[22:23], v[20:21], -v[18:19]
	v_add_f64 v[28:29], v[16:17], v[20:21]
	v_add_f64 v[26:27], v[20:21], -v[22:23]
	v_add_f64 v[9:10], v[9:10], -v[22:23]
	v_ldexp_f64 v[22:23], v[28:29], -2
	v_add_f64 v[16:17], v[28:29], -v[16:17]
	v_add_f64 v[18:19], v[18:19], -v[26:27]
	v_add_f64 v[26:27], v[30:31], v[14:15]
	v_cmp_neq_f64_e64 vcc_lo, 0x7ff00000, |v[22:23]|
	v_add_f64 v[16:17], v[20:21], -v[16:17]
	v_add_f64 v[9:10], v[9:10], v[18:19]
	v_fract_f64_e32 v[18:19], v[22:23]
	v_add_f64 v[20:21], v[26:27], v[9:10]
	v_ldexp_f64 v[18:19], v[18:19], 2
	v_add_f64 v[22:23], v[16:17], v[20:21]
	v_cndmask_b32_e32 v19, 0, v19, vcc_lo
	v_cndmask_b32_e32 v18, 0, v18, vcc_lo
	v_add_f64 v[28:29], v[22:23], v[18:19]
	v_add_f64 v[16:17], v[22:23], -v[16:17]
	v_cmp_gt_f64_e32 vcc_lo, 0, v[28:29]
	v_add_f64 v[28:29], v[26:27], -v[30:31]
	v_cndmask_b32_e64 v33, 0, 0x40100000, vcc_lo
	v_add_f64 v[37:38], v[26:27], -v[28:29]
	v_add_f64 v[14:15], v[14:15], -v[28:29]
	v_add_f64 v[18:19], v[18:19], v[32:33]
	v_add_f64 v[33:34], v[20:21], -v[26:27]
	v_add_f64 v[28:29], v[30:31], -v[37:38]
	v_add_f64 v[35:36], v[22:23], v[18:19]
	;; [unrolled: 3-line block ×3, first 2 shown]
	v_cvt_i32_f64_e32 v35, v[35:36]
	v_add_f64 v[26:27], v[26:27], -v[39:40]
	v_cvt_f64_i32_e32 v[33:34], v35
	v_add_f64 v[9:10], v[9:10], v[26:27]
	v_add_f64 v[18:19], v[18:19], -v[33:34]
	v_add_f64 v[9:10], v[14:15], v[9:10]
	v_add_f64 v[14:15], v[20:21], -v[16:17]
	v_add_f64 v[24:25], v[22:23], v[18:19]
	v_add_f64 v[7:8], v[7:8], v[9:10]
	v_add_f64 v[9:10], v[24:25], -v[18:19]
	v_cmp_le_f64_e32 vcc_lo, 0.5, v[24:25]
	v_add_f64 v[7:8], v[14:15], v[7:8]
	v_add_f64 v[9:10], v[22:23], -v[9:10]
	v_cndmask_b32_e64 v33, 0, 0x3ff00000, vcc_lo
	v_add_co_ci_u32_e64 v14, null, 0, v35, vcc_lo
	v_add_f64 v[7:8], v[7:8], v[9:10]
	v_add_f64 v[9:10], v[24:25], -v[32:33]
	v_add_f64 v[15:16], v[9:10], v[7:8]
	v_mul_f64 v[17:18], v[15:16], s[4:5]
	v_add_f64 v[9:10], v[15:16], -v[9:10]
	v_fma_f64 v[19:20], v[15:16], s[4:5], -v[17:18]
	v_add_f64 v[7:8], v[7:8], -v[9:10]
	v_fma_f64 v[9:10], v[15:16], s[18:19], v[19:20]
	v_fma_f64 v[9:10], v[7:8], s[4:5], v[9:10]
	v_add_f64 v[7:8], v[17:18], v[9:10]
	v_add_f64 v[15:16], v[7:8], -v[17:18]
	v_add_f64 v[9:10], v[9:10], -v[15:16]
.LBB24_56:
	s_andn2_saveexec_b32 s4, s17
	s_cbranch_execz .LBB24_58
; %bb.57:
	s_mov_b32 s18, 0x6dc9c883
	s_mov_b32 s19, 0x3fe45f30
	;; [unrolled: 1-line block ×3, first 2 shown]
	v_mul_f64 v[7:8], |v[5:6]|, s[18:19]
	s_mov_b32 s18, 0x54442d18
	s_mov_b32 s19, 0xbff921fb
	;; [unrolled: 1-line block ×3, first 2 shown]
	v_rndne_f64_e32 v[14:15], v[7:8]
	v_fma_f64 v[7:8], v[14:15], s[18:19], |v[5:6]|
	v_mul_f64 v[9:10], v[14:15], s[20:21]
	s_mov_b32 s18, 0x252049c0
	s_mov_b32 s19, 0xb97b839a
	v_fma_f64 v[18:19], v[14:15], s[20:21], v[7:8]
	v_add_f64 v[16:17], v[7:8], v[9:10]
	s_mov_b32 s21, 0x3c91a626
	v_add_f64 v[7:8], v[7:8], -v[16:17]
	v_add_f64 v[16:17], v[16:17], -v[18:19]
	v_add_f64 v[7:8], v[7:8], v[9:10]
	v_fma_f64 v[9:10], v[14:15], s[20:21], v[9:10]
	v_add_f64 v[7:8], v[16:17], v[7:8]
	v_add_f64 v[7:8], v[7:8], -v[9:10]
	v_fma_f64 v[9:10], v[14:15], s[18:19], v[7:8]
	v_cvt_i32_f64_e32 v14, v[14:15]
	v_add_f64 v[7:8], v[18:19], v[9:10]
	v_add_f64 v[16:17], v[7:8], -v[18:19]
	v_add_f64 v[9:10], v[9:10], -v[16:17]
.LBB24_58:
	s_or_b32 exec_lo, exec_lo, s4
	v_mul_f64 v[15:16], v[7:8], v[7:8]
	v_add_f64 v[17:18], v[9:10], v[9:10]
	s_mov_b32 s18, 0xa9a29f71
	s_mov_b32 s20, 0xc751c08c
	;; [unrolled: 1-line block ×4, first 2 shown]
	v_cmp_class_f64_e64 s4, v[5:6], 0x1f8
	v_and_b32_e32 v14, 1, v14
	v_and_b32_e32 v6, 0x80000000, v6
	v_sub_f32_e32 v3, 1.0, v3
	s_mov_b32 s5, exec_lo
	v_cmp_eq_u32_e32 vcc_lo, 0, v14
	v_fma_f64 v[19:20], v[7:8], v[7:8], -v[15:16]
	v_fma_f64 v[17:18], v[7:8], v[17:18], v[19:20]
	v_add_f64 v[15:16], v[15:16], v[17:18]
	v_fma_f64 v[17:18], v[15:16], s[20:21], s[18:19]
	s_mov_b32 s18, 0x90a8aae0
	s_mov_b32 s19, 0x3f17746f
	v_fma_f64 v[17:18], v[15:16], v[17:18], s[18:19]
	s_mov_b32 s18, 0xa6fbf144
	s_mov_b32 s19, 0xbefbb44d
	;; [unrolled: 3-line block ×13, first 2 shown]
	v_mul_f64 v[15:16], v[15:16], v[17:18]
	v_mul_f64 v[17:18], v[7:8], v[15:16]
	v_add_f64 v[19:20], v[7:8], v[17:18]
	v_fma_f64 v[15:16], v[7:8], v[15:16], -v[17:18]
	v_add_f64 v[7:8], v[19:20], -v[7:8]
	v_add_f64 v[9:10], v[9:10], v[15:16]
	v_add_f64 v[7:8], v[17:18], -v[7:8]
	v_add_f64 v[7:8], v[9:10], v[7:8]
	v_add_f64 v[9:10], v[19:20], v[7:8]
	v_rcp_f64_e32 v[15:16], v[9:10]
	v_fma_f64 v[17:18], -v[9:10], v[15:16], 1.0
	v_fma_f64 v[15:16], v[17:18], v[15:16], v[15:16]
	v_fma_f64 v[17:18], -v[9:10], v[15:16], 1.0
	v_fma_f64 v[15:16], v[17:18], v[15:16], v[15:16]
	v_add_f64 v[17:18], v[9:10], -v[19:20]
	v_mul_f64 v[19:20], v[9:10], v[15:16]
	v_add_f64 v[7:8], v[7:8], -v[17:18]
	v_fma_f64 v[17:18], v[15:16], v[9:10], -v[19:20]
	v_fma_f64 v[7:8], v[15:16], v[7:8], v[17:18]
	v_add_f64 v[17:18], v[19:20], v[7:8]
	v_add_f64 v[21:22], -v[17:18], 1.0
	v_add_f64 v[19:20], v[17:18], -v[19:20]
	v_add_f64 v[23:24], -v[21:22], 1.0
	v_add_f64 v[7:8], v[19:20], -v[7:8]
	v_add_f64 v[17:18], v[23:24], -v[17:18]
	v_add_f64 v[7:8], v[7:8], v[17:18]
	v_add_f64 v[7:8], v[21:22], v[7:8]
	v_mul_f64 v[7:8], v[15:16], v[7:8]
	v_add_f64 v[7:8], v[15:16], v[7:8]
	v_xor_b32_e32 v5, 0x80000000, v8
	v_cndmask_b32_e32 v7, v7, v9, vcc_lo
	v_cndmask_b32_e32 v5, v5, v10, vcc_lo
	v_xor_b32_e32 v6, v5, v6
	v_cndmask_b32_e64 v5, 0, v7, s4
	v_cndmask_b32_e64 v6, 0x7ff80000, v6, s4
	v_div_scale_f64 v[7:8], null, v[5:6], v[5:6], s[18:19]
	v_rcp_f64_e32 v[9:10], v[7:8]
	v_fma_f64 v[14:15], -v[7:8], v[9:10], 1.0
	v_fma_f64 v[9:10], v[9:10], v[14:15], v[9:10]
	v_fma_f64 v[14:15], -v[7:8], v[9:10], 1.0
	v_fma_f64 v[9:10], v[9:10], v[14:15], v[9:10]
	v_div_scale_f64 v[14:15], vcc_lo, s[18:19], v[5:6], s[18:19]
	v_mul_f64 v[16:17], v[14:15], v[9:10]
	v_fma_f64 v[7:8], -v[7:8], v[16:17], v[14:15]
	v_div_fmas_f64 v[7:8], v[7:8], v[9:10], v[16:17]
	v_div_fixup_f64 v[5:6], v[7:8], v[5:6], s[18:19]
	v_cvt_f32_f64_e32 v5, v[5:6]
.LBB24_59:
	s_or_b32 exec_lo, exec_lo, s16
	s_orn2_b32 s4, s5, exec_lo
.LBB24_60:
	s_or_b32 exec_lo, exec_lo, s15
	v_mov_b32_e32 v9, 0x7e00
	s_and_saveexec_b32 s15, s4
	s_cbranch_execz .LBB24_72
; %bb.61:
	s_mov_b32 s4, exec_lo
	v_cmpx_gt_f32_e32 0x41200000, v3
	s_cbranch_execz .LBB24_65
; %bb.62:
	s_mov_b32 s5, 0
	.p2align	6
.LBB24_63:                              ; =>This Inner Loop Header: Depth=1
	v_div_scale_f32 v6, null, v3, v3, 1.0
	v_div_scale_f32 v9, vcc_lo, 1.0, v3, 1.0
	v_rcp_f32_e32 v7, v6
	v_fma_f32 v8, -v6, v7, 1.0
	v_fmac_f32_e32 v7, v8, v7
	v_mul_f32_e32 v8, v9, v7
	v_fma_f32 v10, -v6, v8, v9
	v_fmac_f32_e32 v8, v10, v7
	v_fma_f32 v6, -v6, v8, v9
	v_div_fmas_f32 v6, v6, v7, v8
	v_div_fixup_f32 v6, v6, v3, 1.0
	v_add_f32_e32 v3, 1.0, v3
	v_sub_f32_e32 v5, v5, v6
	v_cmp_ngt_f32_e32 vcc_lo, 0x41200000, v3
	s_or_b32 s5, vcc_lo, s5
	s_andn2_b32 exec_lo, exec_lo, s5
	s_cbranch_execnz .LBB24_63
; %bb.64:
	s_or_b32 exec_lo, exec_lo, s5
.LBB24_65:
	s_or_b32 exec_lo, exec_lo, s4
                                        ; implicit-def: $vgpr9
	s_mov_b32 s4, exec_lo
	v_cmpx_neq_f32_e32 0x41200000, v3
	s_xor_b32 s16, exec_lo, s4
	s_cbranch_execz .LBB24_69
; %bb.66:
	v_cvt_f64_f32_e32 v[6:7], v3
	s_mov_b32 s4, 0x85d8a000
	s_mov_b32 s5, 0x43763457
	v_cmp_gt_f64_e32 vcc_lo, s[4:5], v[6:7]
	v_mov_b32_e32 v6, 0
	s_and_saveexec_b32 s4, vcc_lo
	s_cbranch_execz .LBB24_68
; %bb.67:
	v_mul_f32_e32 v6, v3, v3
	v_div_scale_f32 v7, null, v6, v6, 1.0
	v_rcp_f32_e32 v8, v7
	v_fma_f32 v9, -v7, v8, 1.0
	v_fmac_f32_e32 v8, v9, v8
	v_div_scale_f32 v9, vcc_lo, 1.0, v6, 1.0
	v_mul_f32_e32 v10, v9, v8
	v_fma_f32 v14, -v7, v10, v9
	v_fmac_f32_e32 v10, v14, v8
	v_fma_f32 v7, -v7, v10, v9
	v_div_fmas_f32 v7, v7, v8, v10
	v_div_fixup_f32 v6, v7, v6, 1.0
	v_fmaak_f32 v7, 0, v6, 0x3daaaaab
	v_fmaak_f32 v7, v6, v7, 0xbcaccacd
	;; [unrolled: 1-line block ×7, first 2 shown]
	v_mul_f32_e32 v6, v6, v7
.LBB24_68:
	s_or_b32 exec_lo, exec_lo, s4
	v_cmp_gt_f32_e32 vcc_lo, 0x800000, v3
	v_div_scale_f32 v7, null, v3, v3, -0.5
	v_div_scale_f32 v14, s4, -0.5, v3, -0.5
	v_cndmask_b32_e64 v8, 0, 32, vcc_lo
	v_rcp_f32_e32 v9, v7
	v_ldexp_f32 v8, v3, v8
	v_log_f32_e32 v8, v8
	v_fma_f32 v10, -v7, v9, 1.0
	v_fmac_f32_e32 v9, v10, v9
	v_mul_f32_e32 v10, 0x3f317217, v8
	v_mul_f32_e32 v15, v14, v9
	v_cmp_gt_f32_e64 s5, 0x7f800000, |v8|
	v_fma_f32 v10, 0x3f317217, v8, -v10
	v_fma_f32 v16, -v7, v15, v14
	v_fmamk_f32 v10, v8, 0x3377d1cf, v10
	v_fmac_f32_e32 v15, v16, v9
	v_fmac_f32_e32 v10, 0x3f317217, v8
	v_fma_f32 v7, -v7, v15, v14
	v_cndmask_b32_e64 v8, v8, v10, s5
	v_cndmask_b32_e64 v10, 0, 0x41b17218, vcc_lo
	s_mov_b32 vcc_lo, s4
	v_div_fmas_f32 v7, v7, v9, v15
	v_sub_f32_e32 v8, v8, v10
	v_div_fixup_f32 v3, v7, v3, -0.5
	v_add_f32_e32 v3, v8, v3
	v_sub_f32_e32 v3, v3, v6
	v_add_f32_e32 v3, v5, v3
                                        ; implicit-def: $vgpr5
	v_cvt_f16_f32_e32 v9, v3
.LBB24_69:
	s_andn2_saveexec_b32 s4, s16
; %bb.70:
	v_add_f32_e32 v3, 0x40101cb7, v5
	v_cvt_f16_f32_e32 v9, v3
; %bb.71:
	s_or_b32 exec_lo, exec_lo, s4
.LBB24_72:
	s_or_b32 exec_lo, exec_lo, s15
                                        ; implicit-def: $vgpr3
.LBB24_73:
	s_andn2_saveexec_b32 s4, s14
; %bb.74:
	v_xor_b32_e32 v3, 0x80000000, v3
	v_mov_b32_e32 v5, 0xffff8000
	v_and_b32_sdwa v3, v3, v5 dst_sel:DWORD dst_unused:UNUSED_PAD src0_sel:WORD_1 src1_sel:DWORD
	v_or_b32_e32 v9, 0x7c00, v3
; %bb.75:
	s_or_b32 exec_lo, exec_lo, s4
	v_mov_b32_e32 v3, 0
	v_cvt_f32_f16_sdwa v14, v4 dst_sel:DWORD dst_unused:UNUSED_PAD src0_sel:WORD_1
                                        ; implicit-def: $vgpr10
	v_cmp_neq_f16_sdwa s4, v4, v3 src0_sel:WORD_1 src1_sel:DWORD
	s_and_saveexec_b32 s5, s4
	s_xor_b32 s14, exec_lo, s5
	s_cbranch_execz .LBB24_97
; %bb.76:
	v_cmp_lt_f16_sdwa s5, v4, v3 src0_sel:WORD_1 src1_sel:DWORD
	s_mov_b32 s4, -1
	s_and_saveexec_b32 s15, s5
	s_cbranch_execz .LBB24_84
; %bb.77:
	v_trunc_f32_e32 v3, v14
	s_mov_b32 s5, 0
	v_cmp_neq_f32_e32 vcc_lo, v3, v14
	v_mov_b32_e32 v3, 0
	s_and_saveexec_b32 s16, vcc_lo
	s_cbranch_execz .LBB24_83
; %bb.78:
	v_cvt_f32_f16_sdwa v3, v4 dst_sel:DWORD dst_unused:UNUSED_PAD src0_sel:WORD_1
	s_mov_b32 s5, 0xc00921fb
	s_mov_b32 s4, 0x54442d18
	s_mov_b32 s17, exec_lo
                                        ; implicit-def: $vgpr10
                                        ; implicit-def: $vgpr7_vgpr8
	v_cvt_f64_f32_e32 v[3:4], v3
	v_trunc_f64_e32 v[5:6], v[3:4]
	v_cmp_neq_f64_e64 vcc_lo, 0x7ff00000, |v[3:4]|
	v_add_f64 v[5:6], v[3:4], -v[5:6]
	v_mul_f64 v[5:6], |v[5:6]|, s[4:5]
	v_cndmask_b32_e32 v4, 0x80000000, v6, vcc_lo
	v_cndmask_b32_e32 v3, 0, v5, vcc_lo
                                        ; implicit-def: $vgpr5_vgpr6
	v_cmpx_ngt_f64_e64 0x41d00000, |v[3:4]|
	s_xor_b32 s17, exec_lo, s17
	s_cbranch_execz .LBB24_80
; %bb.79:
	v_ldexp_f64 v[5:6], |v[3:4]|, 0xffffff80
	v_cmp_le_f64_e64 vcc_lo, 0x7b000000, |v[3:4]|
	v_trig_preop_f64 v[7:8], |v[3:4]|, 0
	v_and_b32_e32 v10, 0x7fffffff, v4
	v_trig_preop_f64 v[15:16], |v[3:4]|, 1
	v_trig_preop_f64 v[25:26], |v[3:4]|, 2
	v_mov_b32_e32 v33, 0
	s_mov_b32 s5, 0x3ff921fb
	s_mov_b32 s18, 0x33145c07
	;; [unrolled: 1-line block ×3, first 2 shown]
	v_cndmask_b32_e32 v6, v10, v6, vcc_lo
	v_cndmask_b32_e32 v5, v3, v5, vcc_lo
	v_mul_f64 v[17:18], v[7:8], v[5:6]
	v_mul_f64 v[19:20], v[15:16], v[5:6]
	v_mul_f64 v[31:32], v[25:26], v[5:6]
	v_fma_f64 v[7:8], v[7:8], v[5:6], -v[17:18]
	v_fma_f64 v[15:16], v[15:16], v[5:6], -v[19:20]
	;; [unrolled: 1-line block ×3, first 2 shown]
	v_add_f64 v[21:22], v[19:20], v[7:8]
	v_add_f64 v[23:24], v[21:22], -v[19:20]
	v_add_f64 v[29:30], v[17:18], v[21:22]
	v_add_f64 v[27:28], v[21:22], -v[23:24]
	v_add_f64 v[7:8], v[7:8], -v[23:24]
	v_ldexp_f64 v[23:24], v[29:30], -2
	v_add_f64 v[17:18], v[29:30], -v[17:18]
	v_add_f64 v[19:20], v[19:20], -v[27:28]
	v_add_f64 v[27:28], v[31:32], v[15:16]
	v_cmp_neq_f64_e64 vcc_lo, 0x7ff00000, |v[23:24]|
	v_add_f64 v[17:18], v[21:22], -v[17:18]
	v_add_f64 v[7:8], v[7:8], v[19:20]
	v_fract_f64_e32 v[19:20], v[23:24]
	v_add_f64 v[21:22], v[27:28], v[7:8]
	v_ldexp_f64 v[19:20], v[19:20], 2
	v_add_f64 v[23:24], v[17:18], v[21:22]
	v_cndmask_b32_e32 v20, 0, v20, vcc_lo
	v_cndmask_b32_e32 v19, 0, v19, vcc_lo
	v_add_f64 v[29:30], v[23:24], v[19:20]
	v_add_f64 v[17:18], v[23:24], -v[17:18]
	v_cmp_gt_f64_e32 vcc_lo, 0, v[29:30]
	v_add_f64 v[29:30], v[27:28], -v[31:32]
	v_add_f64 v[17:18], v[21:22], -v[17:18]
	v_cndmask_b32_e64 v34, 0, 0x40100000, vcc_lo
	v_add_f64 v[38:39], v[27:28], -v[29:30]
	v_add_f64 v[15:16], v[15:16], -v[29:30]
	v_add_f64 v[19:20], v[19:20], v[33:34]
	v_add_f64 v[34:35], v[21:22], -v[27:28]
	v_add_f64 v[29:30], v[31:32], -v[38:39]
	v_add_f64 v[36:37], v[23:24], v[19:20]
	;; [unrolled: 3-line block ×3, first 2 shown]
	v_cvt_i32_f64_e32 v10, v[36:37]
	v_add_f64 v[27:28], v[27:28], -v[40:41]
	v_cvt_f64_i32_e32 v[34:35], v10
	v_add_f64 v[7:8], v[7:8], v[27:28]
	v_add_f64 v[19:20], v[19:20], -v[34:35]
	v_add_f64 v[7:8], v[15:16], v[7:8]
	v_add_f64 v[15:16], v[23:24], v[19:20]
	v_add_f64 v[5:6], v[5:6], v[7:8]
	v_add_f64 v[7:8], v[15:16], -v[19:20]
	v_cmp_le_f64_e32 vcc_lo, 0.5, v[15:16]
	v_add_f64 v[5:6], v[17:18], v[5:6]
	v_add_f64 v[7:8], v[23:24], -v[7:8]
	v_cndmask_b32_e64 v34, 0, 0x3ff00000, vcc_lo
	v_add_co_ci_u32_e64 v10, null, 0, v10, vcc_lo
	v_add_f64 v[5:6], v[5:6], v[7:8]
	v_add_f64 v[7:8], v[15:16], -v[33:34]
	v_add_f64 v[15:16], v[7:8], v[5:6]
	v_mul_f64 v[17:18], v[15:16], s[4:5]
	v_add_f64 v[7:8], v[15:16], -v[7:8]
	v_fma_f64 v[19:20], v[15:16], s[4:5], -v[17:18]
	v_add_f64 v[5:6], v[5:6], -v[7:8]
	v_fma_f64 v[7:8], v[15:16], s[18:19], v[19:20]
	v_fma_f64 v[7:8], v[5:6], s[4:5], v[7:8]
	v_add_f64 v[5:6], v[17:18], v[7:8]
	v_add_f64 v[15:16], v[5:6], -v[17:18]
	v_add_f64 v[7:8], v[7:8], -v[15:16]
.LBB24_80:
	s_andn2_saveexec_b32 s4, s17
	s_cbranch_execz .LBB24_82
; %bb.81:
	s_mov_b32 s18, 0x6dc9c883
	s_mov_b32 s19, 0x3fe45f30
	;; [unrolled: 1-line block ×3, first 2 shown]
	v_mul_f64 v[5:6], |v[3:4]|, s[18:19]
	s_mov_b32 s18, 0x54442d18
	s_mov_b32 s19, 0xbff921fb
	;; [unrolled: 1-line block ×3, first 2 shown]
	v_rndne_f64_e32 v[15:16], v[5:6]
	v_fma_f64 v[5:6], v[15:16], s[18:19], |v[3:4]|
	v_mul_f64 v[7:8], v[15:16], s[20:21]
	s_mov_b32 s18, 0x252049c0
	s_mov_b32 s19, 0xb97b839a
	v_cvt_i32_f64_e32 v10, v[15:16]
	v_fma_f64 v[19:20], v[15:16], s[20:21], v[5:6]
	v_add_f64 v[17:18], v[5:6], v[7:8]
	s_mov_b32 s21, 0x3c91a626
	v_add_f64 v[5:6], v[5:6], -v[17:18]
	v_add_f64 v[17:18], v[17:18], -v[19:20]
	v_add_f64 v[5:6], v[5:6], v[7:8]
	v_fma_f64 v[7:8], v[15:16], s[20:21], v[7:8]
	v_add_f64 v[5:6], v[17:18], v[5:6]
	v_add_f64 v[5:6], v[5:6], -v[7:8]
	v_fma_f64 v[7:8], v[15:16], s[18:19], v[5:6]
	v_add_f64 v[5:6], v[19:20], v[7:8]
	v_add_f64 v[17:18], v[5:6], -v[19:20]
	v_add_f64 v[7:8], v[7:8], -v[17:18]
.LBB24_82:
	s_or_b32 exec_lo, exec_lo, s4
	v_mul_f64 v[15:16], v[5:6], v[5:6]
	v_add_f64 v[17:18], v[7:8], v[7:8]
	s_mov_b32 s18, 0xa9a29f71
	s_mov_b32 s20, 0xc751c08c
	;; [unrolled: 1-line block ×4, first 2 shown]
	v_cmp_class_f64_e64 s4, v[3:4], 0x1f8
	v_and_b32_e32 v10, 1, v10
	v_and_b32_e32 v4, 0x80000000, v4
	v_sub_f32_e32 v14, 1.0, v14
	s_mov_b32 s5, exec_lo
	v_cmp_eq_u32_e32 vcc_lo, 0, v10
	v_fma_f64 v[19:20], v[5:6], v[5:6], -v[15:16]
	v_fma_f64 v[17:18], v[5:6], v[17:18], v[19:20]
	v_add_f64 v[15:16], v[15:16], v[17:18]
	v_fma_f64 v[17:18], v[15:16], s[20:21], s[18:19]
	s_mov_b32 s18, 0x90a8aae0
	s_mov_b32 s19, 0x3f17746f
	v_fma_f64 v[17:18], v[15:16], v[17:18], s[18:19]
	s_mov_b32 s18, 0xa6fbf144
	s_mov_b32 s19, 0xbefbb44d
	;; [unrolled: 3-line block ×13, first 2 shown]
	v_mul_f64 v[15:16], v[15:16], v[17:18]
	v_mul_f64 v[17:18], v[5:6], v[15:16]
	v_add_f64 v[19:20], v[5:6], v[17:18]
	v_fma_f64 v[15:16], v[5:6], v[15:16], -v[17:18]
	v_add_f64 v[5:6], v[19:20], -v[5:6]
	v_add_f64 v[7:8], v[7:8], v[15:16]
	v_add_f64 v[5:6], v[17:18], -v[5:6]
	v_add_f64 v[5:6], v[7:8], v[5:6]
	v_add_f64 v[7:8], v[19:20], v[5:6]
	v_rcp_f64_e32 v[15:16], v[7:8]
	v_fma_f64 v[17:18], -v[7:8], v[15:16], 1.0
	v_fma_f64 v[15:16], v[17:18], v[15:16], v[15:16]
	v_fma_f64 v[17:18], -v[7:8], v[15:16], 1.0
	v_fma_f64 v[15:16], v[17:18], v[15:16], v[15:16]
	v_add_f64 v[17:18], v[7:8], -v[19:20]
	v_mul_f64 v[19:20], v[7:8], v[15:16]
	v_add_f64 v[5:6], v[5:6], -v[17:18]
	v_fma_f64 v[17:18], v[15:16], v[7:8], -v[19:20]
	v_fma_f64 v[5:6], v[15:16], v[5:6], v[17:18]
	v_add_f64 v[17:18], v[19:20], v[5:6]
	v_add_f64 v[21:22], -v[17:18], 1.0
	v_add_f64 v[19:20], v[17:18], -v[19:20]
	v_add_f64 v[23:24], -v[21:22], 1.0
	v_add_f64 v[5:6], v[19:20], -v[5:6]
	v_add_f64 v[17:18], v[23:24], -v[17:18]
	v_add_f64 v[5:6], v[5:6], v[17:18]
	v_add_f64 v[5:6], v[21:22], v[5:6]
	v_mul_f64 v[5:6], v[15:16], v[5:6]
	v_add_f64 v[5:6], v[15:16], v[5:6]
	v_xor_b32_e32 v3, 0x80000000, v6
	v_cndmask_b32_e32 v5, v5, v7, vcc_lo
	v_cndmask_b32_e32 v3, v3, v8, vcc_lo
	v_xor_b32_e32 v4, v3, v4
	v_cndmask_b32_e64 v3, 0, v5, s4
	v_cndmask_b32_e64 v4, 0x7ff80000, v4, s4
	v_div_scale_f64 v[5:6], null, v[3:4], v[3:4], s[18:19]
	v_rcp_f64_e32 v[7:8], v[5:6]
	v_fma_f64 v[15:16], -v[5:6], v[7:8], 1.0
	v_fma_f64 v[7:8], v[7:8], v[15:16], v[7:8]
	v_fma_f64 v[15:16], -v[5:6], v[7:8], 1.0
	v_fma_f64 v[7:8], v[7:8], v[15:16], v[7:8]
	v_div_scale_f64 v[15:16], vcc_lo, s[18:19], v[3:4], s[18:19]
	v_mul_f64 v[17:18], v[15:16], v[7:8]
	v_fma_f64 v[5:6], -v[5:6], v[17:18], v[15:16]
	v_div_fmas_f64 v[5:6], v[5:6], v[7:8], v[17:18]
	v_div_fixup_f64 v[3:4], v[5:6], v[3:4], s[18:19]
	v_cvt_f32_f64_e32 v3, v[3:4]
.LBB24_83:
	s_or_b32 exec_lo, exec_lo, s16
	s_orn2_b32 s4, s5, exec_lo
.LBB24_84:
	s_or_b32 exec_lo, exec_lo, s15
	v_mov_b32_e32 v10, 0x7e00
	s_and_saveexec_b32 s15, s4
	s_cbranch_execz .LBB24_96
; %bb.85:
	s_mov_b32 s4, exec_lo
	v_cmpx_gt_f32_e32 0x41200000, v14
	s_cbranch_execz .LBB24_89
; %bb.86:
	s_mov_b32 s5, 0
	.p2align	6
.LBB24_87:                              ; =>This Inner Loop Header: Depth=1
	v_div_scale_f32 v4, null, v14, v14, 1.0
	v_div_scale_f32 v7, vcc_lo, 1.0, v14, 1.0
	v_rcp_f32_e32 v5, v4
	v_fma_f32 v6, -v4, v5, 1.0
	v_fmac_f32_e32 v5, v6, v5
	v_mul_f32_e32 v6, v7, v5
	v_fma_f32 v8, -v4, v6, v7
	v_fmac_f32_e32 v6, v8, v5
	v_fma_f32 v4, -v4, v6, v7
	v_div_fmas_f32 v4, v4, v5, v6
	v_div_fixup_f32 v4, v4, v14, 1.0
	v_add_f32_e32 v14, 1.0, v14
	v_sub_f32_e32 v3, v3, v4
	v_cmp_ngt_f32_e32 vcc_lo, 0x41200000, v14
	s_or_b32 s5, vcc_lo, s5
	s_andn2_b32 exec_lo, exec_lo, s5
	s_cbranch_execnz .LBB24_87
; %bb.88:
	s_or_b32 exec_lo, exec_lo, s5
.LBB24_89:
	s_or_b32 exec_lo, exec_lo, s4
                                        ; implicit-def: $vgpr10
	s_mov_b32 s4, exec_lo
	v_cmpx_neq_f32_e32 0x41200000, v14
	s_xor_b32 s16, exec_lo, s4
	s_cbranch_execz .LBB24_93
; %bb.90:
	v_cvt_f64_f32_e32 v[4:5], v14
	s_mov_b32 s4, 0x85d8a000
	s_mov_b32 s5, 0x43763457
	v_cmp_gt_f64_e32 vcc_lo, s[4:5], v[4:5]
	v_mov_b32_e32 v4, 0
	s_and_saveexec_b32 s4, vcc_lo
	s_cbranch_execz .LBB24_92
; %bb.91:
	v_mul_f32_e32 v4, v14, v14
	v_div_scale_f32 v5, null, v4, v4, 1.0
	v_rcp_f32_e32 v6, v5
	v_fma_f32 v7, -v5, v6, 1.0
	v_fmac_f32_e32 v6, v7, v6
	v_div_scale_f32 v7, vcc_lo, 1.0, v4, 1.0
	v_mul_f32_e32 v8, v7, v6
	v_fma_f32 v10, -v5, v8, v7
	v_fmac_f32_e32 v8, v10, v6
	v_fma_f32 v5, -v5, v8, v7
	v_div_fmas_f32 v5, v5, v6, v8
	v_div_fixup_f32 v4, v5, v4, 1.0
	v_fmaak_f32 v5, 0, v4, 0x3daaaaab
	v_fmaak_f32 v5, v4, v5, 0xbcaccacd
	;; [unrolled: 1-line block ×7, first 2 shown]
	v_mul_f32_e32 v4, v4, v5
.LBB24_92:
	s_or_b32 exec_lo, exec_lo, s4
	v_cmp_gt_f32_e32 vcc_lo, 0x800000, v14
	v_div_scale_f32 v5, null, v14, v14, -0.5
	v_div_scale_f32 v10, s4, -0.5, v14, -0.5
	v_cndmask_b32_e64 v6, 0, 32, vcc_lo
	v_rcp_f32_e32 v7, v5
	v_ldexp_f32 v6, v14, v6
	v_log_f32_e32 v6, v6
	v_fma_f32 v8, -v5, v7, 1.0
	v_fmac_f32_e32 v7, v8, v7
	v_mul_f32_e32 v8, 0x3f317217, v6
	v_mul_f32_e32 v15, v10, v7
	v_cmp_gt_f32_e64 s5, 0x7f800000, |v6|
	v_fma_f32 v8, 0x3f317217, v6, -v8
	v_fma_f32 v16, -v5, v15, v10
	v_fmamk_f32 v8, v6, 0x3377d1cf, v8
	v_fmac_f32_e32 v15, v16, v7
	v_fmac_f32_e32 v8, 0x3f317217, v6
	v_fma_f32 v5, -v5, v15, v10
	v_cndmask_b32_e64 v6, v6, v8, s5
	v_cndmask_b32_e64 v8, 0, 0x41b17218, vcc_lo
	s_mov_b32 vcc_lo, s4
	v_div_fmas_f32 v5, v5, v7, v15
	v_sub_f32_e32 v6, v6, v8
	v_div_fixup_f32 v5, v5, v14, -0.5
	v_add_f32_e32 v5, v6, v5
	v_sub_f32_e32 v4, v5, v4
	v_add_f32_e32 v3, v3, v4
	v_cvt_f16_f32_e32 v10, v3
                                        ; implicit-def: $vgpr3
.LBB24_93:
	s_andn2_saveexec_b32 s4, s16
; %bb.94:
	v_add_f32_e32 v3, 0x40101cb7, v3
	v_cvt_f16_f32_e32 v10, v3
; %bb.95:
	s_or_b32 exec_lo, exec_lo, s4
.LBB24_96:
	s_or_b32 exec_lo, exec_lo, s15
                                        ; implicit-def: $vgpr14
.LBB24_97:
	s_andn2_saveexec_b32 s4, s14
; %bb.98:
	v_xor_b32_e32 v3, 0x80000000, v14
	v_mov_b32_e32 v4, 0xffff8000
	v_and_b32_sdwa v3, v3, v4 dst_sel:DWORD dst_unused:UNUSED_PAD src0_sel:WORD_1 src1_sel:DWORD
	v_or_b32_e32 v10, 0x7c00, v3
; %bb.99:
	s_or_b32 exec_lo, exec_lo, s4
	s_waitcnt vmcnt(0)
	v_cvt_f32_f16_e32 v15, v1
                                        ; implicit-def: $vgpr14
	s_mov_b32 s4, exec_lo
	v_cmpx_neq_f16_e32 0, v1
	s_xor_b32 s14, exec_lo, s4
	s_cbranch_execz .LBB24_121
; %bb.100:
	v_mov_b32_e32 v3, 0
	s_mov_b32 s4, -1
	s_mov_b32 s15, exec_lo
	v_cmpx_gt_f16_e32 0, v1
	s_cbranch_execz .LBB24_108
; %bb.101:
	v_trunc_f32_e32 v3, v15
	s_mov_b32 s5, 0
	v_cmp_neq_f32_e32 vcc_lo, v3, v15
	v_mov_b32_e32 v3, 0
	s_and_saveexec_b32 s16, vcc_lo
	s_cbranch_execz .LBB24_107
; %bb.102:
	v_cvt_f32_f16_e32 v3, v1
	s_mov_b32 s5, 0xc00921fb
	s_mov_b32 s4, 0x54442d18
	s_mov_b32 s17, exec_lo
                                        ; implicit-def: $vgpr14
                                        ; implicit-def: $vgpr7_vgpr8
	v_cvt_f64_f32_e32 v[3:4], v3
	v_trunc_f64_e32 v[5:6], v[3:4]
	v_cmp_neq_f64_e64 vcc_lo, 0x7ff00000, |v[3:4]|
	v_add_f64 v[5:6], v[3:4], -v[5:6]
	v_mul_f64 v[5:6], |v[5:6]|, s[4:5]
	v_cndmask_b32_e32 v4, 0x80000000, v6, vcc_lo
	v_cndmask_b32_e32 v3, 0, v5, vcc_lo
                                        ; implicit-def: $vgpr5_vgpr6
	v_cmpx_ngt_f64_e64 0x41d00000, |v[3:4]|
	s_xor_b32 s17, exec_lo, s17
	s_cbranch_execz .LBB24_104
; %bb.103:
	v_ldexp_f64 v[5:6], |v[3:4]|, 0xffffff80
	v_cmp_le_f64_e64 vcc_lo, 0x7b000000, |v[3:4]|
	v_trig_preop_f64 v[7:8], |v[3:4]|, 0
	v_and_b32_e32 v14, 0x7fffffff, v4
	v_trig_preop_f64 v[16:17], |v[3:4]|, 1
	v_trig_preop_f64 v[26:27], |v[3:4]|, 2
	v_mov_b32_e32 v34, 0
	s_mov_b32 s5, 0x3ff921fb
	s_mov_b32 s18, 0x33145c07
	;; [unrolled: 1-line block ×3, first 2 shown]
	v_cndmask_b32_e32 v6, v14, v6, vcc_lo
	v_cndmask_b32_e32 v5, v3, v5, vcc_lo
	v_mul_f64 v[18:19], v[7:8], v[5:6]
	v_mul_f64 v[20:21], v[16:17], v[5:6]
	;; [unrolled: 1-line block ×3, first 2 shown]
	v_fma_f64 v[7:8], v[7:8], v[5:6], -v[18:19]
	v_fma_f64 v[16:17], v[16:17], v[5:6], -v[20:21]
	;; [unrolled: 1-line block ×3, first 2 shown]
	v_add_f64 v[22:23], v[20:21], v[7:8]
	v_add_f64 v[24:25], v[22:23], -v[20:21]
	v_add_f64 v[30:31], v[18:19], v[22:23]
	v_add_f64 v[28:29], v[22:23], -v[24:25]
	v_add_f64 v[7:8], v[7:8], -v[24:25]
	v_ldexp_f64 v[24:25], v[30:31], -2
	v_add_f64 v[18:19], v[30:31], -v[18:19]
	v_add_f64 v[20:21], v[20:21], -v[28:29]
	v_add_f64 v[28:29], v[32:33], v[16:17]
	v_cmp_neq_f64_e64 vcc_lo, 0x7ff00000, |v[24:25]|
	v_add_f64 v[18:19], v[22:23], -v[18:19]
	v_add_f64 v[7:8], v[7:8], v[20:21]
	v_fract_f64_e32 v[20:21], v[24:25]
	v_add_f64 v[22:23], v[28:29], v[7:8]
	v_ldexp_f64 v[20:21], v[20:21], 2
	v_add_f64 v[24:25], v[18:19], v[22:23]
	v_cndmask_b32_e32 v21, 0, v21, vcc_lo
	v_cndmask_b32_e32 v20, 0, v20, vcc_lo
	v_add_f64 v[30:31], v[24:25], v[20:21]
	v_add_f64 v[18:19], v[24:25], -v[18:19]
	v_cmp_gt_f64_e32 vcc_lo, 0, v[30:31]
	v_add_f64 v[30:31], v[28:29], -v[32:33]
	v_add_f64 v[18:19], v[22:23], -v[18:19]
	v_cndmask_b32_e64 v35, 0, 0x40100000, vcc_lo
	v_add_f64 v[39:40], v[28:29], -v[30:31]
	v_add_f64 v[16:17], v[16:17], -v[30:31]
	v_add_f64 v[20:21], v[20:21], v[34:35]
	v_add_f64 v[35:36], v[22:23], -v[28:29]
	v_add_f64 v[30:31], v[32:33], -v[39:40]
	v_add_f64 v[37:38], v[24:25], v[20:21]
	v_add_f64 v[41:42], v[22:23], -v[35:36]
	v_add_f64 v[7:8], v[7:8], -v[35:36]
	v_add_f64 v[16:17], v[16:17], v[30:31]
	v_cvt_i32_f64_e32 v14, v[37:38]
	v_add_f64 v[28:29], v[28:29], -v[41:42]
	v_cvt_f64_i32_e32 v[35:36], v14
	v_add_f64 v[7:8], v[7:8], v[28:29]
	v_add_f64 v[20:21], v[20:21], -v[35:36]
	v_add_f64 v[7:8], v[16:17], v[7:8]
	v_add_f64 v[16:17], v[24:25], v[20:21]
	;; [unrolled: 1-line block ×3, first 2 shown]
	v_add_f64 v[7:8], v[16:17], -v[20:21]
	v_cmp_le_f64_e32 vcc_lo, 0.5, v[16:17]
	v_add_f64 v[5:6], v[18:19], v[5:6]
	v_add_f64 v[7:8], v[24:25], -v[7:8]
	v_cndmask_b32_e64 v35, 0, 0x3ff00000, vcc_lo
	v_add_co_ci_u32_e64 v14, null, 0, v14, vcc_lo
	v_add_f64 v[5:6], v[5:6], v[7:8]
	v_add_f64 v[7:8], v[16:17], -v[34:35]
	v_add_f64 v[16:17], v[7:8], v[5:6]
	v_mul_f64 v[18:19], v[16:17], s[4:5]
	v_add_f64 v[7:8], v[16:17], -v[7:8]
	v_fma_f64 v[20:21], v[16:17], s[4:5], -v[18:19]
	v_add_f64 v[5:6], v[5:6], -v[7:8]
	v_fma_f64 v[7:8], v[16:17], s[18:19], v[20:21]
	v_fma_f64 v[7:8], v[5:6], s[4:5], v[7:8]
	v_add_f64 v[5:6], v[18:19], v[7:8]
	v_add_f64 v[16:17], v[5:6], -v[18:19]
	v_add_f64 v[7:8], v[7:8], -v[16:17]
.LBB24_104:
	s_andn2_saveexec_b32 s4, s17
	s_cbranch_execz .LBB24_106
; %bb.105:
	s_mov_b32 s18, 0x6dc9c883
	s_mov_b32 s19, 0x3fe45f30
	;; [unrolled: 1-line block ×3, first 2 shown]
	v_mul_f64 v[5:6], |v[3:4]|, s[18:19]
	s_mov_b32 s18, 0x54442d18
	s_mov_b32 s19, 0xbff921fb
	;; [unrolled: 1-line block ×3, first 2 shown]
	v_rndne_f64_e32 v[16:17], v[5:6]
	v_fma_f64 v[5:6], v[16:17], s[18:19], |v[3:4]|
	v_mul_f64 v[7:8], v[16:17], s[20:21]
	s_mov_b32 s18, 0x252049c0
	s_mov_b32 s19, 0xb97b839a
	v_cvt_i32_f64_e32 v14, v[16:17]
	v_fma_f64 v[20:21], v[16:17], s[20:21], v[5:6]
	v_add_f64 v[18:19], v[5:6], v[7:8]
	s_mov_b32 s21, 0x3c91a626
	v_add_f64 v[5:6], v[5:6], -v[18:19]
	v_add_f64 v[18:19], v[18:19], -v[20:21]
	v_add_f64 v[5:6], v[5:6], v[7:8]
	v_fma_f64 v[7:8], v[16:17], s[20:21], v[7:8]
	v_add_f64 v[5:6], v[18:19], v[5:6]
	v_add_f64 v[5:6], v[5:6], -v[7:8]
	v_fma_f64 v[7:8], v[16:17], s[18:19], v[5:6]
	v_add_f64 v[5:6], v[20:21], v[7:8]
	v_add_f64 v[18:19], v[5:6], -v[20:21]
	v_add_f64 v[7:8], v[7:8], -v[18:19]
.LBB24_106:
	s_or_b32 exec_lo, exec_lo, s4
	v_mul_f64 v[16:17], v[5:6], v[5:6]
	v_add_f64 v[18:19], v[7:8], v[7:8]
	s_mov_b32 s18, 0xa9a29f71
	s_mov_b32 s20, 0xc751c08c
	s_mov_b32 s19, 0xbf078809
	s_mov_b32 s21, 0x3ef5e089
	v_cmp_class_f64_e64 s4, v[3:4], 0x1f8
	v_and_b32_e32 v14, 1, v14
	v_and_b32_e32 v4, 0x80000000, v4
	v_sub_f32_e32 v15, 1.0, v15
	s_mov_b32 s5, exec_lo
	v_cmp_eq_u32_e32 vcc_lo, 0, v14
	v_fma_f64 v[20:21], v[5:6], v[5:6], -v[16:17]
	v_fma_f64 v[18:19], v[5:6], v[18:19], v[20:21]
	v_add_f64 v[16:17], v[16:17], v[18:19]
	v_fma_f64 v[18:19], v[16:17], s[20:21], s[18:19]
	s_mov_b32 s18, 0x90a8aae0
	s_mov_b32 s19, 0x3f17746f
	v_fma_f64 v[18:19], v[16:17], v[18:19], s[18:19]
	s_mov_b32 s18, 0xa6fbf144
	s_mov_b32 s19, 0xbefbb44d
	;; [unrolled: 3-line block ×13, first 2 shown]
	v_mul_f64 v[16:17], v[16:17], v[18:19]
	v_mul_f64 v[18:19], v[5:6], v[16:17]
	v_add_f64 v[20:21], v[5:6], v[18:19]
	v_fma_f64 v[16:17], v[5:6], v[16:17], -v[18:19]
	v_add_f64 v[5:6], v[20:21], -v[5:6]
	v_add_f64 v[7:8], v[7:8], v[16:17]
	v_add_f64 v[5:6], v[18:19], -v[5:6]
	v_add_f64 v[5:6], v[7:8], v[5:6]
	v_add_f64 v[7:8], v[20:21], v[5:6]
	v_rcp_f64_e32 v[16:17], v[7:8]
	v_fma_f64 v[18:19], -v[7:8], v[16:17], 1.0
	v_fma_f64 v[16:17], v[18:19], v[16:17], v[16:17]
	v_fma_f64 v[18:19], -v[7:8], v[16:17], 1.0
	v_fma_f64 v[16:17], v[18:19], v[16:17], v[16:17]
	v_add_f64 v[18:19], v[7:8], -v[20:21]
	v_mul_f64 v[20:21], v[7:8], v[16:17]
	v_add_f64 v[5:6], v[5:6], -v[18:19]
	v_fma_f64 v[18:19], v[16:17], v[7:8], -v[20:21]
	v_fma_f64 v[5:6], v[16:17], v[5:6], v[18:19]
	v_add_f64 v[18:19], v[20:21], v[5:6]
	v_add_f64 v[22:23], -v[18:19], 1.0
	v_add_f64 v[20:21], v[18:19], -v[20:21]
	v_add_f64 v[24:25], -v[22:23], 1.0
	v_add_f64 v[5:6], v[20:21], -v[5:6]
	v_add_f64 v[18:19], v[24:25], -v[18:19]
	v_add_f64 v[5:6], v[5:6], v[18:19]
	v_add_f64 v[5:6], v[22:23], v[5:6]
	v_mul_f64 v[5:6], v[16:17], v[5:6]
	v_add_f64 v[5:6], v[16:17], v[5:6]
	v_xor_b32_e32 v3, 0x80000000, v6
	v_cndmask_b32_e32 v5, v5, v7, vcc_lo
	v_cndmask_b32_e32 v3, v3, v8, vcc_lo
	v_xor_b32_e32 v4, v3, v4
	v_cndmask_b32_e64 v3, 0, v5, s4
	v_cndmask_b32_e64 v4, 0x7ff80000, v4, s4
	v_div_scale_f64 v[5:6], null, v[3:4], v[3:4], s[18:19]
	v_rcp_f64_e32 v[7:8], v[5:6]
	v_fma_f64 v[16:17], -v[5:6], v[7:8], 1.0
	v_fma_f64 v[7:8], v[7:8], v[16:17], v[7:8]
	v_fma_f64 v[16:17], -v[5:6], v[7:8], 1.0
	v_fma_f64 v[7:8], v[7:8], v[16:17], v[7:8]
	v_div_scale_f64 v[16:17], vcc_lo, s[18:19], v[3:4], s[18:19]
	v_mul_f64 v[18:19], v[16:17], v[7:8]
	v_fma_f64 v[5:6], -v[5:6], v[18:19], v[16:17]
	v_div_fmas_f64 v[5:6], v[5:6], v[7:8], v[18:19]
	v_div_fixup_f64 v[3:4], v[5:6], v[3:4], s[18:19]
	v_cvt_f32_f64_e32 v3, v[3:4]
.LBB24_107:
	s_or_b32 exec_lo, exec_lo, s16
	s_orn2_b32 s4, s5, exec_lo
.LBB24_108:
	s_or_b32 exec_lo, exec_lo, s15
	v_mov_b32_e32 v14, 0x7e00
	s_and_saveexec_b32 s15, s4
	s_cbranch_execz .LBB24_120
; %bb.109:
	s_mov_b32 s4, exec_lo
	v_cmpx_gt_f32_e32 0x41200000, v15
	s_cbranch_execz .LBB24_113
; %bb.110:
	s_mov_b32 s5, 0
	.p2align	6
.LBB24_111:                             ; =>This Inner Loop Header: Depth=1
	v_div_scale_f32 v4, null, v15, v15, 1.0
	v_div_scale_f32 v7, vcc_lo, 1.0, v15, 1.0
	v_rcp_f32_e32 v5, v4
	v_fma_f32 v6, -v4, v5, 1.0
	v_fmac_f32_e32 v5, v6, v5
	v_mul_f32_e32 v6, v7, v5
	v_fma_f32 v8, -v4, v6, v7
	v_fmac_f32_e32 v6, v8, v5
	v_fma_f32 v4, -v4, v6, v7
	v_div_fmas_f32 v4, v4, v5, v6
	v_div_fixup_f32 v4, v4, v15, 1.0
	v_add_f32_e32 v15, 1.0, v15
	v_sub_f32_e32 v3, v3, v4
	v_cmp_ngt_f32_e32 vcc_lo, 0x41200000, v15
	s_or_b32 s5, vcc_lo, s5
	s_andn2_b32 exec_lo, exec_lo, s5
	s_cbranch_execnz .LBB24_111
; %bb.112:
	s_or_b32 exec_lo, exec_lo, s5
.LBB24_113:
	s_or_b32 exec_lo, exec_lo, s4
                                        ; implicit-def: $vgpr14
	s_mov_b32 s4, exec_lo
	v_cmpx_neq_f32_e32 0x41200000, v15
	s_xor_b32 s16, exec_lo, s4
	s_cbranch_execz .LBB24_117
; %bb.114:
	v_cvt_f64_f32_e32 v[4:5], v15
	s_mov_b32 s4, 0x85d8a000
	s_mov_b32 s5, 0x43763457
	v_cmp_gt_f64_e32 vcc_lo, s[4:5], v[4:5]
	v_mov_b32_e32 v4, 0
	s_and_saveexec_b32 s4, vcc_lo
	s_cbranch_execz .LBB24_116
; %bb.115:
	v_mul_f32_e32 v4, v15, v15
	v_div_scale_f32 v5, null, v4, v4, 1.0
	v_rcp_f32_e32 v6, v5
	v_fma_f32 v7, -v5, v6, 1.0
	v_fmac_f32_e32 v6, v7, v6
	v_div_scale_f32 v7, vcc_lo, 1.0, v4, 1.0
	v_mul_f32_e32 v8, v7, v6
	v_fma_f32 v14, -v5, v8, v7
	v_fmac_f32_e32 v8, v14, v6
	v_fma_f32 v5, -v5, v8, v7
	v_div_fmas_f32 v5, v5, v6, v8
	v_div_fixup_f32 v4, v5, v4, 1.0
	v_fmaak_f32 v5, 0, v4, 0x3daaaaab
	v_fmaak_f32 v5, v4, v5, 0xbcaccacd
	;; [unrolled: 1-line block ×7, first 2 shown]
	v_mul_f32_e32 v4, v4, v5
.LBB24_116:
	s_or_b32 exec_lo, exec_lo, s4
	v_cmp_gt_f32_e32 vcc_lo, 0x800000, v15
	v_div_scale_f32 v5, null, v15, v15, -0.5
	v_div_scale_f32 v14, s4, -0.5, v15, -0.5
	v_cndmask_b32_e64 v6, 0, 32, vcc_lo
	v_rcp_f32_e32 v7, v5
	v_ldexp_f32 v6, v15, v6
	v_log_f32_e32 v6, v6
	v_fma_f32 v8, -v5, v7, 1.0
	v_fmac_f32_e32 v7, v8, v7
	v_mul_f32_e32 v8, 0x3f317217, v6
	v_mul_f32_e32 v16, v14, v7
	v_cmp_gt_f32_e64 s5, 0x7f800000, |v6|
	v_fma_f32 v8, 0x3f317217, v6, -v8
	v_fma_f32 v17, -v5, v16, v14
	v_fmamk_f32 v8, v6, 0x3377d1cf, v8
	v_fmac_f32_e32 v16, v17, v7
	v_fmac_f32_e32 v8, 0x3f317217, v6
	v_fma_f32 v5, -v5, v16, v14
	v_cndmask_b32_e64 v6, v6, v8, s5
	v_cndmask_b32_e64 v8, 0, 0x41b17218, vcc_lo
	s_mov_b32 vcc_lo, s4
	v_div_fmas_f32 v5, v5, v7, v16
	v_sub_f32_e32 v6, v6, v8
	v_div_fixup_f32 v5, v5, v15, -0.5
	v_add_f32_e32 v5, v6, v5
	v_sub_f32_e32 v4, v5, v4
	v_add_f32_e32 v3, v3, v4
	v_cvt_f16_f32_e32 v14, v3
                                        ; implicit-def: $vgpr3
.LBB24_117:
	s_andn2_saveexec_b32 s4, s16
; %bb.118:
	v_add_f32_e32 v3, 0x40101cb7, v3
	v_cvt_f16_f32_e32 v14, v3
; %bb.119:
	s_or_b32 exec_lo, exec_lo, s4
.LBB24_120:
	s_or_b32 exec_lo, exec_lo, s15
                                        ; implicit-def: $vgpr15
.LBB24_121:
	s_andn2_saveexec_b32 s4, s14
; %bb.122:
	v_xor_b32_e32 v3, 0x80000000, v15
	v_mov_b32_e32 v4, 0xffff8000
	v_and_b32_sdwa v3, v3, v4 dst_sel:DWORD dst_unused:UNUSED_PAD src0_sel:WORD_1 src1_sel:DWORD
	v_or_b32_e32 v14, 0x7c00, v3
; %bb.123:
	s_or_b32 exec_lo, exec_lo, s4
	v_mov_b32_e32 v3, 0
	v_cvt_f32_f16_sdwa v16, v1 dst_sel:DWORD dst_unused:UNUSED_PAD src0_sel:WORD_1
                                        ; implicit-def: $vgpr15
	v_cmp_neq_f16_sdwa s4, v1, v3 src0_sel:WORD_1 src1_sel:DWORD
	s_and_saveexec_b32 s5, s4
	s_xor_b32 s14, exec_lo, s5
	s_cbranch_execz .LBB24_145
; %bb.124:
	v_cmp_lt_f16_sdwa s5, v1, v3 src0_sel:WORD_1 src1_sel:DWORD
	s_mov_b32 s4, -1
	s_and_saveexec_b32 s15, s5
	s_cbranch_execz .LBB24_132
; %bb.125:
	v_trunc_f32_e32 v3, v16
	s_mov_b32 s5, 0
	v_cmp_neq_f32_e32 vcc_lo, v3, v16
	v_mov_b32_e32 v3, 0
	s_and_saveexec_b32 s16, vcc_lo
	s_cbranch_execz .LBB24_131
; %bb.126:
	v_cvt_f32_f16_sdwa v1, v1 dst_sel:DWORD dst_unused:UNUSED_PAD src0_sel:WORD_1
	s_mov_b32 s5, 0xc00921fb
	s_mov_b32 s4, 0x54442d18
	s_mov_b32 s17, exec_lo
                                        ; implicit-def: $vgpr7_vgpr8
	v_cvt_f64_f32_e32 v[3:4], v1
                                        ; implicit-def: $vgpr1
	v_trunc_f64_e32 v[5:6], v[3:4]
	v_cmp_neq_f64_e64 vcc_lo, 0x7ff00000, |v[3:4]|
	v_add_f64 v[5:6], v[3:4], -v[5:6]
	v_mul_f64 v[5:6], |v[5:6]|, s[4:5]
	v_cndmask_b32_e32 v4, 0x80000000, v6, vcc_lo
	v_cndmask_b32_e32 v3, 0, v5, vcc_lo
                                        ; implicit-def: $vgpr5_vgpr6
	v_cmpx_ngt_f64_e64 0x41d00000, |v[3:4]|
	s_xor_b32 s17, exec_lo, s17
	s_cbranch_execz .LBB24_128
; %bb.127:
	v_ldexp_f64 v[5:6], |v[3:4]|, 0xffffff80
	v_cmp_le_f64_e64 vcc_lo, 0x7b000000, |v[3:4]|
	v_trig_preop_f64 v[7:8], |v[3:4]|, 0
	v_and_b32_e32 v1, 0x7fffffff, v4
	v_trig_preop_f64 v[17:18], |v[3:4]|, 1
	v_trig_preop_f64 v[27:28], |v[3:4]|, 2
	v_mov_b32_e32 v35, 0
	s_mov_b32 s5, 0x3ff921fb
	s_mov_b32 s18, 0x33145c07
	;; [unrolled: 1-line block ×3, first 2 shown]
	v_cndmask_b32_e32 v6, v1, v6, vcc_lo
	v_cndmask_b32_e32 v5, v3, v5, vcc_lo
	v_mul_f64 v[19:20], v[7:8], v[5:6]
	v_mul_f64 v[21:22], v[17:18], v[5:6]
	;; [unrolled: 1-line block ×3, first 2 shown]
	v_fma_f64 v[7:8], v[7:8], v[5:6], -v[19:20]
	v_fma_f64 v[17:18], v[17:18], v[5:6], -v[21:22]
	;; [unrolled: 1-line block ×3, first 2 shown]
	v_add_f64 v[23:24], v[21:22], v[7:8]
	v_add_f64 v[25:26], v[23:24], -v[21:22]
	v_add_f64 v[31:32], v[19:20], v[23:24]
	v_add_f64 v[29:30], v[23:24], -v[25:26]
	v_add_f64 v[7:8], v[7:8], -v[25:26]
	v_ldexp_f64 v[25:26], v[31:32], -2
	v_add_f64 v[19:20], v[31:32], -v[19:20]
	v_add_f64 v[21:22], v[21:22], -v[29:30]
	v_add_f64 v[29:30], v[33:34], v[17:18]
	v_cmp_neq_f64_e64 vcc_lo, 0x7ff00000, |v[25:26]|
	v_add_f64 v[19:20], v[23:24], -v[19:20]
	v_add_f64 v[7:8], v[7:8], v[21:22]
	v_fract_f64_e32 v[21:22], v[25:26]
	v_add_f64 v[23:24], v[29:30], v[7:8]
	v_ldexp_f64 v[21:22], v[21:22], 2
	v_add_f64 v[25:26], v[19:20], v[23:24]
	v_cndmask_b32_e32 v22, 0, v22, vcc_lo
	v_cndmask_b32_e32 v21, 0, v21, vcc_lo
	v_add_f64 v[31:32], v[25:26], v[21:22]
	v_add_f64 v[19:20], v[25:26], -v[19:20]
	v_cmp_gt_f64_e32 vcc_lo, 0, v[31:32]
	v_add_f64 v[31:32], v[29:30], -v[33:34]
	v_add_f64 v[19:20], v[23:24], -v[19:20]
	v_cndmask_b32_e64 v36, 0, 0x40100000, vcc_lo
	v_add_f64 v[40:41], v[29:30], -v[31:32]
	v_add_f64 v[17:18], v[17:18], -v[31:32]
	v_add_f64 v[21:22], v[21:22], v[35:36]
	v_add_f64 v[36:37], v[23:24], -v[29:30]
	v_add_f64 v[31:32], v[33:34], -v[40:41]
	v_add_f64 v[38:39], v[25:26], v[21:22]
	;; [unrolled: 3-line block ×3, first 2 shown]
	v_cvt_i32_f64_e32 v1, v[38:39]
	v_add_f64 v[29:30], v[29:30], -v[42:43]
	v_cvt_f64_i32_e32 v[36:37], v1
	v_add_f64 v[7:8], v[7:8], v[29:30]
	v_add_f64 v[21:22], v[21:22], -v[36:37]
	v_add_f64 v[7:8], v[17:18], v[7:8]
	v_add_f64 v[17:18], v[25:26], v[21:22]
	;; [unrolled: 1-line block ×3, first 2 shown]
	v_add_f64 v[7:8], v[17:18], -v[21:22]
	v_cmp_le_f64_e32 vcc_lo, 0.5, v[17:18]
	v_add_f64 v[5:6], v[19:20], v[5:6]
	v_add_f64 v[7:8], v[25:26], -v[7:8]
	v_cndmask_b32_e64 v36, 0, 0x3ff00000, vcc_lo
	v_add_co_ci_u32_e64 v1, null, 0, v1, vcc_lo
	v_add_f64 v[5:6], v[5:6], v[7:8]
	v_add_f64 v[7:8], v[17:18], -v[35:36]
	v_add_f64 v[17:18], v[7:8], v[5:6]
	v_mul_f64 v[19:20], v[17:18], s[4:5]
	v_add_f64 v[7:8], v[17:18], -v[7:8]
	v_fma_f64 v[21:22], v[17:18], s[4:5], -v[19:20]
	v_add_f64 v[5:6], v[5:6], -v[7:8]
	v_fma_f64 v[7:8], v[17:18], s[18:19], v[21:22]
	v_fma_f64 v[7:8], v[5:6], s[4:5], v[7:8]
	v_add_f64 v[5:6], v[19:20], v[7:8]
	v_add_f64 v[17:18], v[5:6], -v[19:20]
	v_add_f64 v[7:8], v[7:8], -v[17:18]
.LBB24_128:
	s_andn2_saveexec_b32 s4, s17
	s_cbranch_execz .LBB24_130
; %bb.129:
	s_mov_b32 s18, 0x6dc9c883
	s_mov_b32 s19, 0x3fe45f30
	;; [unrolled: 1-line block ×3, first 2 shown]
	v_mul_f64 v[5:6], |v[3:4]|, s[18:19]
	s_mov_b32 s18, 0x54442d18
	s_mov_b32 s19, 0xbff921fb
	;; [unrolled: 1-line block ×3, first 2 shown]
	v_rndne_f64_e32 v[17:18], v[5:6]
	v_fma_f64 v[5:6], v[17:18], s[18:19], |v[3:4]|
	v_mul_f64 v[7:8], v[17:18], s[20:21]
	s_mov_b32 s18, 0x252049c0
	s_mov_b32 s19, 0xb97b839a
	v_cvt_i32_f64_e32 v1, v[17:18]
	v_fma_f64 v[21:22], v[17:18], s[20:21], v[5:6]
	v_add_f64 v[19:20], v[5:6], v[7:8]
	s_mov_b32 s21, 0x3c91a626
	v_add_f64 v[5:6], v[5:6], -v[19:20]
	v_add_f64 v[19:20], v[19:20], -v[21:22]
	v_add_f64 v[5:6], v[5:6], v[7:8]
	v_fma_f64 v[7:8], v[17:18], s[20:21], v[7:8]
	v_add_f64 v[5:6], v[19:20], v[5:6]
	v_add_f64 v[5:6], v[5:6], -v[7:8]
	v_fma_f64 v[7:8], v[17:18], s[18:19], v[5:6]
	v_add_f64 v[5:6], v[21:22], v[7:8]
	v_add_f64 v[19:20], v[5:6], -v[21:22]
	v_add_f64 v[7:8], v[7:8], -v[19:20]
.LBB24_130:
	s_or_b32 exec_lo, exec_lo, s4
	v_mul_f64 v[17:18], v[5:6], v[5:6]
	v_add_f64 v[19:20], v[7:8], v[7:8]
	s_mov_b32 s18, 0xa9a29f71
	s_mov_b32 s20, 0xc751c08c
	;; [unrolled: 1-line block ×4, first 2 shown]
	v_cmp_class_f64_e64 s4, v[3:4], 0x1f8
	v_and_b32_e32 v1, 1, v1
	v_and_b32_e32 v4, 0x80000000, v4
	v_sub_f32_e32 v16, 1.0, v16
	s_mov_b32 s5, exec_lo
	v_cmp_eq_u32_e32 vcc_lo, 0, v1
	v_fma_f64 v[21:22], v[5:6], v[5:6], -v[17:18]
	v_fma_f64 v[19:20], v[5:6], v[19:20], v[21:22]
	v_add_f64 v[17:18], v[17:18], v[19:20]
	v_fma_f64 v[19:20], v[17:18], s[20:21], s[18:19]
	s_mov_b32 s18, 0x90a8aae0
	s_mov_b32 s19, 0x3f17746f
	v_fma_f64 v[19:20], v[17:18], v[19:20], s[18:19]
	s_mov_b32 s18, 0xa6fbf144
	s_mov_b32 s19, 0xbefbb44d
	;; [unrolled: 3-line block ×13, first 2 shown]
	v_mul_f64 v[17:18], v[17:18], v[19:20]
	v_mul_f64 v[19:20], v[5:6], v[17:18]
	v_add_f64 v[21:22], v[5:6], v[19:20]
	v_fma_f64 v[17:18], v[5:6], v[17:18], -v[19:20]
	v_add_f64 v[5:6], v[21:22], -v[5:6]
	v_add_f64 v[7:8], v[7:8], v[17:18]
	v_add_f64 v[5:6], v[19:20], -v[5:6]
	v_add_f64 v[5:6], v[7:8], v[5:6]
	v_add_f64 v[7:8], v[21:22], v[5:6]
	v_rcp_f64_e32 v[17:18], v[7:8]
	v_fma_f64 v[19:20], -v[7:8], v[17:18], 1.0
	v_fma_f64 v[17:18], v[19:20], v[17:18], v[17:18]
	v_fma_f64 v[19:20], -v[7:8], v[17:18], 1.0
	v_fma_f64 v[17:18], v[19:20], v[17:18], v[17:18]
	v_add_f64 v[19:20], v[7:8], -v[21:22]
	v_mul_f64 v[21:22], v[7:8], v[17:18]
	v_add_f64 v[5:6], v[5:6], -v[19:20]
	v_fma_f64 v[19:20], v[17:18], v[7:8], -v[21:22]
	v_fma_f64 v[5:6], v[17:18], v[5:6], v[19:20]
	v_add_f64 v[19:20], v[21:22], v[5:6]
	v_add_f64 v[23:24], -v[19:20], 1.0
	v_add_f64 v[21:22], v[19:20], -v[21:22]
	v_add_f64 v[25:26], -v[23:24], 1.0
	v_add_f64 v[5:6], v[21:22], -v[5:6]
	v_add_f64 v[19:20], v[25:26], -v[19:20]
	v_add_f64 v[5:6], v[5:6], v[19:20]
	v_add_f64 v[5:6], v[23:24], v[5:6]
	v_mul_f64 v[5:6], v[17:18], v[5:6]
	v_add_f64 v[5:6], v[17:18], v[5:6]
	v_xor_b32_e32 v3, 0x80000000, v6
	v_cndmask_b32_e32 v1, v5, v7, vcc_lo
	v_cndmask_b32_e32 v3, v3, v8, vcc_lo
	v_xor_b32_e32 v4, v3, v4
	v_cndmask_b32_e64 v3, 0, v1, s4
	v_cndmask_b32_e64 v4, 0x7ff80000, v4, s4
	v_div_scale_f64 v[5:6], null, v[3:4], v[3:4], s[18:19]
	v_rcp_f64_e32 v[7:8], v[5:6]
	v_fma_f64 v[17:18], -v[5:6], v[7:8], 1.0
	v_fma_f64 v[7:8], v[7:8], v[17:18], v[7:8]
	v_fma_f64 v[17:18], -v[5:6], v[7:8], 1.0
	v_fma_f64 v[7:8], v[7:8], v[17:18], v[7:8]
	v_div_scale_f64 v[17:18], vcc_lo, s[18:19], v[3:4], s[18:19]
	v_mul_f64 v[19:20], v[17:18], v[7:8]
	v_fma_f64 v[5:6], -v[5:6], v[19:20], v[17:18]
	v_div_fmas_f64 v[5:6], v[5:6], v[7:8], v[19:20]
	v_div_fixup_f64 v[3:4], v[5:6], v[3:4], s[18:19]
	v_cvt_f32_f64_e32 v3, v[3:4]
.LBB24_131:
	s_or_b32 exec_lo, exec_lo, s16
	s_orn2_b32 s4, s5, exec_lo
.LBB24_132:
	s_or_b32 exec_lo, exec_lo, s15
	v_mov_b32_e32 v15, 0x7e00
	s_and_saveexec_b32 s15, s4
	s_cbranch_execz .LBB24_144
; %bb.133:
	s_mov_b32 s4, exec_lo
	v_cmpx_gt_f32_e32 0x41200000, v16
	s_cbranch_execz .LBB24_137
; %bb.134:
	s_mov_b32 s5, 0
	.p2align	6
.LBB24_135:                             ; =>This Inner Loop Header: Depth=1
	v_div_scale_f32 v1, null, v16, v16, 1.0
	v_div_scale_f32 v6, vcc_lo, 1.0, v16, 1.0
	v_rcp_f32_e32 v4, v1
	v_fma_f32 v5, -v1, v4, 1.0
	v_fmac_f32_e32 v4, v5, v4
	v_mul_f32_e32 v5, v6, v4
	v_fma_f32 v7, -v1, v5, v6
	v_fmac_f32_e32 v5, v7, v4
	v_fma_f32 v1, -v1, v5, v6
	v_div_fmas_f32 v1, v1, v4, v5
	v_div_fixup_f32 v1, v1, v16, 1.0
	v_add_f32_e32 v16, 1.0, v16
	v_sub_f32_e32 v3, v3, v1
	v_cmp_ngt_f32_e32 vcc_lo, 0x41200000, v16
	s_or_b32 s5, vcc_lo, s5
	s_andn2_b32 exec_lo, exec_lo, s5
	s_cbranch_execnz .LBB24_135
; %bb.136:
	s_or_b32 exec_lo, exec_lo, s5
.LBB24_137:
	s_or_b32 exec_lo, exec_lo, s4
                                        ; implicit-def: $vgpr15
	s_mov_b32 s4, exec_lo
	v_cmpx_neq_f32_e32 0x41200000, v16
	s_xor_b32 s16, exec_lo, s4
	s_cbranch_execz .LBB24_141
; %bb.138:
	v_cvt_f64_f32_e32 v[4:5], v16
	s_mov_b32 s4, 0x85d8a000
	s_mov_b32 s5, 0x43763457
	v_mov_b32_e32 v1, 0
	v_cmp_gt_f64_e32 vcc_lo, s[4:5], v[4:5]
	s_and_saveexec_b32 s4, vcc_lo
	s_cbranch_execz .LBB24_140
; %bb.139:
	v_mul_f32_e32 v1, v16, v16
	v_div_scale_f32 v4, null, v1, v1, 1.0
	v_rcp_f32_e32 v5, v4
	v_fma_f32 v6, -v4, v5, 1.0
	v_fmac_f32_e32 v5, v6, v5
	v_div_scale_f32 v6, vcc_lo, 1.0, v1, 1.0
	v_mul_f32_e32 v7, v6, v5
	v_fma_f32 v8, -v4, v7, v6
	v_fmac_f32_e32 v7, v8, v5
	v_fma_f32 v4, -v4, v7, v6
	v_div_fmas_f32 v4, v4, v5, v7
	v_div_fixup_f32 v1, v4, v1, 1.0
	v_fmaak_f32 v4, 0, v1, 0x3daaaaab
	v_fmaak_f32 v4, v1, v4, 0xbcaccacd
	;; [unrolled: 1-line block ×7, first 2 shown]
	v_mul_f32_e32 v1, v1, v4
.LBB24_140:
	s_or_b32 exec_lo, exec_lo, s4
	v_cmp_gt_f32_e32 vcc_lo, 0x800000, v16
	v_div_scale_f32 v4, null, v16, v16, -0.5
	v_div_scale_f32 v8, s4, -0.5, v16, -0.5
	v_cndmask_b32_e64 v5, 0, 32, vcc_lo
	v_rcp_f32_e32 v6, v4
	v_ldexp_f32 v5, v16, v5
	v_log_f32_e32 v5, v5
	v_fma_f32 v7, -v4, v6, 1.0
	v_fmac_f32_e32 v6, v7, v6
	v_mul_f32_e32 v7, 0x3f317217, v5
	v_mul_f32_e32 v15, v8, v6
	v_cmp_gt_f32_e64 s5, 0x7f800000, |v5|
	v_fma_f32 v7, 0x3f317217, v5, -v7
	v_fma_f32 v17, -v4, v15, v8
	v_fmamk_f32 v7, v5, 0x3377d1cf, v7
	v_fmac_f32_e32 v15, v17, v6
	v_fmac_f32_e32 v7, 0x3f317217, v5
	v_fma_f32 v4, -v4, v15, v8
	v_cndmask_b32_e64 v5, v5, v7, s5
	v_cndmask_b32_e64 v7, 0, 0x41b17218, vcc_lo
	s_mov_b32 vcc_lo, s4
	v_div_fmas_f32 v4, v4, v6, v15
	v_sub_f32_e32 v5, v5, v7
	v_div_fixup_f32 v4, v4, v16, -0.5
	v_add_f32_e32 v4, v5, v4
	v_sub_f32_e32 v1, v4, v1
	v_add_f32_e32 v1, v3, v1
                                        ; implicit-def: $vgpr3
	v_cvt_f16_f32_e32 v15, v1
.LBB24_141:
	s_andn2_saveexec_b32 s4, s16
; %bb.142:
	v_add_f32_e32 v1, 0x40101cb7, v3
	v_cvt_f16_f32_e32 v15, v1
; %bb.143:
	s_or_b32 exec_lo, exec_lo, s4
.LBB24_144:
	s_or_b32 exec_lo, exec_lo, s15
                                        ; implicit-def: $vgpr16
.LBB24_145:
	s_andn2_saveexec_b32 s4, s14
; %bb.146:
	v_xor_b32_e32 v1, 0x80000000, v16
	v_mov_b32_e32 v3, 0xffff8000
	v_and_b32_sdwa v1, v1, v3 dst_sel:DWORD dst_unused:UNUSED_PAD src0_sel:WORD_1 src1_sel:DWORD
	v_or_b32_e32 v15, 0x7c00, v1
; %bb.147:
	s_or_b32 exec_lo, exec_lo, s4
	v_cvt_f32_f16_e32 v1, v2
                                        ; implicit-def: $vgpr7
	s_mov_b32 s4, exec_lo
	v_cmpx_neq_f16_e32 0, v2
	s_xor_b32 s14, exec_lo, s4
	s_cbranch_execz .LBB24_169
; %bb.148:
	v_mov_b32_e32 v3, 0
	s_mov_b32 s4, -1
	s_mov_b32 s15, exec_lo
	v_cmpx_gt_f16_e32 0, v2
	s_cbranch_execz .LBB24_156
; %bb.149:
	v_trunc_f32_e32 v3, v1
	s_mov_b32 s5, 0
	v_cmp_neq_f32_e32 vcc_lo, v3, v1
	v_mov_b32_e32 v3, 0
	s_and_saveexec_b32 s16, vcc_lo
	s_cbranch_execz .LBB24_155
; %bb.150:
	v_cvt_f32_f16_e32 v3, v2
	s_mov_b32 s5, 0xc00921fb
	s_mov_b32 s4, 0x54442d18
	s_mov_b32 s17, exec_lo
                                        ; implicit-def: $vgpr16
                                        ; implicit-def: $vgpr7_vgpr8
	v_cvt_f64_f32_e32 v[3:4], v3
	v_trunc_f64_e32 v[5:6], v[3:4]
	v_cmp_neq_f64_e64 vcc_lo, 0x7ff00000, |v[3:4]|
	v_add_f64 v[5:6], v[3:4], -v[5:6]
	v_mul_f64 v[5:6], |v[5:6]|, s[4:5]
	v_cndmask_b32_e32 v4, 0x80000000, v6, vcc_lo
	v_cndmask_b32_e32 v3, 0, v5, vcc_lo
                                        ; implicit-def: $vgpr5_vgpr6
	v_cmpx_ngt_f64_e64 0x41d00000, |v[3:4]|
	s_xor_b32 s17, exec_lo, s17
	s_cbranch_execz .LBB24_152
; %bb.151:
	v_ldexp_f64 v[5:6], |v[3:4]|, 0xffffff80
	v_cmp_le_f64_e64 vcc_lo, 0x7b000000, |v[3:4]|
	v_trig_preop_f64 v[7:8], |v[3:4]|, 0
	v_and_b32_e32 v16, 0x7fffffff, v4
	v_trig_preop_f64 v[26:27], |v[3:4]|, 2
	v_mov_b32_e32 v34, 0
	s_mov_b32 s5, 0x3ff921fb
	s_mov_b32 s18, 0x33145c07
	;; [unrolled: 1-line block ×3, first 2 shown]
	v_cndmask_b32_e32 v6, v16, v6, vcc_lo
	v_cndmask_b32_e32 v5, v3, v5, vcc_lo
	v_trig_preop_f64 v[16:17], |v[3:4]|, 1
	v_mul_f64 v[18:19], v[7:8], v[5:6]
	v_mul_f64 v[32:33], v[26:27], v[5:6]
	;; [unrolled: 1-line block ×3, first 2 shown]
	v_fma_f64 v[7:8], v[7:8], v[5:6], -v[18:19]
	v_fma_f64 v[16:17], v[16:17], v[5:6], -v[20:21]
	;; [unrolled: 1-line block ×3, first 2 shown]
	v_add_f64 v[22:23], v[20:21], v[7:8]
	v_add_f64 v[24:25], v[22:23], -v[20:21]
	v_add_f64 v[30:31], v[18:19], v[22:23]
	v_add_f64 v[28:29], v[22:23], -v[24:25]
	v_add_f64 v[7:8], v[7:8], -v[24:25]
	v_ldexp_f64 v[24:25], v[30:31], -2
	v_add_f64 v[18:19], v[30:31], -v[18:19]
	v_add_f64 v[20:21], v[20:21], -v[28:29]
	v_add_f64 v[28:29], v[32:33], v[16:17]
	v_cmp_neq_f64_e64 vcc_lo, 0x7ff00000, |v[24:25]|
	v_add_f64 v[18:19], v[22:23], -v[18:19]
	v_add_f64 v[7:8], v[7:8], v[20:21]
	v_fract_f64_e32 v[20:21], v[24:25]
	v_add_f64 v[22:23], v[28:29], v[7:8]
	v_ldexp_f64 v[20:21], v[20:21], 2
	v_add_f64 v[24:25], v[18:19], v[22:23]
	v_cndmask_b32_e32 v21, 0, v21, vcc_lo
	v_cndmask_b32_e32 v20, 0, v20, vcc_lo
	v_add_f64 v[30:31], v[24:25], v[20:21]
	v_add_f64 v[18:19], v[24:25], -v[18:19]
	v_cmp_gt_f64_e32 vcc_lo, 0, v[30:31]
	v_add_f64 v[30:31], v[28:29], -v[32:33]
	v_cndmask_b32_e64 v35, 0, 0x40100000, vcc_lo
	v_add_f64 v[39:40], v[28:29], -v[30:31]
	v_add_f64 v[16:17], v[16:17], -v[30:31]
	v_add_f64 v[20:21], v[20:21], v[34:35]
	v_add_f64 v[35:36], v[22:23], -v[28:29]
	v_add_f64 v[30:31], v[32:33], -v[39:40]
	v_add_f64 v[37:38], v[24:25], v[20:21]
	;; [unrolled: 3-line block ×3, first 2 shown]
	v_cvt_i32_f64_e32 v37, v[37:38]
	v_add_f64 v[28:29], v[28:29], -v[41:42]
	v_cvt_f64_i32_e32 v[35:36], v37
	v_add_f64 v[7:8], v[7:8], v[28:29]
	v_add_f64 v[20:21], v[20:21], -v[35:36]
	v_add_f64 v[7:8], v[16:17], v[7:8]
	v_add_f64 v[16:17], v[22:23], -v[18:19]
	v_add_f64 v[26:27], v[24:25], v[20:21]
	v_add_f64 v[5:6], v[5:6], v[7:8]
	v_add_f64 v[7:8], v[26:27], -v[20:21]
	v_cmp_le_f64_e32 vcc_lo, 0.5, v[26:27]
	v_add_f64 v[5:6], v[16:17], v[5:6]
	v_add_f64 v[7:8], v[24:25], -v[7:8]
	v_cndmask_b32_e64 v35, 0, 0x3ff00000, vcc_lo
	v_add_co_ci_u32_e64 v16, null, 0, v37, vcc_lo
	v_add_f64 v[5:6], v[5:6], v[7:8]
	v_add_f64 v[7:8], v[26:27], -v[34:35]
	v_add_f64 v[17:18], v[7:8], v[5:6]
	v_mul_f64 v[19:20], v[17:18], s[4:5]
	v_add_f64 v[7:8], v[17:18], -v[7:8]
	v_fma_f64 v[21:22], v[17:18], s[4:5], -v[19:20]
	v_add_f64 v[5:6], v[5:6], -v[7:8]
	v_fma_f64 v[7:8], v[17:18], s[18:19], v[21:22]
	v_fma_f64 v[7:8], v[5:6], s[4:5], v[7:8]
	v_add_f64 v[5:6], v[19:20], v[7:8]
	v_add_f64 v[17:18], v[5:6], -v[19:20]
	v_add_f64 v[7:8], v[7:8], -v[17:18]
.LBB24_152:
	s_andn2_saveexec_b32 s4, s17
	s_cbranch_execz .LBB24_154
; %bb.153:
	s_mov_b32 s18, 0x6dc9c883
	s_mov_b32 s19, 0x3fe45f30
	;; [unrolled: 1-line block ×3, first 2 shown]
	v_mul_f64 v[5:6], |v[3:4]|, s[18:19]
	s_mov_b32 s18, 0x54442d18
	s_mov_b32 s19, 0xbff921fb
	;; [unrolled: 1-line block ×3, first 2 shown]
	v_rndne_f64_e32 v[16:17], v[5:6]
	v_fma_f64 v[5:6], v[16:17], s[18:19], |v[3:4]|
	v_mul_f64 v[7:8], v[16:17], s[20:21]
	s_mov_b32 s18, 0x252049c0
	s_mov_b32 s19, 0xb97b839a
	v_fma_f64 v[20:21], v[16:17], s[20:21], v[5:6]
	v_add_f64 v[18:19], v[5:6], v[7:8]
	s_mov_b32 s21, 0x3c91a626
	v_add_f64 v[5:6], v[5:6], -v[18:19]
	v_add_f64 v[18:19], v[18:19], -v[20:21]
	v_add_f64 v[5:6], v[5:6], v[7:8]
	v_fma_f64 v[7:8], v[16:17], s[20:21], v[7:8]
	v_add_f64 v[5:6], v[18:19], v[5:6]
	v_add_f64 v[5:6], v[5:6], -v[7:8]
	v_fma_f64 v[7:8], v[16:17], s[18:19], v[5:6]
	v_cvt_i32_f64_e32 v16, v[16:17]
	v_add_f64 v[5:6], v[20:21], v[7:8]
	v_add_f64 v[18:19], v[5:6], -v[20:21]
	v_add_f64 v[7:8], v[7:8], -v[18:19]
.LBB24_154:
	s_or_b32 exec_lo, exec_lo, s4
	v_mul_f64 v[17:18], v[5:6], v[5:6]
	v_add_f64 v[19:20], v[7:8], v[7:8]
	s_mov_b32 s18, 0xa9a29f71
	s_mov_b32 s20, 0xc751c08c
	;; [unrolled: 1-line block ×4, first 2 shown]
	v_cmp_class_f64_e64 s4, v[3:4], 0x1f8
	v_and_b32_e32 v16, 1, v16
	v_and_b32_e32 v4, 0x80000000, v4
	v_sub_f32_e32 v1, 1.0, v1
	s_mov_b32 s5, exec_lo
	v_cmp_eq_u32_e32 vcc_lo, 0, v16
	v_fma_f64 v[21:22], v[5:6], v[5:6], -v[17:18]
	v_fma_f64 v[19:20], v[5:6], v[19:20], v[21:22]
	v_add_f64 v[17:18], v[17:18], v[19:20]
	v_fma_f64 v[19:20], v[17:18], s[20:21], s[18:19]
	s_mov_b32 s18, 0x90a8aae0
	s_mov_b32 s19, 0x3f17746f
	v_fma_f64 v[19:20], v[17:18], v[19:20], s[18:19]
	s_mov_b32 s18, 0xa6fbf144
	s_mov_b32 s19, 0xbefbb44d
	;; [unrolled: 3-line block ×13, first 2 shown]
	v_mul_f64 v[17:18], v[17:18], v[19:20]
	v_mul_f64 v[19:20], v[5:6], v[17:18]
	v_add_f64 v[21:22], v[5:6], v[19:20]
	v_fma_f64 v[17:18], v[5:6], v[17:18], -v[19:20]
	v_add_f64 v[5:6], v[21:22], -v[5:6]
	v_add_f64 v[7:8], v[7:8], v[17:18]
	v_add_f64 v[5:6], v[19:20], -v[5:6]
	v_add_f64 v[5:6], v[7:8], v[5:6]
	v_add_f64 v[7:8], v[21:22], v[5:6]
	v_rcp_f64_e32 v[17:18], v[7:8]
	v_fma_f64 v[19:20], -v[7:8], v[17:18], 1.0
	v_fma_f64 v[17:18], v[19:20], v[17:18], v[17:18]
	v_fma_f64 v[19:20], -v[7:8], v[17:18], 1.0
	v_fma_f64 v[17:18], v[19:20], v[17:18], v[17:18]
	v_add_f64 v[19:20], v[7:8], -v[21:22]
	v_mul_f64 v[21:22], v[7:8], v[17:18]
	v_add_f64 v[5:6], v[5:6], -v[19:20]
	v_fma_f64 v[19:20], v[17:18], v[7:8], -v[21:22]
	v_fma_f64 v[5:6], v[17:18], v[5:6], v[19:20]
	v_add_f64 v[19:20], v[21:22], v[5:6]
	v_add_f64 v[23:24], -v[19:20], 1.0
	v_add_f64 v[21:22], v[19:20], -v[21:22]
	v_add_f64 v[25:26], -v[23:24], 1.0
	v_add_f64 v[5:6], v[21:22], -v[5:6]
	v_add_f64 v[19:20], v[25:26], -v[19:20]
	v_add_f64 v[5:6], v[5:6], v[19:20]
	v_add_f64 v[5:6], v[23:24], v[5:6]
	v_mul_f64 v[5:6], v[17:18], v[5:6]
	v_add_f64 v[5:6], v[17:18], v[5:6]
	v_xor_b32_e32 v3, 0x80000000, v6
	v_cndmask_b32_e32 v5, v5, v7, vcc_lo
	v_cndmask_b32_e32 v3, v3, v8, vcc_lo
	v_xor_b32_e32 v4, v3, v4
	v_cndmask_b32_e64 v3, 0, v5, s4
	v_cndmask_b32_e64 v4, 0x7ff80000, v4, s4
	v_div_scale_f64 v[5:6], null, v[3:4], v[3:4], s[18:19]
	v_rcp_f64_e32 v[7:8], v[5:6]
	v_fma_f64 v[16:17], -v[5:6], v[7:8], 1.0
	v_fma_f64 v[7:8], v[7:8], v[16:17], v[7:8]
	v_fma_f64 v[16:17], -v[5:6], v[7:8], 1.0
	v_fma_f64 v[7:8], v[7:8], v[16:17], v[7:8]
	v_div_scale_f64 v[16:17], vcc_lo, s[18:19], v[3:4], s[18:19]
	v_mul_f64 v[18:19], v[16:17], v[7:8]
	v_fma_f64 v[5:6], -v[5:6], v[18:19], v[16:17]
	v_div_fmas_f64 v[5:6], v[5:6], v[7:8], v[18:19]
	v_div_fixup_f64 v[3:4], v[5:6], v[3:4], s[18:19]
	v_cvt_f32_f64_e32 v3, v[3:4]
.LBB24_155:
	s_or_b32 exec_lo, exec_lo, s16
	s_orn2_b32 s4, s5, exec_lo
.LBB24_156:
	s_or_b32 exec_lo, exec_lo, s15
	v_mov_b32_e32 v7, 0x7e00
	s_and_saveexec_b32 s15, s4
	s_cbranch_execz .LBB24_168
; %bb.157:
	s_mov_b32 s4, exec_lo
	v_cmpx_gt_f32_e32 0x41200000, v1
	s_cbranch_execz .LBB24_161
; %bb.158:
	s_mov_b32 s5, 0
	.p2align	6
.LBB24_159:                             ; =>This Inner Loop Header: Depth=1
	v_div_scale_f32 v4, null, v1, v1, 1.0
	v_div_scale_f32 v7, vcc_lo, 1.0, v1, 1.0
	v_rcp_f32_e32 v5, v4
	v_fma_f32 v6, -v4, v5, 1.0
	v_fmac_f32_e32 v5, v6, v5
	v_mul_f32_e32 v6, v7, v5
	v_fma_f32 v8, -v4, v6, v7
	v_fmac_f32_e32 v6, v8, v5
	v_fma_f32 v4, -v4, v6, v7
	v_div_fmas_f32 v4, v4, v5, v6
	v_div_fixup_f32 v4, v4, v1, 1.0
	v_add_f32_e32 v1, 1.0, v1
	v_sub_f32_e32 v3, v3, v4
	v_cmp_ngt_f32_e32 vcc_lo, 0x41200000, v1
	s_or_b32 s5, vcc_lo, s5
	s_andn2_b32 exec_lo, exec_lo, s5
	s_cbranch_execnz .LBB24_159
; %bb.160:
	s_or_b32 exec_lo, exec_lo, s5
.LBB24_161:
	s_or_b32 exec_lo, exec_lo, s4
                                        ; implicit-def: $vgpr7
	s_mov_b32 s4, exec_lo
	v_cmpx_neq_f32_e32 0x41200000, v1
	s_xor_b32 s16, exec_lo, s4
	s_cbranch_execz .LBB24_165
; %bb.162:
	v_cvt_f64_f32_e32 v[4:5], v1
	s_mov_b32 s4, 0x85d8a000
	s_mov_b32 s5, 0x43763457
	v_cmp_gt_f64_e32 vcc_lo, s[4:5], v[4:5]
	v_mov_b32_e32 v4, 0
	s_and_saveexec_b32 s4, vcc_lo
	s_cbranch_execz .LBB24_164
; %bb.163:
	v_mul_f32_e32 v4, v1, v1
	v_div_scale_f32 v5, null, v4, v4, 1.0
	v_rcp_f32_e32 v6, v5
	v_fma_f32 v7, -v5, v6, 1.0
	v_fmac_f32_e32 v6, v7, v6
	v_div_scale_f32 v7, vcc_lo, 1.0, v4, 1.0
	v_mul_f32_e32 v8, v7, v6
	v_fma_f32 v16, -v5, v8, v7
	v_fmac_f32_e32 v8, v16, v6
	v_fma_f32 v5, -v5, v8, v7
	v_div_fmas_f32 v5, v5, v6, v8
	v_div_fixup_f32 v4, v5, v4, 1.0
	v_fmaak_f32 v5, 0, v4, 0x3daaaaab
	v_fmaak_f32 v5, v4, v5, 0xbcaccacd
	;; [unrolled: 1-line block ×7, first 2 shown]
	v_mul_f32_e32 v4, v4, v5
.LBB24_164:
	s_or_b32 exec_lo, exec_lo, s4
	v_cmp_gt_f32_e32 vcc_lo, 0x800000, v1
	v_div_scale_f32 v5, null, v1, v1, -0.5
	v_div_scale_f32 v16, s4, -0.5, v1, -0.5
	v_cndmask_b32_e64 v6, 0, 32, vcc_lo
	v_rcp_f32_e32 v7, v5
	v_ldexp_f32 v6, v1, v6
	v_log_f32_e32 v6, v6
	v_fma_f32 v8, -v5, v7, 1.0
	v_fmac_f32_e32 v7, v8, v7
	v_mul_f32_e32 v8, 0x3f317217, v6
	v_mul_f32_e32 v17, v16, v7
	v_cmp_gt_f32_e64 s5, 0x7f800000, |v6|
	v_fma_f32 v8, 0x3f317217, v6, -v8
	v_fma_f32 v18, -v5, v17, v16
	v_fmamk_f32 v8, v6, 0x3377d1cf, v8
	v_fmac_f32_e32 v17, v18, v7
	v_fmac_f32_e32 v8, 0x3f317217, v6
	v_fma_f32 v5, -v5, v17, v16
	v_cndmask_b32_e64 v6, v6, v8, s5
	v_cndmask_b32_e64 v8, 0, 0x41b17218, vcc_lo
	s_mov_b32 vcc_lo, s4
	v_div_fmas_f32 v5, v5, v7, v17
	v_sub_f32_e32 v6, v6, v8
	v_div_fixup_f32 v1, v5, v1, -0.5
	v_add_f32_e32 v1, v6, v1
	v_sub_f32_e32 v1, v1, v4
	v_add_f32_e32 v1, v3, v1
                                        ; implicit-def: $vgpr3
	v_cvt_f16_f32_e32 v7, v1
.LBB24_165:
	s_andn2_saveexec_b32 s4, s16
; %bb.166:
	v_add_f32_e32 v1, 0x40101cb7, v3
	v_cvt_f16_f32_e32 v7, v1
; %bb.167:
	s_or_b32 exec_lo, exec_lo, s4
.LBB24_168:
	s_or_b32 exec_lo, exec_lo, s15
                                        ; implicit-def: $vgpr1
.LBB24_169:
	s_andn2_saveexec_b32 s4, s14
; %bb.170:
	v_xor_b32_e32 v1, 0x80000000, v1
	v_mov_b32_e32 v3, 0xffff8000
	v_and_b32_sdwa v1, v1, v3 dst_sel:DWORD dst_unused:UNUSED_PAD src0_sel:WORD_1 src1_sel:DWORD
	v_or_b32_e32 v7, 0x7c00, v1
; %bb.171:
	s_or_b32 exec_lo, exec_lo, s4
	v_mov_b32_e32 v1, 0
	v_cvt_f32_f16_sdwa v8, v2 dst_sel:DWORD dst_unused:UNUSED_PAD src0_sel:WORD_1
                                        ; implicit-def: $vgpr3
	v_cmp_neq_f16_sdwa s4, v2, v1 src0_sel:WORD_1 src1_sel:DWORD
	s_and_saveexec_b32 s5, s4
	s_xor_b32 s14, exec_lo, s5
	s_cbranch_execz .LBB24_193
; %bb.172:
	v_cmp_lt_f16_sdwa s5, v2, v1 src0_sel:WORD_1 src1_sel:DWORD
	s_mov_b32 s4, -1
	s_and_saveexec_b32 s15, s5
	s_cbranch_execz .LBB24_180
; %bb.173:
	v_trunc_f32_e32 v1, v8
	s_mov_b32 s5, 0
	v_cmp_neq_f32_e32 vcc_lo, v1, v8
	v_mov_b32_e32 v1, 0
	s_and_saveexec_b32 s16, vcc_lo
	s_cbranch_execz .LBB24_179
; %bb.174:
	v_cvt_f32_f16_sdwa v1, v2 dst_sel:DWORD dst_unused:UNUSED_PAD src0_sel:WORD_1
	s_mov_b32 s5, 0xc00921fb
	s_mov_b32 s4, 0x54442d18
	s_mov_b32 s17, exec_lo
                                        ; implicit-def: $vgpr16
                                        ; implicit-def: $vgpr5_vgpr6
	v_cvt_f64_f32_e32 v[1:2], v1
	v_trunc_f64_e32 v[3:4], v[1:2]
	v_cmp_neq_f64_e64 vcc_lo, 0x7ff00000, |v[1:2]|
	v_add_f64 v[3:4], v[1:2], -v[3:4]
	v_mul_f64 v[3:4], |v[3:4]|, s[4:5]
	v_cndmask_b32_e32 v2, 0x80000000, v4, vcc_lo
	v_cndmask_b32_e32 v1, 0, v3, vcc_lo
                                        ; implicit-def: $vgpr3_vgpr4
	v_cmpx_ngt_f64_e64 0x41d00000, |v[1:2]|
	s_xor_b32 s17, exec_lo, s17
	s_cbranch_execz .LBB24_176
; %bb.175:
	v_ldexp_f64 v[3:4], |v[1:2]|, 0xffffff80
	v_cmp_le_f64_e64 vcc_lo, 0x7b000000, |v[1:2]|
	v_trig_preop_f64 v[5:6], |v[1:2]|, 0
	v_and_b32_e32 v16, 0x7fffffff, v2
	v_trig_preop_f64 v[26:27], |v[1:2]|, 2
	v_mov_b32_e32 v34, 0
	s_mov_b32 s5, 0x3ff921fb
	s_mov_b32 s18, 0x33145c07
	;; [unrolled: 1-line block ×3, first 2 shown]
	v_cndmask_b32_e32 v4, v16, v4, vcc_lo
	v_cndmask_b32_e32 v3, v1, v3, vcc_lo
	v_trig_preop_f64 v[16:17], |v[1:2]|, 1
	v_mul_f64 v[18:19], v[5:6], v[3:4]
	v_mul_f64 v[32:33], v[26:27], v[3:4]
	v_mul_f64 v[20:21], v[16:17], v[3:4]
	v_fma_f64 v[5:6], v[5:6], v[3:4], -v[18:19]
	v_fma_f64 v[16:17], v[16:17], v[3:4], -v[20:21]
	;; [unrolled: 1-line block ×3, first 2 shown]
	v_add_f64 v[22:23], v[20:21], v[5:6]
	v_add_f64 v[24:25], v[22:23], -v[20:21]
	v_add_f64 v[30:31], v[18:19], v[22:23]
	v_add_f64 v[28:29], v[22:23], -v[24:25]
	v_add_f64 v[5:6], v[5:6], -v[24:25]
	v_ldexp_f64 v[24:25], v[30:31], -2
	v_add_f64 v[18:19], v[30:31], -v[18:19]
	v_add_f64 v[20:21], v[20:21], -v[28:29]
	v_add_f64 v[28:29], v[32:33], v[16:17]
	v_cmp_neq_f64_e64 vcc_lo, 0x7ff00000, |v[24:25]|
	v_add_f64 v[18:19], v[22:23], -v[18:19]
	v_add_f64 v[5:6], v[5:6], v[20:21]
	v_fract_f64_e32 v[20:21], v[24:25]
	v_add_f64 v[22:23], v[28:29], v[5:6]
	v_ldexp_f64 v[20:21], v[20:21], 2
	v_add_f64 v[24:25], v[18:19], v[22:23]
	v_cndmask_b32_e32 v21, 0, v21, vcc_lo
	v_cndmask_b32_e32 v20, 0, v20, vcc_lo
	v_add_f64 v[30:31], v[24:25], v[20:21]
	v_add_f64 v[18:19], v[24:25], -v[18:19]
	v_cmp_gt_f64_e32 vcc_lo, 0, v[30:31]
	v_add_f64 v[30:31], v[28:29], -v[32:33]
	v_cndmask_b32_e64 v35, 0, 0x40100000, vcc_lo
	v_add_f64 v[39:40], v[28:29], -v[30:31]
	v_add_f64 v[16:17], v[16:17], -v[30:31]
	v_add_f64 v[20:21], v[20:21], v[34:35]
	v_add_f64 v[35:36], v[22:23], -v[28:29]
	v_add_f64 v[30:31], v[32:33], -v[39:40]
	v_add_f64 v[37:38], v[24:25], v[20:21]
	;; [unrolled: 3-line block ×3, first 2 shown]
	v_cvt_i32_f64_e32 v37, v[37:38]
	v_add_f64 v[28:29], v[28:29], -v[41:42]
	v_cvt_f64_i32_e32 v[35:36], v37
	v_add_f64 v[5:6], v[5:6], v[28:29]
	v_add_f64 v[20:21], v[20:21], -v[35:36]
	v_add_f64 v[5:6], v[16:17], v[5:6]
	v_add_f64 v[16:17], v[22:23], -v[18:19]
	v_add_f64 v[26:27], v[24:25], v[20:21]
	v_add_f64 v[3:4], v[3:4], v[5:6]
	v_add_f64 v[5:6], v[26:27], -v[20:21]
	v_cmp_le_f64_e32 vcc_lo, 0.5, v[26:27]
	v_add_f64 v[3:4], v[16:17], v[3:4]
	v_add_f64 v[5:6], v[24:25], -v[5:6]
	v_cndmask_b32_e64 v35, 0, 0x3ff00000, vcc_lo
	v_add_co_ci_u32_e64 v16, null, 0, v37, vcc_lo
	v_add_f64 v[3:4], v[3:4], v[5:6]
	v_add_f64 v[5:6], v[26:27], -v[34:35]
	v_add_f64 v[17:18], v[5:6], v[3:4]
	v_mul_f64 v[19:20], v[17:18], s[4:5]
	v_add_f64 v[5:6], v[17:18], -v[5:6]
	v_fma_f64 v[21:22], v[17:18], s[4:5], -v[19:20]
	v_add_f64 v[3:4], v[3:4], -v[5:6]
	v_fma_f64 v[5:6], v[17:18], s[18:19], v[21:22]
	v_fma_f64 v[5:6], v[3:4], s[4:5], v[5:6]
	v_add_f64 v[3:4], v[19:20], v[5:6]
	v_add_f64 v[17:18], v[3:4], -v[19:20]
	v_add_f64 v[5:6], v[5:6], -v[17:18]
.LBB24_176:
	s_andn2_saveexec_b32 s4, s17
	s_cbranch_execz .LBB24_178
; %bb.177:
	s_mov_b32 s18, 0x6dc9c883
	s_mov_b32 s19, 0x3fe45f30
	;; [unrolled: 1-line block ×3, first 2 shown]
	v_mul_f64 v[3:4], |v[1:2]|, s[18:19]
	s_mov_b32 s18, 0x54442d18
	s_mov_b32 s19, 0xbff921fb
	;; [unrolled: 1-line block ×3, first 2 shown]
	v_rndne_f64_e32 v[16:17], v[3:4]
	v_fma_f64 v[3:4], v[16:17], s[18:19], |v[1:2]|
	v_mul_f64 v[5:6], v[16:17], s[20:21]
	s_mov_b32 s18, 0x252049c0
	s_mov_b32 s19, 0xb97b839a
	v_fma_f64 v[20:21], v[16:17], s[20:21], v[3:4]
	v_add_f64 v[18:19], v[3:4], v[5:6]
	s_mov_b32 s21, 0x3c91a626
	v_add_f64 v[3:4], v[3:4], -v[18:19]
	v_add_f64 v[18:19], v[18:19], -v[20:21]
	v_add_f64 v[3:4], v[3:4], v[5:6]
	v_fma_f64 v[5:6], v[16:17], s[20:21], v[5:6]
	v_add_f64 v[3:4], v[18:19], v[3:4]
	v_add_f64 v[3:4], v[3:4], -v[5:6]
	v_fma_f64 v[5:6], v[16:17], s[18:19], v[3:4]
	v_cvt_i32_f64_e32 v16, v[16:17]
	v_add_f64 v[3:4], v[20:21], v[5:6]
	v_add_f64 v[18:19], v[3:4], -v[20:21]
	v_add_f64 v[5:6], v[5:6], -v[18:19]
.LBB24_178:
	s_or_b32 exec_lo, exec_lo, s4
	v_mul_f64 v[17:18], v[3:4], v[3:4]
	v_add_f64 v[19:20], v[5:6], v[5:6]
	s_mov_b32 s18, 0xa9a29f71
	s_mov_b32 s20, 0xc751c08c
	;; [unrolled: 1-line block ×4, first 2 shown]
	v_cmp_class_f64_e64 s4, v[1:2], 0x1f8
	v_and_b32_e32 v16, 1, v16
	v_and_b32_e32 v2, 0x80000000, v2
	v_sub_f32_e32 v8, 1.0, v8
	s_mov_b32 s5, exec_lo
	v_cmp_eq_u32_e32 vcc_lo, 0, v16
	v_fma_f64 v[21:22], v[3:4], v[3:4], -v[17:18]
	v_fma_f64 v[19:20], v[3:4], v[19:20], v[21:22]
	v_add_f64 v[17:18], v[17:18], v[19:20]
	v_fma_f64 v[19:20], v[17:18], s[20:21], s[18:19]
	s_mov_b32 s18, 0x90a8aae0
	s_mov_b32 s19, 0x3f17746f
	v_fma_f64 v[19:20], v[17:18], v[19:20], s[18:19]
	s_mov_b32 s18, 0xa6fbf144
	s_mov_b32 s19, 0xbefbb44d
	;; [unrolled: 3-line block ×13, first 2 shown]
	v_mul_f64 v[17:18], v[17:18], v[19:20]
	v_mul_f64 v[19:20], v[3:4], v[17:18]
	v_add_f64 v[21:22], v[3:4], v[19:20]
	v_fma_f64 v[17:18], v[3:4], v[17:18], -v[19:20]
	v_add_f64 v[3:4], v[21:22], -v[3:4]
	v_add_f64 v[5:6], v[5:6], v[17:18]
	v_add_f64 v[3:4], v[19:20], -v[3:4]
	v_add_f64 v[3:4], v[5:6], v[3:4]
	v_add_f64 v[5:6], v[21:22], v[3:4]
	v_rcp_f64_e32 v[17:18], v[5:6]
	v_fma_f64 v[19:20], -v[5:6], v[17:18], 1.0
	v_fma_f64 v[17:18], v[19:20], v[17:18], v[17:18]
	v_fma_f64 v[19:20], -v[5:6], v[17:18], 1.0
	v_fma_f64 v[17:18], v[19:20], v[17:18], v[17:18]
	v_add_f64 v[19:20], v[5:6], -v[21:22]
	v_mul_f64 v[21:22], v[5:6], v[17:18]
	v_add_f64 v[3:4], v[3:4], -v[19:20]
	v_fma_f64 v[19:20], v[17:18], v[5:6], -v[21:22]
	v_fma_f64 v[3:4], v[17:18], v[3:4], v[19:20]
	v_add_f64 v[19:20], v[21:22], v[3:4]
	v_add_f64 v[23:24], -v[19:20], 1.0
	v_add_f64 v[21:22], v[19:20], -v[21:22]
	v_add_f64 v[25:26], -v[23:24], 1.0
	v_add_f64 v[3:4], v[21:22], -v[3:4]
	v_add_f64 v[19:20], v[25:26], -v[19:20]
	v_add_f64 v[3:4], v[3:4], v[19:20]
	v_add_f64 v[3:4], v[23:24], v[3:4]
	v_mul_f64 v[3:4], v[17:18], v[3:4]
	v_add_f64 v[3:4], v[17:18], v[3:4]
	v_xor_b32_e32 v1, 0x80000000, v4
	v_cndmask_b32_e32 v3, v3, v5, vcc_lo
	v_cndmask_b32_e32 v1, v1, v6, vcc_lo
	v_xor_b32_e32 v2, v1, v2
	v_cndmask_b32_e64 v1, 0, v3, s4
	v_cndmask_b32_e64 v2, 0x7ff80000, v2, s4
	v_div_scale_f64 v[3:4], null, v[1:2], v[1:2], s[18:19]
	v_rcp_f64_e32 v[5:6], v[3:4]
	v_fma_f64 v[16:17], -v[3:4], v[5:6], 1.0
	v_fma_f64 v[5:6], v[5:6], v[16:17], v[5:6]
	v_fma_f64 v[16:17], -v[3:4], v[5:6], 1.0
	v_fma_f64 v[5:6], v[5:6], v[16:17], v[5:6]
	v_div_scale_f64 v[16:17], vcc_lo, s[18:19], v[1:2], s[18:19]
	v_mul_f64 v[18:19], v[16:17], v[5:6]
	v_fma_f64 v[3:4], -v[3:4], v[18:19], v[16:17]
	v_div_fmas_f64 v[3:4], v[3:4], v[5:6], v[18:19]
	v_div_fixup_f64 v[1:2], v[3:4], v[1:2], s[18:19]
	v_cvt_f32_f64_e32 v1, v[1:2]
.LBB24_179:
	s_or_b32 exec_lo, exec_lo, s16
	s_orn2_b32 s4, s5, exec_lo
.LBB24_180:
	s_or_b32 exec_lo, exec_lo, s15
	v_mov_b32_e32 v3, 0x7e00
	s_and_saveexec_b32 s15, s4
	s_cbranch_execz .LBB24_192
; %bb.181:
	s_mov_b32 s4, exec_lo
	v_cmpx_gt_f32_e32 0x41200000, v8
	s_cbranch_execz .LBB24_185
; %bb.182:
	s_mov_b32 s5, 0
	.p2align	6
.LBB24_183:                             ; =>This Inner Loop Header: Depth=1
	v_div_scale_f32 v2, null, v8, v8, 1.0
	v_div_scale_f32 v5, vcc_lo, 1.0, v8, 1.0
	v_rcp_f32_e32 v3, v2
	v_fma_f32 v4, -v2, v3, 1.0
	v_fmac_f32_e32 v3, v4, v3
	v_mul_f32_e32 v4, v5, v3
	v_fma_f32 v6, -v2, v4, v5
	v_fmac_f32_e32 v4, v6, v3
	v_fma_f32 v2, -v2, v4, v5
	v_div_fmas_f32 v2, v2, v3, v4
	v_div_fixup_f32 v2, v2, v8, 1.0
	v_add_f32_e32 v8, 1.0, v8
	v_sub_f32_e32 v1, v1, v2
	v_cmp_ngt_f32_e32 vcc_lo, 0x41200000, v8
	s_or_b32 s5, vcc_lo, s5
	s_andn2_b32 exec_lo, exec_lo, s5
	s_cbranch_execnz .LBB24_183
; %bb.184:
	s_or_b32 exec_lo, exec_lo, s5
.LBB24_185:
	s_or_b32 exec_lo, exec_lo, s4
                                        ; implicit-def: $vgpr3
	s_mov_b32 s4, exec_lo
	v_cmpx_neq_f32_e32 0x41200000, v8
	s_xor_b32 s16, exec_lo, s4
	s_cbranch_execz .LBB24_189
; %bb.186:
	v_cvt_f64_f32_e32 v[2:3], v8
	s_mov_b32 s4, 0x85d8a000
	s_mov_b32 s5, 0x43763457
	v_cmp_gt_f64_e32 vcc_lo, s[4:5], v[2:3]
	v_mov_b32_e32 v2, 0
	s_and_saveexec_b32 s4, vcc_lo
	s_cbranch_execz .LBB24_188
; %bb.187:
	v_mul_f32_e32 v2, v8, v8
	v_div_scale_f32 v3, null, v2, v2, 1.0
	v_rcp_f32_e32 v4, v3
	v_fma_f32 v5, -v3, v4, 1.0
	v_fmac_f32_e32 v4, v5, v4
	v_div_scale_f32 v5, vcc_lo, 1.0, v2, 1.0
	v_mul_f32_e32 v6, v5, v4
	v_fma_f32 v16, -v3, v6, v5
	v_fmac_f32_e32 v6, v16, v4
	v_fma_f32 v3, -v3, v6, v5
	v_div_fmas_f32 v3, v3, v4, v6
	v_div_fixup_f32 v2, v3, v2, 1.0
	v_fmaak_f32 v3, 0, v2, 0x3daaaaab
	v_fmaak_f32 v3, v2, v3, 0xbcaccacd
	;; [unrolled: 1-line block ×7, first 2 shown]
	v_mul_f32_e32 v2, v2, v3
.LBB24_188:
	s_or_b32 exec_lo, exec_lo, s4
	v_cmp_gt_f32_e32 vcc_lo, 0x800000, v8
	v_div_scale_f32 v3, null, v8, v8, -0.5
	v_div_scale_f32 v16, s4, -0.5, v8, -0.5
	v_cndmask_b32_e64 v4, 0, 32, vcc_lo
	v_rcp_f32_e32 v5, v3
	v_ldexp_f32 v4, v8, v4
	v_log_f32_e32 v4, v4
	v_fma_f32 v6, -v3, v5, 1.0
	v_fmac_f32_e32 v5, v6, v5
	v_mul_f32_e32 v6, 0x3f317217, v4
	v_mul_f32_e32 v17, v16, v5
	v_cmp_gt_f32_e64 s5, 0x7f800000, |v4|
	v_fma_f32 v6, 0x3f317217, v4, -v6
	v_fma_f32 v18, -v3, v17, v16
	v_fmamk_f32 v6, v4, 0x3377d1cf, v6
	v_fmac_f32_e32 v17, v18, v5
	v_fmac_f32_e32 v6, 0x3f317217, v4
	v_fma_f32 v3, -v3, v17, v16
	v_cndmask_b32_e64 v4, v4, v6, s5
	v_cndmask_b32_e64 v6, 0, 0x41b17218, vcc_lo
	s_mov_b32 vcc_lo, s4
	v_div_fmas_f32 v3, v3, v5, v17
	v_sub_f32_e32 v4, v4, v6
	v_div_fixup_f32 v3, v3, v8, -0.5
	v_add_f32_e32 v3, v4, v3
	v_sub_f32_e32 v2, v3, v2
	v_add_f32_e32 v1, v1, v2
	v_cvt_f16_f32_e32 v3, v1
                                        ; implicit-def: $vgpr1
.LBB24_189:
	s_andn2_saveexec_b32 s4, s16
; %bb.190:
	v_add_f32_e32 v1, 0x40101cb7, v1
	v_cvt_f16_f32_e32 v3, v1
; %bb.191:
	s_or_b32 exec_lo, exec_lo, s4
.LBB24_192:
	s_or_b32 exec_lo, exec_lo, s15
                                        ; implicit-def: $vgpr8
.LBB24_193:
	s_andn2_saveexec_b32 s4, s14
; %bb.194:
	v_xor_b32_e32 v1, 0x80000000, v8
	v_mov_b32_e32 v2, 0xffff8000
	v_and_b32_sdwa v1, v1, v2 dst_sel:DWORD dst_unused:UNUSED_PAD src0_sel:WORD_1 src1_sel:DWORD
	v_or_b32_e32 v3, 0x7c00, v1
; %bb.195:
	s_or_b32 exec_lo, exec_lo, s4
	v_lshlrev_b32_e32 v2, 16, v13
	v_and_b32_e32 v4, 0xffff, v12
	v_lshlrev_b32_e32 v1, 16, v15
	v_and_b32_e32 v5, 0xffff, v14
	v_and_b32_e32 v6, 0xffff, v7
	v_lshlrev_b32_e32 v3, 16, v3
	v_or_b32_e32 v4, v2, v4
	v_and_b32_e32 v7, 0xffff, v9
	v_lshlrev_b32_e32 v8, 16, v10
	s_add_u32 s12, s8, s12
	v_or_b32_e32 v5, v1, v5
	v_or3_b32 v1, 0, v4, 0
	v_or3_b32 v4, v6, 0, v3
	s_addc_u32 s13, s9, s13
	v_add_co_u32 v6, s4, s12, v11
	v_or3_b32 v2, v7, 0, v8
	v_add_co_ci_u32_e64 v7, null, s13, 0, s4
	v_or3_b32 v3, 0, v5, 0
	v_add_co_u32 v5, vcc_lo, 0x800, v6
	v_add_co_ci_u32_e64 v6, null, 0, v7, vcc_lo
	global_store_dwordx2 v11, v[1:2], s[12:13]
	global_store_dwordx2 v[5:6], v[3:4], off
	s_branch .LBB24_2
.LBB24_196:
	v_mov_b32_e32 v31, v0
	v_mov_b32_e32 v0, s8
	;; [unrolled: 1-line block ×6, first 2 shown]
	s_getpc_b64 s[4:5]
	s_add_u32 s4, s4, _ZN2at6native25elementwise_kernel_helperILb0EZZZNS0_19digamma_kernel_cudaERNS_18TensorIteratorBaseEENKUlvE_clEvENKUlvE1_clEvEUlN3c104HalfEE_NS0_6memory8policies11unroll_baseILi256ESt5arrayIPcLm2EE23TrivialOffsetCalculatorILi1EjESG_NS9_15LoadWithoutCastENS9_16StoreWithoutCastELi8ELi1EEEEEvT0_T1_@rel32@lo+4
	s_addc_u32 s5, s5, _ZN2at6native25elementwise_kernel_helperILb0EZZZNS0_19digamma_kernel_cudaERNS_18TensorIteratorBaseEENKUlvE_clEvENKUlvE1_clEvEUlN3c104HalfEE_NS0_6memory8policies11unroll_baseILi256ESt5arrayIPcLm2EE23TrivialOffsetCalculatorILi1EjESG_NS9_15LoadWithoutCastENS9_16StoreWithoutCastELi8ELi1EEEEEvT0_T1_@rel32@hi+12
	s_mov_b32 s12, s6
	s_swappc_b64 s[30:31], s[4:5]
	s_endpgm
	.section	.rodata,"a",@progbits
	.p2align	6, 0x0
	.amdhsa_kernel _ZN2at6native29vectorized_elementwise_kernelILi4EZZZNS0_19digamma_kernel_cudaERNS_18TensorIteratorBaseEENKUlvE_clEvENKUlvE1_clEvEUlN3c104HalfEE_St5arrayIPcLm2EEEEviT0_T1_
		.amdhsa_group_segment_fixed_size 0
		.amdhsa_private_segment_fixed_size 0
		.amdhsa_kernarg_size 24
		.amdhsa_user_sgpr_count 6
		.amdhsa_user_sgpr_private_segment_buffer 1
		.amdhsa_user_sgpr_dispatch_ptr 0
		.amdhsa_user_sgpr_queue_ptr 0
		.amdhsa_user_sgpr_kernarg_segment_ptr 1
		.amdhsa_user_sgpr_dispatch_id 0
		.amdhsa_user_sgpr_flat_scratch_init 0
		.amdhsa_user_sgpr_private_segment_size 0
		.amdhsa_wavefront_size32 1
		.amdhsa_uses_dynamic_stack 0
		.amdhsa_system_sgpr_private_segment_wavefront_offset 0
		.amdhsa_system_sgpr_workgroup_id_x 1
		.amdhsa_system_sgpr_workgroup_id_y 0
		.amdhsa_system_sgpr_workgroup_id_z 0
		.amdhsa_system_sgpr_workgroup_info 0
		.amdhsa_system_vgpr_workitem_id 0
		.amdhsa_next_free_vgpr 66
		.amdhsa_next_free_sgpr 33
		.amdhsa_reserve_vcc 1
		.amdhsa_reserve_flat_scratch 0
		.amdhsa_float_round_mode_32 0
		.amdhsa_float_round_mode_16_64 0
		.amdhsa_float_denorm_mode_32 3
		.amdhsa_float_denorm_mode_16_64 3
		.amdhsa_dx10_clamp 1
		.amdhsa_ieee_mode 1
		.amdhsa_fp16_overflow 0
		.amdhsa_workgroup_processor_mode 1
		.amdhsa_memory_ordered 1
		.amdhsa_forward_progress 1
		.amdhsa_shared_vgpr_count 0
		.amdhsa_exception_fp_ieee_invalid_op 0
		.amdhsa_exception_fp_denorm_src 0
		.amdhsa_exception_fp_ieee_div_zero 0
		.amdhsa_exception_fp_ieee_overflow 0
		.amdhsa_exception_fp_ieee_underflow 0
		.amdhsa_exception_fp_ieee_inexact 0
		.amdhsa_exception_int_div_zero 0
	.end_amdhsa_kernel
	.section	.text._ZN2at6native29vectorized_elementwise_kernelILi4EZZZNS0_19digamma_kernel_cudaERNS_18TensorIteratorBaseEENKUlvE_clEvENKUlvE1_clEvEUlN3c104HalfEE_St5arrayIPcLm2EEEEviT0_T1_,"axG",@progbits,_ZN2at6native29vectorized_elementwise_kernelILi4EZZZNS0_19digamma_kernel_cudaERNS_18TensorIteratorBaseEENKUlvE_clEvENKUlvE1_clEvEUlN3c104HalfEE_St5arrayIPcLm2EEEEviT0_T1_,comdat
.Lfunc_end24:
	.size	_ZN2at6native29vectorized_elementwise_kernelILi4EZZZNS0_19digamma_kernel_cudaERNS_18TensorIteratorBaseEENKUlvE_clEvENKUlvE1_clEvEUlN3c104HalfEE_St5arrayIPcLm2EEEEviT0_T1_, .Lfunc_end24-_ZN2at6native29vectorized_elementwise_kernelILi4EZZZNS0_19digamma_kernel_cudaERNS_18TensorIteratorBaseEENKUlvE_clEvENKUlvE1_clEvEUlN3c104HalfEE_St5arrayIPcLm2EEEEviT0_T1_
                                        ; -- End function
	.set _ZN2at6native29vectorized_elementwise_kernelILi4EZZZNS0_19digamma_kernel_cudaERNS_18TensorIteratorBaseEENKUlvE_clEvENKUlvE1_clEvEUlN3c104HalfEE_St5arrayIPcLm2EEEEviT0_T1_.num_vgpr, max(44, .L_ZN2at6native25elementwise_kernel_helperILb0EZZZNS0_19digamma_kernel_cudaERNS_18TensorIteratorBaseEENKUlvE_clEvENKUlvE1_clEvEUlN3c104HalfEE_NS0_6memory8policies11unroll_baseILi256ESt5arrayIPcLm2EE23TrivialOffsetCalculatorILi1EjESG_NS9_15LoadWithoutCastENS9_16StoreWithoutCastELi8ELi1EEEEEvT0_T1_.num_vgpr)
	.set _ZN2at6native29vectorized_elementwise_kernelILi4EZZZNS0_19digamma_kernel_cudaERNS_18TensorIteratorBaseEENKUlvE_clEvENKUlvE1_clEvEUlN3c104HalfEE_St5arrayIPcLm2EEEEviT0_T1_.num_agpr, max(0, .L_ZN2at6native25elementwise_kernel_helperILb0EZZZNS0_19digamma_kernel_cudaERNS_18TensorIteratorBaseEENKUlvE_clEvENKUlvE1_clEvEUlN3c104HalfEE_NS0_6memory8policies11unroll_baseILi256ESt5arrayIPcLm2EE23TrivialOffsetCalculatorILi1EjESG_NS9_15LoadWithoutCastENS9_16StoreWithoutCastELi8ELi1EEEEEvT0_T1_.num_agpr)
	.set _ZN2at6native29vectorized_elementwise_kernelILi4EZZZNS0_19digamma_kernel_cudaERNS_18TensorIteratorBaseEENKUlvE_clEvENKUlvE1_clEvEUlN3c104HalfEE_St5arrayIPcLm2EEEEviT0_T1_.numbered_sgpr, max(33, .L_ZN2at6native25elementwise_kernel_helperILb0EZZZNS0_19digamma_kernel_cudaERNS_18TensorIteratorBaseEENKUlvE_clEvENKUlvE1_clEvEUlN3c104HalfEE_NS0_6memory8policies11unroll_baseILi256ESt5arrayIPcLm2EE23TrivialOffsetCalculatorILi1EjESG_NS9_15LoadWithoutCastENS9_16StoreWithoutCastELi8ELi1EEEEEvT0_T1_.numbered_sgpr)
	.set _ZN2at6native29vectorized_elementwise_kernelILi4EZZZNS0_19digamma_kernel_cudaERNS_18TensorIteratorBaseEENKUlvE_clEvENKUlvE1_clEvEUlN3c104HalfEE_St5arrayIPcLm2EEEEviT0_T1_.num_named_barrier, max(0, .L_ZN2at6native25elementwise_kernel_helperILb0EZZZNS0_19digamma_kernel_cudaERNS_18TensorIteratorBaseEENKUlvE_clEvENKUlvE1_clEvEUlN3c104HalfEE_NS0_6memory8policies11unroll_baseILi256ESt5arrayIPcLm2EE23TrivialOffsetCalculatorILi1EjESG_NS9_15LoadWithoutCastENS9_16StoreWithoutCastELi8ELi1EEEEEvT0_T1_.num_named_barrier)
	.set _ZN2at6native29vectorized_elementwise_kernelILi4EZZZNS0_19digamma_kernel_cudaERNS_18TensorIteratorBaseEENKUlvE_clEvENKUlvE1_clEvEUlN3c104HalfEE_St5arrayIPcLm2EEEEviT0_T1_.private_seg_size, 0+max(.L_ZN2at6native25elementwise_kernel_helperILb0EZZZNS0_19digamma_kernel_cudaERNS_18TensorIteratorBaseEENKUlvE_clEvENKUlvE1_clEvEUlN3c104HalfEE_NS0_6memory8policies11unroll_baseILi256ESt5arrayIPcLm2EE23TrivialOffsetCalculatorILi1EjESG_NS9_15LoadWithoutCastENS9_16StoreWithoutCastELi8ELi1EEEEEvT0_T1_.private_seg_size)
	.set _ZN2at6native29vectorized_elementwise_kernelILi4EZZZNS0_19digamma_kernel_cudaERNS_18TensorIteratorBaseEENKUlvE_clEvENKUlvE1_clEvEUlN3c104HalfEE_St5arrayIPcLm2EEEEviT0_T1_.uses_vcc, or(1, .L_ZN2at6native25elementwise_kernel_helperILb0EZZZNS0_19digamma_kernel_cudaERNS_18TensorIteratorBaseEENKUlvE_clEvENKUlvE1_clEvEUlN3c104HalfEE_NS0_6memory8policies11unroll_baseILi256ESt5arrayIPcLm2EE23TrivialOffsetCalculatorILi1EjESG_NS9_15LoadWithoutCastENS9_16StoreWithoutCastELi8ELi1EEEEEvT0_T1_.uses_vcc)
	.set _ZN2at6native29vectorized_elementwise_kernelILi4EZZZNS0_19digamma_kernel_cudaERNS_18TensorIteratorBaseEENKUlvE_clEvENKUlvE1_clEvEUlN3c104HalfEE_St5arrayIPcLm2EEEEviT0_T1_.uses_flat_scratch, or(0, .L_ZN2at6native25elementwise_kernel_helperILb0EZZZNS0_19digamma_kernel_cudaERNS_18TensorIteratorBaseEENKUlvE_clEvENKUlvE1_clEvEUlN3c104HalfEE_NS0_6memory8policies11unroll_baseILi256ESt5arrayIPcLm2EE23TrivialOffsetCalculatorILi1EjESG_NS9_15LoadWithoutCastENS9_16StoreWithoutCastELi8ELi1EEEEEvT0_T1_.uses_flat_scratch)
	.set _ZN2at6native29vectorized_elementwise_kernelILi4EZZZNS0_19digamma_kernel_cudaERNS_18TensorIteratorBaseEENKUlvE_clEvENKUlvE1_clEvEUlN3c104HalfEE_St5arrayIPcLm2EEEEviT0_T1_.has_dyn_sized_stack, or(0, .L_ZN2at6native25elementwise_kernel_helperILb0EZZZNS0_19digamma_kernel_cudaERNS_18TensorIteratorBaseEENKUlvE_clEvENKUlvE1_clEvEUlN3c104HalfEE_NS0_6memory8policies11unroll_baseILi256ESt5arrayIPcLm2EE23TrivialOffsetCalculatorILi1EjESG_NS9_15LoadWithoutCastENS9_16StoreWithoutCastELi8ELi1EEEEEvT0_T1_.has_dyn_sized_stack)
	.set _ZN2at6native29vectorized_elementwise_kernelILi4EZZZNS0_19digamma_kernel_cudaERNS_18TensorIteratorBaseEENKUlvE_clEvENKUlvE1_clEvEUlN3c104HalfEE_St5arrayIPcLm2EEEEviT0_T1_.has_recursion, or(0, .L_ZN2at6native25elementwise_kernel_helperILb0EZZZNS0_19digamma_kernel_cudaERNS_18TensorIteratorBaseEENKUlvE_clEvENKUlvE1_clEvEUlN3c104HalfEE_NS0_6memory8policies11unroll_baseILi256ESt5arrayIPcLm2EE23TrivialOffsetCalculatorILi1EjESG_NS9_15LoadWithoutCastENS9_16StoreWithoutCastELi8ELi1EEEEEvT0_T1_.has_recursion)
	.set _ZN2at6native29vectorized_elementwise_kernelILi4EZZZNS0_19digamma_kernel_cudaERNS_18TensorIteratorBaseEENKUlvE_clEvENKUlvE1_clEvEUlN3c104HalfEE_St5arrayIPcLm2EEEEviT0_T1_.has_indirect_call, or(0, .L_ZN2at6native25elementwise_kernel_helperILb0EZZZNS0_19digamma_kernel_cudaERNS_18TensorIteratorBaseEENKUlvE_clEvENKUlvE1_clEvEUlN3c104HalfEE_NS0_6memory8policies11unroll_baseILi256ESt5arrayIPcLm2EE23TrivialOffsetCalculatorILi1EjESG_NS9_15LoadWithoutCastENS9_16StoreWithoutCastELi8ELi1EEEEEvT0_T1_.has_indirect_call)
	.section	.AMDGPU.csdata,"",@progbits
; Kernel info:
; codeLenInByte = 19328
; TotalNumSgprs: 35
; NumVgprs: 66
; ScratchSize: 0
; MemoryBound: 0
; FloatMode: 240
; IeeeMode: 1
; LDSByteSize: 0 bytes/workgroup (compile time only)
; SGPRBlocks: 0
; VGPRBlocks: 8
; NumSGPRsForWavesPerEU: 35
; NumVGPRsForWavesPerEU: 66
; Occupancy: 12
; WaveLimiterHint : 1
; COMPUTE_PGM_RSRC2:SCRATCH_EN: 0
; COMPUTE_PGM_RSRC2:USER_SGPR: 6
; COMPUTE_PGM_RSRC2:TRAP_HANDLER: 0
; COMPUTE_PGM_RSRC2:TGID_X_EN: 1
; COMPUTE_PGM_RSRC2:TGID_Y_EN: 0
; COMPUTE_PGM_RSRC2:TGID_Z_EN: 0
; COMPUTE_PGM_RSRC2:TIDIG_COMP_CNT: 0
	.section	.text._ZN2at6native29vectorized_elementwise_kernelILi2EZZZNS0_19digamma_kernel_cudaERNS_18TensorIteratorBaseEENKUlvE_clEvENKUlvE1_clEvEUlN3c104HalfEE_St5arrayIPcLm2EEEEviT0_T1_,"axG",@progbits,_ZN2at6native29vectorized_elementwise_kernelILi2EZZZNS0_19digamma_kernel_cudaERNS_18TensorIteratorBaseEENKUlvE_clEvENKUlvE1_clEvEUlN3c104HalfEE_St5arrayIPcLm2EEEEviT0_T1_,comdat
	.globl	_ZN2at6native29vectorized_elementwise_kernelILi2EZZZNS0_19digamma_kernel_cudaERNS_18TensorIteratorBaseEENKUlvE_clEvENKUlvE1_clEvEUlN3c104HalfEE_St5arrayIPcLm2EEEEviT0_T1_ ; -- Begin function _ZN2at6native29vectorized_elementwise_kernelILi2EZZZNS0_19digamma_kernel_cudaERNS_18TensorIteratorBaseEENKUlvE_clEvENKUlvE1_clEvEUlN3c104HalfEE_St5arrayIPcLm2EEEEviT0_T1_
	.p2align	8
	.type	_ZN2at6native29vectorized_elementwise_kernelILi2EZZZNS0_19digamma_kernel_cudaERNS_18TensorIteratorBaseEENKUlvE_clEvENKUlvE1_clEvEUlN3c104HalfEE_St5arrayIPcLm2EEEEviT0_T1_,@function
_ZN2at6native29vectorized_elementwise_kernelILi2EZZZNS0_19digamma_kernel_cudaERNS_18TensorIteratorBaseEENKUlvE_clEvENKUlvE1_clEvEUlN3c104HalfEE_St5arrayIPcLm2EEEEviT0_T1_: ; @_ZN2at6native29vectorized_elementwise_kernelILi2EZZZNS0_19digamma_kernel_cudaERNS_18TensorIteratorBaseEENKUlvE_clEvENKUlvE1_clEvEUlN3c104HalfEE_St5arrayIPcLm2EEEEviT0_T1_
; %bb.0:
	s_add_u32 s0, s0, s7
	s_clause 0x1
	s_load_dword s7, s[4:5], 0x0
	s_load_dwordx4 s[8:11], s[4:5], 0x8
	s_addc_u32 s1, s1, 0
	s_lshl_b32 s4, s6, 11
	s_mov_b32 s5, -1
	s_mov_b32 s32, 0
	s_waitcnt lgkmcnt(0)
	s_sub_i32 s7, s7, s4
	s_cmpk_gt_i32 s7, 0x7ff
	s_cbranch_scc1 .LBB25_3
; %bb.1:
	s_and_b32 vcc_lo, exec_lo, s5
	s_cbranch_vccnz .LBB25_196
.LBB25_2:
	s_endpgm
.LBB25_3:
	s_ashr_i32 s5, s4, 31
	v_lshlrev_b32_e32 v7, 2, v0
	s_lshl_b64 s[12:13], s[4:5], 1
                                        ; implicit-def: $vgpr8
	s_add_u32 s4, s10, s12
	s_addc_u32 s5, s11, s13
	v_add_co_u32 v1, s14, s4, v7
	v_add_co_ci_u32_e64 v2, null, s5, 0, s14
	v_add_co_u32 v1, vcc_lo, 0x800, v1
	v_add_co_ci_u32_e64 v2, null, 0, v2, vcc_lo
	s_clause 0x3
	global_load_dword v11, v7, s[4:5]
	global_load_dword v14, v7, s[4:5] offset:1024
	global_load_dword v12, v[1:2], off
	global_load_dword v9, v[1:2], off offset:1024
	v_mov_b32_e32 v1, 0
	s_mov_b32 s4, exec_lo
	s_waitcnt vmcnt(3)
	v_cvt_f32_f16_e32 v10, v11
	v_cmpx_neq_f16_e32 0, v11
	s_xor_b32 s14, exec_lo, s4
	s_cbranch_execz .LBB25_25
; %bb.4:
	s_mov_b32 s4, -1
	s_mov_b32 s15, exec_lo
	v_cmpx_gt_f16_e32 0, v11
	s_cbranch_execz .LBB25_12
; %bb.5:
	v_trunc_f32_e32 v1, v10
	s_mov_b32 s5, 0
	v_cmp_neq_f32_e32 vcc_lo, v1, v10
	v_mov_b32_e32 v1, 0
	s_and_saveexec_b32 s16, vcc_lo
	s_cbranch_execz .LBB25_11
; %bb.6:
	v_cvt_f32_f16_e32 v1, v11
	s_mov_b32 s5, 0xc00921fb
	s_mov_b32 s4, 0x54442d18
	s_mov_b32 s17, exec_lo
                                        ; implicit-def: $vgpr8
                                        ; implicit-def: $vgpr5_vgpr6
	v_cvt_f64_f32_e32 v[1:2], v1
	v_trunc_f64_e32 v[3:4], v[1:2]
	v_cmp_neq_f64_e64 vcc_lo, 0x7ff00000, |v[1:2]|
	v_add_f64 v[3:4], v[1:2], -v[3:4]
	v_mul_f64 v[3:4], |v[3:4]|, s[4:5]
	v_cndmask_b32_e32 v2, 0x80000000, v4, vcc_lo
	v_cndmask_b32_e32 v1, 0, v3, vcc_lo
                                        ; implicit-def: $vgpr3_vgpr4
	v_cmpx_ngt_f64_e64 0x41d00000, |v[1:2]|
	s_xor_b32 s17, exec_lo, s17
	s_cbranch_execz .LBB25_8
; %bb.7:
	v_ldexp_f64 v[3:4], |v[1:2]|, 0xffffff80
	v_cmp_le_f64_e64 vcc_lo, 0x7b000000, |v[1:2]|
	v_trig_preop_f64 v[5:6], |v[1:2]|, 0
	v_and_b32_e32 v8, 0x7fffffff, v2
	v_trig_preop_f64 v[15:16], |v[1:2]|, 1
	v_trig_preop_f64 v[25:26], |v[1:2]|, 2
	v_mov_b32_e32 v33, 0
	s_mov_b32 s5, 0x3ff921fb
	s_mov_b32 s18, 0x33145c07
	;; [unrolled: 1-line block ×3, first 2 shown]
	v_cndmask_b32_e32 v4, v8, v4, vcc_lo
	v_cndmask_b32_e32 v3, v1, v3, vcc_lo
	v_mul_f64 v[17:18], v[5:6], v[3:4]
	v_mul_f64 v[19:20], v[15:16], v[3:4]
	;; [unrolled: 1-line block ×3, first 2 shown]
	v_fma_f64 v[5:6], v[5:6], v[3:4], -v[17:18]
	v_fma_f64 v[15:16], v[15:16], v[3:4], -v[19:20]
	;; [unrolled: 1-line block ×3, first 2 shown]
	v_add_f64 v[21:22], v[19:20], v[5:6]
	v_add_f64 v[23:24], v[21:22], -v[19:20]
	v_add_f64 v[29:30], v[17:18], v[21:22]
	v_add_f64 v[27:28], v[21:22], -v[23:24]
	v_add_f64 v[5:6], v[5:6], -v[23:24]
	v_ldexp_f64 v[23:24], v[29:30], -2
	v_add_f64 v[17:18], v[29:30], -v[17:18]
	v_add_f64 v[19:20], v[19:20], -v[27:28]
	v_add_f64 v[27:28], v[31:32], v[15:16]
	v_cmp_neq_f64_e64 vcc_lo, 0x7ff00000, |v[23:24]|
	v_add_f64 v[17:18], v[21:22], -v[17:18]
	v_add_f64 v[5:6], v[5:6], v[19:20]
	v_fract_f64_e32 v[19:20], v[23:24]
	v_add_f64 v[21:22], v[27:28], v[5:6]
	v_ldexp_f64 v[19:20], v[19:20], 2
	v_add_f64 v[23:24], v[17:18], v[21:22]
	v_cndmask_b32_e32 v20, 0, v20, vcc_lo
	v_cndmask_b32_e32 v19, 0, v19, vcc_lo
	v_add_f64 v[29:30], v[23:24], v[19:20]
	v_add_f64 v[17:18], v[23:24], -v[17:18]
	v_cmp_gt_f64_e32 vcc_lo, 0, v[29:30]
	v_add_f64 v[29:30], v[27:28], -v[31:32]
	v_add_f64 v[17:18], v[21:22], -v[17:18]
	v_cndmask_b32_e64 v34, 0, 0x40100000, vcc_lo
	v_add_f64 v[38:39], v[27:28], -v[29:30]
	v_add_f64 v[15:16], v[15:16], -v[29:30]
	v_add_f64 v[19:20], v[19:20], v[33:34]
	v_add_f64 v[34:35], v[21:22], -v[27:28]
	v_add_f64 v[29:30], v[31:32], -v[38:39]
	v_add_f64 v[36:37], v[23:24], v[19:20]
	;; [unrolled: 3-line block ×3, first 2 shown]
	v_cvt_i32_f64_e32 v8, v[36:37]
	v_add_f64 v[27:28], v[27:28], -v[40:41]
	v_cvt_f64_i32_e32 v[34:35], v8
	v_add_f64 v[5:6], v[5:6], v[27:28]
	v_add_f64 v[19:20], v[19:20], -v[34:35]
	v_add_f64 v[5:6], v[15:16], v[5:6]
	v_add_f64 v[15:16], v[23:24], v[19:20]
	;; [unrolled: 1-line block ×3, first 2 shown]
	v_add_f64 v[5:6], v[15:16], -v[19:20]
	v_cmp_le_f64_e32 vcc_lo, 0.5, v[15:16]
	v_add_f64 v[3:4], v[17:18], v[3:4]
	v_add_f64 v[5:6], v[23:24], -v[5:6]
	v_cndmask_b32_e64 v34, 0, 0x3ff00000, vcc_lo
	v_add_co_ci_u32_e64 v8, null, 0, v8, vcc_lo
	v_add_f64 v[3:4], v[3:4], v[5:6]
	v_add_f64 v[5:6], v[15:16], -v[33:34]
	v_add_f64 v[15:16], v[5:6], v[3:4]
	v_mul_f64 v[17:18], v[15:16], s[4:5]
	v_add_f64 v[5:6], v[15:16], -v[5:6]
	v_fma_f64 v[19:20], v[15:16], s[4:5], -v[17:18]
	v_add_f64 v[3:4], v[3:4], -v[5:6]
	v_fma_f64 v[5:6], v[15:16], s[18:19], v[19:20]
	v_fma_f64 v[5:6], v[3:4], s[4:5], v[5:6]
	v_add_f64 v[3:4], v[17:18], v[5:6]
	v_add_f64 v[15:16], v[3:4], -v[17:18]
	v_add_f64 v[5:6], v[5:6], -v[15:16]
.LBB25_8:
	s_andn2_saveexec_b32 s4, s17
	s_cbranch_execz .LBB25_10
; %bb.9:
	s_mov_b32 s18, 0x6dc9c883
	s_mov_b32 s19, 0x3fe45f30
	;; [unrolled: 1-line block ×3, first 2 shown]
	v_mul_f64 v[3:4], |v[1:2]|, s[18:19]
	s_mov_b32 s18, 0x54442d18
	s_mov_b32 s19, 0xbff921fb
	s_mov_b32 s20, 0x33145c00
	v_rndne_f64_e32 v[15:16], v[3:4]
	v_fma_f64 v[3:4], v[15:16], s[18:19], |v[1:2]|
	v_mul_f64 v[5:6], v[15:16], s[20:21]
	s_mov_b32 s18, 0x252049c0
	s_mov_b32 s19, 0xb97b839a
	v_cvt_i32_f64_e32 v8, v[15:16]
	v_fma_f64 v[19:20], v[15:16], s[20:21], v[3:4]
	v_add_f64 v[17:18], v[3:4], v[5:6]
	s_mov_b32 s21, 0x3c91a626
	v_add_f64 v[3:4], v[3:4], -v[17:18]
	v_add_f64 v[17:18], v[17:18], -v[19:20]
	v_add_f64 v[3:4], v[3:4], v[5:6]
	v_fma_f64 v[5:6], v[15:16], s[20:21], v[5:6]
	v_add_f64 v[3:4], v[17:18], v[3:4]
	v_add_f64 v[3:4], v[3:4], -v[5:6]
	v_fma_f64 v[5:6], v[15:16], s[18:19], v[3:4]
	v_add_f64 v[3:4], v[19:20], v[5:6]
	v_add_f64 v[17:18], v[3:4], -v[19:20]
	v_add_f64 v[5:6], v[5:6], -v[17:18]
.LBB25_10:
	s_or_b32 exec_lo, exec_lo, s4
	v_mul_f64 v[15:16], v[3:4], v[3:4]
	v_add_f64 v[17:18], v[5:6], v[5:6]
	s_mov_b32 s18, 0xa9a29f71
	s_mov_b32 s20, 0xc751c08c
	;; [unrolled: 1-line block ×4, first 2 shown]
	v_cmp_class_f64_e64 s4, v[1:2], 0x1f8
	v_and_b32_e32 v8, 1, v8
	v_and_b32_e32 v2, 0x80000000, v2
	v_sub_f32_e32 v10, 1.0, v10
	s_mov_b32 s5, exec_lo
	v_cmp_eq_u32_e32 vcc_lo, 0, v8
	v_fma_f64 v[19:20], v[3:4], v[3:4], -v[15:16]
	v_fma_f64 v[17:18], v[3:4], v[17:18], v[19:20]
	v_add_f64 v[15:16], v[15:16], v[17:18]
	v_fma_f64 v[17:18], v[15:16], s[20:21], s[18:19]
	s_mov_b32 s18, 0x90a8aae0
	s_mov_b32 s19, 0x3f17746f
	v_fma_f64 v[17:18], v[15:16], v[17:18], s[18:19]
	s_mov_b32 s18, 0xa6fbf144
	s_mov_b32 s19, 0xbefbb44d
	v_fma_f64 v[17:18], v[15:16], v[17:18], s[18:19]
	s_mov_b32 s18, 0xa7943acf
	s_mov_b32 s19, 0x3f21e634
	v_fma_f64 v[17:18], v[15:16], v[17:18], s[18:19]
	s_mov_b32 s18, 0xdeb68feb
	s_mov_b32 s19, 0x3f2d250f
	v_fma_f64 v[17:18], v[15:16], v[17:18], s[18:19]
	s_mov_b32 s18, 0xb58c4d95
	s_mov_b32 s19, 0x3f437fd9
	v_fma_f64 v[17:18], v[15:16], v[17:18], s[18:19]
	s_mov_b32 s18, 0x15120e2c
	s_mov_b32 s19, 0x3f57d5af
	v_fma_f64 v[17:18], v[15:16], v[17:18], s[18:19]
	s_mov_b32 s18, 0xe09491df
	s_mov_b32 s19, 0x3f6d6d93
	v_fma_f64 v[17:18], v[15:16], v[17:18], s[18:19]
	s_mov_b32 s18, 0x2033784d
	s_mov_b32 s19, 0x3f8226e1
	v_fma_f64 v[17:18], v[15:16], v[17:18], s[18:19]
	s_mov_b32 s18, 0x9ac36ae2
	s_mov_b32 s19, 0x3f9664f4
	v_fma_f64 v[17:18], v[15:16], v[17:18], s[18:19]
	s_mov_b32 s18, 0x1b451c21
	s_mov_b32 s19, 0x3faba1ba
	v_fma_f64 v[17:18], v[15:16], v[17:18], s[18:19]
	s_mov_b32 s18, 0x111185b7
	s_mov_b32 s19, 0x3fc11111
	v_fma_f64 v[17:18], v[15:16], v[17:18], s[18:19]
	s_mov_b32 s18, 0x555554ee
	s_mov_b32 s19, 0x3fd55555
	v_fma_f64 v[17:18], v[15:16], v[17:18], s[18:19]
	s_mov_b32 s18, 0x54442d18
	s_mov_b32 s19, 0xc00921fb
	v_mul_f64 v[15:16], v[15:16], v[17:18]
	v_mul_f64 v[17:18], v[3:4], v[15:16]
	v_add_f64 v[19:20], v[3:4], v[17:18]
	v_fma_f64 v[15:16], v[3:4], v[15:16], -v[17:18]
	v_add_f64 v[3:4], v[19:20], -v[3:4]
	v_add_f64 v[5:6], v[5:6], v[15:16]
	v_add_f64 v[3:4], v[17:18], -v[3:4]
	v_add_f64 v[3:4], v[5:6], v[3:4]
	v_add_f64 v[5:6], v[19:20], v[3:4]
	v_rcp_f64_e32 v[15:16], v[5:6]
	v_fma_f64 v[17:18], -v[5:6], v[15:16], 1.0
	v_fma_f64 v[15:16], v[17:18], v[15:16], v[15:16]
	v_fma_f64 v[17:18], -v[5:6], v[15:16], 1.0
	v_fma_f64 v[15:16], v[17:18], v[15:16], v[15:16]
	v_add_f64 v[17:18], v[5:6], -v[19:20]
	v_mul_f64 v[19:20], v[5:6], v[15:16]
	v_add_f64 v[3:4], v[3:4], -v[17:18]
	v_fma_f64 v[17:18], v[15:16], v[5:6], -v[19:20]
	v_fma_f64 v[3:4], v[15:16], v[3:4], v[17:18]
	v_add_f64 v[17:18], v[19:20], v[3:4]
	v_add_f64 v[21:22], -v[17:18], 1.0
	v_add_f64 v[19:20], v[17:18], -v[19:20]
	v_add_f64 v[23:24], -v[21:22], 1.0
	v_add_f64 v[3:4], v[19:20], -v[3:4]
	v_add_f64 v[17:18], v[23:24], -v[17:18]
	v_add_f64 v[3:4], v[3:4], v[17:18]
	v_add_f64 v[3:4], v[21:22], v[3:4]
	v_mul_f64 v[3:4], v[15:16], v[3:4]
	v_add_f64 v[3:4], v[15:16], v[3:4]
	v_xor_b32_e32 v1, 0x80000000, v4
	v_cndmask_b32_e32 v3, v3, v5, vcc_lo
	v_cndmask_b32_e32 v1, v1, v6, vcc_lo
	v_xor_b32_e32 v2, v1, v2
	v_cndmask_b32_e64 v1, 0, v3, s4
	v_cndmask_b32_e64 v2, 0x7ff80000, v2, s4
	v_div_scale_f64 v[3:4], null, v[1:2], v[1:2], s[18:19]
	v_rcp_f64_e32 v[5:6], v[3:4]
	v_fma_f64 v[15:16], -v[3:4], v[5:6], 1.0
	v_fma_f64 v[5:6], v[5:6], v[15:16], v[5:6]
	v_fma_f64 v[15:16], -v[3:4], v[5:6], 1.0
	v_fma_f64 v[5:6], v[5:6], v[15:16], v[5:6]
	v_div_scale_f64 v[15:16], vcc_lo, s[18:19], v[1:2], s[18:19]
	v_mul_f64 v[17:18], v[15:16], v[5:6]
	v_fma_f64 v[3:4], -v[3:4], v[17:18], v[15:16]
	v_div_fmas_f64 v[3:4], v[3:4], v[5:6], v[17:18]
	v_div_fixup_f64 v[1:2], v[3:4], v[1:2], s[18:19]
	v_cvt_f32_f64_e32 v1, v[1:2]
.LBB25_11:
	s_or_b32 exec_lo, exec_lo, s16
	s_orn2_b32 s4, s5, exec_lo
.LBB25_12:
	s_or_b32 exec_lo, exec_lo, s15
	v_mov_b32_e32 v8, 0x7e00
	s_and_saveexec_b32 s15, s4
	s_cbranch_execz .LBB25_24
; %bb.13:
	s_mov_b32 s4, exec_lo
	v_cmpx_gt_f32_e32 0x41200000, v10
	s_cbranch_execz .LBB25_17
; %bb.14:
	s_mov_b32 s5, 0
	.p2align	6
.LBB25_15:                              ; =>This Inner Loop Header: Depth=1
	v_div_scale_f32 v2, null, v10, v10, 1.0
	v_div_scale_f32 v5, vcc_lo, 1.0, v10, 1.0
	v_rcp_f32_e32 v3, v2
	v_fma_f32 v4, -v2, v3, 1.0
	v_fmac_f32_e32 v3, v4, v3
	v_mul_f32_e32 v4, v5, v3
	v_fma_f32 v6, -v2, v4, v5
	v_fmac_f32_e32 v4, v6, v3
	v_fma_f32 v2, -v2, v4, v5
	v_div_fmas_f32 v2, v2, v3, v4
	v_div_fixup_f32 v2, v2, v10, 1.0
	v_add_f32_e32 v10, 1.0, v10
	v_sub_f32_e32 v1, v1, v2
	v_cmp_ngt_f32_e32 vcc_lo, 0x41200000, v10
	s_or_b32 s5, vcc_lo, s5
	s_andn2_b32 exec_lo, exec_lo, s5
	s_cbranch_execnz .LBB25_15
; %bb.16:
	s_or_b32 exec_lo, exec_lo, s5
.LBB25_17:
	s_or_b32 exec_lo, exec_lo, s4
                                        ; implicit-def: $vgpr8
	s_mov_b32 s4, exec_lo
	v_cmpx_neq_f32_e32 0x41200000, v10
	s_xor_b32 s16, exec_lo, s4
	s_cbranch_execz .LBB25_21
; %bb.18:
	v_cvt_f64_f32_e32 v[2:3], v10
	s_mov_b32 s4, 0x85d8a000
	s_mov_b32 s5, 0x43763457
	v_cmp_gt_f64_e32 vcc_lo, s[4:5], v[2:3]
	v_mov_b32_e32 v2, 0
	s_and_saveexec_b32 s4, vcc_lo
	s_cbranch_execz .LBB25_20
; %bb.19:
	v_mul_f32_e32 v2, v10, v10
	v_div_scale_f32 v3, null, v2, v2, 1.0
	v_rcp_f32_e32 v4, v3
	v_fma_f32 v5, -v3, v4, 1.0
	v_fmac_f32_e32 v4, v5, v4
	v_div_scale_f32 v5, vcc_lo, 1.0, v2, 1.0
	v_mul_f32_e32 v6, v5, v4
	v_fma_f32 v8, -v3, v6, v5
	v_fmac_f32_e32 v6, v8, v4
	v_fma_f32 v3, -v3, v6, v5
	v_div_fmas_f32 v3, v3, v4, v6
	v_div_fixup_f32 v2, v3, v2, 1.0
	v_fmaak_f32 v3, 0, v2, 0x3daaaaab
	v_fmaak_f32 v3, v2, v3, 0xbcaccacd
	;; [unrolled: 1-line block ×7, first 2 shown]
	v_mul_f32_e32 v2, v2, v3
.LBB25_20:
	s_or_b32 exec_lo, exec_lo, s4
	v_cmp_gt_f32_e32 vcc_lo, 0x800000, v10
	v_div_scale_f32 v3, null, v10, v10, -0.5
	v_div_scale_f32 v8, s4, -0.5, v10, -0.5
	v_cndmask_b32_e64 v4, 0, 32, vcc_lo
	v_rcp_f32_e32 v5, v3
	v_ldexp_f32 v4, v10, v4
	v_log_f32_e32 v4, v4
	v_fma_f32 v6, -v3, v5, 1.0
	v_fmac_f32_e32 v5, v6, v5
	v_mul_f32_e32 v6, 0x3f317217, v4
	v_mul_f32_e32 v13, v8, v5
	v_cmp_gt_f32_e64 s5, 0x7f800000, |v4|
	v_fma_f32 v6, 0x3f317217, v4, -v6
	v_fma_f32 v15, -v3, v13, v8
	v_fmamk_f32 v6, v4, 0x3377d1cf, v6
	v_fmac_f32_e32 v13, v15, v5
	v_fmac_f32_e32 v6, 0x3f317217, v4
	v_fma_f32 v3, -v3, v13, v8
	v_cndmask_b32_e64 v4, v4, v6, s5
	v_cndmask_b32_e64 v6, 0, 0x41b17218, vcc_lo
	s_mov_b32 vcc_lo, s4
	v_div_fmas_f32 v3, v3, v5, v13
	v_sub_f32_e32 v4, v4, v6
	v_div_fixup_f32 v3, v3, v10, -0.5
	v_add_f32_e32 v3, v4, v3
	v_sub_f32_e32 v2, v3, v2
	v_add_f32_e32 v1, v1, v2
	v_cvt_f16_f32_e32 v8, v1
                                        ; implicit-def: $vgpr1
.LBB25_21:
	s_andn2_saveexec_b32 s4, s16
; %bb.22:
	v_add_f32_e32 v1, 0x40101cb7, v1
	v_cvt_f16_f32_e32 v8, v1
; %bb.23:
	s_or_b32 exec_lo, exec_lo, s4
.LBB25_24:
	s_or_b32 exec_lo, exec_lo, s15
                                        ; implicit-def: $vgpr10
.LBB25_25:
	s_andn2_saveexec_b32 s4, s14
; %bb.26:
	v_xor_b32_e32 v1, 0x80000000, v10
	v_mov_b32_e32 v2, 0xffff8000
	v_and_b32_sdwa v1, v1, v2 dst_sel:DWORD dst_unused:UNUSED_PAD src0_sel:WORD_1 src1_sel:DWORD
	v_or_b32_e32 v8, 0x7c00, v1
; %bb.27:
	s_or_b32 exec_lo, exec_lo, s4
	v_mov_b32_e32 v1, 0
	v_cvt_f32_f16_sdwa v13, v11 dst_sel:DWORD dst_unused:UNUSED_PAD src0_sel:WORD_1
                                        ; implicit-def: $vgpr10
	v_cmp_neq_f16_sdwa s4, v11, v1 src0_sel:WORD_1 src1_sel:DWORD
	s_and_saveexec_b32 s5, s4
	s_xor_b32 s14, exec_lo, s5
	s_cbranch_execz .LBB25_49
; %bb.28:
	v_cmp_lt_f16_sdwa s5, v11, v1 src0_sel:WORD_1 src1_sel:DWORD
	s_mov_b32 s4, -1
	s_and_saveexec_b32 s15, s5
	s_cbranch_execz .LBB25_36
; %bb.29:
	v_trunc_f32_e32 v1, v13
	s_mov_b32 s5, 0
	v_cmp_neq_f32_e32 vcc_lo, v1, v13
	v_mov_b32_e32 v1, 0
	s_and_saveexec_b32 s16, vcc_lo
	s_cbranch_execz .LBB25_35
; %bb.30:
	v_cvt_f32_f16_sdwa v1, v11 dst_sel:DWORD dst_unused:UNUSED_PAD src0_sel:WORD_1
	s_mov_b32 s5, 0xc00921fb
	s_mov_b32 s4, 0x54442d18
	s_mov_b32 s17, exec_lo
                                        ; implicit-def: $vgpr10
                                        ; implicit-def: $vgpr5_vgpr6
	v_cvt_f64_f32_e32 v[1:2], v1
	v_trunc_f64_e32 v[3:4], v[1:2]
	v_cmp_neq_f64_e64 vcc_lo, 0x7ff00000, |v[1:2]|
	v_add_f64 v[3:4], v[1:2], -v[3:4]
	v_mul_f64 v[3:4], |v[3:4]|, s[4:5]
	v_cndmask_b32_e32 v2, 0x80000000, v4, vcc_lo
	v_cndmask_b32_e32 v1, 0, v3, vcc_lo
                                        ; implicit-def: $vgpr3_vgpr4
	v_cmpx_ngt_f64_e64 0x41d00000, |v[1:2]|
	s_xor_b32 s17, exec_lo, s17
	s_cbranch_execz .LBB25_32
; %bb.31:
	v_ldexp_f64 v[3:4], |v[1:2]|, 0xffffff80
	v_cmp_le_f64_e64 vcc_lo, 0x7b000000, |v[1:2]|
	v_trig_preop_f64 v[5:6], |v[1:2]|, 0
	v_and_b32_e32 v10, 0x7fffffff, v2
	v_trig_preop_f64 v[23:24], |v[1:2]|, 2
	v_mov_b32_e32 v31, 0
	s_mov_b32 s5, 0x3ff921fb
	s_mov_b32 s18, 0x33145c07
	;; [unrolled: 1-line block ×3, first 2 shown]
	v_cndmask_b32_e32 v4, v10, v4, vcc_lo
	v_cndmask_b32_e32 v3, v1, v3, vcc_lo
	v_trig_preop_f64 v[10:11], |v[1:2]|, 1
	v_mul_f64 v[15:16], v[5:6], v[3:4]
	v_mul_f64 v[29:30], v[23:24], v[3:4]
	;; [unrolled: 1-line block ×3, first 2 shown]
	v_fma_f64 v[5:6], v[5:6], v[3:4], -v[15:16]
	v_fma_f64 v[10:11], v[10:11], v[3:4], -v[17:18]
	;; [unrolled: 1-line block ×3, first 2 shown]
	v_add_f64 v[19:20], v[17:18], v[5:6]
	v_add_f64 v[21:22], v[19:20], -v[17:18]
	v_add_f64 v[27:28], v[15:16], v[19:20]
	v_add_f64 v[25:26], v[19:20], -v[21:22]
	v_add_f64 v[5:6], v[5:6], -v[21:22]
	v_ldexp_f64 v[21:22], v[27:28], -2
	v_add_f64 v[15:16], v[27:28], -v[15:16]
	v_add_f64 v[17:18], v[17:18], -v[25:26]
	v_add_f64 v[25:26], v[29:30], v[10:11]
	v_cmp_neq_f64_e64 vcc_lo, 0x7ff00000, |v[21:22]|
	v_add_f64 v[15:16], v[19:20], -v[15:16]
	v_add_f64 v[5:6], v[5:6], v[17:18]
	v_fract_f64_e32 v[17:18], v[21:22]
	v_add_f64 v[19:20], v[25:26], v[5:6]
	v_ldexp_f64 v[17:18], v[17:18], 2
	v_add_f64 v[21:22], v[15:16], v[19:20]
	v_cndmask_b32_e32 v18, 0, v18, vcc_lo
	v_cndmask_b32_e32 v17, 0, v17, vcc_lo
	v_add_f64 v[27:28], v[21:22], v[17:18]
	v_add_f64 v[15:16], v[21:22], -v[15:16]
	v_cmp_gt_f64_e32 vcc_lo, 0, v[27:28]
	v_add_f64 v[27:28], v[25:26], -v[29:30]
	v_cndmask_b32_e64 v32, 0, 0x40100000, vcc_lo
	v_add_f64 v[36:37], v[25:26], -v[27:28]
	v_add_f64 v[10:11], v[10:11], -v[27:28]
	v_add_f64 v[17:18], v[17:18], v[31:32]
	v_add_f64 v[32:33], v[19:20], -v[25:26]
	v_add_f64 v[27:28], v[29:30], -v[36:37]
	v_add_f64 v[34:35], v[21:22], v[17:18]
	;; [unrolled: 3-line block ×3, first 2 shown]
	v_cvt_i32_f64_e32 v34, v[34:35]
	v_add_f64 v[25:26], v[25:26], -v[38:39]
	v_cvt_f64_i32_e32 v[32:33], v34
	v_add_f64 v[5:6], v[5:6], v[25:26]
	v_add_f64 v[17:18], v[17:18], -v[32:33]
	v_add_f64 v[5:6], v[10:11], v[5:6]
	v_add_f64 v[10:11], v[19:20], -v[15:16]
	v_add_f64 v[23:24], v[21:22], v[17:18]
	v_add_f64 v[3:4], v[3:4], v[5:6]
	v_add_f64 v[5:6], v[23:24], -v[17:18]
	v_cmp_le_f64_e32 vcc_lo, 0.5, v[23:24]
	v_add_f64 v[3:4], v[10:11], v[3:4]
	v_add_f64 v[5:6], v[21:22], -v[5:6]
	v_cndmask_b32_e64 v32, 0, 0x3ff00000, vcc_lo
	v_add_co_ci_u32_e64 v10, null, 0, v34, vcc_lo
	v_add_f64 v[3:4], v[3:4], v[5:6]
	v_add_f64 v[5:6], v[23:24], -v[31:32]
	v_add_f64 v[15:16], v[5:6], v[3:4]
	v_mul_f64 v[17:18], v[15:16], s[4:5]
	v_add_f64 v[5:6], v[15:16], -v[5:6]
	v_fma_f64 v[19:20], v[15:16], s[4:5], -v[17:18]
	v_add_f64 v[3:4], v[3:4], -v[5:6]
	v_fma_f64 v[5:6], v[15:16], s[18:19], v[19:20]
	v_fma_f64 v[5:6], v[3:4], s[4:5], v[5:6]
	v_add_f64 v[3:4], v[17:18], v[5:6]
	v_add_f64 v[15:16], v[3:4], -v[17:18]
	v_add_f64 v[5:6], v[5:6], -v[15:16]
.LBB25_32:
	s_andn2_saveexec_b32 s4, s17
	s_cbranch_execz .LBB25_34
; %bb.33:
	s_mov_b32 s18, 0x6dc9c883
	s_mov_b32 s19, 0x3fe45f30
	;; [unrolled: 1-line block ×3, first 2 shown]
	v_mul_f64 v[3:4], |v[1:2]|, s[18:19]
	s_mov_b32 s18, 0x54442d18
	s_mov_b32 s19, 0xbff921fb
	;; [unrolled: 1-line block ×3, first 2 shown]
	v_rndne_f64_e32 v[10:11], v[3:4]
	v_fma_f64 v[3:4], v[10:11], s[18:19], |v[1:2]|
	v_mul_f64 v[5:6], v[10:11], s[20:21]
	s_mov_b32 s18, 0x252049c0
	s_mov_b32 s19, 0xb97b839a
	v_fma_f64 v[17:18], v[10:11], s[20:21], v[3:4]
	v_add_f64 v[15:16], v[3:4], v[5:6]
	s_mov_b32 s21, 0x3c91a626
	v_add_f64 v[3:4], v[3:4], -v[15:16]
	v_add_f64 v[15:16], v[15:16], -v[17:18]
	v_add_f64 v[3:4], v[3:4], v[5:6]
	v_fma_f64 v[5:6], v[10:11], s[20:21], v[5:6]
	v_add_f64 v[3:4], v[15:16], v[3:4]
	v_add_f64 v[3:4], v[3:4], -v[5:6]
	v_fma_f64 v[5:6], v[10:11], s[18:19], v[3:4]
	v_cvt_i32_f64_e32 v10, v[10:11]
	v_add_f64 v[3:4], v[17:18], v[5:6]
	v_add_f64 v[15:16], v[3:4], -v[17:18]
	v_add_f64 v[5:6], v[5:6], -v[15:16]
.LBB25_34:
	s_or_b32 exec_lo, exec_lo, s4
	v_mul_f64 v[15:16], v[3:4], v[3:4]
	v_add_f64 v[17:18], v[5:6], v[5:6]
	s_mov_b32 s18, 0xa9a29f71
	s_mov_b32 s20, 0xc751c08c
	;; [unrolled: 1-line block ×4, first 2 shown]
	v_cmp_class_f64_e64 s4, v[1:2], 0x1f8
	v_and_b32_e32 v10, 1, v10
	v_and_b32_e32 v2, 0x80000000, v2
	v_sub_f32_e32 v13, 1.0, v13
	s_mov_b32 s5, exec_lo
	v_cmp_eq_u32_e32 vcc_lo, 0, v10
	v_fma_f64 v[19:20], v[3:4], v[3:4], -v[15:16]
	v_fma_f64 v[17:18], v[3:4], v[17:18], v[19:20]
	v_add_f64 v[15:16], v[15:16], v[17:18]
	v_fma_f64 v[17:18], v[15:16], s[20:21], s[18:19]
	s_mov_b32 s18, 0x90a8aae0
	s_mov_b32 s19, 0x3f17746f
	v_fma_f64 v[17:18], v[15:16], v[17:18], s[18:19]
	s_mov_b32 s18, 0xa6fbf144
	s_mov_b32 s19, 0xbefbb44d
	;; [unrolled: 3-line block ×13, first 2 shown]
	v_mul_f64 v[15:16], v[15:16], v[17:18]
	v_mul_f64 v[17:18], v[3:4], v[15:16]
	v_add_f64 v[19:20], v[3:4], v[17:18]
	v_fma_f64 v[15:16], v[3:4], v[15:16], -v[17:18]
	v_add_f64 v[3:4], v[19:20], -v[3:4]
	v_add_f64 v[5:6], v[5:6], v[15:16]
	v_add_f64 v[3:4], v[17:18], -v[3:4]
	v_add_f64 v[3:4], v[5:6], v[3:4]
	v_add_f64 v[5:6], v[19:20], v[3:4]
	v_rcp_f64_e32 v[15:16], v[5:6]
	v_fma_f64 v[17:18], -v[5:6], v[15:16], 1.0
	v_fma_f64 v[15:16], v[17:18], v[15:16], v[15:16]
	v_fma_f64 v[17:18], -v[5:6], v[15:16], 1.0
	v_fma_f64 v[15:16], v[17:18], v[15:16], v[15:16]
	v_add_f64 v[17:18], v[5:6], -v[19:20]
	v_mul_f64 v[19:20], v[5:6], v[15:16]
	v_add_f64 v[3:4], v[3:4], -v[17:18]
	v_fma_f64 v[17:18], v[15:16], v[5:6], -v[19:20]
	v_fma_f64 v[3:4], v[15:16], v[3:4], v[17:18]
	v_add_f64 v[17:18], v[19:20], v[3:4]
	v_add_f64 v[21:22], -v[17:18], 1.0
	v_add_f64 v[19:20], v[17:18], -v[19:20]
	v_add_f64 v[23:24], -v[21:22], 1.0
	v_add_f64 v[3:4], v[19:20], -v[3:4]
	v_add_f64 v[17:18], v[23:24], -v[17:18]
	v_add_f64 v[3:4], v[3:4], v[17:18]
	v_add_f64 v[3:4], v[21:22], v[3:4]
	v_mul_f64 v[3:4], v[15:16], v[3:4]
	v_add_f64 v[3:4], v[15:16], v[3:4]
	v_xor_b32_e32 v1, 0x80000000, v4
	v_cndmask_b32_e32 v3, v3, v5, vcc_lo
	v_cndmask_b32_e32 v1, v1, v6, vcc_lo
	v_xor_b32_e32 v2, v1, v2
	v_cndmask_b32_e64 v1, 0, v3, s4
	v_cndmask_b32_e64 v2, 0x7ff80000, v2, s4
	v_div_scale_f64 v[3:4], null, v[1:2], v[1:2], s[18:19]
	v_rcp_f64_e32 v[5:6], v[3:4]
	v_fma_f64 v[10:11], -v[3:4], v[5:6], 1.0
	v_fma_f64 v[5:6], v[5:6], v[10:11], v[5:6]
	v_fma_f64 v[10:11], -v[3:4], v[5:6], 1.0
	v_fma_f64 v[5:6], v[5:6], v[10:11], v[5:6]
	v_div_scale_f64 v[10:11], vcc_lo, s[18:19], v[1:2], s[18:19]
	v_mul_f64 v[15:16], v[10:11], v[5:6]
	v_fma_f64 v[3:4], -v[3:4], v[15:16], v[10:11]
	v_div_fmas_f64 v[3:4], v[3:4], v[5:6], v[15:16]
	v_div_fixup_f64 v[1:2], v[3:4], v[1:2], s[18:19]
	v_cvt_f32_f64_e32 v1, v[1:2]
.LBB25_35:
	s_or_b32 exec_lo, exec_lo, s16
	s_orn2_b32 s4, s5, exec_lo
.LBB25_36:
	s_or_b32 exec_lo, exec_lo, s15
	v_mov_b32_e32 v10, 0x7e00
	s_and_saveexec_b32 s15, s4
	s_cbranch_execz .LBB25_48
; %bb.37:
	s_mov_b32 s4, exec_lo
	v_cmpx_gt_f32_e32 0x41200000, v13
	s_cbranch_execz .LBB25_41
; %bb.38:
	s_mov_b32 s5, 0
	.p2align	6
.LBB25_39:                              ; =>This Inner Loop Header: Depth=1
	v_div_scale_f32 v2, null, v13, v13, 1.0
	v_div_scale_f32 v5, vcc_lo, 1.0, v13, 1.0
	v_rcp_f32_e32 v3, v2
	v_fma_f32 v4, -v2, v3, 1.0
	v_fmac_f32_e32 v3, v4, v3
	v_mul_f32_e32 v4, v5, v3
	v_fma_f32 v6, -v2, v4, v5
	v_fmac_f32_e32 v4, v6, v3
	v_fma_f32 v2, -v2, v4, v5
	v_div_fmas_f32 v2, v2, v3, v4
	v_div_fixup_f32 v2, v2, v13, 1.0
	v_add_f32_e32 v13, 1.0, v13
	v_sub_f32_e32 v1, v1, v2
	v_cmp_ngt_f32_e32 vcc_lo, 0x41200000, v13
	s_or_b32 s5, vcc_lo, s5
	s_andn2_b32 exec_lo, exec_lo, s5
	s_cbranch_execnz .LBB25_39
; %bb.40:
	s_or_b32 exec_lo, exec_lo, s5
.LBB25_41:
	s_or_b32 exec_lo, exec_lo, s4
                                        ; implicit-def: $vgpr10
	s_mov_b32 s4, exec_lo
	v_cmpx_neq_f32_e32 0x41200000, v13
	s_xor_b32 s16, exec_lo, s4
	s_cbranch_execz .LBB25_45
; %bb.42:
	v_cvt_f64_f32_e32 v[2:3], v13
	s_mov_b32 s4, 0x85d8a000
	s_mov_b32 s5, 0x43763457
	v_cmp_gt_f64_e32 vcc_lo, s[4:5], v[2:3]
	v_mov_b32_e32 v2, 0
	s_and_saveexec_b32 s4, vcc_lo
	s_cbranch_execz .LBB25_44
; %bb.43:
	v_mul_f32_e32 v2, v13, v13
	v_div_scale_f32 v3, null, v2, v2, 1.0
	v_rcp_f32_e32 v4, v3
	v_fma_f32 v5, -v3, v4, 1.0
	v_fmac_f32_e32 v4, v5, v4
	v_div_scale_f32 v5, vcc_lo, 1.0, v2, 1.0
	v_mul_f32_e32 v6, v5, v4
	v_fma_f32 v10, -v3, v6, v5
	v_fmac_f32_e32 v6, v10, v4
	v_fma_f32 v3, -v3, v6, v5
	v_div_fmas_f32 v3, v3, v4, v6
	v_div_fixup_f32 v2, v3, v2, 1.0
	v_fmaak_f32 v3, 0, v2, 0x3daaaaab
	v_fmaak_f32 v3, v2, v3, 0xbcaccacd
	;; [unrolled: 1-line block ×7, first 2 shown]
	v_mul_f32_e32 v2, v2, v3
.LBB25_44:
	s_or_b32 exec_lo, exec_lo, s4
	v_cmp_gt_f32_e32 vcc_lo, 0x800000, v13
	v_div_scale_f32 v3, null, v13, v13, -0.5
	v_div_scale_f32 v10, s4, -0.5, v13, -0.5
	v_cndmask_b32_e64 v4, 0, 32, vcc_lo
	v_rcp_f32_e32 v5, v3
	v_ldexp_f32 v4, v13, v4
	v_log_f32_e32 v4, v4
	v_fma_f32 v6, -v3, v5, 1.0
	v_fmac_f32_e32 v5, v6, v5
	v_mul_f32_e32 v6, 0x3f317217, v4
	v_mul_f32_e32 v11, v10, v5
	v_cmp_gt_f32_e64 s5, 0x7f800000, |v4|
	v_fma_f32 v6, 0x3f317217, v4, -v6
	v_fma_f32 v15, -v3, v11, v10
	v_fmamk_f32 v6, v4, 0x3377d1cf, v6
	v_fmac_f32_e32 v11, v15, v5
	v_fmac_f32_e32 v6, 0x3f317217, v4
	v_fma_f32 v3, -v3, v11, v10
	v_cndmask_b32_e64 v4, v4, v6, s5
	v_cndmask_b32_e64 v6, 0, 0x41b17218, vcc_lo
	s_mov_b32 vcc_lo, s4
	v_div_fmas_f32 v3, v3, v5, v11
	v_sub_f32_e32 v4, v4, v6
	v_div_fixup_f32 v3, v3, v13, -0.5
	v_add_f32_e32 v3, v4, v3
	v_sub_f32_e32 v2, v3, v2
	v_add_f32_e32 v1, v1, v2
	v_cvt_f16_f32_e32 v10, v1
                                        ; implicit-def: $vgpr1
.LBB25_45:
	s_andn2_saveexec_b32 s4, s16
; %bb.46:
	v_add_f32_e32 v1, 0x40101cb7, v1
	v_cvt_f16_f32_e32 v10, v1
; %bb.47:
	s_or_b32 exec_lo, exec_lo, s4
.LBB25_48:
	s_or_b32 exec_lo, exec_lo, s15
                                        ; implicit-def: $vgpr13
.LBB25_49:
	s_andn2_saveexec_b32 s4, s14
; %bb.50:
	v_xor_b32_e32 v1, 0x80000000, v13
	v_mov_b32_e32 v2, 0xffff8000
	v_and_b32_sdwa v1, v1, v2 dst_sel:DWORD dst_unused:UNUSED_PAD src0_sel:WORD_1 src1_sel:DWORD
	v_or_b32_e32 v10, 0x7c00, v1
; %bb.51:
	s_or_b32 exec_lo, exec_lo, s4
	s_waitcnt vmcnt(2)
	v_cvt_f32_f16_e32 v13, v14
                                        ; implicit-def: $vgpr11
	s_mov_b32 s4, exec_lo
	v_cmpx_neq_f16_e32 0, v14
	s_xor_b32 s14, exec_lo, s4
	s_cbranch_execz .LBB25_73
; %bb.52:
	v_mov_b32_e32 v1, 0
	s_mov_b32 s4, -1
	s_mov_b32 s15, exec_lo
	v_cmpx_gt_f16_e32 0, v14
	s_cbranch_execz .LBB25_60
; %bb.53:
	v_trunc_f32_e32 v1, v13
	s_mov_b32 s5, 0
	v_cmp_neq_f32_e32 vcc_lo, v1, v13
	v_mov_b32_e32 v1, 0
	s_and_saveexec_b32 s16, vcc_lo
	s_cbranch_execz .LBB25_59
; %bb.54:
	v_cvt_f32_f16_e32 v1, v14
	s_mov_b32 s5, 0xc00921fb
	s_mov_b32 s4, 0x54442d18
	s_mov_b32 s17, exec_lo
                                        ; implicit-def: $vgpr11
                                        ; implicit-def: $vgpr5_vgpr6
	v_cvt_f64_f32_e32 v[1:2], v1
	v_trunc_f64_e32 v[3:4], v[1:2]
	v_cmp_neq_f64_e64 vcc_lo, 0x7ff00000, |v[1:2]|
	v_add_f64 v[3:4], v[1:2], -v[3:4]
	v_mul_f64 v[3:4], |v[3:4]|, s[4:5]
	v_cndmask_b32_e32 v2, 0x80000000, v4, vcc_lo
	v_cndmask_b32_e32 v1, 0, v3, vcc_lo
                                        ; implicit-def: $vgpr3_vgpr4
	v_cmpx_ngt_f64_e64 0x41d00000, |v[1:2]|
	s_xor_b32 s17, exec_lo, s17
	s_cbranch_execz .LBB25_56
; %bb.55:
	v_ldexp_f64 v[3:4], |v[1:2]|, 0xffffff80
	v_cmp_le_f64_e64 vcc_lo, 0x7b000000, |v[1:2]|
	v_trig_preop_f64 v[5:6], |v[1:2]|, 0
	v_and_b32_e32 v11, 0x7fffffff, v2
	v_trig_preop_f64 v[15:16], |v[1:2]|, 1
	v_trig_preop_f64 v[25:26], |v[1:2]|, 2
	v_mov_b32_e32 v33, 0
	s_mov_b32 s5, 0x3ff921fb
	s_mov_b32 s18, 0x33145c07
	s_mov_b32 s19, 0x3c91a626
	v_cndmask_b32_e32 v4, v11, v4, vcc_lo
	v_cndmask_b32_e32 v3, v1, v3, vcc_lo
	v_mul_f64 v[17:18], v[5:6], v[3:4]
	v_mul_f64 v[19:20], v[15:16], v[3:4]
	v_mul_f64 v[31:32], v[25:26], v[3:4]
	v_fma_f64 v[5:6], v[5:6], v[3:4], -v[17:18]
	v_fma_f64 v[15:16], v[15:16], v[3:4], -v[19:20]
	;; [unrolled: 1-line block ×3, first 2 shown]
	v_add_f64 v[21:22], v[19:20], v[5:6]
	v_add_f64 v[23:24], v[21:22], -v[19:20]
	v_add_f64 v[29:30], v[17:18], v[21:22]
	v_add_f64 v[27:28], v[21:22], -v[23:24]
	v_add_f64 v[5:6], v[5:6], -v[23:24]
	v_ldexp_f64 v[23:24], v[29:30], -2
	v_add_f64 v[17:18], v[29:30], -v[17:18]
	v_add_f64 v[19:20], v[19:20], -v[27:28]
	v_add_f64 v[27:28], v[31:32], v[15:16]
	v_cmp_neq_f64_e64 vcc_lo, 0x7ff00000, |v[23:24]|
	v_add_f64 v[17:18], v[21:22], -v[17:18]
	v_add_f64 v[5:6], v[5:6], v[19:20]
	v_fract_f64_e32 v[19:20], v[23:24]
	v_add_f64 v[21:22], v[27:28], v[5:6]
	v_ldexp_f64 v[19:20], v[19:20], 2
	v_add_f64 v[23:24], v[17:18], v[21:22]
	v_cndmask_b32_e32 v20, 0, v20, vcc_lo
	v_cndmask_b32_e32 v19, 0, v19, vcc_lo
	v_add_f64 v[29:30], v[23:24], v[19:20]
	v_add_f64 v[17:18], v[23:24], -v[17:18]
	v_cmp_gt_f64_e32 vcc_lo, 0, v[29:30]
	v_add_f64 v[29:30], v[27:28], -v[31:32]
	v_add_f64 v[17:18], v[21:22], -v[17:18]
	v_cndmask_b32_e64 v34, 0, 0x40100000, vcc_lo
	v_add_f64 v[38:39], v[27:28], -v[29:30]
	v_add_f64 v[15:16], v[15:16], -v[29:30]
	v_add_f64 v[19:20], v[19:20], v[33:34]
	v_add_f64 v[34:35], v[21:22], -v[27:28]
	v_add_f64 v[29:30], v[31:32], -v[38:39]
	v_add_f64 v[36:37], v[23:24], v[19:20]
	;; [unrolled: 3-line block ×3, first 2 shown]
	v_cvt_i32_f64_e32 v11, v[36:37]
	v_add_f64 v[27:28], v[27:28], -v[40:41]
	v_cvt_f64_i32_e32 v[34:35], v11
	v_add_f64 v[5:6], v[5:6], v[27:28]
	v_add_f64 v[19:20], v[19:20], -v[34:35]
	v_add_f64 v[5:6], v[15:16], v[5:6]
	v_add_f64 v[15:16], v[23:24], v[19:20]
	;; [unrolled: 1-line block ×3, first 2 shown]
	v_add_f64 v[5:6], v[15:16], -v[19:20]
	v_cmp_le_f64_e32 vcc_lo, 0.5, v[15:16]
	v_add_f64 v[3:4], v[17:18], v[3:4]
	v_add_f64 v[5:6], v[23:24], -v[5:6]
	v_cndmask_b32_e64 v34, 0, 0x3ff00000, vcc_lo
	v_add_co_ci_u32_e64 v11, null, 0, v11, vcc_lo
	v_add_f64 v[3:4], v[3:4], v[5:6]
	v_add_f64 v[5:6], v[15:16], -v[33:34]
	v_add_f64 v[15:16], v[5:6], v[3:4]
	v_mul_f64 v[17:18], v[15:16], s[4:5]
	v_add_f64 v[5:6], v[15:16], -v[5:6]
	v_fma_f64 v[19:20], v[15:16], s[4:5], -v[17:18]
	v_add_f64 v[3:4], v[3:4], -v[5:6]
	v_fma_f64 v[5:6], v[15:16], s[18:19], v[19:20]
	v_fma_f64 v[5:6], v[3:4], s[4:5], v[5:6]
	v_add_f64 v[3:4], v[17:18], v[5:6]
	v_add_f64 v[15:16], v[3:4], -v[17:18]
	v_add_f64 v[5:6], v[5:6], -v[15:16]
.LBB25_56:
	s_andn2_saveexec_b32 s4, s17
	s_cbranch_execz .LBB25_58
; %bb.57:
	s_mov_b32 s18, 0x6dc9c883
	s_mov_b32 s19, 0x3fe45f30
	;; [unrolled: 1-line block ×3, first 2 shown]
	v_mul_f64 v[3:4], |v[1:2]|, s[18:19]
	s_mov_b32 s18, 0x54442d18
	s_mov_b32 s19, 0xbff921fb
	;; [unrolled: 1-line block ×3, first 2 shown]
	v_rndne_f64_e32 v[15:16], v[3:4]
	v_fma_f64 v[3:4], v[15:16], s[18:19], |v[1:2]|
	v_mul_f64 v[5:6], v[15:16], s[20:21]
	s_mov_b32 s18, 0x252049c0
	s_mov_b32 s19, 0xb97b839a
	v_cvt_i32_f64_e32 v11, v[15:16]
	v_fma_f64 v[19:20], v[15:16], s[20:21], v[3:4]
	v_add_f64 v[17:18], v[3:4], v[5:6]
	s_mov_b32 s21, 0x3c91a626
	v_add_f64 v[3:4], v[3:4], -v[17:18]
	v_add_f64 v[17:18], v[17:18], -v[19:20]
	v_add_f64 v[3:4], v[3:4], v[5:6]
	v_fma_f64 v[5:6], v[15:16], s[20:21], v[5:6]
	v_add_f64 v[3:4], v[17:18], v[3:4]
	v_add_f64 v[3:4], v[3:4], -v[5:6]
	v_fma_f64 v[5:6], v[15:16], s[18:19], v[3:4]
	v_add_f64 v[3:4], v[19:20], v[5:6]
	v_add_f64 v[17:18], v[3:4], -v[19:20]
	v_add_f64 v[5:6], v[5:6], -v[17:18]
.LBB25_58:
	s_or_b32 exec_lo, exec_lo, s4
	v_mul_f64 v[15:16], v[3:4], v[3:4]
	v_add_f64 v[17:18], v[5:6], v[5:6]
	s_mov_b32 s18, 0xa9a29f71
	s_mov_b32 s20, 0xc751c08c
	;; [unrolled: 1-line block ×4, first 2 shown]
	v_cmp_class_f64_e64 s4, v[1:2], 0x1f8
	v_and_b32_e32 v11, 1, v11
	v_and_b32_e32 v2, 0x80000000, v2
	v_sub_f32_e32 v13, 1.0, v13
	s_mov_b32 s5, exec_lo
	v_cmp_eq_u32_e32 vcc_lo, 0, v11
	v_fma_f64 v[19:20], v[3:4], v[3:4], -v[15:16]
	v_fma_f64 v[17:18], v[3:4], v[17:18], v[19:20]
	v_add_f64 v[15:16], v[15:16], v[17:18]
	v_fma_f64 v[17:18], v[15:16], s[20:21], s[18:19]
	s_mov_b32 s18, 0x90a8aae0
	s_mov_b32 s19, 0x3f17746f
	v_fma_f64 v[17:18], v[15:16], v[17:18], s[18:19]
	s_mov_b32 s18, 0xa6fbf144
	s_mov_b32 s19, 0xbefbb44d
	;; [unrolled: 3-line block ×13, first 2 shown]
	v_mul_f64 v[15:16], v[15:16], v[17:18]
	v_mul_f64 v[17:18], v[3:4], v[15:16]
	v_add_f64 v[19:20], v[3:4], v[17:18]
	v_fma_f64 v[15:16], v[3:4], v[15:16], -v[17:18]
	v_add_f64 v[3:4], v[19:20], -v[3:4]
	v_add_f64 v[5:6], v[5:6], v[15:16]
	v_add_f64 v[3:4], v[17:18], -v[3:4]
	v_add_f64 v[3:4], v[5:6], v[3:4]
	v_add_f64 v[5:6], v[19:20], v[3:4]
	v_rcp_f64_e32 v[15:16], v[5:6]
	v_fma_f64 v[17:18], -v[5:6], v[15:16], 1.0
	v_fma_f64 v[15:16], v[17:18], v[15:16], v[15:16]
	v_fma_f64 v[17:18], -v[5:6], v[15:16], 1.0
	v_fma_f64 v[15:16], v[17:18], v[15:16], v[15:16]
	v_add_f64 v[17:18], v[5:6], -v[19:20]
	v_mul_f64 v[19:20], v[5:6], v[15:16]
	v_add_f64 v[3:4], v[3:4], -v[17:18]
	v_fma_f64 v[17:18], v[15:16], v[5:6], -v[19:20]
	v_fma_f64 v[3:4], v[15:16], v[3:4], v[17:18]
	v_add_f64 v[17:18], v[19:20], v[3:4]
	v_add_f64 v[21:22], -v[17:18], 1.0
	v_add_f64 v[19:20], v[17:18], -v[19:20]
	v_add_f64 v[23:24], -v[21:22], 1.0
	v_add_f64 v[3:4], v[19:20], -v[3:4]
	v_add_f64 v[17:18], v[23:24], -v[17:18]
	v_add_f64 v[3:4], v[3:4], v[17:18]
	v_add_f64 v[3:4], v[21:22], v[3:4]
	v_mul_f64 v[3:4], v[15:16], v[3:4]
	v_add_f64 v[3:4], v[15:16], v[3:4]
	v_xor_b32_e32 v1, 0x80000000, v4
	v_cndmask_b32_e32 v3, v3, v5, vcc_lo
	v_cndmask_b32_e32 v1, v1, v6, vcc_lo
	v_xor_b32_e32 v2, v1, v2
	v_cndmask_b32_e64 v1, 0, v3, s4
	v_cndmask_b32_e64 v2, 0x7ff80000, v2, s4
	v_div_scale_f64 v[3:4], null, v[1:2], v[1:2], s[18:19]
	v_rcp_f64_e32 v[5:6], v[3:4]
	v_fma_f64 v[15:16], -v[3:4], v[5:6], 1.0
	v_fma_f64 v[5:6], v[5:6], v[15:16], v[5:6]
	v_fma_f64 v[15:16], -v[3:4], v[5:6], 1.0
	v_fma_f64 v[5:6], v[5:6], v[15:16], v[5:6]
	v_div_scale_f64 v[15:16], vcc_lo, s[18:19], v[1:2], s[18:19]
	v_mul_f64 v[17:18], v[15:16], v[5:6]
	v_fma_f64 v[3:4], -v[3:4], v[17:18], v[15:16]
	v_div_fmas_f64 v[3:4], v[3:4], v[5:6], v[17:18]
	v_div_fixup_f64 v[1:2], v[3:4], v[1:2], s[18:19]
	v_cvt_f32_f64_e32 v1, v[1:2]
.LBB25_59:
	s_or_b32 exec_lo, exec_lo, s16
	s_orn2_b32 s4, s5, exec_lo
.LBB25_60:
	s_or_b32 exec_lo, exec_lo, s15
	v_mov_b32_e32 v11, 0x7e00
	s_and_saveexec_b32 s15, s4
	s_cbranch_execz .LBB25_72
; %bb.61:
	s_mov_b32 s4, exec_lo
	v_cmpx_gt_f32_e32 0x41200000, v13
	s_cbranch_execz .LBB25_65
; %bb.62:
	s_mov_b32 s5, 0
	.p2align	6
.LBB25_63:                              ; =>This Inner Loop Header: Depth=1
	v_div_scale_f32 v2, null, v13, v13, 1.0
	v_div_scale_f32 v5, vcc_lo, 1.0, v13, 1.0
	v_rcp_f32_e32 v3, v2
	v_fma_f32 v4, -v2, v3, 1.0
	v_fmac_f32_e32 v3, v4, v3
	v_mul_f32_e32 v4, v5, v3
	v_fma_f32 v6, -v2, v4, v5
	v_fmac_f32_e32 v4, v6, v3
	v_fma_f32 v2, -v2, v4, v5
	v_div_fmas_f32 v2, v2, v3, v4
	v_div_fixup_f32 v2, v2, v13, 1.0
	v_add_f32_e32 v13, 1.0, v13
	v_sub_f32_e32 v1, v1, v2
	v_cmp_ngt_f32_e32 vcc_lo, 0x41200000, v13
	s_or_b32 s5, vcc_lo, s5
	s_andn2_b32 exec_lo, exec_lo, s5
	s_cbranch_execnz .LBB25_63
; %bb.64:
	s_or_b32 exec_lo, exec_lo, s5
.LBB25_65:
	s_or_b32 exec_lo, exec_lo, s4
                                        ; implicit-def: $vgpr11
	s_mov_b32 s4, exec_lo
	v_cmpx_neq_f32_e32 0x41200000, v13
	s_xor_b32 s16, exec_lo, s4
	s_cbranch_execz .LBB25_69
; %bb.66:
	v_cvt_f64_f32_e32 v[2:3], v13
	s_mov_b32 s4, 0x85d8a000
	s_mov_b32 s5, 0x43763457
	v_cmp_gt_f64_e32 vcc_lo, s[4:5], v[2:3]
	v_mov_b32_e32 v2, 0
	s_and_saveexec_b32 s4, vcc_lo
	s_cbranch_execz .LBB25_68
; %bb.67:
	v_mul_f32_e32 v2, v13, v13
	v_div_scale_f32 v3, null, v2, v2, 1.0
	v_rcp_f32_e32 v4, v3
	v_fma_f32 v5, -v3, v4, 1.0
	v_fmac_f32_e32 v4, v5, v4
	v_div_scale_f32 v5, vcc_lo, 1.0, v2, 1.0
	v_mul_f32_e32 v6, v5, v4
	v_fma_f32 v11, -v3, v6, v5
	v_fmac_f32_e32 v6, v11, v4
	v_fma_f32 v3, -v3, v6, v5
	v_div_fmas_f32 v3, v3, v4, v6
	v_div_fixup_f32 v2, v3, v2, 1.0
	v_fmaak_f32 v3, 0, v2, 0x3daaaaab
	v_fmaak_f32 v3, v2, v3, 0xbcaccacd
	;; [unrolled: 1-line block ×7, first 2 shown]
	v_mul_f32_e32 v2, v2, v3
.LBB25_68:
	s_or_b32 exec_lo, exec_lo, s4
	v_cmp_gt_f32_e32 vcc_lo, 0x800000, v13
	v_div_scale_f32 v3, null, v13, v13, -0.5
	v_div_scale_f32 v11, s4, -0.5, v13, -0.5
	v_cndmask_b32_e64 v4, 0, 32, vcc_lo
	v_rcp_f32_e32 v5, v3
	v_ldexp_f32 v4, v13, v4
	v_log_f32_e32 v4, v4
	v_fma_f32 v6, -v3, v5, 1.0
	v_fmac_f32_e32 v5, v6, v5
	v_mul_f32_e32 v6, 0x3f317217, v4
	v_mul_f32_e32 v15, v11, v5
	v_cmp_gt_f32_e64 s5, 0x7f800000, |v4|
	v_fma_f32 v6, 0x3f317217, v4, -v6
	v_fma_f32 v16, -v3, v15, v11
	v_fmamk_f32 v6, v4, 0x3377d1cf, v6
	v_fmac_f32_e32 v15, v16, v5
	v_fmac_f32_e32 v6, 0x3f317217, v4
	v_fma_f32 v3, -v3, v15, v11
	v_cndmask_b32_e64 v4, v4, v6, s5
	v_cndmask_b32_e64 v6, 0, 0x41b17218, vcc_lo
	s_mov_b32 vcc_lo, s4
	v_div_fmas_f32 v3, v3, v5, v15
	v_sub_f32_e32 v4, v4, v6
	v_div_fixup_f32 v3, v3, v13, -0.5
	v_add_f32_e32 v3, v4, v3
	v_sub_f32_e32 v2, v3, v2
	v_add_f32_e32 v1, v1, v2
	v_cvt_f16_f32_e32 v11, v1
                                        ; implicit-def: $vgpr1
.LBB25_69:
	s_andn2_saveexec_b32 s4, s16
; %bb.70:
	v_add_f32_e32 v1, 0x40101cb7, v1
	v_cvt_f16_f32_e32 v11, v1
; %bb.71:
	s_or_b32 exec_lo, exec_lo, s4
.LBB25_72:
	s_or_b32 exec_lo, exec_lo, s15
                                        ; implicit-def: $vgpr13
.LBB25_73:
	s_andn2_saveexec_b32 s4, s14
; %bb.74:
	v_xor_b32_e32 v1, 0x80000000, v13
	v_mov_b32_e32 v2, 0xffff8000
	v_and_b32_sdwa v1, v1, v2 dst_sel:DWORD dst_unused:UNUSED_PAD src0_sel:WORD_1 src1_sel:DWORD
	v_or_b32_e32 v11, 0x7c00, v1
; %bb.75:
	s_or_b32 exec_lo, exec_lo, s4
	v_mov_b32_e32 v1, 0
	v_cvt_f32_f16_sdwa v15, v14 dst_sel:DWORD dst_unused:UNUSED_PAD src0_sel:WORD_1
                                        ; implicit-def: $vgpr13
	v_cmp_neq_f16_sdwa s4, v14, v1 src0_sel:WORD_1 src1_sel:DWORD
	s_and_saveexec_b32 s5, s4
	s_xor_b32 s14, exec_lo, s5
	s_cbranch_execz .LBB25_97
; %bb.76:
	v_cmp_lt_f16_sdwa s5, v14, v1 src0_sel:WORD_1 src1_sel:DWORD
	s_mov_b32 s4, -1
	s_and_saveexec_b32 s15, s5
	s_cbranch_execz .LBB25_84
; %bb.77:
	v_trunc_f32_e32 v1, v15
	s_mov_b32 s5, 0
	v_cmp_neq_f32_e32 vcc_lo, v1, v15
	v_mov_b32_e32 v1, 0
	s_and_saveexec_b32 s16, vcc_lo
	s_cbranch_execz .LBB25_83
; %bb.78:
	v_cvt_f32_f16_sdwa v1, v14 dst_sel:DWORD dst_unused:UNUSED_PAD src0_sel:WORD_1
	s_mov_b32 s5, 0xc00921fb
	s_mov_b32 s4, 0x54442d18
	s_mov_b32 s17, exec_lo
                                        ; implicit-def: $vgpr13
                                        ; implicit-def: $vgpr5_vgpr6
	v_cvt_f64_f32_e32 v[1:2], v1
	v_trunc_f64_e32 v[3:4], v[1:2]
	v_cmp_neq_f64_e64 vcc_lo, 0x7ff00000, |v[1:2]|
	v_add_f64 v[3:4], v[1:2], -v[3:4]
	v_mul_f64 v[3:4], |v[3:4]|, s[4:5]
	v_cndmask_b32_e32 v2, 0x80000000, v4, vcc_lo
	v_cndmask_b32_e32 v1, 0, v3, vcc_lo
                                        ; implicit-def: $vgpr3_vgpr4
	v_cmpx_ngt_f64_e64 0x41d00000, |v[1:2]|
	s_xor_b32 s17, exec_lo, s17
	s_cbranch_execz .LBB25_80
; %bb.79:
	v_ldexp_f64 v[3:4], |v[1:2]|, 0xffffff80
	v_cmp_le_f64_e64 vcc_lo, 0x7b000000, |v[1:2]|
	v_trig_preop_f64 v[5:6], |v[1:2]|, 0
	v_and_b32_e32 v13, 0x7fffffff, v2
	v_trig_preop_f64 v[24:25], |v[1:2]|, 2
	v_mov_b32_e32 v32, 0
	s_mov_b32 s5, 0x3ff921fb
	s_mov_b32 s18, 0x33145c07
	;; [unrolled: 1-line block ×3, first 2 shown]
	v_cndmask_b32_e32 v4, v13, v4, vcc_lo
	v_cndmask_b32_e32 v3, v1, v3, vcc_lo
	v_trig_preop_f64 v[13:14], |v[1:2]|, 1
	v_mul_f64 v[16:17], v[5:6], v[3:4]
	v_mul_f64 v[30:31], v[24:25], v[3:4]
	;; [unrolled: 1-line block ×3, first 2 shown]
	v_fma_f64 v[5:6], v[5:6], v[3:4], -v[16:17]
	v_fma_f64 v[13:14], v[13:14], v[3:4], -v[18:19]
	;; [unrolled: 1-line block ×3, first 2 shown]
	v_add_f64 v[20:21], v[18:19], v[5:6]
	v_add_f64 v[22:23], v[20:21], -v[18:19]
	v_add_f64 v[28:29], v[16:17], v[20:21]
	v_add_f64 v[26:27], v[20:21], -v[22:23]
	v_add_f64 v[5:6], v[5:6], -v[22:23]
	v_ldexp_f64 v[22:23], v[28:29], -2
	v_add_f64 v[16:17], v[28:29], -v[16:17]
	v_add_f64 v[18:19], v[18:19], -v[26:27]
	v_add_f64 v[26:27], v[30:31], v[13:14]
	v_cmp_neq_f64_e64 vcc_lo, 0x7ff00000, |v[22:23]|
	v_add_f64 v[16:17], v[20:21], -v[16:17]
	v_add_f64 v[5:6], v[5:6], v[18:19]
	v_fract_f64_e32 v[18:19], v[22:23]
	v_add_f64 v[20:21], v[26:27], v[5:6]
	v_ldexp_f64 v[18:19], v[18:19], 2
	v_add_f64 v[22:23], v[16:17], v[20:21]
	v_cndmask_b32_e32 v19, 0, v19, vcc_lo
	v_cndmask_b32_e32 v18, 0, v18, vcc_lo
	v_add_f64 v[28:29], v[22:23], v[18:19]
	v_add_f64 v[16:17], v[22:23], -v[16:17]
	v_cmp_gt_f64_e32 vcc_lo, 0, v[28:29]
	v_add_f64 v[28:29], v[26:27], -v[30:31]
	v_cndmask_b32_e64 v33, 0, 0x40100000, vcc_lo
	v_add_f64 v[37:38], v[26:27], -v[28:29]
	v_add_f64 v[13:14], v[13:14], -v[28:29]
	v_add_f64 v[18:19], v[18:19], v[32:33]
	v_add_f64 v[33:34], v[20:21], -v[26:27]
	v_add_f64 v[28:29], v[30:31], -v[37:38]
	v_add_f64 v[35:36], v[22:23], v[18:19]
	;; [unrolled: 3-line block ×3, first 2 shown]
	v_cvt_i32_f64_e32 v35, v[35:36]
	v_add_f64 v[26:27], v[26:27], -v[39:40]
	v_cvt_f64_i32_e32 v[33:34], v35
	v_add_f64 v[5:6], v[5:6], v[26:27]
	v_add_f64 v[18:19], v[18:19], -v[33:34]
	v_add_f64 v[5:6], v[13:14], v[5:6]
	v_add_f64 v[13:14], v[20:21], -v[16:17]
	v_add_f64 v[24:25], v[22:23], v[18:19]
	v_add_f64 v[3:4], v[3:4], v[5:6]
	v_add_f64 v[5:6], v[24:25], -v[18:19]
	v_cmp_le_f64_e32 vcc_lo, 0.5, v[24:25]
	v_add_f64 v[3:4], v[13:14], v[3:4]
	v_add_f64 v[5:6], v[22:23], -v[5:6]
	v_cndmask_b32_e64 v33, 0, 0x3ff00000, vcc_lo
	v_add_co_ci_u32_e64 v13, null, 0, v35, vcc_lo
	v_add_f64 v[3:4], v[3:4], v[5:6]
	v_add_f64 v[5:6], v[24:25], -v[32:33]
	v_add_f64 v[16:17], v[5:6], v[3:4]
	v_mul_f64 v[18:19], v[16:17], s[4:5]
	v_add_f64 v[5:6], v[16:17], -v[5:6]
	v_fma_f64 v[20:21], v[16:17], s[4:5], -v[18:19]
	v_add_f64 v[3:4], v[3:4], -v[5:6]
	v_fma_f64 v[5:6], v[16:17], s[18:19], v[20:21]
	v_fma_f64 v[5:6], v[3:4], s[4:5], v[5:6]
	v_add_f64 v[3:4], v[18:19], v[5:6]
	v_add_f64 v[16:17], v[3:4], -v[18:19]
	v_add_f64 v[5:6], v[5:6], -v[16:17]
.LBB25_80:
	s_andn2_saveexec_b32 s4, s17
	s_cbranch_execz .LBB25_82
; %bb.81:
	s_mov_b32 s18, 0x6dc9c883
	s_mov_b32 s19, 0x3fe45f30
	;; [unrolled: 1-line block ×3, first 2 shown]
	v_mul_f64 v[3:4], |v[1:2]|, s[18:19]
	s_mov_b32 s18, 0x54442d18
	s_mov_b32 s19, 0xbff921fb
	;; [unrolled: 1-line block ×3, first 2 shown]
	v_rndne_f64_e32 v[13:14], v[3:4]
	v_fma_f64 v[3:4], v[13:14], s[18:19], |v[1:2]|
	v_mul_f64 v[5:6], v[13:14], s[20:21]
	s_mov_b32 s18, 0x252049c0
	s_mov_b32 s19, 0xb97b839a
	v_fma_f64 v[18:19], v[13:14], s[20:21], v[3:4]
	v_add_f64 v[16:17], v[3:4], v[5:6]
	s_mov_b32 s21, 0x3c91a626
	v_add_f64 v[3:4], v[3:4], -v[16:17]
	v_add_f64 v[16:17], v[16:17], -v[18:19]
	v_add_f64 v[3:4], v[3:4], v[5:6]
	v_fma_f64 v[5:6], v[13:14], s[20:21], v[5:6]
	v_add_f64 v[3:4], v[16:17], v[3:4]
	v_add_f64 v[3:4], v[3:4], -v[5:6]
	v_fma_f64 v[5:6], v[13:14], s[18:19], v[3:4]
	v_cvt_i32_f64_e32 v13, v[13:14]
	v_add_f64 v[3:4], v[18:19], v[5:6]
	v_add_f64 v[16:17], v[3:4], -v[18:19]
	v_add_f64 v[5:6], v[5:6], -v[16:17]
.LBB25_82:
	s_or_b32 exec_lo, exec_lo, s4
	v_mul_f64 v[16:17], v[3:4], v[3:4]
	v_add_f64 v[18:19], v[5:6], v[5:6]
	s_mov_b32 s18, 0xa9a29f71
	s_mov_b32 s20, 0xc751c08c
	;; [unrolled: 1-line block ×4, first 2 shown]
	v_cmp_class_f64_e64 s4, v[1:2], 0x1f8
	v_and_b32_e32 v13, 1, v13
	v_and_b32_e32 v2, 0x80000000, v2
	v_sub_f32_e32 v15, 1.0, v15
	s_mov_b32 s5, exec_lo
	v_cmp_eq_u32_e32 vcc_lo, 0, v13
	v_fma_f64 v[20:21], v[3:4], v[3:4], -v[16:17]
	v_fma_f64 v[18:19], v[3:4], v[18:19], v[20:21]
	v_add_f64 v[16:17], v[16:17], v[18:19]
	v_fma_f64 v[18:19], v[16:17], s[20:21], s[18:19]
	s_mov_b32 s18, 0x90a8aae0
	s_mov_b32 s19, 0x3f17746f
	v_fma_f64 v[18:19], v[16:17], v[18:19], s[18:19]
	s_mov_b32 s18, 0xa6fbf144
	s_mov_b32 s19, 0xbefbb44d
	;; [unrolled: 3-line block ×13, first 2 shown]
	v_mul_f64 v[16:17], v[16:17], v[18:19]
	v_mul_f64 v[18:19], v[3:4], v[16:17]
	v_add_f64 v[20:21], v[3:4], v[18:19]
	v_fma_f64 v[16:17], v[3:4], v[16:17], -v[18:19]
	v_add_f64 v[3:4], v[20:21], -v[3:4]
	v_add_f64 v[5:6], v[5:6], v[16:17]
	v_add_f64 v[3:4], v[18:19], -v[3:4]
	v_add_f64 v[3:4], v[5:6], v[3:4]
	v_add_f64 v[5:6], v[20:21], v[3:4]
	v_rcp_f64_e32 v[16:17], v[5:6]
	v_fma_f64 v[18:19], -v[5:6], v[16:17], 1.0
	v_fma_f64 v[16:17], v[18:19], v[16:17], v[16:17]
	v_fma_f64 v[18:19], -v[5:6], v[16:17], 1.0
	v_fma_f64 v[16:17], v[18:19], v[16:17], v[16:17]
	v_add_f64 v[18:19], v[5:6], -v[20:21]
	v_mul_f64 v[20:21], v[5:6], v[16:17]
	v_add_f64 v[3:4], v[3:4], -v[18:19]
	v_fma_f64 v[18:19], v[16:17], v[5:6], -v[20:21]
	v_fma_f64 v[3:4], v[16:17], v[3:4], v[18:19]
	v_add_f64 v[18:19], v[20:21], v[3:4]
	v_add_f64 v[22:23], -v[18:19], 1.0
	v_add_f64 v[20:21], v[18:19], -v[20:21]
	v_add_f64 v[24:25], -v[22:23], 1.0
	v_add_f64 v[3:4], v[20:21], -v[3:4]
	v_add_f64 v[18:19], v[24:25], -v[18:19]
	v_add_f64 v[3:4], v[3:4], v[18:19]
	v_add_f64 v[3:4], v[22:23], v[3:4]
	v_mul_f64 v[3:4], v[16:17], v[3:4]
	v_add_f64 v[3:4], v[16:17], v[3:4]
	v_xor_b32_e32 v1, 0x80000000, v4
	v_cndmask_b32_e32 v3, v3, v5, vcc_lo
	v_cndmask_b32_e32 v1, v1, v6, vcc_lo
	v_xor_b32_e32 v2, v1, v2
	v_cndmask_b32_e64 v1, 0, v3, s4
	v_cndmask_b32_e64 v2, 0x7ff80000, v2, s4
	v_div_scale_f64 v[3:4], null, v[1:2], v[1:2], s[18:19]
	v_rcp_f64_e32 v[5:6], v[3:4]
	v_fma_f64 v[13:14], -v[3:4], v[5:6], 1.0
	v_fma_f64 v[5:6], v[5:6], v[13:14], v[5:6]
	v_fma_f64 v[13:14], -v[3:4], v[5:6], 1.0
	v_fma_f64 v[5:6], v[5:6], v[13:14], v[5:6]
	v_div_scale_f64 v[13:14], vcc_lo, s[18:19], v[1:2], s[18:19]
	v_mul_f64 v[16:17], v[13:14], v[5:6]
	v_fma_f64 v[3:4], -v[3:4], v[16:17], v[13:14]
	v_div_fmas_f64 v[3:4], v[3:4], v[5:6], v[16:17]
	v_div_fixup_f64 v[1:2], v[3:4], v[1:2], s[18:19]
	v_cvt_f32_f64_e32 v1, v[1:2]
.LBB25_83:
	s_or_b32 exec_lo, exec_lo, s16
	s_orn2_b32 s4, s5, exec_lo
.LBB25_84:
	s_or_b32 exec_lo, exec_lo, s15
	v_mov_b32_e32 v13, 0x7e00
	s_and_saveexec_b32 s15, s4
	s_cbranch_execz .LBB25_96
; %bb.85:
	s_mov_b32 s4, exec_lo
	v_cmpx_gt_f32_e32 0x41200000, v15
	s_cbranch_execz .LBB25_89
; %bb.86:
	s_mov_b32 s5, 0
	.p2align	6
.LBB25_87:                              ; =>This Inner Loop Header: Depth=1
	v_div_scale_f32 v2, null, v15, v15, 1.0
	v_div_scale_f32 v5, vcc_lo, 1.0, v15, 1.0
	v_rcp_f32_e32 v3, v2
	v_fma_f32 v4, -v2, v3, 1.0
	v_fmac_f32_e32 v3, v4, v3
	v_mul_f32_e32 v4, v5, v3
	v_fma_f32 v6, -v2, v4, v5
	v_fmac_f32_e32 v4, v6, v3
	v_fma_f32 v2, -v2, v4, v5
	v_div_fmas_f32 v2, v2, v3, v4
	v_div_fixup_f32 v2, v2, v15, 1.0
	v_add_f32_e32 v15, 1.0, v15
	v_sub_f32_e32 v1, v1, v2
	v_cmp_ngt_f32_e32 vcc_lo, 0x41200000, v15
	s_or_b32 s5, vcc_lo, s5
	s_andn2_b32 exec_lo, exec_lo, s5
	s_cbranch_execnz .LBB25_87
; %bb.88:
	s_or_b32 exec_lo, exec_lo, s5
.LBB25_89:
	s_or_b32 exec_lo, exec_lo, s4
                                        ; implicit-def: $vgpr13
	s_mov_b32 s4, exec_lo
	v_cmpx_neq_f32_e32 0x41200000, v15
	s_xor_b32 s16, exec_lo, s4
	s_cbranch_execz .LBB25_93
; %bb.90:
	v_cvt_f64_f32_e32 v[2:3], v15
	s_mov_b32 s4, 0x85d8a000
	s_mov_b32 s5, 0x43763457
	v_cmp_gt_f64_e32 vcc_lo, s[4:5], v[2:3]
	v_mov_b32_e32 v2, 0
	s_and_saveexec_b32 s4, vcc_lo
	s_cbranch_execz .LBB25_92
; %bb.91:
	v_mul_f32_e32 v2, v15, v15
	v_div_scale_f32 v3, null, v2, v2, 1.0
	v_rcp_f32_e32 v4, v3
	v_fma_f32 v5, -v3, v4, 1.0
	v_fmac_f32_e32 v4, v5, v4
	v_div_scale_f32 v5, vcc_lo, 1.0, v2, 1.0
	v_mul_f32_e32 v6, v5, v4
	v_fma_f32 v13, -v3, v6, v5
	v_fmac_f32_e32 v6, v13, v4
	v_fma_f32 v3, -v3, v6, v5
	v_div_fmas_f32 v3, v3, v4, v6
	v_div_fixup_f32 v2, v3, v2, 1.0
	v_fmaak_f32 v3, 0, v2, 0x3daaaaab
	v_fmaak_f32 v3, v2, v3, 0xbcaccacd
	;; [unrolled: 1-line block ×7, first 2 shown]
	v_mul_f32_e32 v2, v2, v3
.LBB25_92:
	s_or_b32 exec_lo, exec_lo, s4
	v_cmp_gt_f32_e32 vcc_lo, 0x800000, v15
	v_div_scale_f32 v3, null, v15, v15, -0.5
	v_div_scale_f32 v13, s4, -0.5, v15, -0.5
	v_cndmask_b32_e64 v4, 0, 32, vcc_lo
	v_rcp_f32_e32 v5, v3
	v_ldexp_f32 v4, v15, v4
	v_log_f32_e32 v4, v4
	v_fma_f32 v6, -v3, v5, 1.0
	v_fmac_f32_e32 v5, v6, v5
	v_mul_f32_e32 v6, 0x3f317217, v4
	v_mul_f32_e32 v14, v13, v5
	v_cmp_gt_f32_e64 s5, 0x7f800000, |v4|
	v_fma_f32 v6, 0x3f317217, v4, -v6
	v_fma_f32 v16, -v3, v14, v13
	v_fmamk_f32 v6, v4, 0x3377d1cf, v6
	v_fmac_f32_e32 v14, v16, v5
	v_fmac_f32_e32 v6, 0x3f317217, v4
	v_fma_f32 v3, -v3, v14, v13
	v_cndmask_b32_e64 v4, v4, v6, s5
	v_cndmask_b32_e64 v6, 0, 0x41b17218, vcc_lo
	s_mov_b32 vcc_lo, s4
	v_div_fmas_f32 v3, v3, v5, v14
	v_sub_f32_e32 v4, v4, v6
	v_div_fixup_f32 v3, v3, v15, -0.5
	v_add_f32_e32 v3, v4, v3
	v_sub_f32_e32 v2, v3, v2
	v_add_f32_e32 v1, v1, v2
	v_cvt_f16_f32_e32 v13, v1
                                        ; implicit-def: $vgpr1
.LBB25_93:
	s_andn2_saveexec_b32 s4, s16
; %bb.94:
	v_add_f32_e32 v1, 0x40101cb7, v1
	v_cvt_f16_f32_e32 v13, v1
; %bb.95:
	s_or_b32 exec_lo, exec_lo, s4
.LBB25_96:
	s_or_b32 exec_lo, exec_lo, s15
                                        ; implicit-def: $vgpr15
.LBB25_97:
	s_andn2_saveexec_b32 s4, s14
; %bb.98:
	v_xor_b32_e32 v1, 0x80000000, v15
	v_mov_b32_e32 v2, 0xffff8000
	v_and_b32_sdwa v1, v1, v2 dst_sel:DWORD dst_unused:UNUSED_PAD src0_sel:WORD_1 src1_sel:DWORD
	v_or_b32_e32 v13, 0x7c00, v1
; %bb.99:
	s_or_b32 exec_lo, exec_lo, s4
	s_waitcnt vmcnt(1)
	v_cvt_f32_f16_e32 v15, v12
                                        ; implicit-def: $vgpr14
	s_mov_b32 s4, exec_lo
	v_cmpx_neq_f16_e32 0, v12
	s_xor_b32 s14, exec_lo, s4
	s_cbranch_execz .LBB25_121
; %bb.100:
	v_mov_b32_e32 v1, 0
	s_mov_b32 s4, -1
	s_mov_b32 s15, exec_lo
	v_cmpx_gt_f16_e32 0, v12
	s_cbranch_execz .LBB25_108
; %bb.101:
	v_trunc_f32_e32 v1, v15
	s_mov_b32 s5, 0
	v_cmp_neq_f32_e32 vcc_lo, v1, v15
	v_mov_b32_e32 v1, 0
	s_and_saveexec_b32 s16, vcc_lo
	s_cbranch_execz .LBB25_107
; %bb.102:
	v_cvt_f32_f16_e32 v1, v12
	s_mov_b32 s5, 0xc00921fb
	s_mov_b32 s4, 0x54442d18
	s_mov_b32 s17, exec_lo
                                        ; implicit-def: $vgpr14
                                        ; implicit-def: $vgpr5_vgpr6
	v_cvt_f64_f32_e32 v[1:2], v1
	v_trunc_f64_e32 v[3:4], v[1:2]
	v_cmp_neq_f64_e64 vcc_lo, 0x7ff00000, |v[1:2]|
	v_add_f64 v[3:4], v[1:2], -v[3:4]
	v_mul_f64 v[3:4], |v[3:4]|, s[4:5]
	v_cndmask_b32_e32 v2, 0x80000000, v4, vcc_lo
	v_cndmask_b32_e32 v1, 0, v3, vcc_lo
                                        ; implicit-def: $vgpr3_vgpr4
	v_cmpx_ngt_f64_e64 0x41d00000, |v[1:2]|
	s_xor_b32 s17, exec_lo, s17
	s_cbranch_execz .LBB25_104
; %bb.103:
	v_ldexp_f64 v[3:4], |v[1:2]|, 0xffffff80
	v_cmp_le_f64_e64 vcc_lo, 0x7b000000, |v[1:2]|
	v_trig_preop_f64 v[5:6], |v[1:2]|, 0
	v_and_b32_e32 v14, 0x7fffffff, v2
	v_trig_preop_f64 v[16:17], |v[1:2]|, 1
	v_trig_preop_f64 v[26:27], |v[1:2]|, 2
	v_mov_b32_e32 v34, 0
	s_mov_b32 s5, 0x3ff921fb
	s_mov_b32 s18, 0x33145c07
	;; [unrolled: 1-line block ×3, first 2 shown]
	v_cndmask_b32_e32 v4, v14, v4, vcc_lo
	v_cndmask_b32_e32 v3, v1, v3, vcc_lo
	v_mul_f64 v[18:19], v[5:6], v[3:4]
	v_mul_f64 v[20:21], v[16:17], v[3:4]
	;; [unrolled: 1-line block ×3, first 2 shown]
	v_fma_f64 v[5:6], v[5:6], v[3:4], -v[18:19]
	v_fma_f64 v[16:17], v[16:17], v[3:4], -v[20:21]
	;; [unrolled: 1-line block ×3, first 2 shown]
	v_add_f64 v[22:23], v[20:21], v[5:6]
	v_add_f64 v[24:25], v[22:23], -v[20:21]
	v_add_f64 v[30:31], v[18:19], v[22:23]
	v_add_f64 v[28:29], v[22:23], -v[24:25]
	v_add_f64 v[5:6], v[5:6], -v[24:25]
	v_ldexp_f64 v[24:25], v[30:31], -2
	v_add_f64 v[18:19], v[30:31], -v[18:19]
	v_add_f64 v[20:21], v[20:21], -v[28:29]
	v_add_f64 v[28:29], v[32:33], v[16:17]
	v_cmp_neq_f64_e64 vcc_lo, 0x7ff00000, |v[24:25]|
	v_add_f64 v[18:19], v[22:23], -v[18:19]
	v_add_f64 v[5:6], v[5:6], v[20:21]
	v_fract_f64_e32 v[20:21], v[24:25]
	v_add_f64 v[22:23], v[28:29], v[5:6]
	v_ldexp_f64 v[20:21], v[20:21], 2
	v_add_f64 v[24:25], v[18:19], v[22:23]
	v_cndmask_b32_e32 v21, 0, v21, vcc_lo
	v_cndmask_b32_e32 v20, 0, v20, vcc_lo
	v_add_f64 v[30:31], v[24:25], v[20:21]
	v_add_f64 v[18:19], v[24:25], -v[18:19]
	v_cmp_gt_f64_e32 vcc_lo, 0, v[30:31]
	v_add_f64 v[30:31], v[28:29], -v[32:33]
	v_add_f64 v[18:19], v[22:23], -v[18:19]
	v_cndmask_b32_e64 v35, 0, 0x40100000, vcc_lo
	v_add_f64 v[39:40], v[28:29], -v[30:31]
	v_add_f64 v[16:17], v[16:17], -v[30:31]
	v_add_f64 v[20:21], v[20:21], v[34:35]
	v_add_f64 v[35:36], v[22:23], -v[28:29]
	v_add_f64 v[30:31], v[32:33], -v[39:40]
	v_add_f64 v[37:38], v[24:25], v[20:21]
	;; [unrolled: 3-line block ×3, first 2 shown]
	v_cvt_i32_f64_e32 v14, v[37:38]
	v_add_f64 v[28:29], v[28:29], -v[41:42]
	v_cvt_f64_i32_e32 v[35:36], v14
	v_add_f64 v[5:6], v[5:6], v[28:29]
	v_add_f64 v[20:21], v[20:21], -v[35:36]
	v_add_f64 v[5:6], v[16:17], v[5:6]
	v_add_f64 v[16:17], v[24:25], v[20:21]
	;; [unrolled: 1-line block ×3, first 2 shown]
	v_add_f64 v[5:6], v[16:17], -v[20:21]
	v_cmp_le_f64_e32 vcc_lo, 0.5, v[16:17]
	v_add_f64 v[3:4], v[18:19], v[3:4]
	v_add_f64 v[5:6], v[24:25], -v[5:6]
	v_cndmask_b32_e64 v35, 0, 0x3ff00000, vcc_lo
	v_add_co_ci_u32_e64 v14, null, 0, v14, vcc_lo
	v_add_f64 v[3:4], v[3:4], v[5:6]
	v_add_f64 v[5:6], v[16:17], -v[34:35]
	v_add_f64 v[16:17], v[5:6], v[3:4]
	v_mul_f64 v[18:19], v[16:17], s[4:5]
	v_add_f64 v[5:6], v[16:17], -v[5:6]
	v_fma_f64 v[20:21], v[16:17], s[4:5], -v[18:19]
	v_add_f64 v[3:4], v[3:4], -v[5:6]
	v_fma_f64 v[5:6], v[16:17], s[18:19], v[20:21]
	v_fma_f64 v[5:6], v[3:4], s[4:5], v[5:6]
	v_add_f64 v[3:4], v[18:19], v[5:6]
	v_add_f64 v[16:17], v[3:4], -v[18:19]
	v_add_f64 v[5:6], v[5:6], -v[16:17]
.LBB25_104:
	s_andn2_saveexec_b32 s4, s17
	s_cbranch_execz .LBB25_106
; %bb.105:
	s_mov_b32 s18, 0x6dc9c883
	s_mov_b32 s19, 0x3fe45f30
	;; [unrolled: 1-line block ×3, first 2 shown]
	v_mul_f64 v[3:4], |v[1:2]|, s[18:19]
	s_mov_b32 s18, 0x54442d18
	s_mov_b32 s19, 0xbff921fb
	;; [unrolled: 1-line block ×3, first 2 shown]
	v_rndne_f64_e32 v[16:17], v[3:4]
	v_fma_f64 v[3:4], v[16:17], s[18:19], |v[1:2]|
	v_mul_f64 v[5:6], v[16:17], s[20:21]
	s_mov_b32 s18, 0x252049c0
	s_mov_b32 s19, 0xb97b839a
	v_cvt_i32_f64_e32 v14, v[16:17]
	v_fma_f64 v[20:21], v[16:17], s[20:21], v[3:4]
	v_add_f64 v[18:19], v[3:4], v[5:6]
	s_mov_b32 s21, 0x3c91a626
	v_add_f64 v[3:4], v[3:4], -v[18:19]
	v_add_f64 v[18:19], v[18:19], -v[20:21]
	v_add_f64 v[3:4], v[3:4], v[5:6]
	v_fma_f64 v[5:6], v[16:17], s[20:21], v[5:6]
	v_add_f64 v[3:4], v[18:19], v[3:4]
	v_add_f64 v[3:4], v[3:4], -v[5:6]
	v_fma_f64 v[5:6], v[16:17], s[18:19], v[3:4]
	v_add_f64 v[3:4], v[20:21], v[5:6]
	v_add_f64 v[18:19], v[3:4], -v[20:21]
	v_add_f64 v[5:6], v[5:6], -v[18:19]
.LBB25_106:
	s_or_b32 exec_lo, exec_lo, s4
	v_mul_f64 v[16:17], v[3:4], v[3:4]
	v_add_f64 v[18:19], v[5:6], v[5:6]
	s_mov_b32 s18, 0xa9a29f71
	s_mov_b32 s20, 0xc751c08c
	s_mov_b32 s19, 0xbf078809
	s_mov_b32 s21, 0x3ef5e089
	v_cmp_class_f64_e64 s4, v[1:2], 0x1f8
	v_and_b32_e32 v14, 1, v14
	v_and_b32_e32 v2, 0x80000000, v2
	v_sub_f32_e32 v15, 1.0, v15
	s_mov_b32 s5, exec_lo
	v_cmp_eq_u32_e32 vcc_lo, 0, v14
	v_fma_f64 v[20:21], v[3:4], v[3:4], -v[16:17]
	v_fma_f64 v[18:19], v[3:4], v[18:19], v[20:21]
	v_add_f64 v[16:17], v[16:17], v[18:19]
	v_fma_f64 v[18:19], v[16:17], s[20:21], s[18:19]
	s_mov_b32 s18, 0x90a8aae0
	s_mov_b32 s19, 0x3f17746f
	v_fma_f64 v[18:19], v[16:17], v[18:19], s[18:19]
	s_mov_b32 s18, 0xa6fbf144
	s_mov_b32 s19, 0xbefbb44d
	;; [unrolled: 3-line block ×13, first 2 shown]
	v_mul_f64 v[16:17], v[16:17], v[18:19]
	v_mul_f64 v[18:19], v[3:4], v[16:17]
	v_add_f64 v[20:21], v[3:4], v[18:19]
	v_fma_f64 v[16:17], v[3:4], v[16:17], -v[18:19]
	v_add_f64 v[3:4], v[20:21], -v[3:4]
	v_add_f64 v[5:6], v[5:6], v[16:17]
	v_add_f64 v[3:4], v[18:19], -v[3:4]
	v_add_f64 v[3:4], v[5:6], v[3:4]
	v_add_f64 v[5:6], v[20:21], v[3:4]
	v_rcp_f64_e32 v[16:17], v[5:6]
	v_fma_f64 v[18:19], -v[5:6], v[16:17], 1.0
	v_fma_f64 v[16:17], v[18:19], v[16:17], v[16:17]
	v_fma_f64 v[18:19], -v[5:6], v[16:17], 1.0
	v_fma_f64 v[16:17], v[18:19], v[16:17], v[16:17]
	v_add_f64 v[18:19], v[5:6], -v[20:21]
	v_mul_f64 v[20:21], v[5:6], v[16:17]
	v_add_f64 v[3:4], v[3:4], -v[18:19]
	v_fma_f64 v[18:19], v[16:17], v[5:6], -v[20:21]
	v_fma_f64 v[3:4], v[16:17], v[3:4], v[18:19]
	v_add_f64 v[18:19], v[20:21], v[3:4]
	v_add_f64 v[22:23], -v[18:19], 1.0
	v_add_f64 v[20:21], v[18:19], -v[20:21]
	v_add_f64 v[24:25], -v[22:23], 1.0
	v_add_f64 v[3:4], v[20:21], -v[3:4]
	v_add_f64 v[18:19], v[24:25], -v[18:19]
	v_add_f64 v[3:4], v[3:4], v[18:19]
	v_add_f64 v[3:4], v[22:23], v[3:4]
	v_mul_f64 v[3:4], v[16:17], v[3:4]
	v_add_f64 v[3:4], v[16:17], v[3:4]
	v_xor_b32_e32 v1, 0x80000000, v4
	v_cndmask_b32_e32 v3, v3, v5, vcc_lo
	v_cndmask_b32_e32 v1, v1, v6, vcc_lo
	v_xor_b32_e32 v2, v1, v2
	v_cndmask_b32_e64 v1, 0, v3, s4
	v_cndmask_b32_e64 v2, 0x7ff80000, v2, s4
	v_div_scale_f64 v[3:4], null, v[1:2], v[1:2], s[18:19]
	v_rcp_f64_e32 v[5:6], v[3:4]
	v_fma_f64 v[16:17], -v[3:4], v[5:6], 1.0
	v_fma_f64 v[5:6], v[5:6], v[16:17], v[5:6]
	v_fma_f64 v[16:17], -v[3:4], v[5:6], 1.0
	v_fma_f64 v[5:6], v[5:6], v[16:17], v[5:6]
	v_div_scale_f64 v[16:17], vcc_lo, s[18:19], v[1:2], s[18:19]
	v_mul_f64 v[18:19], v[16:17], v[5:6]
	v_fma_f64 v[3:4], -v[3:4], v[18:19], v[16:17]
	v_div_fmas_f64 v[3:4], v[3:4], v[5:6], v[18:19]
	v_div_fixup_f64 v[1:2], v[3:4], v[1:2], s[18:19]
	v_cvt_f32_f64_e32 v1, v[1:2]
.LBB25_107:
	s_or_b32 exec_lo, exec_lo, s16
	s_orn2_b32 s4, s5, exec_lo
.LBB25_108:
	s_or_b32 exec_lo, exec_lo, s15
	v_mov_b32_e32 v14, 0x7e00
	s_and_saveexec_b32 s15, s4
	s_cbranch_execz .LBB25_120
; %bb.109:
	s_mov_b32 s4, exec_lo
	v_cmpx_gt_f32_e32 0x41200000, v15
	s_cbranch_execz .LBB25_113
; %bb.110:
	s_mov_b32 s5, 0
	.p2align	6
.LBB25_111:                             ; =>This Inner Loop Header: Depth=1
	v_div_scale_f32 v2, null, v15, v15, 1.0
	v_div_scale_f32 v5, vcc_lo, 1.0, v15, 1.0
	v_rcp_f32_e32 v3, v2
	v_fma_f32 v4, -v2, v3, 1.0
	v_fmac_f32_e32 v3, v4, v3
	v_mul_f32_e32 v4, v5, v3
	v_fma_f32 v6, -v2, v4, v5
	v_fmac_f32_e32 v4, v6, v3
	v_fma_f32 v2, -v2, v4, v5
	v_div_fmas_f32 v2, v2, v3, v4
	v_div_fixup_f32 v2, v2, v15, 1.0
	v_add_f32_e32 v15, 1.0, v15
	v_sub_f32_e32 v1, v1, v2
	v_cmp_ngt_f32_e32 vcc_lo, 0x41200000, v15
	s_or_b32 s5, vcc_lo, s5
	s_andn2_b32 exec_lo, exec_lo, s5
	s_cbranch_execnz .LBB25_111
; %bb.112:
	s_or_b32 exec_lo, exec_lo, s5
.LBB25_113:
	s_or_b32 exec_lo, exec_lo, s4
                                        ; implicit-def: $vgpr14
	s_mov_b32 s4, exec_lo
	v_cmpx_neq_f32_e32 0x41200000, v15
	s_xor_b32 s16, exec_lo, s4
	s_cbranch_execz .LBB25_117
; %bb.114:
	v_cvt_f64_f32_e32 v[2:3], v15
	s_mov_b32 s4, 0x85d8a000
	s_mov_b32 s5, 0x43763457
	v_cmp_gt_f64_e32 vcc_lo, s[4:5], v[2:3]
	v_mov_b32_e32 v2, 0
	s_and_saveexec_b32 s4, vcc_lo
	s_cbranch_execz .LBB25_116
; %bb.115:
	v_mul_f32_e32 v2, v15, v15
	v_div_scale_f32 v3, null, v2, v2, 1.0
	v_rcp_f32_e32 v4, v3
	v_fma_f32 v5, -v3, v4, 1.0
	v_fmac_f32_e32 v4, v5, v4
	v_div_scale_f32 v5, vcc_lo, 1.0, v2, 1.0
	v_mul_f32_e32 v6, v5, v4
	v_fma_f32 v14, -v3, v6, v5
	v_fmac_f32_e32 v6, v14, v4
	v_fma_f32 v3, -v3, v6, v5
	v_div_fmas_f32 v3, v3, v4, v6
	v_div_fixup_f32 v2, v3, v2, 1.0
	v_fmaak_f32 v3, 0, v2, 0x3daaaaab
	v_fmaak_f32 v3, v2, v3, 0xbcaccacd
	;; [unrolled: 1-line block ×7, first 2 shown]
	v_mul_f32_e32 v2, v2, v3
.LBB25_116:
	s_or_b32 exec_lo, exec_lo, s4
	v_cmp_gt_f32_e32 vcc_lo, 0x800000, v15
	v_div_scale_f32 v3, null, v15, v15, -0.5
	v_div_scale_f32 v14, s4, -0.5, v15, -0.5
	v_cndmask_b32_e64 v4, 0, 32, vcc_lo
	v_rcp_f32_e32 v5, v3
	v_ldexp_f32 v4, v15, v4
	v_log_f32_e32 v4, v4
	v_fma_f32 v6, -v3, v5, 1.0
	v_fmac_f32_e32 v5, v6, v5
	v_mul_f32_e32 v6, 0x3f317217, v4
	v_mul_f32_e32 v16, v14, v5
	v_cmp_gt_f32_e64 s5, 0x7f800000, |v4|
	v_fma_f32 v6, 0x3f317217, v4, -v6
	v_fma_f32 v17, -v3, v16, v14
	v_fmamk_f32 v6, v4, 0x3377d1cf, v6
	v_fmac_f32_e32 v16, v17, v5
	v_fmac_f32_e32 v6, 0x3f317217, v4
	v_fma_f32 v3, -v3, v16, v14
	v_cndmask_b32_e64 v4, v4, v6, s5
	v_cndmask_b32_e64 v6, 0, 0x41b17218, vcc_lo
	s_mov_b32 vcc_lo, s4
	v_div_fmas_f32 v3, v3, v5, v16
	v_sub_f32_e32 v4, v4, v6
	v_div_fixup_f32 v3, v3, v15, -0.5
	v_add_f32_e32 v3, v4, v3
	v_sub_f32_e32 v2, v3, v2
	v_add_f32_e32 v1, v1, v2
	v_cvt_f16_f32_e32 v14, v1
                                        ; implicit-def: $vgpr1
.LBB25_117:
	s_andn2_saveexec_b32 s4, s16
; %bb.118:
	v_add_f32_e32 v1, 0x40101cb7, v1
	v_cvt_f16_f32_e32 v14, v1
; %bb.119:
	s_or_b32 exec_lo, exec_lo, s4
.LBB25_120:
	s_or_b32 exec_lo, exec_lo, s15
                                        ; implicit-def: $vgpr15
.LBB25_121:
	s_andn2_saveexec_b32 s4, s14
; %bb.122:
	v_xor_b32_e32 v1, 0x80000000, v15
	v_mov_b32_e32 v2, 0xffff8000
	v_and_b32_sdwa v1, v1, v2 dst_sel:DWORD dst_unused:UNUSED_PAD src0_sel:WORD_1 src1_sel:DWORD
	v_or_b32_e32 v14, 0x7c00, v1
; %bb.123:
	s_or_b32 exec_lo, exec_lo, s4
	v_mov_b32_e32 v1, 0
	v_cvt_f32_f16_sdwa v16, v12 dst_sel:DWORD dst_unused:UNUSED_PAD src0_sel:WORD_1
                                        ; implicit-def: $vgpr15
	v_cmp_neq_f16_sdwa s4, v12, v1 src0_sel:WORD_1 src1_sel:DWORD
	s_and_saveexec_b32 s5, s4
	s_xor_b32 s14, exec_lo, s5
	s_cbranch_execz .LBB25_145
; %bb.124:
	v_cmp_lt_f16_sdwa s5, v12, v1 src0_sel:WORD_1 src1_sel:DWORD
	s_mov_b32 s4, -1
	s_and_saveexec_b32 s15, s5
	s_cbranch_execz .LBB25_132
; %bb.125:
	v_trunc_f32_e32 v1, v16
	s_mov_b32 s5, 0
	v_cmp_neq_f32_e32 vcc_lo, v1, v16
	v_mov_b32_e32 v1, 0
	s_and_saveexec_b32 s16, vcc_lo
	s_cbranch_execz .LBB25_131
; %bb.126:
	v_cvt_f32_f16_sdwa v1, v12 dst_sel:DWORD dst_unused:UNUSED_PAD src0_sel:WORD_1
	s_mov_b32 s5, 0xc00921fb
	s_mov_b32 s4, 0x54442d18
	s_mov_b32 s17, exec_lo
                                        ; implicit-def: $vgpr12
                                        ; implicit-def: $vgpr5_vgpr6
	v_cvt_f64_f32_e32 v[1:2], v1
	v_trunc_f64_e32 v[3:4], v[1:2]
	v_cmp_neq_f64_e64 vcc_lo, 0x7ff00000, |v[1:2]|
	v_add_f64 v[3:4], v[1:2], -v[3:4]
	v_mul_f64 v[3:4], |v[3:4]|, s[4:5]
	v_cndmask_b32_e32 v2, 0x80000000, v4, vcc_lo
	v_cndmask_b32_e32 v1, 0, v3, vcc_lo
                                        ; implicit-def: $vgpr3_vgpr4
	v_cmpx_ngt_f64_e64 0x41d00000, |v[1:2]|
	s_xor_b32 s17, exec_lo, s17
	s_cbranch_execz .LBB25_128
; %bb.127:
	v_ldexp_f64 v[3:4], |v[1:2]|, 0xffffff80
	v_cmp_le_f64_e64 vcc_lo, 0x7b000000, |v[1:2]|
	v_trig_preop_f64 v[5:6], |v[1:2]|, 0
	v_and_b32_e32 v12, 0x7fffffff, v2
	v_trig_preop_f64 v[17:18], |v[1:2]|, 1
	v_trig_preop_f64 v[27:28], |v[1:2]|, 2
	v_mov_b32_e32 v35, 0
	s_mov_b32 s5, 0x3ff921fb
	s_mov_b32 s18, 0x33145c07
	;; [unrolled: 1-line block ×3, first 2 shown]
	v_cndmask_b32_e32 v4, v12, v4, vcc_lo
	v_cndmask_b32_e32 v3, v1, v3, vcc_lo
	v_mul_f64 v[19:20], v[5:6], v[3:4]
	v_mul_f64 v[21:22], v[17:18], v[3:4]
	;; [unrolled: 1-line block ×3, first 2 shown]
	v_fma_f64 v[5:6], v[5:6], v[3:4], -v[19:20]
	v_fma_f64 v[17:18], v[17:18], v[3:4], -v[21:22]
	;; [unrolled: 1-line block ×3, first 2 shown]
	v_add_f64 v[23:24], v[21:22], v[5:6]
	v_add_f64 v[25:26], v[23:24], -v[21:22]
	v_add_f64 v[31:32], v[19:20], v[23:24]
	v_add_f64 v[29:30], v[23:24], -v[25:26]
	v_add_f64 v[5:6], v[5:6], -v[25:26]
	v_ldexp_f64 v[25:26], v[31:32], -2
	v_add_f64 v[19:20], v[31:32], -v[19:20]
	v_add_f64 v[21:22], v[21:22], -v[29:30]
	v_add_f64 v[29:30], v[33:34], v[17:18]
	v_cmp_neq_f64_e64 vcc_lo, 0x7ff00000, |v[25:26]|
	v_add_f64 v[19:20], v[23:24], -v[19:20]
	v_add_f64 v[5:6], v[5:6], v[21:22]
	v_fract_f64_e32 v[21:22], v[25:26]
	v_add_f64 v[23:24], v[29:30], v[5:6]
	v_ldexp_f64 v[21:22], v[21:22], 2
	v_add_f64 v[25:26], v[19:20], v[23:24]
	v_cndmask_b32_e32 v22, 0, v22, vcc_lo
	v_cndmask_b32_e32 v21, 0, v21, vcc_lo
	v_add_f64 v[31:32], v[25:26], v[21:22]
	v_add_f64 v[19:20], v[25:26], -v[19:20]
	v_cmp_gt_f64_e32 vcc_lo, 0, v[31:32]
	v_add_f64 v[31:32], v[29:30], -v[33:34]
	v_add_f64 v[19:20], v[23:24], -v[19:20]
	v_cndmask_b32_e64 v36, 0, 0x40100000, vcc_lo
	v_add_f64 v[40:41], v[29:30], -v[31:32]
	v_add_f64 v[17:18], v[17:18], -v[31:32]
	v_add_f64 v[21:22], v[21:22], v[35:36]
	v_add_f64 v[36:37], v[23:24], -v[29:30]
	v_add_f64 v[31:32], v[33:34], -v[40:41]
	v_add_f64 v[38:39], v[25:26], v[21:22]
	v_add_f64 v[42:43], v[23:24], -v[36:37]
	v_add_f64 v[5:6], v[5:6], -v[36:37]
	v_add_f64 v[17:18], v[17:18], v[31:32]
	v_cvt_i32_f64_e32 v12, v[38:39]
	v_add_f64 v[29:30], v[29:30], -v[42:43]
	v_cvt_f64_i32_e32 v[36:37], v12
	v_add_f64 v[5:6], v[5:6], v[29:30]
	v_add_f64 v[21:22], v[21:22], -v[36:37]
	v_add_f64 v[5:6], v[17:18], v[5:6]
	v_add_f64 v[17:18], v[25:26], v[21:22]
	;; [unrolled: 1-line block ×3, first 2 shown]
	v_add_f64 v[5:6], v[17:18], -v[21:22]
	v_cmp_le_f64_e32 vcc_lo, 0.5, v[17:18]
	v_add_f64 v[3:4], v[19:20], v[3:4]
	v_add_f64 v[5:6], v[25:26], -v[5:6]
	v_cndmask_b32_e64 v36, 0, 0x3ff00000, vcc_lo
	v_add_co_ci_u32_e64 v12, null, 0, v12, vcc_lo
	v_add_f64 v[3:4], v[3:4], v[5:6]
	v_add_f64 v[5:6], v[17:18], -v[35:36]
	v_add_f64 v[17:18], v[5:6], v[3:4]
	v_mul_f64 v[19:20], v[17:18], s[4:5]
	v_add_f64 v[5:6], v[17:18], -v[5:6]
	v_fma_f64 v[21:22], v[17:18], s[4:5], -v[19:20]
	v_add_f64 v[3:4], v[3:4], -v[5:6]
	v_fma_f64 v[5:6], v[17:18], s[18:19], v[21:22]
	v_fma_f64 v[5:6], v[3:4], s[4:5], v[5:6]
	v_add_f64 v[3:4], v[19:20], v[5:6]
	v_add_f64 v[17:18], v[3:4], -v[19:20]
	v_add_f64 v[5:6], v[5:6], -v[17:18]
.LBB25_128:
	s_andn2_saveexec_b32 s4, s17
	s_cbranch_execz .LBB25_130
; %bb.129:
	s_mov_b32 s18, 0x6dc9c883
	s_mov_b32 s19, 0x3fe45f30
	;; [unrolled: 1-line block ×3, first 2 shown]
	v_mul_f64 v[3:4], |v[1:2]|, s[18:19]
	s_mov_b32 s18, 0x54442d18
	s_mov_b32 s19, 0xbff921fb
	;; [unrolled: 1-line block ×3, first 2 shown]
	v_rndne_f64_e32 v[17:18], v[3:4]
	v_fma_f64 v[3:4], v[17:18], s[18:19], |v[1:2]|
	v_mul_f64 v[5:6], v[17:18], s[20:21]
	s_mov_b32 s18, 0x252049c0
	s_mov_b32 s19, 0xb97b839a
	v_cvt_i32_f64_e32 v12, v[17:18]
	v_fma_f64 v[21:22], v[17:18], s[20:21], v[3:4]
	v_add_f64 v[19:20], v[3:4], v[5:6]
	s_mov_b32 s21, 0x3c91a626
	v_add_f64 v[3:4], v[3:4], -v[19:20]
	v_add_f64 v[19:20], v[19:20], -v[21:22]
	v_add_f64 v[3:4], v[3:4], v[5:6]
	v_fma_f64 v[5:6], v[17:18], s[20:21], v[5:6]
	v_add_f64 v[3:4], v[19:20], v[3:4]
	v_add_f64 v[3:4], v[3:4], -v[5:6]
	v_fma_f64 v[5:6], v[17:18], s[18:19], v[3:4]
	v_add_f64 v[3:4], v[21:22], v[5:6]
	v_add_f64 v[19:20], v[3:4], -v[21:22]
	v_add_f64 v[5:6], v[5:6], -v[19:20]
.LBB25_130:
	s_or_b32 exec_lo, exec_lo, s4
	v_mul_f64 v[17:18], v[3:4], v[3:4]
	v_add_f64 v[19:20], v[5:6], v[5:6]
	s_mov_b32 s18, 0xa9a29f71
	s_mov_b32 s20, 0xc751c08c
	;; [unrolled: 1-line block ×4, first 2 shown]
	v_cmp_class_f64_e64 s4, v[1:2], 0x1f8
	v_and_b32_e32 v12, 1, v12
	v_and_b32_e32 v2, 0x80000000, v2
	v_sub_f32_e32 v16, 1.0, v16
	s_mov_b32 s5, exec_lo
	v_cmp_eq_u32_e32 vcc_lo, 0, v12
	v_fma_f64 v[21:22], v[3:4], v[3:4], -v[17:18]
	v_fma_f64 v[19:20], v[3:4], v[19:20], v[21:22]
	v_add_f64 v[17:18], v[17:18], v[19:20]
	v_fma_f64 v[19:20], v[17:18], s[20:21], s[18:19]
	s_mov_b32 s18, 0x90a8aae0
	s_mov_b32 s19, 0x3f17746f
	v_fma_f64 v[19:20], v[17:18], v[19:20], s[18:19]
	s_mov_b32 s18, 0xa6fbf144
	s_mov_b32 s19, 0xbefbb44d
	;; [unrolled: 3-line block ×13, first 2 shown]
	v_mul_f64 v[17:18], v[17:18], v[19:20]
	v_mul_f64 v[19:20], v[3:4], v[17:18]
	v_add_f64 v[21:22], v[3:4], v[19:20]
	v_fma_f64 v[17:18], v[3:4], v[17:18], -v[19:20]
	v_add_f64 v[3:4], v[21:22], -v[3:4]
	v_add_f64 v[5:6], v[5:6], v[17:18]
	v_add_f64 v[3:4], v[19:20], -v[3:4]
	v_add_f64 v[3:4], v[5:6], v[3:4]
	v_add_f64 v[5:6], v[21:22], v[3:4]
	v_rcp_f64_e32 v[17:18], v[5:6]
	v_fma_f64 v[19:20], -v[5:6], v[17:18], 1.0
	v_fma_f64 v[17:18], v[19:20], v[17:18], v[17:18]
	v_fma_f64 v[19:20], -v[5:6], v[17:18], 1.0
	v_fma_f64 v[17:18], v[19:20], v[17:18], v[17:18]
	v_add_f64 v[19:20], v[5:6], -v[21:22]
	v_mul_f64 v[21:22], v[5:6], v[17:18]
	v_add_f64 v[3:4], v[3:4], -v[19:20]
	v_fma_f64 v[19:20], v[17:18], v[5:6], -v[21:22]
	v_fma_f64 v[3:4], v[17:18], v[3:4], v[19:20]
	v_add_f64 v[19:20], v[21:22], v[3:4]
	v_add_f64 v[23:24], -v[19:20], 1.0
	v_add_f64 v[21:22], v[19:20], -v[21:22]
	v_add_f64 v[25:26], -v[23:24], 1.0
	v_add_f64 v[3:4], v[21:22], -v[3:4]
	v_add_f64 v[19:20], v[25:26], -v[19:20]
	v_add_f64 v[3:4], v[3:4], v[19:20]
	v_add_f64 v[3:4], v[23:24], v[3:4]
	v_mul_f64 v[3:4], v[17:18], v[3:4]
	v_add_f64 v[3:4], v[17:18], v[3:4]
	v_xor_b32_e32 v1, 0x80000000, v4
	v_cndmask_b32_e32 v3, v3, v5, vcc_lo
	v_cndmask_b32_e32 v1, v1, v6, vcc_lo
	v_xor_b32_e32 v2, v1, v2
	v_cndmask_b32_e64 v1, 0, v3, s4
	v_cndmask_b32_e64 v2, 0x7ff80000, v2, s4
	v_div_scale_f64 v[3:4], null, v[1:2], v[1:2], s[18:19]
	v_rcp_f64_e32 v[5:6], v[3:4]
	v_fma_f64 v[17:18], -v[3:4], v[5:6], 1.0
	v_fma_f64 v[5:6], v[5:6], v[17:18], v[5:6]
	v_fma_f64 v[17:18], -v[3:4], v[5:6], 1.0
	v_fma_f64 v[5:6], v[5:6], v[17:18], v[5:6]
	v_div_scale_f64 v[17:18], vcc_lo, s[18:19], v[1:2], s[18:19]
	v_mul_f64 v[19:20], v[17:18], v[5:6]
	v_fma_f64 v[3:4], -v[3:4], v[19:20], v[17:18]
	v_div_fmas_f64 v[3:4], v[3:4], v[5:6], v[19:20]
	v_div_fixup_f64 v[1:2], v[3:4], v[1:2], s[18:19]
	v_cvt_f32_f64_e32 v1, v[1:2]
.LBB25_131:
	s_or_b32 exec_lo, exec_lo, s16
	s_orn2_b32 s4, s5, exec_lo
.LBB25_132:
	s_or_b32 exec_lo, exec_lo, s15
	v_mov_b32_e32 v15, 0x7e00
	s_and_saveexec_b32 s15, s4
	s_cbranch_execz .LBB25_144
; %bb.133:
	s_mov_b32 s4, exec_lo
	v_cmpx_gt_f32_e32 0x41200000, v16
	s_cbranch_execz .LBB25_137
; %bb.134:
	s_mov_b32 s5, 0
	.p2align	6
.LBB25_135:                             ; =>This Inner Loop Header: Depth=1
	v_div_scale_f32 v2, null, v16, v16, 1.0
	v_div_scale_f32 v5, vcc_lo, 1.0, v16, 1.0
	v_rcp_f32_e32 v3, v2
	v_fma_f32 v4, -v2, v3, 1.0
	v_fmac_f32_e32 v3, v4, v3
	v_mul_f32_e32 v4, v5, v3
	v_fma_f32 v6, -v2, v4, v5
	v_fmac_f32_e32 v4, v6, v3
	v_fma_f32 v2, -v2, v4, v5
	v_div_fmas_f32 v2, v2, v3, v4
	v_div_fixup_f32 v2, v2, v16, 1.0
	v_add_f32_e32 v16, 1.0, v16
	v_sub_f32_e32 v1, v1, v2
	v_cmp_ngt_f32_e32 vcc_lo, 0x41200000, v16
	s_or_b32 s5, vcc_lo, s5
	s_andn2_b32 exec_lo, exec_lo, s5
	s_cbranch_execnz .LBB25_135
; %bb.136:
	s_or_b32 exec_lo, exec_lo, s5
.LBB25_137:
	s_or_b32 exec_lo, exec_lo, s4
                                        ; implicit-def: $vgpr15
	s_mov_b32 s4, exec_lo
	v_cmpx_neq_f32_e32 0x41200000, v16
	s_xor_b32 s16, exec_lo, s4
	s_cbranch_execz .LBB25_141
; %bb.138:
	v_cvt_f64_f32_e32 v[2:3], v16
	s_mov_b32 s4, 0x85d8a000
	s_mov_b32 s5, 0x43763457
	v_cmp_gt_f64_e32 vcc_lo, s[4:5], v[2:3]
	v_mov_b32_e32 v2, 0
	s_and_saveexec_b32 s4, vcc_lo
	s_cbranch_execz .LBB25_140
; %bb.139:
	v_mul_f32_e32 v2, v16, v16
	v_div_scale_f32 v3, null, v2, v2, 1.0
	v_rcp_f32_e32 v4, v3
	v_fma_f32 v5, -v3, v4, 1.0
	v_fmac_f32_e32 v4, v5, v4
	v_div_scale_f32 v5, vcc_lo, 1.0, v2, 1.0
	v_mul_f32_e32 v6, v5, v4
	v_fma_f32 v12, -v3, v6, v5
	v_fmac_f32_e32 v6, v12, v4
	v_fma_f32 v3, -v3, v6, v5
	v_div_fmas_f32 v3, v3, v4, v6
	v_div_fixup_f32 v2, v3, v2, 1.0
	v_fmaak_f32 v3, 0, v2, 0x3daaaaab
	v_fmaak_f32 v3, v2, v3, 0xbcaccacd
	;; [unrolled: 1-line block ×7, first 2 shown]
	v_mul_f32_e32 v2, v2, v3
.LBB25_140:
	s_or_b32 exec_lo, exec_lo, s4
	v_cmp_gt_f32_e32 vcc_lo, 0x800000, v16
	v_div_scale_f32 v3, null, v16, v16, -0.5
	v_div_scale_f32 v12, s4, -0.5, v16, -0.5
	v_cndmask_b32_e64 v4, 0, 32, vcc_lo
	v_rcp_f32_e32 v5, v3
	v_ldexp_f32 v4, v16, v4
	v_log_f32_e32 v4, v4
	v_fma_f32 v6, -v3, v5, 1.0
	v_fmac_f32_e32 v5, v6, v5
	v_mul_f32_e32 v6, 0x3f317217, v4
	v_mul_f32_e32 v15, v12, v5
	v_cmp_gt_f32_e64 s5, 0x7f800000, |v4|
	v_fma_f32 v6, 0x3f317217, v4, -v6
	v_fma_f32 v17, -v3, v15, v12
	v_fmamk_f32 v6, v4, 0x3377d1cf, v6
	v_fmac_f32_e32 v15, v17, v5
	v_fmac_f32_e32 v6, 0x3f317217, v4
	v_fma_f32 v3, -v3, v15, v12
	v_cndmask_b32_e64 v4, v4, v6, s5
	v_cndmask_b32_e64 v6, 0, 0x41b17218, vcc_lo
	s_mov_b32 vcc_lo, s4
	v_div_fmas_f32 v3, v3, v5, v15
	v_sub_f32_e32 v4, v4, v6
	v_div_fixup_f32 v3, v3, v16, -0.5
	v_add_f32_e32 v3, v4, v3
	v_sub_f32_e32 v2, v3, v2
	v_add_f32_e32 v1, v1, v2
	v_cvt_f16_f32_e32 v15, v1
                                        ; implicit-def: $vgpr1
.LBB25_141:
	s_andn2_saveexec_b32 s4, s16
; %bb.142:
	v_add_f32_e32 v1, 0x40101cb7, v1
	v_cvt_f16_f32_e32 v15, v1
; %bb.143:
	s_or_b32 exec_lo, exec_lo, s4
.LBB25_144:
	s_or_b32 exec_lo, exec_lo, s15
                                        ; implicit-def: $vgpr16
.LBB25_145:
	s_andn2_saveexec_b32 s4, s14
; %bb.146:
	v_xor_b32_e32 v1, 0x80000000, v16
	v_mov_b32_e32 v2, 0xffff8000
	v_and_b32_sdwa v1, v1, v2 dst_sel:DWORD dst_unused:UNUSED_PAD src0_sel:WORD_1 src1_sel:DWORD
	v_or_b32_e32 v15, 0x7c00, v1
; %bb.147:
	s_or_b32 exec_lo, exec_lo, s4
	s_waitcnt vmcnt(0)
	v_cvt_f32_f16_e32 v16, v9
                                        ; implicit-def: $vgpr12
	s_mov_b32 s4, exec_lo
	v_cmpx_neq_f16_e32 0, v9
	s_xor_b32 s14, exec_lo, s4
	s_cbranch_execz .LBB25_169
; %bb.148:
	v_mov_b32_e32 v1, 0
	s_mov_b32 s4, -1
	s_mov_b32 s15, exec_lo
	v_cmpx_gt_f16_e32 0, v9
	s_cbranch_execz .LBB25_156
; %bb.149:
	v_trunc_f32_e32 v1, v16
	s_mov_b32 s5, 0
	v_cmp_neq_f32_e32 vcc_lo, v1, v16
	v_mov_b32_e32 v1, 0
	s_and_saveexec_b32 s16, vcc_lo
	s_cbranch_execz .LBB25_155
; %bb.150:
	v_cvt_f32_f16_e32 v1, v9
	s_mov_b32 s5, 0xc00921fb
	s_mov_b32 s4, 0x54442d18
	s_mov_b32 s17, exec_lo
                                        ; implicit-def: $vgpr12
                                        ; implicit-def: $vgpr5_vgpr6
	v_cvt_f64_f32_e32 v[1:2], v1
	v_trunc_f64_e32 v[3:4], v[1:2]
	v_cmp_neq_f64_e64 vcc_lo, 0x7ff00000, |v[1:2]|
	v_add_f64 v[3:4], v[1:2], -v[3:4]
	v_mul_f64 v[3:4], |v[3:4]|, s[4:5]
	v_cndmask_b32_e32 v2, 0x80000000, v4, vcc_lo
	v_cndmask_b32_e32 v1, 0, v3, vcc_lo
                                        ; implicit-def: $vgpr3_vgpr4
	v_cmpx_ngt_f64_e64 0x41d00000, |v[1:2]|
	s_xor_b32 s17, exec_lo, s17
	s_cbranch_execz .LBB25_152
; %bb.151:
	v_ldexp_f64 v[3:4], |v[1:2]|, 0xffffff80
	v_cmp_le_f64_e64 vcc_lo, 0x7b000000, |v[1:2]|
	v_trig_preop_f64 v[5:6], |v[1:2]|, 0
	v_and_b32_e32 v12, 0x7fffffff, v2
	v_trig_preop_f64 v[17:18], |v[1:2]|, 1
	v_trig_preop_f64 v[27:28], |v[1:2]|, 2
	v_mov_b32_e32 v35, 0
	s_mov_b32 s5, 0x3ff921fb
	s_mov_b32 s18, 0x33145c07
	;; [unrolled: 1-line block ×3, first 2 shown]
	v_cndmask_b32_e32 v4, v12, v4, vcc_lo
	v_cndmask_b32_e32 v3, v1, v3, vcc_lo
	v_mul_f64 v[19:20], v[5:6], v[3:4]
	v_mul_f64 v[21:22], v[17:18], v[3:4]
	;; [unrolled: 1-line block ×3, first 2 shown]
	v_fma_f64 v[5:6], v[5:6], v[3:4], -v[19:20]
	v_fma_f64 v[17:18], v[17:18], v[3:4], -v[21:22]
	;; [unrolled: 1-line block ×3, first 2 shown]
	v_add_f64 v[23:24], v[21:22], v[5:6]
	v_add_f64 v[25:26], v[23:24], -v[21:22]
	v_add_f64 v[31:32], v[19:20], v[23:24]
	v_add_f64 v[29:30], v[23:24], -v[25:26]
	v_add_f64 v[5:6], v[5:6], -v[25:26]
	v_ldexp_f64 v[25:26], v[31:32], -2
	v_add_f64 v[19:20], v[31:32], -v[19:20]
	v_add_f64 v[21:22], v[21:22], -v[29:30]
	v_add_f64 v[29:30], v[33:34], v[17:18]
	v_cmp_neq_f64_e64 vcc_lo, 0x7ff00000, |v[25:26]|
	v_add_f64 v[19:20], v[23:24], -v[19:20]
	v_add_f64 v[5:6], v[5:6], v[21:22]
	v_fract_f64_e32 v[21:22], v[25:26]
	v_add_f64 v[23:24], v[29:30], v[5:6]
	v_ldexp_f64 v[21:22], v[21:22], 2
	v_add_f64 v[25:26], v[19:20], v[23:24]
	v_cndmask_b32_e32 v22, 0, v22, vcc_lo
	v_cndmask_b32_e32 v21, 0, v21, vcc_lo
	v_add_f64 v[31:32], v[25:26], v[21:22]
	v_add_f64 v[19:20], v[25:26], -v[19:20]
	v_cmp_gt_f64_e32 vcc_lo, 0, v[31:32]
	v_add_f64 v[31:32], v[29:30], -v[33:34]
	v_add_f64 v[19:20], v[23:24], -v[19:20]
	v_cndmask_b32_e64 v36, 0, 0x40100000, vcc_lo
	v_add_f64 v[40:41], v[29:30], -v[31:32]
	v_add_f64 v[17:18], v[17:18], -v[31:32]
	v_add_f64 v[21:22], v[21:22], v[35:36]
	v_add_f64 v[36:37], v[23:24], -v[29:30]
	v_add_f64 v[31:32], v[33:34], -v[40:41]
	v_add_f64 v[38:39], v[25:26], v[21:22]
	;; [unrolled: 3-line block ×3, first 2 shown]
	v_cvt_i32_f64_e32 v12, v[38:39]
	v_add_f64 v[29:30], v[29:30], -v[42:43]
	v_cvt_f64_i32_e32 v[36:37], v12
	v_add_f64 v[5:6], v[5:6], v[29:30]
	v_add_f64 v[21:22], v[21:22], -v[36:37]
	v_add_f64 v[5:6], v[17:18], v[5:6]
	v_add_f64 v[17:18], v[25:26], v[21:22]
	;; [unrolled: 1-line block ×3, first 2 shown]
	v_add_f64 v[5:6], v[17:18], -v[21:22]
	v_cmp_le_f64_e32 vcc_lo, 0.5, v[17:18]
	v_add_f64 v[3:4], v[19:20], v[3:4]
	v_add_f64 v[5:6], v[25:26], -v[5:6]
	v_cndmask_b32_e64 v36, 0, 0x3ff00000, vcc_lo
	v_add_co_ci_u32_e64 v12, null, 0, v12, vcc_lo
	v_add_f64 v[3:4], v[3:4], v[5:6]
	v_add_f64 v[5:6], v[17:18], -v[35:36]
	v_add_f64 v[17:18], v[5:6], v[3:4]
	v_mul_f64 v[19:20], v[17:18], s[4:5]
	v_add_f64 v[5:6], v[17:18], -v[5:6]
	v_fma_f64 v[21:22], v[17:18], s[4:5], -v[19:20]
	v_add_f64 v[3:4], v[3:4], -v[5:6]
	v_fma_f64 v[5:6], v[17:18], s[18:19], v[21:22]
	v_fma_f64 v[5:6], v[3:4], s[4:5], v[5:6]
	v_add_f64 v[3:4], v[19:20], v[5:6]
	v_add_f64 v[17:18], v[3:4], -v[19:20]
	v_add_f64 v[5:6], v[5:6], -v[17:18]
.LBB25_152:
	s_andn2_saveexec_b32 s4, s17
	s_cbranch_execz .LBB25_154
; %bb.153:
	s_mov_b32 s18, 0x6dc9c883
	s_mov_b32 s19, 0x3fe45f30
	;; [unrolled: 1-line block ×3, first 2 shown]
	v_mul_f64 v[3:4], |v[1:2]|, s[18:19]
	s_mov_b32 s18, 0x54442d18
	s_mov_b32 s19, 0xbff921fb
	;; [unrolled: 1-line block ×3, first 2 shown]
	v_rndne_f64_e32 v[17:18], v[3:4]
	v_fma_f64 v[3:4], v[17:18], s[18:19], |v[1:2]|
	v_mul_f64 v[5:6], v[17:18], s[20:21]
	s_mov_b32 s18, 0x252049c0
	s_mov_b32 s19, 0xb97b839a
	v_cvt_i32_f64_e32 v12, v[17:18]
	v_fma_f64 v[21:22], v[17:18], s[20:21], v[3:4]
	v_add_f64 v[19:20], v[3:4], v[5:6]
	s_mov_b32 s21, 0x3c91a626
	v_add_f64 v[3:4], v[3:4], -v[19:20]
	v_add_f64 v[19:20], v[19:20], -v[21:22]
	v_add_f64 v[3:4], v[3:4], v[5:6]
	v_fma_f64 v[5:6], v[17:18], s[20:21], v[5:6]
	v_add_f64 v[3:4], v[19:20], v[3:4]
	v_add_f64 v[3:4], v[3:4], -v[5:6]
	v_fma_f64 v[5:6], v[17:18], s[18:19], v[3:4]
	v_add_f64 v[3:4], v[21:22], v[5:6]
	v_add_f64 v[19:20], v[3:4], -v[21:22]
	v_add_f64 v[5:6], v[5:6], -v[19:20]
.LBB25_154:
	s_or_b32 exec_lo, exec_lo, s4
	v_mul_f64 v[17:18], v[3:4], v[3:4]
	v_add_f64 v[19:20], v[5:6], v[5:6]
	s_mov_b32 s18, 0xa9a29f71
	s_mov_b32 s20, 0xc751c08c
	;; [unrolled: 1-line block ×4, first 2 shown]
	v_cmp_class_f64_e64 s4, v[1:2], 0x1f8
	v_and_b32_e32 v12, 1, v12
	v_and_b32_e32 v2, 0x80000000, v2
	v_sub_f32_e32 v16, 1.0, v16
	s_mov_b32 s5, exec_lo
	v_cmp_eq_u32_e32 vcc_lo, 0, v12
	v_fma_f64 v[21:22], v[3:4], v[3:4], -v[17:18]
	v_fma_f64 v[19:20], v[3:4], v[19:20], v[21:22]
	v_add_f64 v[17:18], v[17:18], v[19:20]
	v_fma_f64 v[19:20], v[17:18], s[20:21], s[18:19]
	s_mov_b32 s18, 0x90a8aae0
	s_mov_b32 s19, 0x3f17746f
	v_fma_f64 v[19:20], v[17:18], v[19:20], s[18:19]
	s_mov_b32 s18, 0xa6fbf144
	s_mov_b32 s19, 0xbefbb44d
	;; [unrolled: 3-line block ×13, first 2 shown]
	v_mul_f64 v[17:18], v[17:18], v[19:20]
	v_mul_f64 v[19:20], v[3:4], v[17:18]
	v_add_f64 v[21:22], v[3:4], v[19:20]
	v_fma_f64 v[17:18], v[3:4], v[17:18], -v[19:20]
	v_add_f64 v[3:4], v[21:22], -v[3:4]
	v_add_f64 v[5:6], v[5:6], v[17:18]
	v_add_f64 v[3:4], v[19:20], -v[3:4]
	v_add_f64 v[3:4], v[5:6], v[3:4]
	v_add_f64 v[5:6], v[21:22], v[3:4]
	v_rcp_f64_e32 v[17:18], v[5:6]
	v_fma_f64 v[19:20], -v[5:6], v[17:18], 1.0
	v_fma_f64 v[17:18], v[19:20], v[17:18], v[17:18]
	v_fma_f64 v[19:20], -v[5:6], v[17:18], 1.0
	v_fma_f64 v[17:18], v[19:20], v[17:18], v[17:18]
	v_add_f64 v[19:20], v[5:6], -v[21:22]
	v_mul_f64 v[21:22], v[5:6], v[17:18]
	v_add_f64 v[3:4], v[3:4], -v[19:20]
	v_fma_f64 v[19:20], v[17:18], v[5:6], -v[21:22]
	v_fma_f64 v[3:4], v[17:18], v[3:4], v[19:20]
	v_add_f64 v[19:20], v[21:22], v[3:4]
	v_add_f64 v[23:24], -v[19:20], 1.0
	v_add_f64 v[21:22], v[19:20], -v[21:22]
	v_add_f64 v[25:26], -v[23:24], 1.0
	v_add_f64 v[3:4], v[21:22], -v[3:4]
	v_add_f64 v[19:20], v[25:26], -v[19:20]
	v_add_f64 v[3:4], v[3:4], v[19:20]
	v_add_f64 v[3:4], v[23:24], v[3:4]
	v_mul_f64 v[3:4], v[17:18], v[3:4]
	v_add_f64 v[3:4], v[17:18], v[3:4]
	v_xor_b32_e32 v1, 0x80000000, v4
	v_cndmask_b32_e32 v3, v3, v5, vcc_lo
	v_cndmask_b32_e32 v1, v1, v6, vcc_lo
	v_xor_b32_e32 v2, v1, v2
	v_cndmask_b32_e64 v1, 0, v3, s4
	v_cndmask_b32_e64 v2, 0x7ff80000, v2, s4
	v_div_scale_f64 v[3:4], null, v[1:2], v[1:2], s[18:19]
	v_rcp_f64_e32 v[5:6], v[3:4]
	v_fma_f64 v[17:18], -v[3:4], v[5:6], 1.0
	v_fma_f64 v[5:6], v[5:6], v[17:18], v[5:6]
	v_fma_f64 v[17:18], -v[3:4], v[5:6], 1.0
	v_fma_f64 v[5:6], v[5:6], v[17:18], v[5:6]
	v_div_scale_f64 v[17:18], vcc_lo, s[18:19], v[1:2], s[18:19]
	v_mul_f64 v[19:20], v[17:18], v[5:6]
	v_fma_f64 v[3:4], -v[3:4], v[19:20], v[17:18]
	v_div_fmas_f64 v[3:4], v[3:4], v[5:6], v[19:20]
	v_div_fixup_f64 v[1:2], v[3:4], v[1:2], s[18:19]
	v_cvt_f32_f64_e32 v1, v[1:2]
.LBB25_155:
	s_or_b32 exec_lo, exec_lo, s16
	s_orn2_b32 s4, s5, exec_lo
.LBB25_156:
	s_or_b32 exec_lo, exec_lo, s15
	v_mov_b32_e32 v12, 0x7e00
	s_and_saveexec_b32 s15, s4
	s_cbranch_execz .LBB25_168
; %bb.157:
	s_mov_b32 s4, exec_lo
	v_cmpx_gt_f32_e32 0x41200000, v16
	s_cbranch_execz .LBB25_161
; %bb.158:
	s_mov_b32 s5, 0
	.p2align	6
.LBB25_159:                             ; =>This Inner Loop Header: Depth=1
	v_div_scale_f32 v2, null, v16, v16, 1.0
	v_div_scale_f32 v5, vcc_lo, 1.0, v16, 1.0
	v_rcp_f32_e32 v3, v2
	v_fma_f32 v4, -v2, v3, 1.0
	v_fmac_f32_e32 v3, v4, v3
	v_mul_f32_e32 v4, v5, v3
	v_fma_f32 v6, -v2, v4, v5
	v_fmac_f32_e32 v4, v6, v3
	v_fma_f32 v2, -v2, v4, v5
	v_div_fmas_f32 v2, v2, v3, v4
	v_div_fixup_f32 v2, v2, v16, 1.0
	v_add_f32_e32 v16, 1.0, v16
	v_sub_f32_e32 v1, v1, v2
	v_cmp_ngt_f32_e32 vcc_lo, 0x41200000, v16
	s_or_b32 s5, vcc_lo, s5
	s_andn2_b32 exec_lo, exec_lo, s5
	s_cbranch_execnz .LBB25_159
; %bb.160:
	s_or_b32 exec_lo, exec_lo, s5
.LBB25_161:
	s_or_b32 exec_lo, exec_lo, s4
                                        ; implicit-def: $vgpr12
	s_mov_b32 s4, exec_lo
	v_cmpx_neq_f32_e32 0x41200000, v16
	s_xor_b32 s16, exec_lo, s4
	s_cbranch_execz .LBB25_165
; %bb.162:
	v_cvt_f64_f32_e32 v[2:3], v16
	s_mov_b32 s4, 0x85d8a000
	s_mov_b32 s5, 0x43763457
	v_cmp_gt_f64_e32 vcc_lo, s[4:5], v[2:3]
	v_mov_b32_e32 v2, 0
	s_and_saveexec_b32 s4, vcc_lo
	s_cbranch_execz .LBB25_164
; %bb.163:
	v_mul_f32_e32 v2, v16, v16
	v_div_scale_f32 v3, null, v2, v2, 1.0
	v_rcp_f32_e32 v4, v3
	v_fma_f32 v5, -v3, v4, 1.0
	v_fmac_f32_e32 v4, v5, v4
	v_div_scale_f32 v5, vcc_lo, 1.0, v2, 1.0
	v_mul_f32_e32 v6, v5, v4
	v_fma_f32 v12, -v3, v6, v5
	v_fmac_f32_e32 v6, v12, v4
	v_fma_f32 v3, -v3, v6, v5
	v_div_fmas_f32 v3, v3, v4, v6
	v_div_fixup_f32 v2, v3, v2, 1.0
	v_fmaak_f32 v3, 0, v2, 0x3daaaaab
	v_fmaak_f32 v3, v2, v3, 0xbcaccacd
	;; [unrolled: 1-line block ×7, first 2 shown]
	v_mul_f32_e32 v2, v2, v3
.LBB25_164:
	s_or_b32 exec_lo, exec_lo, s4
	v_cmp_gt_f32_e32 vcc_lo, 0x800000, v16
	v_div_scale_f32 v3, null, v16, v16, -0.5
	v_div_scale_f32 v12, s4, -0.5, v16, -0.5
	v_cndmask_b32_e64 v4, 0, 32, vcc_lo
	v_rcp_f32_e32 v5, v3
	v_ldexp_f32 v4, v16, v4
	v_log_f32_e32 v4, v4
	v_fma_f32 v6, -v3, v5, 1.0
	v_fmac_f32_e32 v5, v6, v5
	v_mul_f32_e32 v6, 0x3f317217, v4
	v_mul_f32_e32 v17, v12, v5
	v_cmp_gt_f32_e64 s5, 0x7f800000, |v4|
	v_fma_f32 v6, 0x3f317217, v4, -v6
	v_fma_f32 v18, -v3, v17, v12
	v_fmamk_f32 v6, v4, 0x3377d1cf, v6
	v_fmac_f32_e32 v17, v18, v5
	v_fmac_f32_e32 v6, 0x3f317217, v4
	v_fma_f32 v3, -v3, v17, v12
	v_cndmask_b32_e64 v4, v4, v6, s5
	v_cndmask_b32_e64 v6, 0, 0x41b17218, vcc_lo
	s_mov_b32 vcc_lo, s4
	v_div_fmas_f32 v3, v3, v5, v17
	v_sub_f32_e32 v4, v4, v6
	v_div_fixup_f32 v3, v3, v16, -0.5
	v_add_f32_e32 v3, v4, v3
	v_sub_f32_e32 v2, v3, v2
	v_add_f32_e32 v1, v1, v2
	v_cvt_f16_f32_e32 v12, v1
                                        ; implicit-def: $vgpr1
.LBB25_165:
	s_andn2_saveexec_b32 s4, s16
; %bb.166:
	v_add_f32_e32 v1, 0x40101cb7, v1
	v_cvt_f16_f32_e32 v12, v1
; %bb.167:
	s_or_b32 exec_lo, exec_lo, s4
.LBB25_168:
	s_or_b32 exec_lo, exec_lo, s15
                                        ; implicit-def: $vgpr16
.LBB25_169:
	s_andn2_saveexec_b32 s4, s14
; %bb.170:
	v_xor_b32_e32 v1, 0x80000000, v16
	v_mov_b32_e32 v2, 0xffff8000
	v_and_b32_sdwa v1, v1, v2 dst_sel:DWORD dst_unused:UNUSED_PAD src0_sel:WORD_1 src1_sel:DWORD
	v_or_b32_e32 v12, 0x7c00, v1
; %bb.171:
	s_or_b32 exec_lo, exec_lo, s4
	v_mov_b32_e32 v1, 0
	v_cvt_f32_f16_sdwa v16, v9 dst_sel:DWORD dst_unused:UNUSED_PAD src0_sel:WORD_1
                                        ; implicit-def: $vgpr2
	v_cmp_neq_f16_sdwa s4, v9, v1 src0_sel:WORD_1 src1_sel:DWORD
	s_and_saveexec_b32 s5, s4
	s_xor_b32 s14, exec_lo, s5
	s_cbranch_execz .LBB25_193
; %bb.172:
	v_cmp_lt_f16_sdwa s5, v9, v1 src0_sel:WORD_1 src1_sel:DWORD
	s_mov_b32 s4, -1
	s_and_saveexec_b32 s15, s5
	s_cbranch_execz .LBB25_180
; %bb.173:
	v_trunc_f32_e32 v1, v16
	s_mov_b32 s5, 0
	v_cmp_neq_f32_e32 vcc_lo, v1, v16
	v_mov_b32_e32 v1, 0
	s_and_saveexec_b32 s16, vcc_lo
	s_cbranch_execz .LBB25_179
; %bb.174:
	v_cvt_f32_f16_sdwa v1, v9 dst_sel:DWORD dst_unused:UNUSED_PAD src0_sel:WORD_1
	s_mov_b32 s5, 0xc00921fb
	s_mov_b32 s4, 0x54442d18
	s_mov_b32 s17, exec_lo
                                        ; implicit-def: $vgpr9
                                        ; implicit-def: $vgpr5_vgpr6
	v_cvt_f64_f32_e32 v[1:2], v1
	v_trunc_f64_e32 v[3:4], v[1:2]
	v_cmp_neq_f64_e64 vcc_lo, 0x7ff00000, |v[1:2]|
	v_add_f64 v[3:4], v[1:2], -v[3:4]
	v_mul_f64 v[3:4], |v[3:4]|, s[4:5]
	v_cndmask_b32_e32 v2, 0x80000000, v4, vcc_lo
	v_cndmask_b32_e32 v1, 0, v3, vcc_lo
                                        ; implicit-def: $vgpr3_vgpr4
	v_cmpx_ngt_f64_e64 0x41d00000, |v[1:2]|
	s_xor_b32 s17, exec_lo, s17
	s_cbranch_execz .LBB25_176
; %bb.175:
	v_ldexp_f64 v[3:4], |v[1:2]|, 0xffffff80
	v_cmp_le_f64_e64 vcc_lo, 0x7b000000, |v[1:2]|
	v_trig_preop_f64 v[5:6], |v[1:2]|, 0
	v_and_b32_e32 v9, 0x7fffffff, v2
	v_trig_preop_f64 v[17:18], |v[1:2]|, 1
	v_trig_preop_f64 v[27:28], |v[1:2]|, 2
	v_mov_b32_e32 v35, 0
	s_mov_b32 s5, 0x3ff921fb
	s_mov_b32 s18, 0x33145c07
	s_mov_b32 s19, 0x3c91a626
	v_cndmask_b32_e32 v4, v9, v4, vcc_lo
	v_cndmask_b32_e32 v3, v1, v3, vcc_lo
	v_mul_f64 v[19:20], v[5:6], v[3:4]
	v_mul_f64 v[21:22], v[17:18], v[3:4]
	;; [unrolled: 1-line block ×3, first 2 shown]
	v_fma_f64 v[5:6], v[5:6], v[3:4], -v[19:20]
	v_fma_f64 v[17:18], v[17:18], v[3:4], -v[21:22]
	;; [unrolled: 1-line block ×3, first 2 shown]
	v_add_f64 v[23:24], v[21:22], v[5:6]
	v_add_f64 v[25:26], v[23:24], -v[21:22]
	v_add_f64 v[31:32], v[19:20], v[23:24]
	v_add_f64 v[29:30], v[23:24], -v[25:26]
	v_add_f64 v[5:6], v[5:6], -v[25:26]
	v_ldexp_f64 v[25:26], v[31:32], -2
	v_add_f64 v[19:20], v[31:32], -v[19:20]
	v_add_f64 v[21:22], v[21:22], -v[29:30]
	v_add_f64 v[29:30], v[33:34], v[17:18]
	v_cmp_neq_f64_e64 vcc_lo, 0x7ff00000, |v[25:26]|
	v_add_f64 v[19:20], v[23:24], -v[19:20]
	v_add_f64 v[5:6], v[5:6], v[21:22]
	v_fract_f64_e32 v[21:22], v[25:26]
	v_add_f64 v[23:24], v[29:30], v[5:6]
	v_ldexp_f64 v[21:22], v[21:22], 2
	v_add_f64 v[25:26], v[19:20], v[23:24]
	v_cndmask_b32_e32 v22, 0, v22, vcc_lo
	v_cndmask_b32_e32 v21, 0, v21, vcc_lo
	v_add_f64 v[31:32], v[25:26], v[21:22]
	v_add_f64 v[19:20], v[25:26], -v[19:20]
	v_cmp_gt_f64_e32 vcc_lo, 0, v[31:32]
	v_add_f64 v[31:32], v[29:30], -v[33:34]
	v_add_f64 v[19:20], v[23:24], -v[19:20]
	v_cndmask_b32_e64 v36, 0, 0x40100000, vcc_lo
	v_add_f64 v[40:41], v[29:30], -v[31:32]
	v_add_f64 v[17:18], v[17:18], -v[31:32]
	v_add_f64 v[21:22], v[21:22], v[35:36]
	v_add_f64 v[36:37], v[23:24], -v[29:30]
	v_add_f64 v[31:32], v[33:34], -v[40:41]
	v_add_f64 v[38:39], v[25:26], v[21:22]
	;; [unrolled: 3-line block ×3, first 2 shown]
	v_cvt_i32_f64_e32 v9, v[38:39]
	v_add_f64 v[29:30], v[29:30], -v[42:43]
	v_cvt_f64_i32_e32 v[36:37], v9
	v_add_f64 v[5:6], v[5:6], v[29:30]
	v_add_f64 v[21:22], v[21:22], -v[36:37]
	v_add_f64 v[5:6], v[17:18], v[5:6]
	v_add_f64 v[17:18], v[25:26], v[21:22]
	v_add_f64 v[3:4], v[3:4], v[5:6]
	v_add_f64 v[5:6], v[17:18], -v[21:22]
	v_cmp_le_f64_e32 vcc_lo, 0.5, v[17:18]
	v_add_f64 v[3:4], v[19:20], v[3:4]
	v_add_f64 v[5:6], v[25:26], -v[5:6]
	v_cndmask_b32_e64 v36, 0, 0x3ff00000, vcc_lo
	v_add_co_ci_u32_e64 v9, null, 0, v9, vcc_lo
	v_add_f64 v[3:4], v[3:4], v[5:6]
	v_add_f64 v[5:6], v[17:18], -v[35:36]
	v_add_f64 v[17:18], v[5:6], v[3:4]
	v_mul_f64 v[19:20], v[17:18], s[4:5]
	v_add_f64 v[5:6], v[17:18], -v[5:6]
	v_fma_f64 v[21:22], v[17:18], s[4:5], -v[19:20]
	v_add_f64 v[3:4], v[3:4], -v[5:6]
	v_fma_f64 v[5:6], v[17:18], s[18:19], v[21:22]
	v_fma_f64 v[5:6], v[3:4], s[4:5], v[5:6]
	v_add_f64 v[3:4], v[19:20], v[5:6]
	v_add_f64 v[17:18], v[3:4], -v[19:20]
	v_add_f64 v[5:6], v[5:6], -v[17:18]
.LBB25_176:
	s_andn2_saveexec_b32 s4, s17
	s_cbranch_execz .LBB25_178
; %bb.177:
	s_mov_b32 s18, 0x6dc9c883
	s_mov_b32 s19, 0x3fe45f30
	;; [unrolled: 1-line block ×3, first 2 shown]
	v_mul_f64 v[3:4], |v[1:2]|, s[18:19]
	s_mov_b32 s18, 0x54442d18
	s_mov_b32 s19, 0xbff921fb
	;; [unrolled: 1-line block ×3, first 2 shown]
	v_rndne_f64_e32 v[17:18], v[3:4]
	v_fma_f64 v[3:4], v[17:18], s[18:19], |v[1:2]|
	v_mul_f64 v[5:6], v[17:18], s[20:21]
	s_mov_b32 s18, 0x252049c0
	s_mov_b32 s19, 0xb97b839a
	v_cvt_i32_f64_e32 v9, v[17:18]
	v_fma_f64 v[21:22], v[17:18], s[20:21], v[3:4]
	v_add_f64 v[19:20], v[3:4], v[5:6]
	s_mov_b32 s21, 0x3c91a626
	v_add_f64 v[3:4], v[3:4], -v[19:20]
	v_add_f64 v[19:20], v[19:20], -v[21:22]
	v_add_f64 v[3:4], v[3:4], v[5:6]
	v_fma_f64 v[5:6], v[17:18], s[20:21], v[5:6]
	v_add_f64 v[3:4], v[19:20], v[3:4]
	v_add_f64 v[3:4], v[3:4], -v[5:6]
	v_fma_f64 v[5:6], v[17:18], s[18:19], v[3:4]
	v_add_f64 v[3:4], v[21:22], v[5:6]
	v_add_f64 v[19:20], v[3:4], -v[21:22]
	v_add_f64 v[5:6], v[5:6], -v[19:20]
.LBB25_178:
	s_or_b32 exec_lo, exec_lo, s4
	v_mul_f64 v[17:18], v[3:4], v[3:4]
	v_add_f64 v[19:20], v[5:6], v[5:6]
	s_mov_b32 s18, 0xa9a29f71
	s_mov_b32 s20, 0xc751c08c
	;; [unrolled: 1-line block ×4, first 2 shown]
	v_cmp_class_f64_e64 s4, v[1:2], 0x1f8
	v_and_b32_e32 v9, 1, v9
	v_and_b32_e32 v2, 0x80000000, v2
	v_sub_f32_e32 v16, 1.0, v16
	s_mov_b32 s5, exec_lo
	v_cmp_eq_u32_e32 vcc_lo, 0, v9
	v_fma_f64 v[21:22], v[3:4], v[3:4], -v[17:18]
	v_fma_f64 v[19:20], v[3:4], v[19:20], v[21:22]
	v_add_f64 v[17:18], v[17:18], v[19:20]
	v_fma_f64 v[19:20], v[17:18], s[20:21], s[18:19]
	s_mov_b32 s18, 0x90a8aae0
	s_mov_b32 s19, 0x3f17746f
	v_fma_f64 v[19:20], v[17:18], v[19:20], s[18:19]
	s_mov_b32 s18, 0xa6fbf144
	s_mov_b32 s19, 0xbefbb44d
	v_fma_f64 v[19:20], v[17:18], v[19:20], s[18:19]
	s_mov_b32 s18, 0xa7943acf
	s_mov_b32 s19, 0x3f21e634
	v_fma_f64 v[19:20], v[17:18], v[19:20], s[18:19]
	s_mov_b32 s18, 0xdeb68feb
	s_mov_b32 s19, 0x3f2d250f
	v_fma_f64 v[19:20], v[17:18], v[19:20], s[18:19]
	s_mov_b32 s18, 0xb58c4d95
	s_mov_b32 s19, 0x3f437fd9
	v_fma_f64 v[19:20], v[17:18], v[19:20], s[18:19]
	s_mov_b32 s18, 0x15120e2c
	s_mov_b32 s19, 0x3f57d5af
	v_fma_f64 v[19:20], v[17:18], v[19:20], s[18:19]
	s_mov_b32 s18, 0xe09491df
	s_mov_b32 s19, 0x3f6d6d93
	v_fma_f64 v[19:20], v[17:18], v[19:20], s[18:19]
	s_mov_b32 s18, 0x2033784d
	s_mov_b32 s19, 0x3f8226e1
	v_fma_f64 v[19:20], v[17:18], v[19:20], s[18:19]
	s_mov_b32 s18, 0x9ac36ae2
	s_mov_b32 s19, 0x3f9664f4
	v_fma_f64 v[19:20], v[17:18], v[19:20], s[18:19]
	s_mov_b32 s18, 0x1b451c21
	s_mov_b32 s19, 0x3faba1ba
	v_fma_f64 v[19:20], v[17:18], v[19:20], s[18:19]
	s_mov_b32 s18, 0x111185b7
	s_mov_b32 s19, 0x3fc11111
	v_fma_f64 v[19:20], v[17:18], v[19:20], s[18:19]
	s_mov_b32 s18, 0x555554ee
	s_mov_b32 s19, 0x3fd55555
	v_fma_f64 v[19:20], v[17:18], v[19:20], s[18:19]
	s_mov_b32 s18, 0x54442d18
	s_mov_b32 s19, 0xc00921fb
	v_mul_f64 v[17:18], v[17:18], v[19:20]
	v_mul_f64 v[19:20], v[3:4], v[17:18]
	v_add_f64 v[21:22], v[3:4], v[19:20]
	v_fma_f64 v[17:18], v[3:4], v[17:18], -v[19:20]
	v_add_f64 v[3:4], v[21:22], -v[3:4]
	v_add_f64 v[5:6], v[5:6], v[17:18]
	v_add_f64 v[3:4], v[19:20], -v[3:4]
	v_add_f64 v[3:4], v[5:6], v[3:4]
	v_add_f64 v[5:6], v[21:22], v[3:4]
	v_rcp_f64_e32 v[17:18], v[5:6]
	v_fma_f64 v[19:20], -v[5:6], v[17:18], 1.0
	v_fma_f64 v[17:18], v[19:20], v[17:18], v[17:18]
	v_fma_f64 v[19:20], -v[5:6], v[17:18], 1.0
	v_fma_f64 v[17:18], v[19:20], v[17:18], v[17:18]
	v_add_f64 v[19:20], v[5:6], -v[21:22]
	v_mul_f64 v[21:22], v[5:6], v[17:18]
	v_add_f64 v[3:4], v[3:4], -v[19:20]
	v_fma_f64 v[19:20], v[17:18], v[5:6], -v[21:22]
	v_fma_f64 v[3:4], v[17:18], v[3:4], v[19:20]
	v_add_f64 v[19:20], v[21:22], v[3:4]
	v_add_f64 v[23:24], -v[19:20], 1.0
	v_add_f64 v[21:22], v[19:20], -v[21:22]
	v_add_f64 v[25:26], -v[23:24], 1.0
	v_add_f64 v[3:4], v[21:22], -v[3:4]
	v_add_f64 v[19:20], v[25:26], -v[19:20]
	v_add_f64 v[3:4], v[3:4], v[19:20]
	v_add_f64 v[3:4], v[23:24], v[3:4]
	v_mul_f64 v[3:4], v[17:18], v[3:4]
	v_add_f64 v[3:4], v[17:18], v[3:4]
	v_xor_b32_e32 v1, 0x80000000, v4
	v_cndmask_b32_e32 v3, v3, v5, vcc_lo
	v_cndmask_b32_e32 v1, v1, v6, vcc_lo
	v_xor_b32_e32 v2, v1, v2
	v_cndmask_b32_e64 v1, 0, v3, s4
	v_cndmask_b32_e64 v2, 0x7ff80000, v2, s4
	v_div_scale_f64 v[3:4], null, v[1:2], v[1:2], s[18:19]
	v_rcp_f64_e32 v[5:6], v[3:4]
	v_fma_f64 v[17:18], -v[3:4], v[5:6], 1.0
	v_fma_f64 v[5:6], v[5:6], v[17:18], v[5:6]
	v_fma_f64 v[17:18], -v[3:4], v[5:6], 1.0
	v_fma_f64 v[5:6], v[5:6], v[17:18], v[5:6]
	v_div_scale_f64 v[17:18], vcc_lo, s[18:19], v[1:2], s[18:19]
	v_mul_f64 v[19:20], v[17:18], v[5:6]
	v_fma_f64 v[3:4], -v[3:4], v[19:20], v[17:18]
	v_div_fmas_f64 v[3:4], v[3:4], v[5:6], v[19:20]
	v_div_fixup_f64 v[1:2], v[3:4], v[1:2], s[18:19]
	v_cvt_f32_f64_e32 v1, v[1:2]
.LBB25_179:
	s_or_b32 exec_lo, exec_lo, s16
	s_orn2_b32 s4, s5, exec_lo
.LBB25_180:
	s_or_b32 exec_lo, exec_lo, s15
	v_mov_b32_e32 v2, 0x7e00
	s_and_saveexec_b32 s15, s4
	s_cbranch_execz .LBB25_192
; %bb.181:
	s_mov_b32 s4, exec_lo
	v_cmpx_gt_f32_e32 0x41200000, v16
	s_cbranch_execz .LBB25_185
; %bb.182:
	s_mov_b32 s5, 0
	.p2align	6
.LBB25_183:                             ; =>This Inner Loop Header: Depth=1
	v_div_scale_f32 v2, null, v16, v16, 1.0
	v_div_scale_f32 v5, vcc_lo, 1.0, v16, 1.0
	v_rcp_f32_e32 v3, v2
	v_fma_f32 v4, -v2, v3, 1.0
	v_fmac_f32_e32 v3, v4, v3
	v_mul_f32_e32 v4, v5, v3
	v_fma_f32 v6, -v2, v4, v5
	v_fmac_f32_e32 v4, v6, v3
	v_fma_f32 v2, -v2, v4, v5
	v_div_fmas_f32 v2, v2, v3, v4
	v_div_fixup_f32 v2, v2, v16, 1.0
	v_add_f32_e32 v16, 1.0, v16
	v_sub_f32_e32 v1, v1, v2
	v_cmp_ngt_f32_e32 vcc_lo, 0x41200000, v16
	s_or_b32 s5, vcc_lo, s5
	s_andn2_b32 exec_lo, exec_lo, s5
	s_cbranch_execnz .LBB25_183
; %bb.184:
	s_or_b32 exec_lo, exec_lo, s5
.LBB25_185:
	s_or_b32 exec_lo, exec_lo, s4
                                        ; implicit-def: $vgpr2
	s_mov_b32 s4, exec_lo
	v_cmpx_neq_f32_e32 0x41200000, v16
	s_xor_b32 s16, exec_lo, s4
	s_cbranch_execz .LBB25_189
; %bb.186:
	v_cvt_f64_f32_e32 v[2:3], v16
	s_mov_b32 s4, 0x85d8a000
	s_mov_b32 s5, 0x43763457
	v_cmp_gt_f64_e32 vcc_lo, s[4:5], v[2:3]
	v_mov_b32_e32 v2, 0
	s_and_saveexec_b32 s4, vcc_lo
	s_cbranch_execz .LBB25_188
; %bb.187:
	v_mul_f32_e32 v2, v16, v16
	v_div_scale_f32 v3, null, v2, v2, 1.0
	v_rcp_f32_e32 v4, v3
	v_fma_f32 v5, -v3, v4, 1.0
	v_fmac_f32_e32 v4, v5, v4
	v_div_scale_f32 v5, vcc_lo, 1.0, v2, 1.0
	v_mul_f32_e32 v6, v5, v4
	v_fma_f32 v9, -v3, v6, v5
	v_fmac_f32_e32 v6, v9, v4
	v_fma_f32 v3, -v3, v6, v5
	v_div_fmas_f32 v3, v3, v4, v6
	v_div_fixup_f32 v2, v3, v2, 1.0
	v_fmaak_f32 v3, 0, v2, 0x3daaaaab
	v_fmaak_f32 v3, v2, v3, 0xbcaccacd
	;; [unrolled: 1-line block ×7, first 2 shown]
	v_mul_f32_e32 v2, v2, v3
.LBB25_188:
	s_or_b32 exec_lo, exec_lo, s4
	v_cmp_gt_f32_e32 vcc_lo, 0x800000, v16
	v_div_scale_f32 v3, null, v16, v16, -0.5
	v_div_scale_f32 v9, s4, -0.5, v16, -0.5
	v_cndmask_b32_e64 v4, 0, 32, vcc_lo
	v_rcp_f32_e32 v5, v3
	v_ldexp_f32 v4, v16, v4
	v_log_f32_e32 v4, v4
	v_fma_f32 v6, -v3, v5, 1.0
	v_fmac_f32_e32 v5, v6, v5
	v_mul_f32_e32 v6, 0x3f317217, v4
	v_mul_f32_e32 v17, v9, v5
	v_cmp_gt_f32_e64 s5, 0x7f800000, |v4|
	v_fma_f32 v6, 0x3f317217, v4, -v6
	v_fma_f32 v18, -v3, v17, v9
	v_fmamk_f32 v6, v4, 0x3377d1cf, v6
	v_fmac_f32_e32 v17, v18, v5
	v_fmac_f32_e32 v6, 0x3f317217, v4
	v_fma_f32 v3, -v3, v17, v9
	v_cndmask_b32_e64 v4, v4, v6, s5
	v_cndmask_b32_e64 v6, 0, 0x41b17218, vcc_lo
	s_mov_b32 vcc_lo, s4
	v_div_fmas_f32 v3, v3, v5, v17
	v_sub_f32_e32 v4, v4, v6
	v_div_fixup_f32 v3, v3, v16, -0.5
	v_add_f32_e32 v3, v4, v3
	v_sub_f32_e32 v2, v3, v2
	v_add_f32_e32 v1, v1, v2
	v_cvt_f16_f32_e32 v2, v1
                                        ; implicit-def: $vgpr1
.LBB25_189:
	s_andn2_saveexec_b32 s4, s16
; %bb.190:
	v_add_f32_e32 v1, 0x40101cb7, v1
	v_cvt_f16_f32_e32 v2, v1
; %bb.191:
	s_or_b32 exec_lo, exec_lo, s4
.LBB25_192:
	s_or_b32 exec_lo, exec_lo, s15
                                        ; implicit-def: $vgpr16
.LBB25_193:
	s_andn2_saveexec_b32 s4, s14
; %bb.194:
	v_xor_b32_e32 v1, 0x80000000, v16
	v_mov_b32_e32 v2, 0xffff8000
	v_and_b32_sdwa v1, v1, v2 dst_sel:DWORD dst_unused:UNUSED_PAD src0_sel:WORD_1 src1_sel:DWORD
	v_or_b32_e32 v2, 0x7c00, v1
; %bb.195:
	s_or_b32 exec_lo, exec_lo, s4
	v_lshlrev_b32_e32 v1, 16, v15
	v_lshlrev_b32_e32 v4, 16, v10
	s_add_u32 s4, s8, s12
	s_addc_u32 s5, s9, s13
	v_lshlrev_b32_e32 v3, 16, v13
	v_or_b32_sdwa v5, v1, v14 dst_sel:DWORD dst_unused:UNUSED_PAD src0_sel:DWORD src1_sel:WORD_0
	v_add_co_u32 v1, s12, s4, v7
	v_add_co_ci_u32_e64 v6, null, s5, 0, s12
	v_or_b32_sdwa v4, v4, v8 dst_sel:DWORD dst_unused:UNUSED_PAD src0_sel:DWORD src1_sel:WORD_0
	v_lshlrev_b32_e32 v8, 16, v2
	v_add_co_u32 v1, vcc_lo, 0x800, v1
	v_or_b32_sdwa v3, v3, v11 dst_sel:DWORD dst_unused:UNUSED_PAD src0_sel:DWORD src1_sel:WORD_0
	v_add_co_ci_u32_e64 v2, null, 0, v6, vcc_lo
	v_or_b32_sdwa v6, v8, v12 dst_sel:DWORD dst_unused:UNUSED_PAD src0_sel:DWORD src1_sel:WORD_0
	global_store_dword v7, v4, s[4:5]
	global_store_dword v7, v3, s[4:5] offset:1024
	global_store_dword v[1:2], v5, off
	global_store_dword v[1:2], v6, off offset:1024
	s_branch .LBB25_2
.LBB25_196:
	v_mov_b32_e32 v31, v0
	v_mov_b32_e32 v0, s8
	;; [unrolled: 1-line block ×6, first 2 shown]
	s_getpc_b64 s[4:5]
	s_add_u32 s4, s4, _ZN2at6native25elementwise_kernel_helperILb0EZZZNS0_19digamma_kernel_cudaERNS_18TensorIteratorBaseEENKUlvE_clEvENKUlvE1_clEvEUlN3c104HalfEE_NS0_6memory8policies11unroll_baseILi256ESt5arrayIPcLm2EE23TrivialOffsetCalculatorILi1EjESG_NS9_15LoadWithoutCastENS9_16StoreWithoutCastELi8ELi1EEEEEvT0_T1_@rel32@lo+4
	s_addc_u32 s5, s5, _ZN2at6native25elementwise_kernel_helperILb0EZZZNS0_19digamma_kernel_cudaERNS_18TensorIteratorBaseEENKUlvE_clEvENKUlvE1_clEvEUlN3c104HalfEE_NS0_6memory8policies11unroll_baseILi256ESt5arrayIPcLm2EE23TrivialOffsetCalculatorILi1EjESG_NS9_15LoadWithoutCastENS9_16StoreWithoutCastELi8ELi1EEEEEvT0_T1_@rel32@hi+12
	s_mov_b32 s12, s6
	s_swappc_b64 s[30:31], s[4:5]
	s_endpgm
	.section	.rodata,"a",@progbits
	.p2align	6, 0x0
	.amdhsa_kernel _ZN2at6native29vectorized_elementwise_kernelILi2EZZZNS0_19digamma_kernel_cudaERNS_18TensorIteratorBaseEENKUlvE_clEvENKUlvE1_clEvEUlN3c104HalfEE_St5arrayIPcLm2EEEEviT0_T1_
		.amdhsa_group_segment_fixed_size 0
		.amdhsa_private_segment_fixed_size 0
		.amdhsa_kernarg_size 24
		.amdhsa_user_sgpr_count 6
		.amdhsa_user_sgpr_private_segment_buffer 1
		.amdhsa_user_sgpr_dispatch_ptr 0
		.amdhsa_user_sgpr_queue_ptr 0
		.amdhsa_user_sgpr_kernarg_segment_ptr 1
		.amdhsa_user_sgpr_dispatch_id 0
		.amdhsa_user_sgpr_flat_scratch_init 0
		.amdhsa_user_sgpr_private_segment_size 0
		.amdhsa_wavefront_size32 1
		.amdhsa_uses_dynamic_stack 0
		.amdhsa_system_sgpr_private_segment_wavefront_offset 0
		.amdhsa_system_sgpr_workgroup_id_x 1
		.amdhsa_system_sgpr_workgroup_id_y 0
		.amdhsa_system_sgpr_workgroup_id_z 0
		.amdhsa_system_sgpr_workgroup_info 0
		.amdhsa_system_vgpr_workitem_id 0
		.amdhsa_next_free_vgpr 66
		.amdhsa_next_free_sgpr 33
		.amdhsa_reserve_vcc 1
		.amdhsa_reserve_flat_scratch 0
		.amdhsa_float_round_mode_32 0
		.amdhsa_float_round_mode_16_64 0
		.amdhsa_float_denorm_mode_32 3
		.amdhsa_float_denorm_mode_16_64 3
		.amdhsa_dx10_clamp 1
		.amdhsa_ieee_mode 1
		.amdhsa_fp16_overflow 0
		.amdhsa_workgroup_processor_mode 1
		.amdhsa_memory_ordered 1
		.amdhsa_forward_progress 1
		.amdhsa_shared_vgpr_count 0
		.amdhsa_exception_fp_ieee_invalid_op 0
		.amdhsa_exception_fp_denorm_src 0
		.amdhsa_exception_fp_ieee_div_zero 0
		.amdhsa_exception_fp_ieee_overflow 0
		.amdhsa_exception_fp_ieee_underflow 0
		.amdhsa_exception_fp_ieee_inexact 0
		.amdhsa_exception_int_div_zero 0
	.end_amdhsa_kernel
	.section	.text._ZN2at6native29vectorized_elementwise_kernelILi2EZZZNS0_19digamma_kernel_cudaERNS_18TensorIteratorBaseEENKUlvE_clEvENKUlvE1_clEvEUlN3c104HalfEE_St5arrayIPcLm2EEEEviT0_T1_,"axG",@progbits,_ZN2at6native29vectorized_elementwise_kernelILi2EZZZNS0_19digamma_kernel_cudaERNS_18TensorIteratorBaseEENKUlvE_clEvENKUlvE1_clEvEUlN3c104HalfEE_St5arrayIPcLm2EEEEviT0_T1_,comdat
.Lfunc_end25:
	.size	_ZN2at6native29vectorized_elementwise_kernelILi2EZZZNS0_19digamma_kernel_cudaERNS_18TensorIteratorBaseEENKUlvE_clEvENKUlvE1_clEvEUlN3c104HalfEE_St5arrayIPcLm2EEEEviT0_T1_, .Lfunc_end25-_ZN2at6native29vectorized_elementwise_kernelILi2EZZZNS0_19digamma_kernel_cudaERNS_18TensorIteratorBaseEENKUlvE_clEvENKUlvE1_clEvEUlN3c104HalfEE_St5arrayIPcLm2EEEEviT0_T1_
                                        ; -- End function
	.set _ZN2at6native29vectorized_elementwise_kernelILi2EZZZNS0_19digamma_kernel_cudaERNS_18TensorIteratorBaseEENKUlvE_clEvENKUlvE1_clEvEUlN3c104HalfEE_St5arrayIPcLm2EEEEviT0_T1_.num_vgpr, max(44, .L_ZN2at6native25elementwise_kernel_helperILb0EZZZNS0_19digamma_kernel_cudaERNS_18TensorIteratorBaseEENKUlvE_clEvENKUlvE1_clEvEUlN3c104HalfEE_NS0_6memory8policies11unroll_baseILi256ESt5arrayIPcLm2EE23TrivialOffsetCalculatorILi1EjESG_NS9_15LoadWithoutCastENS9_16StoreWithoutCastELi8ELi1EEEEEvT0_T1_.num_vgpr)
	.set _ZN2at6native29vectorized_elementwise_kernelILi2EZZZNS0_19digamma_kernel_cudaERNS_18TensorIteratorBaseEENKUlvE_clEvENKUlvE1_clEvEUlN3c104HalfEE_St5arrayIPcLm2EEEEviT0_T1_.num_agpr, max(0, .L_ZN2at6native25elementwise_kernel_helperILb0EZZZNS0_19digamma_kernel_cudaERNS_18TensorIteratorBaseEENKUlvE_clEvENKUlvE1_clEvEUlN3c104HalfEE_NS0_6memory8policies11unroll_baseILi256ESt5arrayIPcLm2EE23TrivialOffsetCalculatorILi1EjESG_NS9_15LoadWithoutCastENS9_16StoreWithoutCastELi8ELi1EEEEEvT0_T1_.num_agpr)
	.set _ZN2at6native29vectorized_elementwise_kernelILi2EZZZNS0_19digamma_kernel_cudaERNS_18TensorIteratorBaseEENKUlvE_clEvENKUlvE1_clEvEUlN3c104HalfEE_St5arrayIPcLm2EEEEviT0_T1_.numbered_sgpr, max(33, .L_ZN2at6native25elementwise_kernel_helperILb0EZZZNS0_19digamma_kernel_cudaERNS_18TensorIteratorBaseEENKUlvE_clEvENKUlvE1_clEvEUlN3c104HalfEE_NS0_6memory8policies11unroll_baseILi256ESt5arrayIPcLm2EE23TrivialOffsetCalculatorILi1EjESG_NS9_15LoadWithoutCastENS9_16StoreWithoutCastELi8ELi1EEEEEvT0_T1_.numbered_sgpr)
	.set _ZN2at6native29vectorized_elementwise_kernelILi2EZZZNS0_19digamma_kernel_cudaERNS_18TensorIteratorBaseEENKUlvE_clEvENKUlvE1_clEvEUlN3c104HalfEE_St5arrayIPcLm2EEEEviT0_T1_.num_named_barrier, max(0, .L_ZN2at6native25elementwise_kernel_helperILb0EZZZNS0_19digamma_kernel_cudaERNS_18TensorIteratorBaseEENKUlvE_clEvENKUlvE1_clEvEUlN3c104HalfEE_NS0_6memory8policies11unroll_baseILi256ESt5arrayIPcLm2EE23TrivialOffsetCalculatorILi1EjESG_NS9_15LoadWithoutCastENS9_16StoreWithoutCastELi8ELi1EEEEEvT0_T1_.num_named_barrier)
	.set _ZN2at6native29vectorized_elementwise_kernelILi2EZZZNS0_19digamma_kernel_cudaERNS_18TensorIteratorBaseEENKUlvE_clEvENKUlvE1_clEvEUlN3c104HalfEE_St5arrayIPcLm2EEEEviT0_T1_.private_seg_size, 0+max(.L_ZN2at6native25elementwise_kernel_helperILb0EZZZNS0_19digamma_kernel_cudaERNS_18TensorIteratorBaseEENKUlvE_clEvENKUlvE1_clEvEUlN3c104HalfEE_NS0_6memory8policies11unroll_baseILi256ESt5arrayIPcLm2EE23TrivialOffsetCalculatorILi1EjESG_NS9_15LoadWithoutCastENS9_16StoreWithoutCastELi8ELi1EEEEEvT0_T1_.private_seg_size)
	.set _ZN2at6native29vectorized_elementwise_kernelILi2EZZZNS0_19digamma_kernel_cudaERNS_18TensorIteratorBaseEENKUlvE_clEvENKUlvE1_clEvEUlN3c104HalfEE_St5arrayIPcLm2EEEEviT0_T1_.uses_vcc, or(1, .L_ZN2at6native25elementwise_kernel_helperILb0EZZZNS0_19digamma_kernel_cudaERNS_18TensorIteratorBaseEENKUlvE_clEvENKUlvE1_clEvEUlN3c104HalfEE_NS0_6memory8policies11unroll_baseILi256ESt5arrayIPcLm2EE23TrivialOffsetCalculatorILi1EjESG_NS9_15LoadWithoutCastENS9_16StoreWithoutCastELi8ELi1EEEEEvT0_T1_.uses_vcc)
	.set _ZN2at6native29vectorized_elementwise_kernelILi2EZZZNS0_19digamma_kernel_cudaERNS_18TensorIteratorBaseEENKUlvE_clEvENKUlvE1_clEvEUlN3c104HalfEE_St5arrayIPcLm2EEEEviT0_T1_.uses_flat_scratch, or(0, .L_ZN2at6native25elementwise_kernel_helperILb0EZZZNS0_19digamma_kernel_cudaERNS_18TensorIteratorBaseEENKUlvE_clEvENKUlvE1_clEvEUlN3c104HalfEE_NS0_6memory8policies11unroll_baseILi256ESt5arrayIPcLm2EE23TrivialOffsetCalculatorILi1EjESG_NS9_15LoadWithoutCastENS9_16StoreWithoutCastELi8ELi1EEEEEvT0_T1_.uses_flat_scratch)
	.set _ZN2at6native29vectorized_elementwise_kernelILi2EZZZNS0_19digamma_kernel_cudaERNS_18TensorIteratorBaseEENKUlvE_clEvENKUlvE1_clEvEUlN3c104HalfEE_St5arrayIPcLm2EEEEviT0_T1_.has_dyn_sized_stack, or(0, .L_ZN2at6native25elementwise_kernel_helperILb0EZZZNS0_19digamma_kernel_cudaERNS_18TensorIteratorBaseEENKUlvE_clEvENKUlvE1_clEvEUlN3c104HalfEE_NS0_6memory8policies11unroll_baseILi256ESt5arrayIPcLm2EE23TrivialOffsetCalculatorILi1EjESG_NS9_15LoadWithoutCastENS9_16StoreWithoutCastELi8ELi1EEEEEvT0_T1_.has_dyn_sized_stack)
	.set _ZN2at6native29vectorized_elementwise_kernelILi2EZZZNS0_19digamma_kernel_cudaERNS_18TensorIteratorBaseEENKUlvE_clEvENKUlvE1_clEvEUlN3c104HalfEE_St5arrayIPcLm2EEEEviT0_T1_.has_recursion, or(0, .L_ZN2at6native25elementwise_kernel_helperILb0EZZZNS0_19digamma_kernel_cudaERNS_18TensorIteratorBaseEENKUlvE_clEvENKUlvE1_clEvEUlN3c104HalfEE_NS0_6memory8policies11unroll_baseILi256ESt5arrayIPcLm2EE23TrivialOffsetCalculatorILi1EjESG_NS9_15LoadWithoutCastENS9_16StoreWithoutCastELi8ELi1EEEEEvT0_T1_.has_recursion)
	.set _ZN2at6native29vectorized_elementwise_kernelILi2EZZZNS0_19digamma_kernel_cudaERNS_18TensorIteratorBaseEENKUlvE_clEvENKUlvE1_clEvEUlN3c104HalfEE_St5arrayIPcLm2EEEEviT0_T1_.has_indirect_call, or(0, .L_ZN2at6native25elementwise_kernel_helperILb0EZZZNS0_19digamma_kernel_cudaERNS_18TensorIteratorBaseEENKUlvE_clEvENKUlvE1_clEvEUlN3c104HalfEE_NS0_6memory8policies11unroll_baseILi256ESt5arrayIPcLm2EE23TrivialOffsetCalculatorILi1EjESG_NS9_15LoadWithoutCastENS9_16StoreWithoutCastELi8ELi1EEEEEvT0_T1_.has_indirect_call)
	.section	.AMDGPU.csdata,"",@progbits
; Kernel info:
; codeLenInByte = 19304
; TotalNumSgprs: 35
; NumVgprs: 66
; ScratchSize: 0
; MemoryBound: 0
; FloatMode: 240
; IeeeMode: 1
; LDSByteSize: 0 bytes/workgroup (compile time only)
; SGPRBlocks: 0
; VGPRBlocks: 8
; NumSGPRsForWavesPerEU: 35
; NumVGPRsForWavesPerEU: 66
; Occupancy: 12
; WaveLimiterHint : 1
; COMPUTE_PGM_RSRC2:SCRATCH_EN: 0
; COMPUTE_PGM_RSRC2:USER_SGPR: 6
; COMPUTE_PGM_RSRC2:TRAP_HANDLER: 0
; COMPUTE_PGM_RSRC2:TGID_X_EN: 1
; COMPUTE_PGM_RSRC2:TGID_Y_EN: 0
; COMPUTE_PGM_RSRC2:TGID_Z_EN: 0
; COMPUTE_PGM_RSRC2:TIDIG_COMP_CNT: 0
	.section	.text._ZN2at6native27unrolled_elementwise_kernelIZZZNS0_19digamma_kernel_cudaERNS_18TensorIteratorBaseEENKUlvE_clEvENKUlvE1_clEvEUlN3c104HalfEE_St5arrayIPcLm2EELi4E23TrivialOffsetCalculatorILi1EjESD_NS0_6memory15LoadWithoutCastENSE_16StoreWithoutCastEEEviT_T0_T2_T3_T4_T5_,"axG",@progbits,_ZN2at6native27unrolled_elementwise_kernelIZZZNS0_19digamma_kernel_cudaERNS_18TensorIteratorBaseEENKUlvE_clEvENKUlvE1_clEvEUlN3c104HalfEE_St5arrayIPcLm2EELi4E23TrivialOffsetCalculatorILi1EjESD_NS0_6memory15LoadWithoutCastENSE_16StoreWithoutCastEEEviT_T0_T2_T3_T4_T5_,comdat
	.globl	_ZN2at6native27unrolled_elementwise_kernelIZZZNS0_19digamma_kernel_cudaERNS_18TensorIteratorBaseEENKUlvE_clEvENKUlvE1_clEvEUlN3c104HalfEE_St5arrayIPcLm2EELi4E23TrivialOffsetCalculatorILi1EjESD_NS0_6memory15LoadWithoutCastENSE_16StoreWithoutCastEEEviT_T0_T2_T3_T4_T5_ ; -- Begin function _ZN2at6native27unrolled_elementwise_kernelIZZZNS0_19digamma_kernel_cudaERNS_18TensorIteratorBaseEENKUlvE_clEvENKUlvE1_clEvEUlN3c104HalfEE_St5arrayIPcLm2EELi4E23TrivialOffsetCalculatorILi1EjESD_NS0_6memory15LoadWithoutCastENSE_16StoreWithoutCastEEEviT_T0_T2_T3_T4_T5_
	.p2align	8
	.type	_ZN2at6native27unrolled_elementwise_kernelIZZZNS0_19digamma_kernel_cudaERNS_18TensorIteratorBaseEENKUlvE_clEvENKUlvE1_clEvEUlN3c104HalfEE_St5arrayIPcLm2EELi4E23TrivialOffsetCalculatorILi1EjESD_NS0_6memory15LoadWithoutCastENSE_16StoreWithoutCastEEEviT_T0_T2_T3_T4_T5_,@function
_ZN2at6native27unrolled_elementwise_kernelIZZZNS0_19digamma_kernel_cudaERNS_18TensorIteratorBaseEENKUlvE_clEvENKUlvE1_clEvEUlN3c104HalfEE_St5arrayIPcLm2EELi4E23TrivialOffsetCalculatorILi1EjESD_NS0_6memory15LoadWithoutCastENSE_16StoreWithoutCastEEEviT_T0_T2_T3_T4_T5_: ; @_ZN2at6native27unrolled_elementwise_kernelIZZZNS0_19digamma_kernel_cudaERNS_18TensorIteratorBaseEENKUlvE_clEvENKUlvE1_clEvEUlN3c104HalfEE_St5arrayIPcLm2EELi4E23TrivialOffsetCalculatorILi1EjESD_NS0_6memory15LoadWithoutCastENSE_16StoreWithoutCastEEEviT_T0_T2_T3_T4_T5_
; %bb.0:
	s_clause 0x1
	s_load_dword s0, s[4:5], 0x0
	s_load_dwordx4 s[8:11], s[4:5], 0x8
	s_lshl_b32 s4, s6, 10
	v_mov_b32_e32 v13, 0
	v_mov_b32_e32 v3, 0
	v_or_b32_e32 v1, s4, v0
	v_or_b32_e32 v8, 0x100, v0
	v_mov_b32_e32 v2, v0
	s_waitcnt lgkmcnt(0)
	s_sub_i32 s5, s0, s4
	v_cmp_gt_i32_e64 s0, s5, v0
	s_and_saveexec_b32 s1, s0
	s_cbranch_execz .LBB26_2
; %bb.1:
	v_mov_b32_e32 v2, 0
	v_lshlrev_b64 v[2:3], 1, v[1:2]
	v_add_co_u32 v2, vcc_lo, s10, v2
	v_add_co_ci_u32_e64 v3, null, s11, v3, vcc_lo
	global_load_ushort v3, v[2:3], off
	v_or_b32_e32 v2, 0x100, v0
.LBB26_2:
	s_or_b32 exec_lo, exec_lo, s1
	s_mov_b32 s1, exec_lo
	v_cmpx_gt_i32_e64 s5, v2
	s_cbranch_execz .LBB26_4
; %bb.3:
	v_add_nc_u32_e32 v4, s4, v2
	v_mov_b32_e32 v5, 0
	v_add_nc_u32_e32 v2, 0x100, v2
	v_lshlrev_b64 v[4:5], 1, v[4:5]
	v_add_co_u32 v4, vcc_lo, s10, v4
	v_add_co_ci_u32_e64 v5, null, s11, v5, vcc_lo
	global_load_ushort v13, v[4:5], off
.LBB26_4:
	s_or_b32 exec_lo, exec_lo, s1
	v_mov_b32_e32 v10, 0
	v_mov_b32_e32 v12, 0
	s_mov_b32 s1, exec_lo
	v_cmpx_gt_i32_e64 s5, v2
	s_cbranch_execz .LBB26_8
; %bb.5:
	v_add_nc_u32_e32 v4, s4, v2
	v_mov_b32_e32 v5, 0
	v_add_nc_u32_e32 v2, 0x100, v2
	v_lshlrev_b64 v[4:5], 1, v[4:5]
	v_add_co_u32 v4, vcc_lo, s10, v4
	v_add_co_ci_u32_e64 v5, null, s11, v5, vcc_lo
	global_load_ushort v12, v[4:5], off
	s_or_b32 exec_lo, exec_lo, s1
	s_mov_b32 s1, exec_lo
	v_cmpx_gt_i32_e64 s5, v2
	s_cbranch_execnz .LBB26_9
.LBB26_6:
	s_or_b32 exec_lo, exec_lo, s1
                                        ; implicit-def: $vgpr9
	s_and_saveexec_b32 s6, s0
	s_cbranch_execnz .LBB26_10
.LBB26_7:
	s_or_b32 exec_lo, exec_lo, s6
	s_mov_b32 s6, exec_lo
                                        ; implicit-def: $vgpr11
	v_cmpx_gt_i32_e64 s5, v8
	s_cbranch_execz .LBB26_60
	s_branch .LBB26_35
.LBB26_8:
	s_or_b32 exec_lo, exec_lo, s1
	s_mov_b32 s1, exec_lo
	v_cmpx_gt_i32_e64 s5, v2
	s_cbranch_execz .LBB26_6
.LBB26_9:
	v_add_nc_u32_e32 v4, s4, v2
	v_mov_b32_e32 v5, 0
	v_lshlrev_b64 v[4:5], 1, v[4:5]
	v_add_co_u32 v4, vcc_lo, s10, v4
	v_add_co_ci_u32_e64 v5, null, s11, v5, vcc_lo
	global_load_ushort v10, v[4:5], off
	s_or_b32 exec_lo, exec_lo, s1
                                        ; implicit-def: $vgpr9
	s_and_saveexec_b32 s6, s0
	s_cbranch_execz .LBB26_7
.LBB26_10:
	s_waitcnt vmcnt(0)
	v_cvt_f32_f16_e32 v11, v3
                                        ; implicit-def: $vgpr9
	s_mov_b32 s1, exec_lo
	v_cmpx_neq_f16_e32 0, v3
	s_xor_b32 s7, exec_lo, s1
	s_cbranch_execz .LBB26_32
; %bb.11:
	v_mov_b32_e32 v2, 0
	s_mov_b32 s1, -1
	s_mov_b32 s10, exec_lo
	v_cmpx_gt_f16_e32 0, v3
	s_cbranch_execz .LBB26_19
; %bb.12:
	v_trunc_f32_e32 v2, v11
	s_mov_b32 s2, 0
	v_cmp_neq_f32_e32 vcc_lo, v2, v11
	v_mov_b32_e32 v2, 0
	s_and_saveexec_b32 s11, vcc_lo
	s_cbranch_execz .LBB26_18
; %bb.13:
	v_cvt_f32_f16_e32 v2, v3
	s_mov_b32 s3, 0xc00921fb
	s_mov_b32 s2, 0x54442d18
                                        ; implicit-def: $vgpr9
                                        ; implicit-def: $vgpr6_vgpr7
	v_cvt_f64_f32_e32 v[2:3], v2
	v_trunc_f64_e32 v[4:5], v[2:3]
	v_cmp_neq_f64_e64 vcc_lo, 0x7ff00000, |v[2:3]|
	v_add_f64 v[4:5], v[2:3], -v[4:5]
	v_mul_f64 v[4:5], |v[4:5]|, s[2:3]
	v_cndmask_b32_e32 v3, 0x80000000, v5, vcc_lo
	v_cndmask_b32_e32 v2, 0, v4, vcc_lo
                                        ; implicit-def: $vgpr4_vgpr5
	v_cmp_ngt_f64_e64 s1, 0x41d00000, |v[2:3]|
	s_and_saveexec_b32 s3, s1
	s_xor_b32 s1, exec_lo, s3
	s_cbranch_execz .LBB26_15
; %bb.14:
	v_ldexp_f64 v[4:5], |v[2:3]|, 0xffffff80
	v_cmp_le_f64_e64 vcc_lo, 0x7b000000, |v[2:3]|
	v_trig_preop_f64 v[6:7], |v[2:3]|, 0
	v_and_b32_e32 v9, 0x7fffffff, v3
	v_trig_preop_f64 v[14:15], |v[2:3]|, 1
	v_trig_preop_f64 v[24:25], |v[2:3]|, 2
	v_mov_b32_e32 v32, 0
	s_mov_b32 s3, 0x3ff921fb
	s_mov_b32 s12, 0x33145c07
	;; [unrolled: 1-line block ×3, first 2 shown]
	v_cndmask_b32_e32 v5, v9, v5, vcc_lo
	v_cndmask_b32_e32 v4, v2, v4, vcc_lo
	v_mul_f64 v[16:17], v[6:7], v[4:5]
	v_mul_f64 v[18:19], v[14:15], v[4:5]
	;; [unrolled: 1-line block ×3, first 2 shown]
	v_fma_f64 v[6:7], v[6:7], v[4:5], -v[16:17]
	v_fma_f64 v[14:15], v[14:15], v[4:5], -v[18:19]
	;; [unrolled: 1-line block ×3, first 2 shown]
	v_add_f64 v[20:21], v[18:19], v[6:7]
	v_add_f64 v[22:23], v[20:21], -v[18:19]
	v_add_f64 v[28:29], v[16:17], v[20:21]
	v_add_f64 v[26:27], v[20:21], -v[22:23]
	v_add_f64 v[6:7], v[6:7], -v[22:23]
	v_ldexp_f64 v[22:23], v[28:29], -2
	v_add_f64 v[16:17], v[28:29], -v[16:17]
	v_add_f64 v[18:19], v[18:19], -v[26:27]
	v_add_f64 v[26:27], v[30:31], v[14:15]
	v_cmp_neq_f64_e64 vcc_lo, 0x7ff00000, |v[22:23]|
	v_add_f64 v[16:17], v[20:21], -v[16:17]
	v_add_f64 v[6:7], v[6:7], v[18:19]
	v_fract_f64_e32 v[18:19], v[22:23]
	v_add_f64 v[20:21], v[26:27], v[6:7]
	v_ldexp_f64 v[18:19], v[18:19], 2
	v_add_f64 v[22:23], v[16:17], v[20:21]
	v_cndmask_b32_e32 v19, 0, v19, vcc_lo
	v_cndmask_b32_e32 v18, 0, v18, vcc_lo
	v_add_f64 v[28:29], v[22:23], v[18:19]
	v_add_f64 v[16:17], v[22:23], -v[16:17]
	v_cmp_gt_f64_e32 vcc_lo, 0, v[28:29]
	v_add_f64 v[28:29], v[26:27], -v[30:31]
	v_add_f64 v[16:17], v[20:21], -v[16:17]
	v_cndmask_b32_e64 v33, 0, 0x40100000, vcc_lo
	v_add_f64 v[37:38], v[26:27], -v[28:29]
	v_add_f64 v[14:15], v[14:15], -v[28:29]
	v_add_f64 v[18:19], v[18:19], v[32:33]
	v_add_f64 v[33:34], v[20:21], -v[26:27]
	v_add_f64 v[28:29], v[30:31], -v[37:38]
	v_add_f64 v[35:36], v[22:23], v[18:19]
	;; [unrolled: 3-line block ×3, first 2 shown]
	v_cvt_i32_f64_e32 v9, v[35:36]
	v_add_f64 v[26:27], v[26:27], -v[39:40]
	v_cvt_f64_i32_e32 v[33:34], v9
	v_add_f64 v[6:7], v[6:7], v[26:27]
	v_add_f64 v[18:19], v[18:19], -v[33:34]
	v_add_f64 v[6:7], v[14:15], v[6:7]
	v_add_f64 v[14:15], v[22:23], v[18:19]
	;; [unrolled: 1-line block ×3, first 2 shown]
	v_add_f64 v[6:7], v[14:15], -v[18:19]
	v_cmp_le_f64_e32 vcc_lo, 0.5, v[14:15]
	v_add_f64 v[4:5], v[16:17], v[4:5]
	v_add_f64 v[6:7], v[22:23], -v[6:7]
	v_cndmask_b32_e64 v33, 0, 0x3ff00000, vcc_lo
	v_add_co_ci_u32_e64 v9, null, 0, v9, vcc_lo
	v_add_f64 v[4:5], v[4:5], v[6:7]
	v_add_f64 v[6:7], v[14:15], -v[32:33]
	v_add_f64 v[14:15], v[6:7], v[4:5]
	v_mul_f64 v[16:17], v[14:15], s[2:3]
	v_add_f64 v[6:7], v[14:15], -v[6:7]
	v_fma_f64 v[18:19], v[14:15], s[2:3], -v[16:17]
	v_add_f64 v[4:5], v[4:5], -v[6:7]
	v_fma_f64 v[6:7], v[14:15], s[12:13], v[18:19]
	v_fma_f64 v[6:7], v[4:5], s[2:3], v[6:7]
	v_add_f64 v[4:5], v[16:17], v[6:7]
	v_add_f64 v[14:15], v[4:5], -v[16:17]
	v_add_f64 v[6:7], v[6:7], -v[14:15]
.LBB26_15:
	s_andn2_saveexec_b32 s1, s1
	s_cbranch_execz .LBB26_17
; %bb.16:
	s_mov_b32 s2, 0x6dc9c883
	s_mov_b32 s3, 0x3fe45f30
	;; [unrolled: 1-line block ×3, first 2 shown]
	v_mul_f64 v[4:5], |v[2:3]|, s[2:3]
	s_mov_b32 s2, 0x54442d18
	s_mov_b32 s3, 0xbff921fb
	s_mov_b32 s12, 0x33145c00
	v_rndne_f64_e32 v[14:15], v[4:5]
	v_fma_f64 v[4:5], v[14:15], s[2:3], |v[2:3]|
	v_mul_f64 v[6:7], v[14:15], s[12:13]
	s_mov_b32 s2, 0x252049c0
	s_mov_b32 s3, 0xb97b839a
	v_cvt_i32_f64_e32 v9, v[14:15]
	v_fma_f64 v[18:19], v[14:15], s[12:13], v[4:5]
	v_add_f64 v[16:17], v[4:5], v[6:7]
	s_mov_b32 s13, 0x3c91a626
	v_add_f64 v[4:5], v[4:5], -v[16:17]
	v_add_f64 v[16:17], v[16:17], -v[18:19]
	v_add_f64 v[4:5], v[4:5], v[6:7]
	v_fma_f64 v[6:7], v[14:15], s[12:13], v[6:7]
	v_add_f64 v[4:5], v[16:17], v[4:5]
	v_add_f64 v[4:5], v[4:5], -v[6:7]
	v_fma_f64 v[6:7], v[14:15], s[2:3], v[4:5]
	v_add_f64 v[4:5], v[18:19], v[6:7]
	v_add_f64 v[16:17], v[4:5], -v[18:19]
	v_add_f64 v[6:7], v[6:7], -v[16:17]
.LBB26_17:
	s_or_b32 exec_lo, exec_lo, s1
	v_mul_f64 v[14:15], v[4:5], v[4:5]
	v_add_f64 v[16:17], v[6:7], v[6:7]
	s_mov_b32 s12, 0xa9a29f71
	s_mov_b32 s14, 0xc751c08c
	;; [unrolled: 1-line block ×4, first 2 shown]
	v_cmp_class_f64_e64 s1, v[2:3], 0x1f8
	v_and_b32_e32 v9, 1, v9
	v_and_b32_e32 v3, 0x80000000, v3
	v_sub_f32_e32 v11, 1.0, v11
	s_mov_b32 s2, exec_lo
	v_cmp_eq_u32_e32 vcc_lo, 0, v9
	v_fma_f64 v[18:19], v[4:5], v[4:5], -v[14:15]
	v_fma_f64 v[16:17], v[4:5], v[16:17], v[18:19]
	v_add_f64 v[14:15], v[14:15], v[16:17]
	v_fma_f64 v[16:17], v[14:15], s[14:15], s[12:13]
	s_mov_b32 s12, 0x90a8aae0
	s_mov_b32 s13, 0x3f17746f
	v_fma_f64 v[16:17], v[14:15], v[16:17], s[12:13]
	s_mov_b32 s12, 0xa6fbf144
	s_mov_b32 s13, 0xbefbb44d
	;; [unrolled: 3-line block ×13, first 2 shown]
	v_mul_f64 v[14:15], v[14:15], v[16:17]
	v_mul_f64 v[16:17], v[4:5], v[14:15]
	v_add_f64 v[18:19], v[4:5], v[16:17]
	v_fma_f64 v[14:15], v[4:5], v[14:15], -v[16:17]
	v_add_f64 v[4:5], v[18:19], -v[4:5]
	v_add_f64 v[6:7], v[6:7], v[14:15]
	v_add_f64 v[4:5], v[16:17], -v[4:5]
	v_add_f64 v[4:5], v[6:7], v[4:5]
	v_add_f64 v[6:7], v[18:19], v[4:5]
	v_rcp_f64_e32 v[14:15], v[6:7]
	v_fma_f64 v[16:17], -v[6:7], v[14:15], 1.0
	v_fma_f64 v[14:15], v[16:17], v[14:15], v[14:15]
	v_fma_f64 v[16:17], -v[6:7], v[14:15], 1.0
	v_fma_f64 v[14:15], v[16:17], v[14:15], v[14:15]
	v_add_f64 v[16:17], v[6:7], -v[18:19]
	v_mul_f64 v[18:19], v[6:7], v[14:15]
	v_add_f64 v[4:5], v[4:5], -v[16:17]
	v_fma_f64 v[16:17], v[14:15], v[6:7], -v[18:19]
	v_fma_f64 v[4:5], v[14:15], v[4:5], v[16:17]
	v_add_f64 v[16:17], v[18:19], v[4:5]
	v_add_f64 v[20:21], -v[16:17], 1.0
	v_add_f64 v[18:19], v[16:17], -v[18:19]
	v_add_f64 v[22:23], -v[20:21], 1.0
	v_add_f64 v[4:5], v[18:19], -v[4:5]
	v_add_f64 v[16:17], v[22:23], -v[16:17]
	v_add_f64 v[4:5], v[4:5], v[16:17]
	v_add_f64 v[4:5], v[20:21], v[4:5]
	v_mul_f64 v[4:5], v[14:15], v[4:5]
	v_add_f64 v[4:5], v[14:15], v[4:5]
	v_xor_b32_e32 v2, 0x80000000, v5
	v_cndmask_b32_e32 v4, v4, v6, vcc_lo
	v_cndmask_b32_e32 v2, v2, v7, vcc_lo
	v_xor_b32_e32 v3, v2, v3
	v_cndmask_b32_e64 v2, 0, v4, s1
	v_cndmask_b32_e64 v3, 0x7ff80000, v3, s1
	v_div_scale_f64 v[4:5], null, v[2:3], v[2:3], s[12:13]
	v_rcp_f64_e32 v[6:7], v[4:5]
	v_fma_f64 v[14:15], -v[4:5], v[6:7], 1.0
	v_fma_f64 v[6:7], v[6:7], v[14:15], v[6:7]
	v_fma_f64 v[14:15], -v[4:5], v[6:7], 1.0
	v_fma_f64 v[6:7], v[6:7], v[14:15], v[6:7]
	v_div_scale_f64 v[14:15], vcc_lo, s[12:13], v[2:3], s[12:13]
	v_mul_f64 v[16:17], v[14:15], v[6:7]
	v_fma_f64 v[4:5], -v[4:5], v[16:17], v[14:15]
	v_div_fmas_f64 v[4:5], v[4:5], v[6:7], v[16:17]
	v_div_fixup_f64 v[2:3], v[4:5], v[2:3], s[12:13]
	v_cvt_f32_f64_e32 v2, v[2:3]
.LBB26_18:
	s_or_b32 exec_lo, exec_lo, s11
	s_orn2_b32 s1, s2, exec_lo
.LBB26_19:
	s_or_b32 exec_lo, exec_lo, s10
	v_mov_b32_e32 v9, 0x7e00
	s_and_saveexec_b32 s3, s1
	s_cbranch_execz .LBB26_31
; %bb.20:
	s_mov_b32 s1, exec_lo
	v_cmpx_gt_f32_e32 0x41200000, v11
	s_cbranch_execz .LBB26_24
; %bb.21:
	s_mov_b32 s2, 0
	.p2align	6
.LBB26_22:                              ; =>This Inner Loop Header: Depth=1
	v_div_scale_f32 v3, null, v11, v11, 1.0
	v_div_scale_f32 v6, vcc_lo, 1.0, v11, 1.0
	v_rcp_f32_e32 v4, v3
	v_fma_f32 v5, -v3, v4, 1.0
	v_fmac_f32_e32 v4, v5, v4
	v_mul_f32_e32 v5, v6, v4
	v_fma_f32 v7, -v3, v5, v6
	v_fmac_f32_e32 v5, v7, v4
	v_fma_f32 v3, -v3, v5, v6
	v_div_fmas_f32 v3, v3, v4, v5
	v_div_fixup_f32 v3, v3, v11, 1.0
	v_add_f32_e32 v11, 1.0, v11
	v_sub_f32_e32 v2, v2, v3
	v_cmp_ngt_f32_e32 vcc_lo, 0x41200000, v11
	s_or_b32 s2, vcc_lo, s2
	s_andn2_b32 exec_lo, exec_lo, s2
	s_cbranch_execnz .LBB26_22
; %bb.23:
	s_or_b32 exec_lo, exec_lo, s2
.LBB26_24:
	s_or_b32 exec_lo, exec_lo, s1
                                        ; implicit-def: $vgpr9
	s_mov_b32 s1, exec_lo
	v_cmpx_neq_f32_e32 0x41200000, v11
	s_xor_b32 s10, exec_lo, s1
	s_cbranch_execz .LBB26_28
; %bb.25:
	v_cvt_f64_f32_e32 v[3:4], v11
	s_mov_b32 s12, 0x85d8a000
	s_mov_b32 s13, 0x43763457
	v_cmp_gt_f64_e32 vcc_lo, s[12:13], v[3:4]
	v_mov_b32_e32 v3, 0
	s_and_saveexec_b32 s1, vcc_lo
	s_cbranch_execz .LBB26_27
; %bb.26:
	v_mul_f32_e32 v3, v11, v11
	v_div_scale_f32 v4, null, v3, v3, 1.0
	v_rcp_f32_e32 v5, v4
	v_fma_f32 v6, -v4, v5, 1.0
	v_fmac_f32_e32 v5, v6, v5
	v_div_scale_f32 v6, vcc_lo, 1.0, v3, 1.0
	v_mul_f32_e32 v7, v6, v5
	v_fma_f32 v9, -v4, v7, v6
	v_fmac_f32_e32 v7, v9, v5
	v_fma_f32 v4, -v4, v7, v6
	v_div_fmas_f32 v4, v4, v5, v7
	v_div_fixup_f32 v3, v4, v3, 1.0
	v_fmaak_f32 v4, 0, v3, 0x3daaaaab
	v_fmaak_f32 v4, v3, v4, 0xbcaccacd
	;; [unrolled: 1-line block ×7, first 2 shown]
	v_mul_f32_e32 v3, v3, v4
.LBB26_27:
	s_or_b32 exec_lo, exec_lo, s1
	v_cmp_gt_f32_e32 vcc_lo, 0x800000, v11
	v_div_scale_f32 v4, null, v11, v11, -0.5
	v_div_scale_f32 v9, s1, -0.5, v11, -0.5
	v_cndmask_b32_e64 v5, 0, 32, vcc_lo
	v_rcp_f32_e32 v6, v4
	v_ldexp_f32 v5, v11, v5
	v_log_f32_e32 v5, v5
	v_fma_f32 v7, -v4, v6, 1.0
	v_fmac_f32_e32 v6, v7, v6
	v_mul_f32_e32 v7, 0x3f317217, v5
	v_mul_f32_e32 v14, v9, v6
	v_cmp_gt_f32_e64 s2, 0x7f800000, |v5|
	v_fma_f32 v7, 0x3f317217, v5, -v7
	v_fma_f32 v15, -v4, v14, v9
	v_fmamk_f32 v7, v5, 0x3377d1cf, v7
	v_fmac_f32_e32 v14, v15, v6
	v_fmac_f32_e32 v7, 0x3f317217, v5
	v_fma_f32 v4, -v4, v14, v9
	v_cndmask_b32_e64 v5, v5, v7, s2
	v_cndmask_b32_e64 v7, 0, 0x41b17218, vcc_lo
	s_mov_b32 vcc_lo, s1
	v_div_fmas_f32 v4, v4, v6, v14
	v_sub_f32_e32 v5, v5, v7
	v_div_fixup_f32 v4, v4, v11, -0.5
	v_add_f32_e32 v4, v5, v4
	v_sub_f32_e32 v3, v4, v3
	v_add_f32_e32 v2, v2, v3
	v_cvt_f16_f32_e32 v9, v2
                                        ; implicit-def: $vgpr2
.LBB26_28:
	s_andn2_saveexec_b32 s1, s10
; %bb.29:
	v_add_f32_e32 v2, 0x40101cb7, v2
	v_cvt_f16_f32_e32 v9, v2
; %bb.30:
	s_or_b32 exec_lo, exec_lo, s1
.LBB26_31:
	s_or_b32 exec_lo, exec_lo, s3
                                        ; implicit-def: $vgpr11
.LBB26_32:
	s_andn2_saveexec_b32 s1, s7
; %bb.33:
	v_xor_b32_e32 v2, 0x80000000, v11
	s_movk_i32 s2, 0x7c00
	v_lshrrev_b32_e32 v2, 16, v2
	v_bfi_b32 v9, 0x7fff, s2, v2
; %bb.34:
	s_or_b32 exec_lo, exec_lo, s1
	s_or_b32 exec_lo, exec_lo, s6
	s_mov_b32 s6, exec_lo
                                        ; implicit-def: $vgpr11
	v_cmpx_gt_i32_e64 s5, v8
	s_cbranch_execz .LBB26_60
.LBB26_35:
	s_waitcnt vmcnt(0)
	v_cvt_f32_f16_e32 v14, v13
                                        ; implicit-def: $vgpr11
	s_mov_b32 s1, exec_lo
	v_cmpx_neq_f16_e32 0, v13
	s_xor_b32 s7, exec_lo, s1
	s_cbranch_execz .LBB26_57
; %bb.36:
	v_mov_b32_e32 v2, 0
	s_mov_b32 s1, -1
	s_mov_b32 s10, exec_lo
	v_cmpx_gt_f16_e32 0, v13
	s_cbranch_execz .LBB26_44
; %bb.37:
	v_trunc_f32_e32 v2, v14
	s_mov_b32 s2, 0
	v_cmp_neq_f32_e32 vcc_lo, v2, v14
	v_mov_b32_e32 v2, 0
	s_and_saveexec_b32 s11, vcc_lo
	s_cbranch_execz .LBB26_43
; %bb.38:
	v_cvt_f32_f16_e32 v2, v13
	s_mov_b32 s3, 0xc00921fb
	s_mov_b32 s2, 0x54442d18
                                        ; implicit-def: $vgpr11
                                        ; implicit-def: $vgpr6_vgpr7
	v_cvt_f64_f32_e32 v[2:3], v2
	v_trunc_f64_e32 v[4:5], v[2:3]
	v_cmp_neq_f64_e64 vcc_lo, 0x7ff00000, |v[2:3]|
	v_add_f64 v[4:5], v[2:3], -v[4:5]
	v_mul_f64 v[4:5], |v[4:5]|, s[2:3]
	v_cndmask_b32_e32 v3, 0x80000000, v5, vcc_lo
	v_cndmask_b32_e32 v2, 0, v4, vcc_lo
                                        ; implicit-def: $vgpr4_vgpr5
	v_cmp_ngt_f64_e64 s1, 0x41d00000, |v[2:3]|
	s_and_saveexec_b32 s3, s1
	s_xor_b32 s1, exec_lo, s3
	s_cbranch_execz .LBB26_40
; %bb.39:
	v_ldexp_f64 v[4:5], |v[2:3]|, 0xffffff80
	v_cmp_le_f64_e64 vcc_lo, 0x7b000000, |v[2:3]|
	v_trig_preop_f64 v[6:7], |v[2:3]|, 0
	v_and_b32_e32 v11, 0x7fffffff, v3
	v_trig_preop_f64 v[15:16], |v[2:3]|, 1
	v_trig_preop_f64 v[25:26], |v[2:3]|, 2
	v_mov_b32_e32 v33, 0
	s_mov_b32 s3, 0x3ff921fb
	s_mov_b32 s12, 0x33145c07
	;; [unrolled: 1-line block ×3, first 2 shown]
	v_cndmask_b32_e32 v5, v11, v5, vcc_lo
	v_cndmask_b32_e32 v4, v2, v4, vcc_lo
	v_mul_f64 v[17:18], v[6:7], v[4:5]
	v_mul_f64 v[19:20], v[15:16], v[4:5]
	;; [unrolled: 1-line block ×3, first 2 shown]
	v_fma_f64 v[6:7], v[6:7], v[4:5], -v[17:18]
	v_fma_f64 v[15:16], v[15:16], v[4:5], -v[19:20]
	v_fma_f64 v[4:5], v[25:26], v[4:5], -v[31:32]
	v_add_f64 v[21:22], v[19:20], v[6:7]
	v_add_f64 v[23:24], v[21:22], -v[19:20]
	v_add_f64 v[29:30], v[17:18], v[21:22]
	v_add_f64 v[27:28], v[21:22], -v[23:24]
	v_add_f64 v[6:7], v[6:7], -v[23:24]
	v_ldexp_f64 v[23:24], v[29:30], -2
	v_add_f64 v[17:18], v[29:30], -v[17:18]
	v_add_f64 v[19:20], v[19:20], -v[27:28]
	v_add_f64 v[27:28], v[31:32], v[15:16]
	v_cmp_neq_f64_e64 vcc_lo, 0x7ff00000, |v[23:24]|
	v_add_f64 v[17:18], v[21:22], -v[17:18]
	v_add_f64 v[6:7], v[6:7], v[19:20]
	v_fract_f64_e32 v[19:20], v[23:24]
	v_add_f64 v[21:22], v[27:28], v[6:7]
	v_ldexp_f64 v[19:20], v[19:20], 2
	v_add_f64 v[23:24], v[17:18], v[21:22]
	v_cndmask_b32_e32 v20, 0, v20, vcc_lo
	v_cndmask_b32_e32 v19, 0, v19, vcc_lo
	v_add_f64 v[29:30], v[23:24], v[19:20]
	v_add_f64 v[17:18], v[23:24], -v[17:18]
	v_cmp_gt_f64_e32 vcc_lo, 0, v[29:30]
	v_add_f64 v[29:30], v[27:28], -v[31:32]
	v_add_f64 v[17:18], v[21:22], -v[17:18]
	v_cndmask_b32_e64 v34, 0, 0x40100000, vcc_lo
	v_add_f64 v[38:39], v[27:28], -v[29:30]
	v_add_f64 v[15:16], v[15:16], -v[29:30]
	v_add_f64 v[19:20], v[19:20], v[33:34]
	v_add_f64 v[34:35], v[21:22], -v[27:28]
	v_add_f64 v[29:30], v[31:32], -v[38:39]
	v_add_f64 v[36:37], v[23:24], v[19:20]
	;; [unrolled: 3-line block ×3, first 2 shown]
	v_cvt_i32_f64_e32 v11, v[36:37]
	v_add_f64 v[27:28], v[27:28], -v[40:41]
	v_cvt_f64_i32_e32 v[34:35], v11
	v_add_f64 v[6:7], v[6:7], v[27:28]
	v_add_f64 v[19:20], v[19:20], -v[34:35]
	v_add_f64 v[6:7], v[15:16], v[6:7]
	v_add_f64 v[15:16], v[23:24], v[19:20]
	;; [unrolled: 1-line block ×3, first 2 shown]
	v_add_f64 v[6:7], v[15:16], -v[19:20]
	v_cmp_le_f64_e32 vcc_lo, 0.5, v[15:16]
	v_add_f64 v[4:5], v[17:18], v[4:5]
	v_add_f64 v[6:7], v[23:24], -v[6:7]
	v_cndmask_b32_e64 v34, 0, 0x3ff00000, vcc_lo
	v_add_co_ci_u32_e64 v11, null, 0, v11, vcc_lo
	v_add_f64 v[4:5], v[4:5], v[6:7]
	v_add_f64 v[6:7], v[15:16], -v[33:34]
	v_add_f64 v[15:16], v[6:7], v[4:5]
	v_mul_f64 v[17:18], v[15:16], s[2:3]
	v_add_f64 v[6:7], v[15:16], -v[6:7]
	v_fma_f64 v[19:20], v[15:16], s[2:3], -v[17:18]
	v_add_f64 v[4:5], v[4:5], -v[6:7]
	v_fma_f64 v[6:7], v[15:16], s[12:13], v[19:20]
	v_fma_f64 v[6:7], v[4:5], s[2:3], v[6:7]
	v_add_f64 v[4:5], v[17:18], v[6:7]
	v_add_f64 v[15:16], v[4:5], -v[17:18]
	v_add_f64 v[6:7], v[6:7], -v[15:16]
.LBB26_40:
	s_andn2_saveexec_b32 s1, s1
	s_cbranch_execz .LBB26_42
; %bb.41:
	s_mov_b32 s2, 0x6dc9c883
	s_mov_b32 s3, 0x3fe45f30
	;; [unrolled: 1-line block ×3, first 2 shown]
	v_mul_f64 v[4:5], |v[2:3]|, s[2:3]
	s_mov_b32 s2, 0x54442d18
	s_mov_b32 s3, 0xbff921fb
	;; [unrolled: 1-line block ×3, first 2 shown]
	v_rndne_f64_e32 v[15:16], v[4:5]
	v_fma_f64 v[4:5], v[15:16], s[2:3], |v[2:3]|
	v_mul_f64 v[6:7], v[15:16], s[12:13]
	s_mov_b32 s2, 0x252049c0
	s_mov_b32 s3, 0xb97b839a
	v_cvt_i32_f64_e32 v11, v[15:16]
	v_fma_f64 v[19:20], v[15:16], s[12:13], v[4:5]
	v_add_f64 v[17:18], v[4:5], v[6:7]
	s_mov_b32 s13, 0x3c91a626
	v_add_f64 v[4:5], v[4:5], -v[17:18]
	v_add_f64 v[17:18], v[17:18], -v[19:20]
	v_add_f64 v[4:5], v[4:5], v[6:7]
	v_fma_f64 v[6:7], v[15:16], s[12:13], v[6:7]
	v_add_f64 v[4:5], v[17:18], v[4:5]
	v_add_f64 v[4:5], v[4:5], -v[6:7]
	v_fma_f64 v[6:7], v[15:16], s[2:3], v[4:5]
	v_add_f64 v[4:5], v[19:20], v[6:7]
	v_add_f64 v[17:18], v[4:5], -v[19:20]
	v_add_f64 v[6:7], v[6:7], -v[17:18]
.LBB26_42:
	s_or_b32 exec_lo, exec_lo, s1
	v_mul_f64 v[15:16], v[4:5], v[4:5]
	v_add_f64 v[17:18], v[6:7], v[6:7]
	s_mov_b32 s12, 0xa9a29f71
	s_mov_b32 s14, 0xc751c08c
	;; [unrolled: 1-line block ×4, first 2 shown]
	v_cmp_class_f64_e64 s1, v[2:3], 0x1f8
	v_and_b32_e32 v11, 1, v11
	v_and_b32_e32 v3, 0x80000000, v3
	v_sub_f32_e32 v14, 1.0, v14
	s_mov_b32 s2, exec_lo
	v_cmp_eq_u32_e32 vcc_lo, 0, v11
	v_fma_f64 v[19:20], v[4:5], v[4:5], -v[15:16]
	v_fma_f64 v[17:18], v[4:5], v[17:18], v[19:20]
	v_add_f64 v[15:16], v[15:16], v[17:18]
	v_fma_f64 v[17:18], v[15:16], s[14:15], s[12:13]
	s_mov_b32 s12, 0x90a8aae0
	s_mov_b32 s13, 0x3f17746f
	v_fma_f64 v[17:18], v[15:16], v[17:18], s[12:13]
	s_mov_b32 s12, 0xa6fbf144
	s_mov_b32 s13, 0xbefbb44d
	;; [unrolled: 3-line block ×13, first 2 shown]
	v_mul_f64 v[15:16], v[15:16], v[17:18]
	v_mul_f64 v[17:18], v[4:5], v[15:16]
	v_add_f64 v[19:20], v[4:5], v[17:18]
	v_fma_f64 v[15:16], v[4:5], v[15:16], -v[17:18]
	v_add_f64 v[4:5], v[19:20], -v[4:5]
	v_add_f64 v[6:7], v[6:7], v[15:16]
	v_add_f64 v[4:5], v[17:18], -v[4:5]
	v_add_f64 v[4:5], v[6:7], v[4:5]
	v_add_f64 v[6:7], v[19:20], v[4:5]
	v_rcp_f64_e32 v[15:16], v[6:7]
	v_fma_f64 v[17:18], -v[6:7], v[15:16], 1.0
	v_fma_f64 v[15:16], v[17:18], v[15:16], v[15:16]
	v_fma_f64 v[17:18], -v[6:7], v[15:16], 1.0
	v_fma_f64 v[15:16], v[17:18], v[15:16], v[15:16]
	v_add_f64 v[17:18], v[6:7], -v[19:20]
	v_mul_f64 v[19:20], v[6:7], v[15:16]
	v_add_f64 v[4:5], v[4:5], -v[17:18]
	v_fma_f64 v[17:18], v[15:16], v[6:7], -v[19:20]
	v_fma_f64 v[4:5], v[15:16], v[4:5], v[17:18]
	v_add_f64 v[17:18], v[19:20], v[4:5]
	v_add_f64 v[21:22], -v[17:18], 1.0
	v_add_f64 v[19:20], v[17:18], -v[19:20]
	v_add_f64 v[23:24], -v[21:22], 1.0
	v_add_f64 v[4:5], v[19:20], -v[4:5]
	v_add_f64 v[17:18], v[23:24], -v[17:18]
	v_add_f64 v[4:5], v[4:5], v[17:18]
	v_add_f64 v[4:5], v[21:22], v[4:5]
	v_mul_f64 v[4:5], v[15:16], v[4:5]
	v_add_f64 v[4:5], v[15:16], v[4:5]
	v_xor_b32_e32 v2, 0x80000000, v5
	v_cndmask_b32_e32 v4, v4, v6, vcc_lo
	v_cndmask_b32_e32 v2, v2, v7, vcc_lo
	v_xor_b32_e32 v3, v2, v3
	v_cndmask_b32_e64 v2, 0, v4, s1
	v_cndmask_b32_e64 v3, 0x7ff80000, v3, s1
	v_div_scale_f64 v[4:5], null, v[2:3], v[2:3], s[12:13]
	v_rcp_f64_e32 v[6:7], v[4:5]
	v_fma_f64 v[15:16], -v[4:5], v[6:7], 1.0
	v_fma_f64 v[6:7], v[6:7], v[15:16], v[6:7]
	v_fma_f64 v[15:16], -v[4:5], v[6:7], 1.0
	v_fma_f64 v[6:7], v[6:7], v[15:16], v[6:7]
	v_div_scale_f64 v[15:16], vcc_lo, s[12:13], v[2:3], s[12:13]
	v_mul_f64 v[17:18], v[15:16], v[6:7]
	v_fma_f64 v[4:5], -v[4:5], v[17:18], v[15:16]
	v_div_fmas_f64 v[4:5], v[4:5], v[6:7], v[17:18]
	v_div_fixup_f64 v[2:3], v[4:5], v[2:3], s[12:13]
	v_cvt_f32_f64_e32 v2, v[2:3]
.LBB26_43:
	s_or_b32 exec_lo, exec_lo, s11
	s_orn2_b32 s1, s2, exec_lo
.LBB26_44:
	s_or_b32 exec_lo, exec_lo, s10
	v_mov_b32_e32 v11, 0x7e00
	s_and_saveexec_b32 s3, s1
	s_cbranch_execz .LBB26_56
; %bb.45:
	s_mov_b32 s1, exec_lo
	v_cmpx_gt_f32_e32 0x41200000, v14
	s_cbranch_execz .LBB26_49
; %bb.46:
	s_mov_b32 s2, 0
	.p2align	6
.LBB26_47:                              ; =>This Inner Loop Header: Depth=1
	v_div_scale_f32 v3, null, v14, v14, 1.0
	v_div_scale_f32 v6, vcc_lo, 1.0, v14, 1.0
	v_rcp_f32_e32 v4, v3
	v_fma_f32 v5, -v3, v4, 1.0
	v_fmac_f32_e32 v4, v5, v4
	v_mul_f32_e32 v5, v6, v4
	v_fma_f32 v7, -v3, v5, v6
	v_fmac_f32_e32 v5, v7, v4
	v_fma_f32 v3, -v3, v5, v6
	v_div_fmas_f32 v3, v3, v4, v5
	v_div_fixup_f32 v3, v3, v14, 1.0
	v_add_f32_e32 v14, 1.0, v14
	v_sub_f32_e32 v2, v2, v3
	v_cmp_ngt_f32_e32 vcc_lo, 0x41200000, v14
	s_or_b32 s2, vcc_lo, s2
	s_andn2_b32 exec_lo, exec_lo, s2
	s_cbranch_execnz .LBB26_47
; %bb.48:
	s_or_b32 exec_lo, exec_lo, s2
.LBB26_49:
	s_or_b32 exec_lo, exec_lo, s1
                                        ; implicit-def: $vgpr11
	s_mov_b32 s1, exec_lo
	v_cmpx_neq_f32_e32 0x41200000, v14
	s_xor_b32 s10, exec_lo, s1
	s_cbranch_execz .LBB26_53
; %bb.50:
	v_cvt_f64_f32_e32 v[3:4], v14
	s_mov_b32 s12, 0x85d8a000
	s_mov_b32 s13, 0x43763457
	v_cmp_gt_f64_e32 vcc_lo, s[12:13], v[3:4]
	v_mov_b32_e32 v3, 0
	s_and_saveexec_b32 s1, vcc_lo
	s_cbranch_execz .LBB26_52
; %bb.51:
	v_mul_f32_e32 v3, v14, v14
	v_div_scale_f32 v4, null, v3, v3, 1.0
	v_rcp_f32_e32 v5, v4
	v_fma_f32 v6, -v4, v5, 1.0
	v_fmac_f32_e32 v5, v6, v5
	v_div_scale_f32 v6, vcc_lo, 1.0, v3, 1.0
	v_mul_f32_e32 v7, v6, v5
	v_fma_f32 v11, -v4, v7, v6
	v_fmac_f32_e32 v7, v11, v5
	v_fma_f32 v4, -v4, v7, v6
	v_div_fmas_f32 v4, v4, v5, v7
	v_div_fixup_f32 v3, v4, v3, 1.0
	v_fmaak_f32 v4, 0, v3, 0x3daaaaab
	v_fmaak_f32 v4, v3, v4, 0xbcaccacd
	;; [unrolled: 1-line block ×7, first 2 shown]
	v_mul_f32_e32 v3, v3, v4
.LBB26_52:
	s_or_b32 exec_lo, exec_lo, s1
	v_cmp_gt_f32_e32 vcc_lo, 0x800000, v14
	v_div_scale_f32 v4, null, v14, v14, -0.5
	v_div_scale_f32 v11, s1, -0.5, v14, -0.5
	v_cndmask_b32_e64 v5, 0, 32, vcc_lo
	v_rcp_f32_e32 v6, v4
	v_ldexp_f32 v5, v14, v5
	v_log_f32_e32 v5, v5
	v_fma_f32 v7, -v4, v6, 1.0
	v_fmac_f32_e32 v6, v7, v6
	v_mul_f32_e32 v7, 0x3f317217, v5
	v_mul_f32_e32 v13, v11, v6
	v_cmp_gt_f32_e64 s2, 0x7f800000, |v5|
	v_fma_f32 v7, 0x3f317217, v5, -v7
	v_fma_f32 v15, -v4, v13, v11
	v_fmamk_f32 v7, v5, 0x3377d1cf, v7
	v_fmac_f32_e32 v13, v15, v6
	v_fmac_f32_e32 v7, 0x3f317217, v5
	v_fma_f32 v4, -v4, v13, v11
	v_cndmask_b32_e64 v5, v5, v7, s2
	v_cndmask_b32_e64 v7, 0, 0x41b17218, vcc_lo
	s_mov_b32 vcc_lo, s1
	v_div_fmas_f32 v4, v4, v6, v13
	v_sub_f32_e32 v5, v5, v7
	v_div_fixup_f32 v4, v4, v14, -0.5
	v_add_f32_e32 v4, v5, v4
	v_sub_f32_e32 v3, v4, v3
	v_add_f32_e32 v2, v2, v3
	v_cvt_f16_f32_e32 v11, v2
                                        ; implicit-def: $vgpr2
.LBB26_53:
	s_andn2_saveexec_b32 s1, s10
; %bb.54:
	v_add_f32_e32 v2, 0x40101cb7, v2
	v_cvt_f16_f32_e32 v11, v2
; %bb.55:
	s_or_b32 exec_lo, exec_lo, s1
.LBB26_56:
	s_or_b32 exec_lo, exec_lo, s3
                                        ; implicit-def: $vgpr14
.LBB26_57:
	s_andn2_saveexec_b32 s1, s7
; %bb.58:
	v_xor_b32_e32 v2, 0x80000000, v14
	s_movk_i32 s2, 0x7c00
	v_lshrrev_b32_e32 v2, 16, v2
	v_bfi_b32 v11, 0x7fff, s2, v2
; %bb.59:
	s_or_b32 exec_lo, exec_lo, s1
.LBB26_60:
	s_or_b32 exec_lo, exec_lo, s6
	v_or_b32_e32 v2, 0x200, v0
	s_mov_b32 s6, exec_lo
                                        ; implicit-def: $vgpr13
	v_cmpx_gt_i32_e64 s5, v2
	s_cbranch_execz .LBB26_86
; %bb.61:
	s_waitcnt vmcnt(0)
	v_cvt_f32_f16_e32 v14, v12
                                        ; implicit-def: $vgpr13
	s_mov_b32 s1, exec_lo
	v_cmpx_neq_f16_e32 0, v12
	s_xor_b32 s7, exec_lo, s1
	s_cbranch_execz .LBB26_83
; %bb.62:
	v_mov_b32_e32 v2, 0
	s_mov_b32 s1, -1
	s_mov_b32 s10, exec_lo
	v_cmpx_gt_f16_e32 0, v12
	s_cbranch_execz .LBB26_70
; %bb.63:
	v_trunc_f32_e32 v2, v14
	s_mov_b32 s2, 0
	v_cmp_neq_f32_e32 vcc_lo, v2, v14
	v_mov_b32_e32 v2, 0
	s_and_saveexec_b32 s11, vcc_lo
	s_cbranch_execz .LBB26_69
; %bb.64:
	v_cvt_f32_f16_e32 v2, v12
	s_mov_b32 s3, 0xc00921fb
	s_mov_b32 s2, 0x54442d18
                                        ; implicit-def: $vgpr12
                                        ; implicit-def: $vgpr6_vgpr7
	v_cvt_f64_f32_e32 v[2:3], v2
	v_trunc_f64_e32 v[4:5], v[2:3]
	v_cmp_neq_f64_e64 vcc_lo, 0x7ff00000, |v[2:3]|
	v_add_f64 v[4:5], v[2:3], -v[4:5]
	v_mul_f64 v[4:5], |v[4:5]|, s[2:3]
	v_cndmask_b32_e32 v3, 0x80000000, v5, vcc_lo
	v_cndmask_b32_e32 v2, 0, v4, vcc_lo
                                        ; implicit-def: $vgpr4_vgpr5
	v_cmp_ngt_f64_e64 s1, 0x41d00000, |v[2:3]|
	s_and_saveexec_b32 s3, s1
	s_xor_b32 s1, exec_lo, s3
	s_cbranch_execz .LBB26_66
; %bb.65:
	v_ldexp_f64 v[4:5], |v[2:3]|, 0xffffff80
	v_cmp_le_f64_e64 vcc_lo, 0x7b000000, |v[2:3]|
	v_trig_preop_f64 v[6:7], |v[2:3]|, 0
	v_and_b32_e32 v12, 0x7fffffff, v3
	v_trig_preop_f64 v[23:24], |v[2:3]|, 2
	v_mov_b32_e32 v31, 0
	s_mov_b32 s3, 0x3ff921fb
	s_mov_b32 s12, 0x33145c07
	;; [unrolled: 1-line block ×3, first 2 shown]
	v_cndmask_b32_e32 v5, v12, v5, vcc_lo
	v_cndmask_b32_e32 v4, v2, v4, vcc_lo
	v_trig_preop_f64 v[12:13], |v[2:3]|, 1
	v_mul_f64 v[15:16], v[6:7], v[4:5]
	v_mul_f64 v[29:30], v[23:24], v[4:5]
	;; [unrolled: 1-line block ×3, first 2 shown]
	v_fma_f64 v[6:7], v[6:7], v[4:5], -v[15:16]
	v_fma_f64 v[12:13], v[12:13], v[4:5], -v[17:18]
	;; [unrolled: 1-line block ×3, first 2 shown]
	v_add_f64 v[19:20], v[17:18], v[6:7]
	v_add_f64 v[21:22], v[19:20], -v[17:18]
	v_add_f64 v[27:28], v[15:16], v[19:20]
	v_add_f64 v[25:26], v[19:20], -v[21:22]
	v_add_f64 v[6:7], v[6:7], -v[21:22]
	v_ldexp_f64 v[21:22], v[27:28], -2
	v_add_f64 v[15:16], v[27:28], -v[15:16]
	v_add_f64 v[17:18], v[17:18], -v[25:26]
	v_add_f64 v[25:26], v[29:30], v[12:13]
	v_cmp_neq_f64_e64 vcc_lo, 0x7ff00000, |v[21:22]|
	v_add_f64 v[15:16], v[19:20], -v[15:16]
	v_add_f64 v[6:7], v[6:7], v[17:18]
	v_fract_f64_e32 v[17:18], v[21:22]
	v_add_f64 v[19:20], v[25:26], v[6:7]
	v_ldexp_f64 v[17:18], v[17:18], 2
	v_add_f64 v[21:22], v[15:16], v[19:20]
	v_cndmask_b32_e32 v18, 0, v18, vcc_lo
	v_cndmask_b32_e32 v17, 0, v17, vcc_lo
	v_add_f64 v[27:28], v[21:22], v[17:18]
	v_add_f64 v[15:16], v[21:22], -v[15:16]
	v_cmp_gt_f64_e32 vcc_lo, 0, v[27:28]
	v_add_f64 v[27:28], v[25:26], -v[29:30]
	v_cndmask_b32_e64 v32, 0, 0x40100000, vcc_lo
	v_add_f64 v[36:37], v[25:26], -v[27:28]
	v_add_f64 v[12:13], v[12:13], -v[27:28]
	v_add_f64 v[17:18], v[17:18], v[31:32]
	v_add_f64 v[32:33], v[19:20], -v[25:26]
	v_add_f64 v[27:28], v[29:30], -v[36:37]
	v_add_f64 v[34:35], v[21:22], v[17:18]
	;; [unrolled: 3-line block ×3, first 2 shown]
	v_cvt_i32_f64_e32 v34, v[34:35]
	v_add_f64 v[25:26], v[25:26], -v[38:39]
	v_cvt_f64_i32_e32 v[32:33], v34
	v_add_f64 v[6:7], v[6:7], v[25:26]
	v_add_f64 v[17:18], v[17:18], -v[32:33]
	v_add_f64 v[6:7], v[12:13], v[6:7]
	v_add_f64 v[12:13], v[19:20], -v[15:16]
	v_add_f64 v[23:24], v[21:22], v[17:18]
	v_add_f64 v[4:5], v[4:5], v[6:7]
	v_add_f64 v[6:7], v[23:24], -v[17:18]
	v_cmp_le_f64_e32 vcc_lo, 0.5, v[23:24]
	v_add_f64 v[4:5], v[12:13], v[4:5]
	v_add_f64 v[6:7], v[21:22], -v[6:7]
	v_cndmask_b32_e64 v32, 0, 0x3ff00000, vcc_lo
	v_add_co_ci_u32_e64 v12, null, 0, v34, vcc_lo
	v_add_f64 v[4:5], v[4:5], v[6:7]
	v_add_f64 v[6:7], v[23:24], -v[31:32]
	v_add_f64 v[15:16], v[6:7], v[4:5]
	v_mul_f64 v[17:18], v[15:16], s[2:3]
	v_add_f64 v[6:7], v[15:16], -v[6:7]
	v_fma_f64 v[19:20], v[15:16], s[2:3], -v[17:18]
	v_add_f64 v[4:5], v[4:5], -v[6:7]
	v_fma_f64 v[6:7], v[15:16], s[12:13], v[19:20]
	v_fma_f64 v[6:7], v[4:5], s[2:3], v[6:7]
	v_add_f64 v[4:5], v[17:18], v[6:7]
	v_add_f64 v[15:16], v[4:5], -v[17:18]
	v_add_f64 v[6:7], v[6:7], -v[15:16]
.LBB26_66:
	s_andn2_saveexec_b32 s1, s1
	s_cbranch_execz .LBB26_68
; %bb.67:
	s_mov_b32 s2, 0x6dc9c883
	s_mov_b32 s3, 0x3fe45f30
	;; [unrolled: 1-line block ×3, first 2 shown]
	v_mul_f64 v[4:5], |v[2:3]|, s[2:3]
	s_mov_b32 s2, 0x54442d18
	s_mov_b32 s3, 0xbff921fb
	;; [unrolled: 1-line block ×3, first 2 shown]
	v_rndne_f64_e32 v[12:13], v[4:5]
	v_fma_f64 v[4:5], v[12:13], s[2:3], |v[2:3]|
	v_mul_f64 v[6:7], v[12:13], s[12:13]
	s_mov_b32 s2, 0x252049c0
	s_mov_b32 s3, 0xb97b839a
	v_fma_f64 v[17:18], v[12:13], s[12:13], v[4:5]
	v_add_f64 v[15:16], v[4:5], v[6:7]
	s_mov_b32 s13, 0x3c91a626
	v_add_f64 v[4:5], v[4:5], -v[15:16]
	v_add_f64 v[15:16], v[15:16], -v[17:18]
	v_add_f64 v[4:5], v[4:5], v[6:7]
	v_fma_f64 v[6:7], v[12:13], s[12:13], v[6:7]
	v_add_f64 v[4:5], v[15:16], v[4:5]
	v_add_f64 v[4:5], v[4:5], -v[6:7]
	v_fma_f64 v[6:7], v[12:13], s[2:3], v[4:5]
	v_cvt_i32_f64_e32 v12, v[12:13]
	v_add_f64 v[4:5], v[17:18], v[6:7]
	v_add_f64 v[15:16], v[4:5], -v[17:18]
	v_add_f64 v[6:7], v[6:7], -v[15:16]
.LBB26_68:
	s_or_b32 exec_lo, exec_lo, s1
	v_mul_f64 v[15:16], v[4:5], v[4:5]
	v_add_f64 v[17:18], v[6:7], v[6:7]
	s_mov_b32 s12, 0xa9a29f71
	s_mov_b32 s14, 0xc751c08c
	;; [unrolled: 1-line block ×4, first 2 shown]
	v_cmp_class_f64_e64 s1, v[2:3], 0x1f8
	v_and_b32_e32 v12, 1, v12
	v_and_b32_e32 v3, 0x80000000, v3
	v_sub_f32_e32 v14, 1.0, v14
	s_mov_b32 s2, exec_lo
	v_cmp_eq_u32_e32 vcc_lo, 0, v12
	v_fma_f64 v[19:20], v[4:5], v[4:5], -v[15:16]
	v_fma_f64 v[17:18], v[4:5], v[17:18], v[19:20]
	v_add_f64 v[15:16], v[15:16], v[17:18]
	v_fma_f64 v[17:18], v[15:16], s[14:15], s[12:13]
	s_mov_b32 s12, 0x90a8aae0
	s_mov_b32 s13, 0x3f17746f
	v_fma_f64 v[17:18], v[15:16], v[17:18], s[12:13]
	s_mov_b32 s12, 0xa6fbf144
	s_mov_b32 s13, 0xbefbb44d
	;; [unrolled: 3-line block ×13, first 2 shown]
	v_mul_f64 v[15:16], v[15:16], v[17:18]
	v_mul_f64 v[17:18], v[4:5], v[15:16]
	v_add_f64 v[19:20], v[4:5], v[17:18]
	v_fma_f64 v[15:16], v[4:5], v[15:16], -v[17:18]
	v_add_f64 v[4:5], v[19:20], -v[4:5]
	v_add_f64 v[6:7], v[6:7], v[15:16]
	v_add_f64 v[4:5], v[17:18], -v[4:5]
	v_add_f64 v[4:5], v[6:7], v[4:5]
	v_add_f64 v[6:7], v[19:20], v[4:5]
	v_rcp_f64_e32 v[15:16], v[6:7]
	v_fma_f64 v[17:18], -v[6:7], v[15:16], 1.0
	v_fma_f64 v[15:16], v[17:18], v[15:16], v[15:16]
	v_fma_f64 v[17:18], -v[6:7], v[15:16], 1.0
	v_fma_f64 v[15:16], v[17:18], v[15:16], v[15:16]
	v_add_f64 v[17:18], v[6:7], -v[19:20]
	v_mul_f64 v[19:20], v[6:7], v[15:16]
	v_add_f64 v[4:5], v[4:5], -v[17:18]
	v_fma_f64 v[17:18], v[15:16], v[6:7], -v[19:20]
	v_fma_f64 v[4:5], v[15:16], v[4:5], v[17:18]
	v_add_f64 v[17:18], v[19:20], v[4:5]
	v_add_f64 v[21:22], -v[17:18], 1.0
	v_add_f64 v[19:20], v[17:18], -v[19:20]
	v_add_f64 v[23:24], -v[21:22], 1.0
	v_add_f64 v[4:5], v[19:20], -v[4:5]
	v_add_f64 v[17:18], v[23:24], -v[17:18]
	v_add_f64 v[4:5], v[4:5], v[17:18]
	v_add_f64 v[4:5], v[21:22], v[4:5]
	v_mul_f64 v[4:5], v[15:16], v[4:5]
	v_add_f64 v[4:5], v[15:16], v[4:5]
	v_xor_b32_e32 v2, 0x80000000, v5
	v_cndmask_b32_e32 v4, v4, v6, vcc_lo
	v_cndmask_b32_e32 v2, v2, v7, vcc_lo
	v_xor_b32_e32 v3, v2, v3
	v_cndmask_b32_e64 v2, 0, v4, s1
	v_cndmask_b32_e64 v3, 0x7ff80000, v3, s1
	v_div_scale_f64 v[4:5], null, v[2:3], v[2:3], s[12:13]
	v_rcp_f64_e32 v[6:7], v[4:5]
	v_fma_f64 v[12:13], -v[4:5], v[6:7], 1.0
	v_fma_f64 v[6:7], v[6:7], v[12:13], v[6:7]
	v_fma_f64 v[12:13], -v[4:5], v[6:7], 1.0
	v_fma_f64 v[6:7], v[6:7], v[12:13], v[6:7]
	v_div_scale_f64 v[12:13], vcc_lo, s[12:13], v[2:3], s[12:13]
	v_mul_f64 v[15:16], v[12:13], v[6:7]
	v_fma_f64 v[4:5], -v[4:5], v[15:16], v[12:13]
	v_div_fmas_f64 v[4:5], v[4:5], v[6:7], v[15:16]
	v_div_fixup_f64 v[2:3], v[4:5], v[2:3], s[12:13]
	v_cvt_f32_f64_e32 v2, v[2:3]
.LBB26_69:
	s_or_b32 exec_lo, exec_lo, s11
	s_orn2_b32 s1, s2, exec_lo
.LBB26_70:
	s_or_b32 exec_lo, exec_lo, s10
	v_mov_b32_e32 v13, 0x7e00
	s_and_saveexec_b32 s3, s1
	s_cbranch_execz .LBB26_82
; %bb.71:
	s_mov_b32 s1, exec_lo
	v_cmpx_gt_f32_e32 0x41200000, v14
	s_cbranch_execz .LBB26_75
; %bb.72:
	s_mov_b32 s2, 0
	.p2align	6
.LBB26_73:                              ; =>This Inner Loop Header: Depth=1
	v_div_scale_f32 v3, null, v14, v14, 1.0
	v_div_scale_f32 v6, vcc_lo, 1.0, v14, 1.0
	v_rcp_f32_e32 v4, v3
	v_fma_f32 v5, -v3, v4, 1.0
	v_fmac_f32_e32 v4, v5, v4
	v_mul_f32_e32 v5, v6, v4
	v_fma_f32 v7, -v3, v5, v6
	v_fmac_f32_e32 v5, v7, v4
	v_fma_f32 v3, -v3, v5, v6
	v_div_fmas_f32 v3, v3, v4, v5
	v_div_fixup_f32 v3, v3, v14, 1.0
	v_add_f32_e32 v14, 1.0, v14
	v_sub_f32_e32 v2, v2, v3
	v_cmp_ngt_f32_e32 vcc_lo, 0x41200000, v14
	s_or_b32 s2, vcc_lo, s2
	s_andn2_b32 exec_lo, exec_lo, s2
	s_cbranch_execnz .LBB26_73
; %bb.74:
	s_or_b32 exec_lo, exec_lo, s2
.LBB26_75:
	s_or_b32 exec_lo, exec_lo, s1
                                        ; implicit-def: $vgpr13
	s_mov_b32 s1, exec_lo
	v_cmpx_neq_f32_e32 0x41200000, v14
	s_xor_b32 s10, exec_lo, s1
	s_cbranch_execz .LBB26_79
; %bb.76:
	v_cvt_f64_f32_e32 v[3:4], v14
	s_mov_b32 s12, 0x85d8a000
	s_mov_b32 s13, 0x43763457
	v_cmp_gt_f64_e32 vcc_lo, s[12:13], v[3:4]
	v_mov_b32_e32 v3, 0
	s_and_saveexec_b32 s1, vcc_lo
	s_cbranch_execz .LBB26_78
; %bb.77:
	v_mul_f32_e32 v3, v14, v14
	v_div_scale_f32 v4, null, v3, v3, 1.0
	v_rcp_f32_e32 v5, v4
	v_fma_f32 v6, -v4, v5, 1.0
	v_fmac_f32_e32 v5, v6, v5
	v_div_scale_f32 v6, vcc_lo, 1.0, v3, 1.0
	v_mul_f32_e32 v7, v6, v5
	v_fma_f32 v12, -v4, v7, v6
	v_fmac_f32_e32 v7, v12, v5
	v_fma_f32 v4, -v4, v7, v6
	v_div_fmas_f32 v4, v4, v5, v7
	v_div_fixup_f32 v3, v4, v3, 1.0
	v_fmaak_f32 v4, 0, v3, 0x3daaaaab
	v_fmaak_f32 v4, v3, v4, 0xbcaccacd
	;; [unrolled: 1-line block ×7, first 2 shown]
	v_mul_f32_e32 v3, v3, v4
.LBB26_78:
	s_or_b32 exec_lo, exec_lo, s1
	v_cmp_gt_f32_e32 vcc_lo, 0x800000, v14
	v_div_scale_f32 v4, null, v14, v14, -0.5
	v_div_scale_f32 v12, s1, -0.5, v14, -0.5
	v_cndmask_b32_e64 v5, 0, 32, vcc_lo
	v_rcp_f32_e32 v6, v4
	v_ldexp_f32 v5, v14, v5
	v_log_f32_e32 v5, v5
	v_fma_f32 v7, -v4, v6, 1.0
	v_fmac_f32_e32 v6, v7, v6
	v_mul_f32_e32 v7, 0x3f317217, v5
	v_mul_f32_e32 v13, v12, v6
	v_cmp_gt_f32_e64 s2, 0x7f800000, |v5|
	v_fma_f32 v7, 0x3f317217, v5, -v7
	v_fma_f32 v15, -v4, v13, v12
	v_fmamk_f32 v7, v5, 0x3377d1cf, v7
	v_fmac_f32_e32 v13, v15, v6
	v_fmac_f32_e32 v7, 0x3f317217, v5
	v_fma_f32 v4, -v4, v13, v12
	v_cndmask_b32_e64 v5, v5, v7, s2
	v_cndmask_b32_e64 v7, 0, 0x41b17218, vcc_lo
	s_mov_b32 vcc_lo, s1
	v_div_fmas_f32 v4, v4, v6, v13
	v_sub_f32_e32 v5, v5, v7
	v_div_fixup_f32 v4, v4, v14, -0.5
	v_add_f32_e32 v4, v5, v4
	v_sub_f32_e32 v3, v4, v3
	v_add_f32_e32 v2, v2, v3
	v_cvt_f16_f32_e32 v13, v2
                                        ; implicit-def: $vgpr2
.LBB26_79:
	s_andn2_saveexec_b32 s1, s10
; %bb.80:
	v_add_f32_e32 v2, 0x40101cb7, v2
	v_cvt_f16_f32_e32 v13, v2
; %bb.81:
	s_or_b32 exec_lo, exec_lo, s1
.LBB26_82:
	s_or_b32 exec_lo, exec_lo, s3
                                        ; implicit-def: $vgpr14
.LBB26_83:
	s_andn2_saveexec_b32 s1, s7
; %bb.84:
	v_xor_b32_e32 v2, 0x80000000, v14
	s_movk_i32 s2, 0x7c00
	v_lshrrev_b32_e32 v2, 16, v2
	v_bfi_b32 v13, 0x7fff, s2, v2
; %bb.85:
	s_or_b32 exec_lo, exec_lo, s1
.LBB26_86:
	s_or_b32 exec_lo, exec_lo, s6
	v_or_b32_e32 v2, 0x300, v0
	s_mov_b32 s6, exec_lo
                                        ; implicit-def: $vgpr3
	v_cmpx_gt_i32_e64 s5, v2
	s_cbranch_execz .LBB26_116
; %bb.87:
	s_waitcnt vmcnt(0)
	v_cvt_f32_f16_e32 v12, v10
                                        ; implicit-def: $vgpr3
	s_mov_b32 s1, exec_lo
	v_cmpx_neq_f16_e32 0, v10
	s_xor_b32 s7, exec_lo, s1
	s_cbranch_execz .LBB26_109
; %bb.88:
	v_mov_b32_e32 v2, 0
	s_mov_b32 s1, -1
	s_mov_b32 s10, exec_lo
	v_cmpx_gt_f16_e32 0, v10
	s_cbranch_execz .LBB26_96
; %bb.89:
	v_trunc_f32_e32 v2, v12
	s_mov_b32 s2, 0
	v_cmp_neq_f32_e32 vcc_lo, v2, v12
	v_mov_b32_e32 v2, 0
	s_and_saveexec_b32 s11, vcc_lo
	s_cbranch_execz .LBB26_95
; %bb.90:
	v_cvt_f32_f16_e32 v2, v10
	s_mov_b32 s3, 0xc00921fb
	s_mov_b32 s2, 0x54442d18
                                        ; implicit-def: $vgpr10
                                        ; implicit-def: $vgpr6_vgpr7
	v_cvt_f64_f32_e32 v[2:3], v2
	v_trunc_f64_e32 v[4:5], v[2:3]
	v_cmp_neq_f64_e64 vcc_lo, 0x7ff00000, |v[2:3]|
	v_add_f64 v[4:5], v[2:3], -v[4:5]
	v_mul_f64 v[4:5], |v[4:5]|, s[2:3]
	v_cndmask_b32_e32 v3, 0x80000000, v5, vcc_lo
	v_cndmask_b32_e32 v2, 0, v4, vcc_lo
                                        ; implicit-def: $vgpr4_vgpr5
	v_cmp_ngt_f64_e64 s1, 0x41d00000, |v[2:3]|
	s_and_saveexec_b32 s3, s1
	s_xor_b32 s1, exec_lo, s3
	s_cbranch_execz .LBB26_92
; %bb.91:
	v_ldexp_f64 v[4:5], |v[2:3]|, 0xffffff80
	v_cmp_le_f64_e64 vcc_lo, 0x7b000000, |v[2:3]|
	v_trig_preop_f64 v[6:7], |v[2:3]|, 0
	v_and_b32_e32 v10, 0x7fffffff, v3
	v_trig_preop_f64 v[14:15], |v[2:3]|, 1
	v_trig_preop_f64 v[24:25], |v[2:3]|, 2
	v_mov_b32_e32 v32, 0
	s_mov_b32 s3, 0x3ff921fb
	s_mov_b32 s12, 0x33145c07
	;; [unrolled: 1-line block ×3, first 2 shown]
	v_cndmask_b32_e32 v5, v10, v5, vcc_lo
	v_cndmask_b32_e32 v4, v2, v4, vcc_lo
	v_mul_f64 v[16:17], v[6:7], v[4:5]
	v_mul_f64 v[18:19], v[14:15], v[4:5]
	v_mul_f64 v[30:31], v[24:25], v[4:5]
	v_fma_f64 v[6:7], v[6:7], v[4:5], -v[16:17]
	v_fma_f64 v[14:15], v[14:15], v[4:5], -v[18:19]
	;; [unrolled: 1-line block ×3, first 2 shown]
	v_add_f64 v[20:21], v[18:19], v[6:7]
	v_add_f64 v[22:23], v[20:21], -v[18:19]
	v_add_f64 v[28:29], v[16:17], v[20:21]
	v_add_f64 v[26:27], v[20:21], -v[22:23]
	v_add_f64 v[6:7], v[6:7], -v[22:23]
	v_ldexp_f64 v[22:23], v[28:29], -2
	v_add_f64 v[16:17], v[28:29], -v[16:17]
	v_add_f64 v[18:19], v[18:19], -v[26:27]
	v_add_f64 v[26:27], v[30:31], v[14:15]
	v_cmp_neq_f64_e64 vcc_lo, 0x7ff00000, |v[22:23]|
	v_add_f64 v[16:17], v[20:21], -v[16:17]
	v_add_f64 v[6:7], v[6:7], v[18:19]
	v_fract_f64_e32 v[18:19], v[22:23]
	v_add_f64 v[20:21], v[26:27], v[6:7]
	v_ldexp_f64 v[18:19], v[18:19], 2
	v_add_f64 v[22:23], v[16:17], v[20:21]
	v_cndmask_b32_e32 v19, 0, v19, vcc_lo
	v_cndmask_b32_e32 v18, 0, v18, vcc_lo
	v_add_f64 v[28:29], v[22:23], v[18:19]
	v_add_f64 v[16:17], v[22:23], -v[16:17]
	v_cmp_gt_f64_e32 vcc_lo, 0, v[28:29]
	v_add_f64 v[28:29], v[26:27], -v[30:31]
	v_add_f64 v[16:17], v[20:21], -v[16:17]
	v_cndmask_b32_e64 v33, 0, 0x40100000, vcc_lo
	v_add_f64 v[37:38], v[26:27], -v[28:29]
	v_add_f64 v[14:15], v[14:15], -v[28:29]
	v_add_f64 v[18:19], v[18:19], v[32:33]
	v_add_f64 v[33:34], v[20:21], -v[26:27]
	v_add_f64 v[28:29], v[30:31], -v[37:38]
	v_add_f64 v[35:36], v[22:23], v[18:19]
	;; [unrolled: 3-line block ×3, first 2 shown]
	v_cvt_i32_f64_e32 v10, v[35:36]
	v_add_f64 v[26:27], v[26:27], -v[39:40]
	v_cvt_f64_i32_e32 v[33:34], v10
	v_add_f64 v[6:7], v[6:7], v[26:27]
	v_add_f64 v[18:19], v[18:19], -v[33:34]
	v_add_f64 v[6:7], v[14:15], v[6:7]
	v_add_f64 v[14:15], v[22:23], v[18:19]
	;; [unrolled: 1-line block ×3, first 2 shown]
	v_add_f64 v[6:7], v[14:15], -v[18:19]
	v_cmp_le_f64_e32 vcc_lo, 0.5, v[14:15]
	v_add_f64 v[4:5], v[16:17], v[4:5]
	v_add_f64 v[6:7], v[22:23], -v[6:7]
	v_cndmask_b32_e64 v33, 0, 0x3ff00000, vcc_lo
	v_add_co_ci_u32_e64 v10, null, 0, v10, vcc_lo
	v_add_f64 v[4:5], v[4:5], v[6:7]
	v_add_f64 v[6:7], v[14:15], -v[32:33]
	v_add_f64 v[14:15], v[6:7], v[4:5]
	v_mul_f64 v[16:17], v[14:15], s[2:3]
	v_add_f64 v[6:7], v[14:15], -v[6:7]
	v_fma_f64 v[18:19], v[14:15], s[2:3], -v[16:17]
	v_add_f64 v[4:5], v[4:5], -v[6:7]
	v_fma_f64 v[6:7], v[14:15], s[12:13], v[18:19]
	v_fma_f64 v[6:7], v[4:5], s[2:3], v[6:7]
	v_add_f64 v[4:5], v[16:17], v[6:7]
	v_add_f64 v[14:15], v[4:5], -v[16:17]
	v_add_f64 v[6:7], v[6:7], -v[14:15]
.LBB26_92:
	s_andn2_saveexec_b32 s1, s1
	s_cbranch_execz .LBB26_94
; %bb.93:
	s_mov_b32 s2, 0x6dc9c883
	s_mov_b32 s3, 0x3fe45f30
	;; [unrolled: 1-line block ×3, first 2 shown]
	v_mul_f64 v[4:5], |v[2:3]|, s[2:3]
	s_mov_b32 s2, 0x54442d18
	s_mov_b32 s3, 0xbff921fb
	;; [unrolled: 1-line block ×3, first 2 shown]
	v_rndne_f64_e32 v[14:15], v[4:5]
	v_fma_f64 v[4:5], v[14:15], s[2:3], |v[2:3]|
	v_mul_f64 v[6:7], v[14:15], s[12:13]
	s_mov_b32 s2, 0x252049c0
	s_mov_b32 s3, 0xb97b839a
	v_cvt_i32_f64_e32 v10, v[14:15]
	v_fma_f64 v[18:19], v[14:15], s[12:13], v[4:5]
	v_add_f64 v[16:17], v[4:5], v[6:7]
	s_mov_b32 s13, 0x3c91a626
	v_add_f64 v[4:5], v[4:5], -v[16:17]
	v_add_f64 v[16:17], v[16:17], -v[18:19]
	v_add_f64 v[4:5], v[4:5], v[6:7]
	v_fma_f64 v[6:7], v[14:15], s[12:13], v[6:7]
	v_add_f64 v[4:5], v[16:17], v[4:5]
	v_add_f64 v[4:5], v[4:5], -v[6:7]
	v_fma_f64 v[6:7], v[14:15], s[2:3], v[4:5]
	v_add_f64 v[4:5], v[18:19], v[6:7]
	v_add_f64 v[16:17], v[4:5], -v[18:19]
	v_add_f64 v[6:7], v[6:7], -v[16:17]
.LBB26_94:
	s_or_b32 exec_lo, exec_lo, s1
	v_mul_f64 v[14:15], v[4:5], v[4:5]
	v_add_f64 v[16:17], v[6:7], v[6:7]
	s_mov_b32 s12, 0xa9a29f71
	s_mov_b32 s14, 0xc751c08c
	;; [unrolled: 1-line block ×4, first 2 shown]
	v_cmp_class_f64_e64 s1, v[2:3], 0x1f8
	v_and_b32_e32 v10, 1, v10
	v_and_b32_e32 v3, 0x80000000, v3
	v_sub_f32_e32 v12, 1.0, v12
	s_mov_b32 s2, exec_lo
	v_cmp_eq_u32_e32 vcc_lo, 0, v10
	v_fma_f64 v[18:19], v[4:5], v[4:5], -v[14:15]
	v_fma_f64 v[16:17], v[4:5], v[16:17], v[18:19]
	v_add_f64 v[14:15], v[14:15], v[16:17]
	v_fma_f64 v[16:17], v[14:15], s[14:15], s[12:13]
	s_mov_b32 s12, 0x90a8aae0
	s_mov_b32 s13, 0x3f17746f
	v_fma_f64 v[16:17], v[14:15], v[16:17], s[12:13]
	s_mov_b32 s12, 0xa6fbf144
	s_mov_b32 s13, 0xbefbb44d
	;; [unrolled: 3-line block ×13, first 2 shown]
	v_mul_f64 v[14:15], v[14:15], v[16:17]
	v_mul_f64 v[16:17], v[4:5], v[14:15]
	v_add_f64 v[18:19], v[4:5], v[16:17]
	v_fma_f64 v[14:15], v[4:5], v[14:15], -v[16:17]
	v_add_f64 v[4:5], v[18:19], -v[4:5]
	v_add_f64 v[6:7], v[6:7], v[14:15]
	v_add_f64 v[4:5], v[16:17], -v[4:5]
	v_add_f64 v[4:5], v[6:7], v[4:5]
	v_add_f64 v[6:7], v[18:19], v[4:5]
	v_rcp_f64_e32 v[14:15], v[6:7]
	v_fma_f64 v[16:17], -v[6:7], v[14:15], 1.0
	v_fma_f64 v[14:15], v[16:17], v[14:15], v[14:15]
	v_fma_f64 v[16:17], -v[6:7], v[14:15], 1.0
	v_fma_f64 v[14:15], v[16:17], v[14:15], v[14:15]
	v_add_f64 v[16:17], v[6:7], -v[18:19]
	v_mul_f64 v[18:19], v[6:7], v[14:15]
	v_add_f64 v[4:5], v[4:5], -v[16:17]
	v_fma_f64 v[16:17], v[14:15], v[6:7], -v[18:19]
	v_fma_f64 v[4:5], v[14:15], v[4:5], v[16:17]
	v_add_f64 v[16:17], v[18:19], v[4:5]
	v_add_f64 v[20:21], -v[16:17], 1.0
	v_add_f64 v[18:19], v[16:17], -v[18:19]
	v_add_f64 v[22:23], -v[20:21], 1.0
	v_add_f64 v[4:5], v[18:19], -v[4:5]
	v_add_f64 v[16:17], v[22:23], -v[16:17]
	v_add_f64 v[4:5], v[4:5], v[16:17]
	v_add_f64 v[4:5], v[20:21], v[4:5]
	v_mul_f64 v[4:5], v[14:15], v[4:5]
	v_add_f64 v[4:5], v[14:15], v[4:5]
	v_xor_b32_e32 v2, 0x80000000, v5
	v_cndmask_b32_e32 v4, v4, v6, vcc_lo
	v_cndmask_b32_e32 v2, v2, v7, vcc_lo
	v_xor_b32_e32 v3, v2, v3
	v_cndmask_b32_e64 v2, 0, v4, s1
	v_cndmask_b32_e64 v3, 0x7ff80000, v3, s1
	v_div_scale_f64 v[4:5], null, v[2:3], v[2:3], s[12:13]
	v_rcp_f64_e32 v[6:7], v[4:5]
	v_fma_f64 v[14:15], -v[4:5], v[6:7], 1.0
	v_fma_f64 v[6:7], v[6:7], v[14:15], v[6:7]
	v_fma_f64 v[14:15], -v[4:5], v[6:7], 1.0
	v_fma_f64 v[6:7], v[6:7], v[14:15], v[6:7]
	v_div_scale_f64 v[14:15], vcc_lo, s[12:13], v[2:3], s[12:13]
	v_mul_f64 v[16:17], v[14:15], v[6:7]
	v_fma_f64 v[4:5], -v[4:5], v[16:17], v[14:15]
	v_div_fmas_f64 v[4:5], v[4:5], v[6:7], v[16:17]
	v_div_fixup_f64 v[2:3], v[4:5], v[2:3], s[12:13]
	v_cvt_f32_f64_e32 v2, v[2:3]
.LBB26_95:
	s_or_b32 exec_lo, exec_lo, s11
	s_orn2_b32 s1, s2, exec_lo
.LBB26_96:
	s_or_b32 exec_lo, exec_lo, s10
	v_mov_b32_e32 v3, 0x7e00
	s_and_saveexec_b32 s3, s1
	s_cbranch_execz .LBB26_108
; %bb.97:
	s_mov_b32 s1, exec_lo
	v_cmpx_gt_f32_e32 0x41200000, v12
	s_cbranch_execz .LBB26_101
; %bb.98:
	s_mov_b32 s2, 0
	.p2align	6
.LBB26_99:                              ; =>This Inner Loop Header: Depth=1
	v_div_scale_f32 v3, null, v12, v12, 1.0
	v_div_scale_f32 v6, vcc_lo, 1.0, v12, 1.0
	v_rcp_f32_e32 v4, v3
	v_fma_f32 v5, -v3, v4, 1.0
	v_fmac_f32_e32 v4, v5, v4
	v_mul_f32_e32 v5, v6, v4
	v_fma_f32 v7, -v3, v5, v6
	v_fmac_f32_e32 v5, v7, v4
	v_fma_f32 v3, -v3, v5, v6
	v_div_fmas_f32 v3, v3, v4, v5
	v_div_fixup_f32 v3, v3, v12, 1.0
	v_add_f32_e32 v12, 1.0, v12
	v_sub_f32_e32 v2, v2, v3
	v_cmp_ngt_f32_e32 vcc_lo, 0x41200000, v12
	s_or_b32 s2, vcc_lo, s2
	s_andn2_b32 exec_lo, exec_lo, s2
	s_cbranch_execnz .LBB26_99
; %bb.100:
	s_or_b32 exec_lo, exec_lo, s2
.LBB26_101:
	s_or_b32 exec_lo, exec_lo, s1
                                        ; implicit-def: $vgpr3
	s_mov_b32 s1, exec_lo
	v_cmpx_neq_f32_e32 0x41200000, v12
	s_xor_b32 s10, exec_lo, s1
	s_cbranch_execz .LBB26_105
; %bb.102:
	v_cvt_f64_f32_e32 v[3:4], v12
	s_mov_b32 s12, 0x85d8a000
	s_mov_b32 s13, 0x43763457
	v_cmp_gt_f64_e32 vcc_lo, s[12:13], v[3:4]
	v_mov_b32_e32 v3, 0
	s_and_saveexec_b32 s1, vcc_lo
	s_cbranch_execz .LBB26_104
; %bb.103:
	v_mul_f32_e32 v3, v12, v12
	v_div_scale_f32 v4, null, v3, v3, 1.0
	v_rcp_f32_e32 v5, v4
	v_fma_f32 v6, -v4, v5, 1.0
	v_fmac_f32_e32 v5, v6, v5
	v_div_scale_f32 v6, vcc_lo, 1.0, v3, 1.0
	v_mul_f32_e32 v7, v6, v5
	v_fma_f32 v10, -v4, v7, v6
	v_fmac_f32_e32 v7, v10, v5
	v_fma_f32 v4, -v4, v7, v6
	v_div_fmas_f32 v4, v4, v5, v7
	v_div_fixup_f32 v3, v4, v3, 1.0
	v_fmaak_f32 v4, 0, v3, 0x3daaaaab
	v_fmaak_f32 v4, v3, v4, 0xbcaccacd
	;; [unrolled: 1-line block ×7, first 2 shown]
	v_mul_f32_e32 v3, v3, v4
.LBB26_104:
	s_or_b32 exec_lo, exec_lo, s1
	v_cmp_gt_f32_e32 vcc_lo, 0x800000, v12
	v_div_scale_f32 v4, null, v12, v12, -0.5
	v_div_scale_f32 v10, s1, -0.5, v12, -0.5
	v_cndmask_b32_e64 v5, 0, 32, vcc_lo
	v_rcp_f32_e32 v6, v4
	v_ldexp_f32 v5, v12, v5
	v_log_f32_e32 v5, v5
	v_fma_f32 v7, -v4, v6, 1.0
	v_fmac_f32_e32 v6, v7, v6
	v_mul_f32_e32 v7, 0x3f317217, v5
	v_mul_f32_e32 v14, v10, v6
	v_cmp_gt_f32_e64 s2, 0x7f800000, |v5|
	v_fma_f32 v7, 0x3f317217, v5, -v7
	v_fma_f32 v15, -v4, v14, v10
	v_fmamk_f32 v7, v5, 0x3377d1cf, v7
	v_fmac_f32_e32 v14, v15, v6
	v_fmac_f32_e32 v7, 0x3f317217, v5
	v_fma_f32 v4, -v4, v14, v10
	v_cndmask_b32_e64 v5, v5, v7, s2
	v_cndmask_b32_e64 v7, 0, 0x41b17218, vcc_lo
	s_mov_b32 vcc_lo, s1
	v_div_fmas_f32 v4, v4, v6, v14
	v_sub_f32_e32 v5, v5, v7
	v_div_fixup_f32 v4, v4, v12, -0.5
	v_add_f32_e32 v4, v5, v4
	v_sub_f32_e32 v3, v4, v3
	v_add_f32_e32 v2, v2, v3
	v_cvt_f16_f32_e32 v3, v2
                                        ; implicit-def: $vgpr2
.LBB26_105:
	s_andn2_saveexec_b32 s1, s10
; %bb.106:
	v_add_f32_e32 v2, 0x40101cb7, v2
	v_cvt_f16_f32_e32 v3, v2
; %bb.107:
	s_or_b32 exec_lo, exec_lo, s1
.LBB26_108:
	s_or_b32 exec_lo, exec_lo, s3
                                        ; implicit-def: $vgpr12
.LBB26_109:
	s_andn2_saveexec_b32 s1, s7
; %bb.110:
	v_xor_b32_e32 v2, 0x80000000, v12
	s_movk_i32 s2, 0x7c00
	v_lshrrev_b32_e32 v2, 16, v2
	v_bfi_b32 v3, 0x7fff, s2, v2
; %bb.111:
	s_or_b32 exec_lo, exec_lo, s1
	s_or_b32 exec_lo, exec_lo, s6
	s_and_saveexec_b32 s1, s0
	s_xor_b32 s0, exec_lo, s1
	s_cbranch_execnz .LBB26_117
.LBB26_112:
	s_or_b32 exec_lo, exec_lo, s0
	s_mov_b32 s0, exec_lo
	v_cmpx_gt_i32_e64 s5, v0
	s_cbranch_execz .LBB26_118
.LBB26_113:
	v_add_nc_u32_e32 v1, s4, v0
	v_mov_b32_e32 v2, 0
	v_add_nc_u32_e32 v0, 0x100, v0
	v_lshlrev_b64 v[1:2], 1, v[1:2]
	v_add_co_u32 v1, vcc_lo, s8, v1
	v_add_co_ci_u32_e64 v2, null, s9, v2, vcc_lo
	global_store_short v[1:2], v11, off
	s_or_b32 exec_lo, exec_lo, s0
	s_mov_b32 s0, exec_lo
	v_cmpx_gt_i32_e64 s5, v0
	s_cbranch_execnz .LBB26_119
.LBB26_114:
	s_or_b32 exec_lo, exec_lo, s0
	s_mov_b32 s0, exec_lo
	v_cmpx_gt_i32_e64 s5, v0
	s_cbranch_execz .LBB26_120
.LBB26_115:
	v_add_nc_u32_e32 v0, s4, v0
	v_mov_b32_e32 v1, 0
	v_lshlrev_b64 v[0:1], 1, v[0:1]
	v_add_co_u32 v0, vcc_lo, s8, v0
	v_add_co_ci_u32_e64 v1, null, s9, v1, vcc_lo
	s_waitcnt vmcnt(0)
	global_store_short v[0:1], v3, off
	s_endpgm
.LBB26_116:
	s_or_b32 exec_lo, exec_lo, s6
	s_and_saveexec_b32 s1, s0
	s_xor_b32 s0, exec_lo, s1
	s_cbranch_execz .LBB26_112
.LBB26_117:
	v_mov_b32_e32 v2, 0
	v_lshlrev_b64 v[0:1], 1, v[1:2]
	v_add_co_u32 v4, vcc_lo, s8, v0
	v_add_co_ci_u32_e64 v5, null, s9, v1, vcc_lo
	v_mov_b32_e32 v0, v8
	global_store_short v[4:5], v9, off
	s_or_b32 exec_lo, exec_lo, s0
	s_mov_b32 s0, exec_lo
	v_cmpx_gt_i32_e64 s5, v0
	s_cbranch_execnz .LBB26_113
.LBB26_118:
	s_or_b32 exec_lo, exec_lo, s0
	s_mov_b32 s0, exec_lo
	v_cmpx_gt_i32_e64 s5, v0
	s_cbranch_execz .LBB26_114
.LBB26_119:
	v_add_nc_u32_e32 v1, s4, v0
	v_mov_b32_e32 v2, 0
	v_add_nc_u32_e32 v0, 0x100, v0
	v_lshlrev_b64 v[1:2], 1, v[1:2]
	v_add_co_u32 v1, vcc_lo, s8, v1
	v_add_co_ci_u32_e64 v2, null, s9, v2, vcc_lo
	s_waitcnt vmcnt(0)
	global_store_short v[1:2], v13, off
	s_or_b32 exec_lo, exec_lo, s0
	s_mov_b32 s0, exec_lo
	v_cmpx_gt_i32_e64 s5, v0
	s_cbranch_execnz .LBB26_115
.LBB26_120:
	s_endpgm
	.section	.rodata,"a",@progbits
	.p2align	6, 0x0
	.amdhsa_kernel _ZN2at6native27unrolled_elementwise_kernelIZZZNS0_19digamma_kernel_cudaERNS_18TensorIteratorBaseEENKUlvE_clEvENKUlvE1_clEvEUlN3c104HalfEE_St5arrayIPcLm2EELi4E23TrivialOffsetCalculatorILi1EjESD_NS0_6memory15LoadWithoutCastENSE_16StoreWithoutCastEEEviT_T0_T2_T3_T4_T5_
		.amdhsa_group_segment_fixed_size 0
		.amdhsa_private_segment_fixed_size 0
		.amdhsa_kernarg_size 28
		.amdhsa_user_sgpr_count 6
		.amdhsa_user_sgpr_private_segment_buffer 1
		.amdhsa_user_sgpr_dispatch_ptr 0
		.amdhsa_user_sgpr_queue_ptr 0
		.amdhsa_user_sgpr_kernarg_segment_ptr 1
		.amdhsa_user_sgpr_dispatch_id 0
		.amdhsa_user_sgpr_flat_scratch_init 0
		.amdhsa_user_sgpr_private_segment_size 0
		.amdhsa_wavefront_size32 1
		.amdhsa_uses_dynamic_stack 0
		.amdhsa_system_sgpr_private_segment_wavefront_offset 0
		.amdhsa_system_sgpr_workgroup_id_x 1
		.amdhsa_system_sgpr_workgroup_id_y 0
		.amdhsa_system_sgpr_workgroup_id_z 0
		.amdhsa_system_sgpr_workgroup_info 0
		.amdhsa_system_vgpr_workitem_id 0
		.amdhsa_next_free_vgpr 42
		.amdhsa_next_free_sgpr 16
		.amdhsa_reserve_vcc 1
		.amdhsa_reserve_flat_scratch 0
		.amdhsa_float_round_mode_32 0
		.amdhsa_float_round_mode_16_64 0
		.amdhsa_float_denorm_mode_32 3
		.amdhsa_float_denorm_mode_16_64 3
		.amdhsa_dx10_clamp 1
		.amdhsa_ieee_mode 1
		.amdhsa_fp16_overflow 0
		.amdhsa_workgroup_processor_mode 1
		.amdhsa_memory_ordered 1
		.amdhsa_forward_progress 1
		.amdhsa_shared_vgpr_count 0
		.amdhsa_exception_fp_ieee_invalid_op 0
		.amdhsa_exception_fp_denorm_src 0
		.amdhsa_exception_fp_ieee_div_zero 0
		.amdhsa_exception_fp_ieee_overflow 0
		.amdhsa_exception_fp_ieee_underflow 0
		.amdhsa_exception_fp_ieee_inexact 0
		.amdhsa_exception_int_div_zero 0
	.end_amdhsa_kernel
	.section	.text._ZN2at6native27unrolled_elementwise_kernelIZZZNS0_19digamma_kernel_cudaERNS_18TensorIteratorBaseEENKUlvE_clEvENKUlvE1_clEvEUlN3c104HalfEE_St5arrayIPcLm2EELi4E23TrivialOffsetCalculatorILi1EjESD_NS0_6memory15LoadWithoutCastENSE_16StoreWithoutCastEEEviT_T0_T2_T3_T4_T5_,"axG",@progbits,_ZN2at6native27unrolled_elementwise_kernelIZZZNS0_19digamma_kernel_cudaERNS_18TensorIteratorBaseEENKUlvE_clEvENKUlvE1_clEvEUlN3c104HalfEE_St5arrayIPcLm2EELi4E23TrivialOffsetCalculatorILi1EjESD_NS0_6memory15LoadWithoutCastENSE_16StoreWithoutCastEEEviT_T0_T2_T3_T4_T5_,comdat
.Lfunc_end26:
	.size	_ZN2at6native27unrolled_elementwise_kernelIZZZNS0_19digamma_kernel_cudaERNS_18TensorIteratorBaseEENKUlvE_clEvENKUlvE1_clEvEUlN3c104HalfEE_St5arrayIPcLm2EELi4E23TrivialOffsetCalculatorILi1EjESD_NS0_6memory15LoadWithoutCastENSE_16StoreWithoutCastEEEviT_T0_T2_T3_T4_T5_, .Lfunc_end26-_ZN2at6native27unrolled_elementwise_kernelIZZZNS0_19digamma_kernel_cudaERNS_18TensorIteratorBaseEENKUlvE_clEvENKUlvE1_clEvEUlN3c104HalfEE_St5arrayIPcLm2EELi4E23TrivialOffsetCalculatorILi1EjESD_NS0_6memory15LoadWithoutCastENSE_16StoreWithoutCastEEEviT_T0_T2_T3_T4_T5_
                                        ; -- End function
	.set _ZN2at6native27unrolled_elementwise_kernelIZZZNS0_19digamma_kernel_cudaERNS_18TensorIteratorBaseEENKUlvE_clEvENKUlvE1_clEvEUlN3c104HalfEE_St5arrayIPcLm2EELi4E23TrivialOffsetCalculatorILi1EjESD_NS0_6memory15LoadWithoutCastENSE_16StoreWithoutCastEEEviT_T0_T2_T3_T4_T5_.num_vgpr, 42
	.set _ZN2at6native27unrolled_elementwise_kernelIZZZNS0_19digamma_kernel_cudaERNS_18TensorIteratorBaseEENKUlvE_clEvENKUlvE1_clEvEUlN3c104HalfEE_St5arrayIPcLm2EELi4E23TrivialOffsetCalculatorILi1EjESD_NS0_6memory15LoadWithoutCastENSE_16StoreWithoutCastEEEviT_T0_T2_T3_T4_T5_.num_agpr, 0
	.set _ZN2at6native27unrolled_elementwise_kernelIZZZNS0_19digamma_kernel_cudaERNS_18TensorIteratorBaseEENKUlvE_clEvENKUlvE1_clEvEUlN3c104HalfEE_St5arrayIPcLm2EELi4E23TrivialOffsetCalculatorILi1EjESD_NS0_6memory15LoadWithoutCastENSE_16StoreWithoutCastEEEviT_T0_T2_T3_T4_T5_.numbered_sgpr, 16
	.set _ZN2at6native27unrolled_elementwise_kernelIZZZNS0_19digamma_kernel_cudaERNS_18TensorIteratorBaseEENKUlvE_clEvENKUlvE1_clEvEUlN3c104HalfEE_St5arrayIPcLm2EELi4E23TrivialOffsetCalculatorILi1EjESD_NS0_6memory15LoadWithoutCastENSE_16StoreWithoutCastEEEviT_T0_T2_T3_T4_T5_.num_named_barrier, 0
	.set _ZN2at6native27unrolled_elementwise_kernelIZZZNS0_19digamma_kernel_cudaERNS_18TensorIteratorBaseEENKUlvE_clEvENKUlvE1_clEvEUlN3c104HalfEE_St5arrayIPcLm2EELi4E23TrivialOffsetCalculatorILi1EjESD_NS0_6memory15LoadWithoutCastENSE_16StoreWithoutCastEEEviT_T0_T2_T3_T4_T5_.private_seg_size, 0
	.set _ZN2at6native27unrolled_elementwise_kernelIZZZNS0_19digamma_kernel_cudaERNS_18TensorIteratorBaseEENKUlvE_clEvENKUlvE1_clEvEUlN3c104HalfEE_St5arrayIPcLm2EELi4E23TrivialOffsetCalculatorILi1EjESD_NS0_6memory15LoadWithoutCastENSE_16StoreWithoutCastEEEviT_T0_T2_T3_T4_T5_.uses_vcc, 1
	.set _ZN2at6native27unrolled_elementwise_kernelIZZZNS0_19digamma_kernel_cudaERNS_18TensorIteratorBaseEENKUlvE_clEvENKUlvE1_clEvEUlN3c104HalfEE_St5arrayIPcLm2EELi4E23TrivialOffsetCalculatorILi1EjESD_NS0_6memory15LoadWithoutCastENSE_16StoreWithoutCastEEEviT_T0_T2_T3_T4_T5_.uses_flat_scratch, 0
	.set _ZN2at6native27unrolled_elementwise_kernelIZZZNS0_19digamma_kernel_cudaERNS_18TensorIteratorBaseEENKUlvE_clEvENKUlvE1_clEvEUlN3c104HalfEE_St5arrayIPcLm2EELi4E23TrivialOffsetCalculatorILi1EjESD_NS0_6memory15LoadWithoutCastENSE_16StoreWithoutCastEEEviT_T0_T2_T3_T4_T5_.has_dyn_sized_stack, 0
	.set _ZN2at6native27unrolled_elementwise_kernelIZZZNS0_19digamma_kernel_cudaERNS_18TensorIteratorBaseEENKUlvE_clEvENKUlvE1_clEvEUlN3c104HalfEE_St5arrayIPcLm2EELi4E23TrivialOffsetCalculatorILi1EjESD_NS0_6memory15LoadWithoutCastENSE_16StoreWithoutCastEEEviT_T0_T2_T3_T4_T5_.has_recursion, 0
	.set _ZN2at6native27unrolled_elementwise_kernelIZZZNS0_19digamma_kernel_cudaERNS_18TensorIteratorBaseEENKUlvE_clEvENKUlvE1_clEvEUlN3c104HalfEE_St5arrayIPcLm2EELi4E23TrivialOffsetCalculatorILi1EjESD_NS0_6memory15LoadWithoutCastENSE_16StoreWithoutCastEEEviT_T0_T2_T3_T4_T5_.has_indirect_call, 0
	.section	.AMDGPU.csdata,"",@progbits
; Kernel info:
; codeLenInByte = 10372
; TotalNumSgprs: 18
; NumVgprs: 42
; ScratchSize: 0
; MemoryBound: 0
; FloatMode: 240
; IeeeMode: 1
; LDSByteSize: 0 bytes/workgroup (compile time only)
; SGPRBlocks: 0
; VGPRBlocks: 5
; NumSGPRsForWavesPerEU: 18
; NumVGPRsForWavesPerEU: 42
; Occupancy: 16
; WaveLimiterHint : 0
; COMPUTE_PGM_RSRC2:SCRATCH_EN: 0
; COMPUTE_PGM_RSRC2:USER_SGPR: 6
; COMPUTE_PGM_RSRC2:TRAP_HANDLER: 0
; COMPUTE_PGM_RSRC2:TGID_X_EN: 1
; COMPUTE_PGM_RSRC2:TGID_Y_EN: 0
; COMPUTE_PGM_RSRC2:TGID_Z_EN: 0
; COMPUTE_PGM_RSRC2:TIDIG_COMP_CNT: 0
	.section	.text._ZN2at6native32elementwise_kernel_manual_unrollILi128ELi8EZNS0_22gpu_kernel_impl_nocastIZZZNS0_19digamma_kernel_cudaERNS_18TensorIteratorBaseEENKUlvE_clEvENKUlvE1_clEvEUlN3c104HalfEE_EEvS4_RKT_EUlibE_EEviT1_,"axG",@progbits,_ZN2at6native32elementwise_kernel_manual_unrollILi128ELi8EZNS0_22gpu_kernel_impl_nocastIZZZNS0_19digamma_kernel_cudaERNS_18TensorIteratorBaseEENKUlvE_clEvENKUlvE1_clEvEUlN3c104HalfEE_EEvS4_RKT_EUlibE_EEviT1_,comdat
	.globl	_ZN2at6native32elementwise_kernel_manual_unrollILi128ELi8EZNS0_22gpu_kernel_impl_nocastIZZZNS0_19digamma_kernel_cudaERNS_18TensorIteratorBaseEENKUlvE_clEvENKUlvE1_clEvEUlN3c104HalfEE_EEvS4_RKT_EUlibE_EEviT1_ ; -- Begin function _ZN2at6native32elementwise_kernel_manual_unrollILi128ELi8EZNS0_22gpu_kernel_impl_nocastIZZZNS0_19digamma_kernel_cudaERNS_18TensorIteratorBaseEENKUlvE_clEvENKUlvE1_clEvEUlN3c104HalfEE_EEvS4_RKT_EUlibE_EEviT1_
	.p2align	8
	.type	_ZN2at6native32elementwise_kernel_manual_unrollILi128ELi8EZNS0_22gpu_kernel_impl_nocastIZZZNS0_19digamma_kernel_cudaERNS_18TensorIteratorBaseEENKUlvE_clEvENKUlvE1_clEvEUlN3c104HalfEE_EEvS4_RKT_EUlibE_EEviT1_,@function
_ZN2at6native32elementwise_kernel_manual_unrollILi128ELi8EZNS0_22gpu_kernel_impl_nocastIZZZNS0_19digamma_kernel_cudaERNS_18TensorIteratorBaseEENKUlvE_clEvENKUlvE1_clEvEUlN3c104HalfEE_EEvS4_RKT_EUlibE_EEviT1_: ; @_ZN2at6native32elementwise_kernel_manual_unrollILi128ELi8EZNS0_22gpu_kernel_impl_nocastIZZZNS0_19digamma_kernel_cudaERNS_18TensorIteratorBaseEENKUlvE_clEvENKUlvE1_clEvEUlN3c104HalfEE_EEvS4_RKT_EUlibE_EEviT1_
; %bb.0:
	s_clause 0x1
	s_load_dword s22, s[4:5], 0x8
	s_load_dword s27, s[4:5], 0x0
	v_lshl_or_b32 v7, s6, 10, v0
	s_add_u32 s2, s4, 8
	s_addc_u32 s3, s5, 0
	s_mov_b32 s0, exec_lo
	v_or_b32_e32 v25, 0x380, v7
	s_waitcnt lgkmcnt(0)
	s_add_i32 s23, s22, -1
	s_cmp_gt_u32 s23, 1
	s_cselect_b32 s24, -1, 0
	v_cmpx_le_i32_e64 s27, v25
	s_xor_b32 s25, exec_lo, s0
	s_cbranch_execz .LBB27_7
; %bb.1:
	s_clause 0x3
	s_load_dwordx4 s[12:15], s[2:3], 0x4
	s_load_dwordx2 s[16:17], s[2:3], 0x14
	s_load_dwordx4 s[8:11], s[2:3], 0xc4
	s_load_dwordx4 s[4:7], s[2:3], 0x148
	s_cmp_lg_u32 s22, 0
	s_mov_b32 s30, exec_lo
	s_cselect_b32 s29, -1, 0
	s_add_u32 s18, s2, 0xc4
	s_addc_u32 s19, s3, 0
	s_min_u32 s28, s23, 15
	s_cmp_gt_u32 s22, 1
	s_cselect_b32 s26, -1, 0
	v_cmpx_gt_i32_e64 s27, v7
	s_cbranch_execz .LBB27_14
; %bb.2:
	s_andn2_b32 vcc_lo, exec_lo, s24
	s_cbranch_vccnz .LBB27_21
; %bb.3:
	s_andn2_b32 vcc_lo, exec_lo, s29
	s_cbranch_vccnz .LBB27_321
; %bb.4:
	s_add_i32 s33, s28, 1
	s_cmp_eq_u32 s23, 2
	s_cbranch_scc1 .LBB27_323
; %bb.5:
	v_mov_b32_e32 v2, 0
	v_mov_b32_e32 v0, 0
	;; [unrolled: 1-line block ×3, first 2 shown]
	s_and_b32 s31, s33, 28
	s_mov_b32 s34, 0
	s_mov_b64 s[0:1], s[2:3]
	s_mov_b64 s[20:21], s[18:19]
.LBB27_6:                               ; =>This Inner Loop Header: Depth=1
	s_clause 0x1
	s_load_dwordx8 s[36:43], s[0:1], 0x4
	s_load_dwordx4 s[52:55], s[0:1], 0x24
	s_load_dwordx8 s[44:51], s[20:21], 0x0
	s_add_u32 s0, s0, 48
	s_addc_u32 s1, s1, 0
	s_add_i32 s34, s34, 4
	s_add_u32 s20, s20, 32
	s_addc_u32 s21, s21, 0
	s_cmp_lg_u32 s31, s34
	s_waitcnt lgkmcnt(0)
	v_mul_hi_u32 v3, s37, v1
	v_add_nc_u32_e32 v3, v1, v3
	v_lshrrev_b32_e32 v3, s38, v3
	v_mul_hi_u32 v4, s40, v3
	v_mul_lo_u32 v6, v3, s36
	v_add_nc_u32_e32 v4, v3, v4
	v_sub_nc_u32_e32 v1, v1, v6
	v_lshrrev_b32_e32 v4, s41, v4
	v_mul_lo_u32 v6, v1, s44
	v_mul_lo_u32 v9, v1, s45
	v_mul_hi_u32 v5, s43, v4
	v_add_nc_u32_e32 v5, v4, v5
	v_lshrrev_b32_e32 v5, s52, v5
	v_mul_hi_u32 v8, s54, v5
	v_mul_lo_u32 v10, v5, s42
	v_add_nc_u32_e32 v1, v5, v8
	v_mul_lo_u32 v8, v4, s39
	v_sub_nc_u32_e32 v4, v4, v10
	v_lshrrev_b32_e32 v1, s55, v1
	v_mul_lo_u32 v10, v4, s48
	v_mul_lo_u32 v4, v4, s49
	v_sub_nc_u32_e32 v3, v3, v8
	v_mul_lo_u32 v11, v1, s53
	v_mul_lo_u32 v8, v3, s46
	;; [unrolled: 1-line block ×3, first 2 shown]
	v_sub_nc_u32_e32 v5, v5, v11
	v_add3_u32 v0, v6, v0, v8
	v_mul_lo_u32 v11, v5, s50
	v_mul_lo_u32 v5, v5, s51
	v_add3_u32 v2, v9, v2, v3
	v_add3_u32 v0, v10, v0, v11
	;; [unrolled: 1-line block ×3, first 2 shown]
	s_cbranch_scc1 .LBB27_6
	s_branch .LBB27_324
.LBB27_7:
	s_andn2_saveexec_b32 s0, s25
	s_cbranch_execz .LBB27_557
.LBB27_8:
	v_cndmask_b32_e64 v8, 0, 1, s24
	s_andn2_b32 vcc_lo, exec_lo, s24
	s_cbranch_vccnz .LBB27_20
; %bb.9:
	s_cmp_lg_u32 s22, 0
	s_waitcnt lgkmcnt(0)
	s_mov_b32 s6, 0
	s_cbranch_scc0 .LBB27_23
; %bb.10:
	s_min_u32 s8, s23, 15
	s_add_i32 s8, s8, 1
	s_cmp_eq_u32 s23, 2
	s_cbranch_scc1 .LBB27_24
; %bb.11:
	v_mov_b32_e32 v23, 0
	v_mov_b32_e32 v0, 0
	;; [unrolled: 1-line block ×3, first 2 shown]
	s_and_b32 s7, s8, 28
	s_add_u32 s0, s2, 0xc4
	s_addc_u32 s1, s3, 0
	s_mov_b32 s9, 0
	s_mov_b64 s[4:5], s[2:3]
.LBB27_12:                              ; =>This Inner Loop Header: Depth=1
	s_clause 0x1
	s_load_dwordx8 s[12:19], s[4:5], 0x4
	s_load_dwordx4 s[36:39], s[4:5], 0x24
	s_load_dwordx8 s[24:31], s[0:1], 0x0
	s_add_u32 s4, s4, 48
	s_addc_u32 s5, s5, 0
	s_add_i32 s9, s9, 4
	s_add_u32 s0, s0, 32
	s_addc_u32 s1, s1, 0
	s_cmp_lg_u32 s7, s9
	s_waitcnt lgkmcnt(0)
	v_mul_hi_u32 v2, s13, v1
	v_add_nc_u32_e32 v2, v1, v2
	v_lshrrev_b32_e32 v2, s14, v2
	v_mul_hi_u32 v3, s16, v2
	v_mul_lo_u32 v5, v2, s12
	v_add_nc_u32_e32 v3, v2, v3
	v_sub_nc_u32_e32 v1, v1, v5
	v_lshrrev_b32_e32 v3, s17, v3
	v_mul_lo_u32 v5, v1, s24
	v_mul_lo_u32 v9, v1, s25
	v_mul_hi_u32 v4, s19, v3
	v_add_nc_u32_e32 v4, v3, v4
	v_lshrrev_b32_e32 v4, s36, v4
	v_mul_hi_u32 v6, s38, v4
	v_mul_lo_u32 v10, v4, s18
	v_add_nc_u32_e32 v1, v4, v6
	v_mul_lo_u32 v6, v3, s15
	v_sub_nc_u32_e32 v3, v3, v10
	v_lshrrev_b32_e32 v1, s39, v1
	v_mul_lo_u32 v10, v3, s28
	v_mul_lo_u32 v3, v3, s29
	v_sub_nc_u32_e32 v2, v2, v6
	v_mul_lo_u32 v11, v1, s37
	v_mul_lo_u32 v6, v2, s26
	;; [unrolled: 1-line block ×3, first 2 shown]
	v_sub_nc_u32_e32 v4, v4, v11
	v_add3_u32 v0, v5, v0, v6
	v_mul_lo_u32 v11, v4, s30
	v_mul_lo_u32 v4, v4, s31
	v_add3_u32 v2, v9, v23, v2
	v_add3_u32 v0, v10, v0, v11
	;; [unrolled: 1-line block ×3, first 2 shown]
	s_cbranch_scc1 .LBB27_12
; %bb.13:
	s_and_b32 s8, s8, 3
	s_cmp_eq_u32 s8, 0
	s_cbranch_scc0 .LBB27_25
	s_branch .LBB27_27
.LBB27_14:
	s_or_b32 exec_lo, exec_lo, s30
	s_mov_b32 s30, exec_lo
	v_cmpx_gt_i32_e64 s27, v7
	s_cbranch_execz .LBB27_355
.LBB27_15:
	s_andn2_b32 vcc_lo, exec_lo, s24
	s_cbranch_vccnz .LBB27_22
; %bb.16:
	s_andn2_b32 vcc_lo, exec_lo, s29
	s_cbranch_vccnz .LBB27_322
; %bb.17:
	s_add_i32 s33, s28, 1
	s_cmp_eq_u32 s23, 2
	s_cbranch_scc1 .LBB27_363
; %bb.18:
	v_mov_b32_e32 v2, 0
	v_mov_b32_e32 v0, 0
	;; [unrolled: 1-line block ×3, first 2 shown]
	s_and_b32 s31, s33, 28
	s_mov_b32 s34, 0
	s_mov_b64 s[0:1], s[2:3]
	s_mov_b64 s[20:21], s[18:19]
.LBB27_19:                              ; =>This Inner Loop Header: Depth=1
	s_clause 0x1
	s_load_dwordx8 s[36:43], s[0:1], 0x4
	s_load_dwordx4 s[52:55], s[0:1], 0x24
	s_load_dwordx8 s[44:51], s[20:21], 0x0
	s_add_u32 s0, s0, 48
	s_addc_u32 s1, s1, 0
	s_add_i32 s34, s34, 4
	s_add_u32 s20, s20, 32
	s_addc_u32 s21, s21, 0
	s_cmp_eq_u32 s31, s34
	s_waitcnt lgkmcnt(0)
	v_mul_hi_u32 v3, s37, v1
	v_add_nc_u32_e32 v3, v1, v3
	v_lshrrev_b32_e32 v3, s38, v3
	v_mul_hi_u32 v4, s40, v3
	v_mul_lo_u32 v6, v3, s36
	v_add_nc_u32_e32 v4, v3, v4
	v_sub_nc_u32_e32 v1, v1, v6
	v_lshrrev_b32_e32 v4, s41, v4
	v_mul_lo_u32 v6, v1, s44
	v_mul_lo_u32 v9, v1, s45
	v_mul_hi_u32 v5, s43, v4
	v_add_nc_u32_e32 v5, v4, v5
	v_lshrrev_b32_e32 v5, s52, v5
	v_mul_hi_u32 v8, s54, v5
	v_mul_lo_u32 v10, v5, s42
	v_add_nc_u32_e32 v1, v5, v8
	v_mul_lo_u32 v8, v4, s39
	v_sub_nc_u32_e32 v4, v4, v10
	v_lshrrev_b32_e32 v1, s55, v1
	v_mul_lo_u32 v10, v4, s48
	v_mul_lo_u32 v4, v4, s49
	v_sub_nc_u32_e32 v3, v3, v8
	v_mul_lo_u32 v11, v1, s53
	v_mul_lo_u32 v8, v3, s46
	;; [unrolled: 1-line block ×3, first 2 shown]
	v_sub_nc_u32_e32 v5, v5, v11
	v_add3_u32 v0, v6, v0, v8
	v_mul_lo_u32 v11, v5, s50
	v_mul_lo_u32 v5, v5, s51
	v_add3_u32 v2, v9, v2, v3
	v_add3_u32 v0, v10, v0, v11
	;; [unrolled: 1-line block ×3, first 2 shown]
	s_cbranch_scc0 .LBB27_19
	s_branch .LBB27_364
.LBB27_20:
	s_waitcnt lgkmcnt(0)
	s_mov_b32 s6, -1
                                        ; implicit-def: $vgpr0
                                        ; implicit-def: $vgpr23
	s_branch .LBB27_27
.LBB27_21:
                                        ; implicit-def: $vgpr0
                                        ; implicit-def: $vgpr2
	s_branch .LBB27_328
.LBB27_22:
                                        ; implicit-def: $vgpr0
                                        ; implicit-def: $vgpr2
	s_branch .LBB27_368
.LBB27_23:
	v_mov_b32_e32 v0, 0
	v_mov_b32_e32 v23, 0
	s_branch .LBB27_27
.LBB27_24:
	v_mov_b32_e32 v0, 0
	v_mov_b32_e32 v23, 0
	;; [unrolled: 1-line block ×3, first 2 shown]
	s_mov_b32 s7, 0
	s_and_b32 s8, s8, 3
	s_cmp_eq_u32 s8, 0
	s_cbranch_scc1 .LBB27_27
.LBB27_25:
	s_lshl_b32 s0, s7, 3
	s_mul_i32 s4, s7, 12
	s_add_u32 s0, s2, s0
	s_addc_u32 s1, s3, 0
	s_add_u32 s0, s0, 0xc4
	s_addc_u32 s1, s1, 0
	;; [unrolled: 2-line block ×3, first 2 shown]
	.p2align	6
.LBB27_26:                              ; =>This Inner Loop Header: Depth=1
	s_clause 0x1
	s_load_dwordx2 s[10:11], s[4:5], 0x4
	s_load_dword s7, s[4:5], 0xc
	s_load_dwordx2 s[12:13], s[0:1], 0x0
	s_add_u32 s4, s4, 12
	s_addc_u32 s5, s5, 0
	s_add_u32 s0, s0, 8
	s_addc_u32 s1, s1, 0
	s_add_i32 s8, s8, -1
	s_cmp_lg_u32 s8, 0
	s_waitcnt lgkmcnt(0)
	v_mul_hi_u32 v2, s11, v1
	v_add_nc_u32_e32 v2, v1, v2
	v_lshrrev_b32_e32 v2, s7, v2
	v_mul_lo_u32 v3, v2, s10
	v_sub_nc_u32_e32 v3, v1, v3
	v_mad_u64_u32 v[0:1], null, v3, s12, v[0:1]
	v_mad_u64_u32 v[23:24], null, v3, s13, v[23:24]
	v_mov_b32_e32 v1, v2
	s_cbranch_scc1 .LBB27_26
.LBB27_27:
	s_andn2_b32 vcc_lo, exec_lo, s6
	s_cbranch_vccnz .LBB27_30
; %bb.28:
	s_clause 0x1
	s_load_dwordx4 s[4:7], s[2:3], 0x4
	s_load_dwordx2 s[0:1], s[2:3], 0xc4
	s_cmp_lt_u32 s22, 2
	s_waitcnt lgkmcnt(0)
	v_mul_hi_u32 v0, s5, v7
	v_add_nc_u32_e32 v0, v7, v0
	v_lshrrev_b32_e32 v1, s6, v0
	v_mul_lo_u32 v0, v1, s4
	v_sub_nc_u32_e32 v2, v7, v0
	v_mul_lo_u32 v0, v2, s0
	v_mul_lo_u32 v23, v2, s1
	s_cbranch_scc1 .LBB27_30
; %bb.29:
	s_clause 0x1
	s_load_dwordx4 s[4:7], s[2:3], 0x10
	s_load_dwordx2 s[0:1], s[2:3], 0xcc
	s_waitcnt lgkmcnt(0)
	v_mul_hi_u32 v2, s5, v1
	v_add_nc_u32_e32 v2, v1, v2
	v_lshrrev_b32_e32 v2, s6, v2
	v_mul_lo_u32 v2, v2, s4
	v_sub_nc_u32_e32 v2, v1, v2
	v_mad_u64_u32 v[0:1], null, v2, s0, v[0:1]
	v_mad_u64_u32 v[23:24], null, v2, s1, v[23:24]
.LBB27_30:
	v_cmp_ne_u32_e32 vcc_lo, 1, v8
	v_add_nc_u32_e32 v3, 0x80, v7
	s_cbranch_vccnz .LBB27_36
; %bb.31:
	s_cmp_lg_u32 s22, 0
	s_mov_b32 s6, 0
	s_cbranch_scc0 .LBB27_37
; %bb.32:
	s_min_u32 s8, s23, 15
	s_add_i32 s8, s8, 1
	s_cmp_eq_u32 s23, 2
	s_cbranch_scc1 .LBB27_38
; %bb.33:
	v_mov_b32_e32 v21, 0
	v_mov_b32_e32 v1, 0
	;; [unrolled: 1-line block ×3, first 2 shown]
	s_and_b32 s7, s8, 28
	s_add_u32 s0, s2, 0xc4
	s_addc_u32 s1, s3, 0
	s_mov_b32 s9, 0
	s_mov_b64 s[4:5], s[2:3]
.LBB27_34:                              ; =>This Inner Loop Header: Depth=1
	s_clause 0x1
	s_load_dwordx8 s[12:19], s[4:5], 0x4
	s_load_dwordx4 s[36:39], s[4:5], 0x24
	s_load_dwordx8 s[24:31], s[0:1], 0x0
	s_add_u32 s4, s4, 48
	s_addc_u32 s5, s5, 0
	s_add_i32 s9, s9, 4
	s_add_u32 s0, s0, 32
	s_addc_u32 s1, s1, 0
	s_cmp_lg_u32 s7, s9
	s_waitcnt lgkmcnt(0)
	v_mul_hi_u32 v4, s13, v2
	v_add_nc_u32_e32 v4, v2, v4
	v_lshrrev_b32_e32 v4, s14, v4
	v_mul_hi_u32 v5, s16, v4
	v_mul_lo_u32 v9, v4, s12
	v_add_nc_u32_e32 v5, v4, v5
	v_sub_nc_u32_e32 v2, v2, v9
	v_lshrrev_b32_e32 v5, s17, v5
	v_mul_lo_u32 v9, v2, s24
	v_mul_lo_u32 v11, v2, s25
	v_mul_hi_u32 v6, s19, v5
	v_add_nc_u32_e32 v6, v5, v6
	v_lshrrev_b32_e32 v6, s36, v6
	v_mul_hi_u32 v10, s38, v6
	v_mul_lo_u32 v12, v6, s18
	v_add_nc_u32_e32 v2, v6, v10
	v_mul_lo_u32 v10, v5, s15
	v_sub_nc_u32_e32 v5, v5, v12
	v_lshrrev_b32_e32 v2, s39, v2
	v_mul_lo_u32 v12, v5, s28
	v_mul_lo_u32 v5, v5, s29
	v_sub_nc_u32_e32 v4, v4, v10
	v_mul_lo_u32 v13, v2, s37
	v_mul_lo_u32 v10, v4, s26
	;; [unrolled: 1-line block ×3, first 2 shown]
	v_sub_nc_u32_e32 v6, v6, v13
	v_add3_u32 v1, v9, v1, v10
	v_mul_lo_u32 v13, v6, s30
	v_mul_lo_u32 v6, v6, s31
	v_add3_u32 v4, v11, v21, v4
	v_add3_u32 v1, v12, v1, v13
	;; [unrolled: 1-line block ×3, first 2 shown]
	s_cbranch_scc1 .LBB27_34
; %bb.35:
	s_and_b32 s8, s8, 3
	s_cmp_eq_u32 s8, 0
	s_cbranch_scc0 .LBB27_39
	s_branch .LBB27_41
.LBB27_36:
	s_mov_b32 s6, -1
                                        ; implicit-def: $vgpr1
                                        ; implicit-def: $vgpr21
	s_branch .LBB27_41
.LBB27_37:
	v_mov_b32_e32 v1, 0
	v_mov_b32_e32 v21, 0
	s_branch .LBB27_41
.LBB27_38:
	v_mov_b32_e32 v1, 0
	v_mov_b32_e32 v21, 0
	v_mov_b32_e32 v2, v3
	s_mov_b32 s7, 0
	s_and_b32 s8, s8, 3
	s_cmp_eq_u32 s8, 0
	s_cbranch_scc1 .LBB27_41
.LBB27_39:
	s_lshl_b32 s0, s7, 3
	s_mul_i32 s4, s7, 12
	s_add_u32 s0, s2, s0
	s_addc_u32 s1, s3, 0
	s_add_u32 s0, s0, 0xc4
	s_addc_u32 s1, s1, 0
	;; [unrolled: 2-line block ×3, first 2 shown]
	.p2align	6
.LBB27_40:                              ; =>This Inner Loop Header: Depth=1
	s_clause 0x1
	s_load_dwordx2 s[10:11], s[4:5], 0x4
	s_load_dword s7, s[4:5], 0xc
	s_load_dwordx2 s[12:13], s[0:1], 0x0
	s_add_u32 s4, s4, 12
	s_addc_u32 s5, s5, 0
	s_add_u32 s0, s0, 8
	s_addc_u32 s1, s1, 0
	s_add_i32 s8, s8, -1
	s_cmp_lg_u32 s8, 0
	s_waitcnt lgkmcnt(0)
	v_mul_hi_u32 v4, s11, v2
	v_add_nc_u32_e32 v4, v2, v4
	v_lshrrev_b32_e32 v4, s7, v4
	v_mul_lo_u32 v5, v4, s10
	v_sub_nc_u32_e32 v5, v2, v5
	v_mad_u64_u32 v[1:2], null, v5, s12, v[1:2]
	v_mad_u64_u32 v[21:22], null, v5, s13, v[21:22]
	v_mov_b32_e32 v2, v4
	s_cbranch_scc1 .LBB27_40
.LBB27_41:
	s_andn2_b32 vcc_lo, exec_lo, s6
	s_cbranch_vccnz .LBB27_44
; %bb.42:
	s_clause 0x1
	s_load_dwordx4 s[4:7], s[2:3], 0x4
	s_load_dwordx2 s[0:1], s[2:3], 0xc4
	s_cmp_lt_u32 s22, 2
	s_waitcnt lgkmcnt(0)
	v_mul_hi_u32 v1, s5, v3
	v_add_nc_u32_e32 v1, v3, v1
	v_lshrrev_b32_e32 v2, s6, v1
	v_mul_lo_u32 v1, v2, s4
	v_sub_nc_u32_e32 v3, v3, v1
	v_mul_lo_u32 v1, v3, s0
	v_mul_lo_u32 v21, v3, s1
	s_cbranch_scc1 .LBB27_44
; %bb.43:
	s_clause 0x1
	s_load_dwordx4 s[4:7], s[2:3], 0x10
	s_load_dwordx2 s[0:1], s[2:3], 0xcc
	s_waitcnt lgkmcnt(0)
	v_mul_hi_u32 v3, s5, v2
	v_add_nc_u32_e32 v3, v2, v3
	v_lshrrev_b32_e32 v3, s6, v3
	v_mul_lo_u32 v3, v3, s4
	v_sub_nc_u32_e32 v3, v2, v3
	v_mad_u64_u32 v[1:2], null, v3, s0, v[1:2]
	v_mad_u64_u32 v[21:22], null, v3, s1, v[21:22]
.LBB27_44:
	v_cmp_ne_u32_e32 vcc_lo, 1, v8
	v_add_nc_u32_e32 v4, 0x100, v7
	s_cbranch_vccnz .LBB27_50
; %bb.45:
	s_cmp_lg_u32 s22, 0
	s_mov_b32 s6, 0
	s_cbranch_scc0 .LBB27_51
; %bb.46:
	s_min_u32 s8, s23, 15
	s_add_i32 s8, s8, 1
	s_cmp_eq_u32 s23, 2
	s_cbranch_scc1 .LBB27_52
; %bb.47:
	v_mov_b32_e32 v19, 0
	v_mov_b32_e32 v2, 0
	;; [unrolled: 1-line block ×3, first 2 shown]
	s_and_b32 s7, s8, 28
	s_add_u32 s0, s2, 0xc4
	s_addc_u32 s1, s3, 0
	s_mov_b32 s9, 0
	s_mov_b64 s[4:5], s[2:3]
.LBB27_48:                              ; =>This Inner Loop Header: Depth=1
	s_clause 0x1
	s_load_dwordx8 s[12:19], s[4:5], 0x4
	s_load_dwordx4 s[36:39], s[4:5], 0x24
	s_load_dwordx8 s[24:31], s[0:1], 0x0
	s_add_u32 s4, s4, 48
	s_addc_u32 s5, s5, 0
	s_add_i32 s9, s9, 4
	s_add_u32 s0, s0, 32
	s_addc_u32 s1, s1, 0
	s_cmp_lg_u32 s7, s9
	s_waitcnt lgkmcnt(0)
	v_mul_hi_u32 v5, s13, v3
	v_add_nc_u32_e32 v5, v3, v5
	v_lshrrev_b32_e32 v5, s14, v5
	v_mul_hi_u32 v6, s16, v5
	v_mul_lo_u32 v10, v5, s12
	v_add_nc_u32_e32 v6, v5, v6
	v_sub_nc_u32_e32 v3, v3, v10
	v_lshrrev_b32_e32 v6, s17, v6
	v_mul_lo_u32 v10, v3, s24
	v_mul_lo_u32 v12, v3, s25
	v_mul_hi_u32 v9, s19, v6
	v_add_nc_u32_e32 v9, v6, v9
	v_lshrrev_b32_e32 v9, s36, v9
	v_mul_hi_u32 v11, s38, v9
	v_mul_lo_u32 v13, v9, s18
	v_add_nc_u32_e32 v3, v9, v11
	v_mul_lo_u32 v11, v6, s15
	v_sub_nc_u32_e32 v6, v6, v13
	v_lshrrev_b32_e32 v3, s39, v3
	v_mul_lo_u32 v13, v6, s28
	v_mul_lo_u32 v6, v6, s29
	v_sub_nc_u32_e32 v5, v5, v11
	v_mul_lo_u32 v14, v3, s37
	v_mul_lo_u32 v11, v5, s26
	;; [unrolled: 1-line block ×3, first 2 shown]
	v_sub_nc_u32_e32 v9, v9, v14
	v_add3_u32 v2, v10, v2, v11
	v_mul_lo_u32 v14, v9, s30
	v_mul_lo_u32 v9, v9, s31
	v_add3_u32 v5, v12, v19, v5
	v_add3_u32 v2, v13, v2, v14
	;; [unrolled: 1-line block ×3, first 2 shown]
	s_cbranch_scc1 .LBB27_48
; %bb.49:
	s_and_b32 s8, s8, 3
	s_cmp_eq_u32 s8, 0
	s_cbranch_scc0 .LBB27_53
	s_branch .LBB27_55
.LBB27_50:
	s_mov_b32 s6, -1
                                        ; implicit-def: $vgpr2
                                        ; implicit-def: $vgpr19
	s_branch .LBB27_55
.LBB27_51:
	v_mov_b32_e32 v2, 0
	v_mov_b32_e32 v19, 0
	s_branch .LBB27_55
.LBB27_52:
	v_mov_b32_e32 v2, 0
	v_mov_b32_e32 v19, 0
	;; [unrolled: 1-line block ×3, first 2 shown]
	s_mov_b32 s7, 0
	s_and_b32 s8, s8, 3
	s_cmp_eq_u32 s8, 0
	s_cbranch_scc1 .LBB27_55
.LBB27_53:
	s_lshl_b32 s0, s7, 3
	s_mul_i32 s4, s7, 12
	s_add_u32 s0, s2, s0
	s_addc_u32 s1, s3, 0
	s_add_u32 s0, s0, 0xc4
	s_addc_u32 s1, s1, 0
	;; [unrolled: 2-line block ×3, first 2 shown]
	.p2align	6
.LBB27_54:                              ; =>This Inner Loop Header: Depth=1
	s_clause 0x1
	s_load_dwordx2 s[10:11], s[4:5], 0x4
	s_load_dword s7, s[4:5], 0xc
	s_load_dwordx2 s[12:13], s[0:1], 0x0
	s_add_u32 s4, s4, 12
	s_addc_u32 s5, s5, 0
	s_add_u32 s0, s0, 8
	s_addc_u32 s1, s1, 0
	s_add_i32 s8, s8, -1
	s_cmp_lg_u32 s8, 0
	s_waitcnt lgkmcnt(0)
	v_mul_hi_u32 v5, s11, v3
	v_add_nc_u32_e32 v5, v3, v5
	v_lshrrev_b32_e32 v5, s7, v5
	v_mul_lo_u32 v6, v5, s10
	v_sub_nc_u32_e32 v6, v3, v6
	v_mad_u64_u32 v[2:3], null, v6, s12, v[2:3]
	v_mad_u64_u32 v[19:20], null, v6, s13, v[19:20]
	v_mov_b32_e32 v3, v5
	s_cbranch_scc1 .LBB27_54
.LBB27_55:
	s_andn2_b32 vcc_lo, exec_lo, s6
	s_cbranch_vccnz .LBB27_58
; %bb.56:
	s_clause 0x1
	s_load_dwordx4 s[4:7], s[2:3], 0x4
	s_load_dwordx2 s[0:1], s[2:3], 0xc4
	s_cmp_lt_u32 s22, 2
	s_waitcnt lgkmcnt(0)
	v_mul_hi_u32 v2, s5, v4
	v_add_nc_u32_e32 v2, v4, v2
	v_lshrrev_b32_e32 v3, s6, v2
	v_mul_lo_u32 v2, v3, s4
	v_sub_nc_u32_e32 v4, v4, v2
	v_mul_lo_u32 v2, v4, s0
	v_mul_lo_u32 v19, v4, s1
	s_cbranch_scc1 .LBB27_58
; %bb.57:
	s_clause 0x1
	s_load_dwordx4 s[4:7], s[2:3], 0x10
	s_load_dwordx2 s[0:1], s[2:3], 0xcc
	s_waitcnt lgkmcnt(0)
	v_mul_hi_u32 v4, s5, v3
	v_add_nc_u32_e32 v4, v3, v4
	v_lshrrev_b32_e32 v4, s6, v4
	v_mul_lo_u32 v4, v4, s4
	v_sub_nc_u32_e32 v4, v3, v4
	v_mad_u64_u32 v[2:3], null, v4, s0, v[2:3]
	v_mad_u64_u32 v[19:20], null, v4, s1, v[19:20]
.LBB27_58:
	v_cmp_ne_u32_e32 vcc_lo, 1, v8
	v_add_nc_u32_e32 v5, 0x180, v7
	s_cbranch_vccnz .LBB27_64
; %bb.59:
	s_cmp_lg_u32 s22, 0
	s_mov_b32 s6, 0
	s_cbranch_scc0 .LBB27_65
; %bb.60:
	s_min_u32 s8, s23, 15
	s_add_i32 s8, s8, 1
	s_cmp_eq_u32 s23, 2
	s_cbranch_scc1 .LBB27_66
; %bb.61:
	v_mov_b32_e32 v17, 0
	v_mov_b32_e32 v3, 0
	v_mov_b32_e32 v4, v5
	s_and_b32 s7, s8, 28
	s_add_u32 s0, s2, 0xc4
	s_addc_u32 s1, s3, 0
	s_mov_b32 s9, 0
	s_mov_b64 s[4:5], s[2:3]
.LBB27_62:                              ; =>This Inner Loop Header: Depth=1
	s_clause 0x1
	s_load_dwordx8 s[12:19], s[4:5], 0x4
	s_load_dwordx4 s[36:39], s[4:5], 0x24
	s_load_dwordx8 s[24:31], s[0:1], 0x0
	s_add_u32 s4, s4, 48
	s_addc_u32 s5, s5, 0
	s_add_i32 s9, s9, 4
	s_add_u32 s0, s0, 32
	s_addc_u32 s1, s1, 0
	s_cmp_lg_u32 s7, s9
	s_waitcnt lgkmcnt(0)
	v_mul_hi_u32 v6, s13, v4
	v_add_nc_u32_e32 v6, v4, v6
	v_lshrrev_b32_e32 v6, s14, v6
	v_mul_hi_u32 v9, s16, v6
	v_mul_lo_u32 v11, v6, s12
	v_add_nc_u32_e32 v9, v6, v9
	v_sub_nc_u32_e32 v4, v4, v11
	v_lshrrev_b32_e32 v9, s17, v9
	v_mul_lo_u32 v11, v4, s24
	v_mul_lo_u32 v13, v4, s25
	v_mul_hi_u32 v10, s19, v9
	v_add_nc_u32_e32 v10, v9, v10
	v_lshrrev_b32_e32 v10, s36, v10
	v_mul_hi_u32 v12, s38, v10
	v_mul_lo_u32 v14, v10, s18
	v_add_nc_u32_e32 v4, v10, v12
	v_mul_lo_u32 v12, v9, s15
	v_sub_nc_u32_e32 v9, v9, v14
	v_lshrrev_b32_e32 v4, s39, v4
	v_mul_lo_u32 v14, v9, s28
	v_mul_lo_u32 v9, v9, s29
	v_sub_nc_u32_e32 v6, v6, v12
	v_mul_lo_u32 v15, v4, s37
	v_mul_lo_u32 v12, v6, s26
	;; [unrolled: 1-line block ×3, first 2 shown]
	v_sub_nc_u32_e32 v10, v10, v15
	v_add3_u32 v3, v11, v3, v12
	v_mul_lo_u32 v15, v10, s30
	v_mul_lo_u32 v10, v10, s31
	v_add3_u32 v6, v13, v17, v6
	v_add3_u32 v3, v14, v3, v15
	;; [unrolled: 1-line block ×3, first 2 shown]
	s_cbranch_scc1 .LBB27_62
; %bb.63:
	s_and_b32 s8, s8, 3
	s_cmp_eq_u32 s8, 0
	s_cbranch_scc0 .LBB27_67
	s_branch .LBB27_69
.LBB27_64:
	s_mov_b32 s6, -1
                                        ; implicit-def: $vgpr3
                                        ; implicit-def: $vgpr17
	s_branch .LBB27_69
.LBB27_65:
	v_mov_b32_e32 v3, 0
	v_mov_b32_e32 v17, 0
	s_branch .LBB27_69
.LBB27_66:
	v_mov_b32_e32 v3, 0
	v_mov_b32_e32 v17, 0
	;; [unrolled: 1-line block ×3, first 2 shown]
	s_mov_b32 s7, 0
	s_and_b32 s8, s8, 3
	s_cmp_eq_u32 s8, 0
	s_cbranch_scc1 .LBB27_69
.LBB27_67:
	s_lshl_b32 s0, s7, 3
	s_mul_i32 s4, s7, 12
	s_add_u32 s0, s2, s0
	s_addc_u32 s1, s3, 0
	s_add_u32 s0, s0, 0xc4
	s_addc_u32 s1, s1, 0
	;; [unrolled: 2-line block ×3, first 2 shown]
	.p2align	6
.LBB27_68:                              ; =>This Inner Loop Header: Depth=1
	s_clause 0x1
	s_load_dwordx2 s[10:11], s[4:5], 0x4
	s_load_dword s7, s[4:5], 0xc
	s_load_dwordx2 s[12:13], s[0:1], 0x0
	s_add_u32 s4, s4, 12
	s_addc_u32 s5, s5, 0
	s_add_u32 s0, s0, 8
	s_addc_u32 s1, s1, 0
	s_add_i32 s8, s8, -1
	s_cmp_lg_u32 s8, 0
	s_waitcnt lgkmcnt(0)
	v_mul_hi_u32 v6, s11, v4
	v_add_nc_u32_e32 v6, v4, v6
	v_lshrrev_b32_e32 v6, s7, v6
	v_mul_lo_u32 v9, v6, s10
	v_sub_nc_u32_e32 v9, v4, v9
	v_mad_u64_u32 v[3:4], null, v9, s12, v[3:4]
	v_mad_u64_u32 v[17:18], null, v9, s13, v[17:18]
	v_mov_b32_e32 v4, v6
	s_cbranch_scc1 .LBB27_68
.LBB27_69:
	s_andn2_b32 vcc_lo, exec_lo, s6
	s_cbranch_vccnz .LBB27_72
; %bb.70:
	s_clause 0x1
	s_load_dwordx4 s[4:7], s[2:3], 0x4
	s_load_dwordx2 s[0:1], s[2:3], 0xc4
	s_cmp_lt_u32 s22, 2
	s_waitcnt lgkmcnt(0)
	v_mul_hi_u32 v3, s5, v5
	v_add_nc_u32_e32 v3, v5, v3
	v_lshrrev_b32_e32 v4, s6, v3
	v_mul_lo_u32 v3, v4, s4
	v_sub_nc_u32_e32 v5, v5, v3
	v_mul_lo_u32 v3, v5, s0
	v_mul_lo_u32 v17, v5, s1
	s_cbranch_scc1 .LBB27_72
; %bb.71:
	s_clause 0x1
	s_load_dwordx4 s[4:7], s[2:3], 0x10
	s_load_dwordx2 s[0:1], s[2:3], 0xcc
	s_waitcnt lgkmcnt(0)
	v_mul_hi_u32 v5, s5, v4
	v_add_nc_u32_e32 v5, v4, v5
	v_lshrrev_b32_e32 v5, s6, v5
	v_mul_lo_u32 v5, v5, s4
	v_sub_nc_u32_e32 v5, v4, v5
	v_mad_u64_u32 v[3:4], null, v5, s0, v[3:4]
	v_mad_u64_u32 v[17:18], null, v5, s1, v[17:18]
.LBB27_72:
	v_cmp_ne_u32_e32 vcc_lo, 1, v8
	v_add_nc_u32_e32 v6, 0x200, v7
	s_cbranch_vccnz .LBB27_78
; %bb.73:
	s_cmp_lg_u32 s22, 0
	s_mov_b32 s6, 0
	s_cbranch_scc0 .LBB27_79
; %bb.74:
	s_min_u32 s8, s23, 15
	s_add_i32 s8, s8, 1
	s_cmp_eq_u32 s23, 2
	s_cbranch_scc1 .LBB27_80
; %bb.75:
	v_mov_b32_e32 v15, 0
	v_mov_b32_e32 v4, 0
	;; [unrolled: 1-line block ×3, first 2 shown]
	s_and_b32 s7, s8, 28
	s_add_u32 s0, s2, 0xc4
	s_addc_u32 s1, s3, 0
	s_mov_b32 s9, 0
	s_mov_b64 s[4:5], s[2:3]
.LBB27_76:                              ; =>This Inner Loop Header: Depth=1
	s_clause 0x1
	s_load_dwordx8 s[12:19], s[4:5], 0x4
	s_load_dwordx4 s[36:39], s[4:5], 0x24
	s_load_dwordx8 s[24:31], s[0:1], 0x0
	s_add_u32 s4, s4, 48
	s_addc_u32 s5, s5, 0
	s_add_i32 s9, s9, 4
	s_add_u32 s0, s0, 32
	s_addc_u32 s1, s1, 0
	s_cmp_lg_u32 s7, s9
	s_waitcnt lgkmcnt(0)
	v_mul_hi_u32 v9, s13, v5
	v_add_nc_u32_e32 v9, v5, v9
	v_lshrrev_b32_e32 v9, s14, v9
	v_mul_hi_u32 v10, s16, v9
	v_mul_lo_u32 v12, v9, s12
	v_add_nc_u32_e32 v10, v9, v10
	v_sub_nc_u32_e32 v5, v5, v12
	v_lshrrev_b32_e32 v10, s17, v10
	v_mul_lo_u32 v12, v5, s24
	v_mul_lo_u32 v14, v5, s25
	v_mul_hi_u32 v11, s19, v10
	v_add_nc_u32_e32 v11, v10, v11
	v_lshrrev_b32_e32 v11, s36, v11
	v_mul_hi_u32 v13, s38, v11
	v_mul_lo_u32 v16, v11, s18
	v_add_nc_u32_e32 v5, v11, v13
	v_mul_lo_u32 v13, v10, s15
	v_sub_nc_u32_e32 v10, v10, v16
	v_lshrrev_b32_e32 v5, s39, v5
	v_mul_lo_u32 v16, v10, s28
	v_mul_lo_u32 v10, v10, s29
	v_sub_nc_u32_e32 v9, v9, v13
	v_mul_lo_u32 v18, v5, s37
	v_mul_lo_u32 v13, v9, s26
	;; [unrolled: 1-line block ×3, first 2 shown]
	v_sub_nc_u32_e32 v11, v11, v18
	v_add3_u32 v4, v12, v4, v13
	v_mul_lo_u32 v18, v11, s30
	v_mul_lo_u32 v11, v11, s31
	v_add3_u32 v9, v14, v15, v9
	v_add3_u32 v4, v16, v4, v18
	;; [unrolled: 1-line block ×3, first 2 shown]
	s_cbranch_scc1 .LBB27_76
; %bb.77:
	s_and_b32 s8, s8, 3
	s_cmp_eq_u32 s8, 0
	s_cbranch_scc0 .LBB27_81
	s_branch .LBB27_83
.LBB27_78:
	s_mov_b32 s6, -1
                                        ; implicit-def: $vgpr4
                                        ; implicit-def: $vgpr15
	s_branch .LBB27_83
.LBB27_79:
	v_mov_b32_e32 v4, 0
	v_mov_b32_e32 v15, 0
	s_branch .LBB27_83
.LBB27_80:
	v_mov_b32_e32 v4, 0
	v_mov_b32_e32 v15, 0
	;; [unrolled: 1-line block ×3, first 2 shown]
	s_mov_b32 s7, 0
	s_and_b32 s8, s8, 3
	s_cmp_eq_u32 s8, 0
	s_cbranch_scc1 .LBB27_83
.LBB27_81:
	s_lshl_b32 s0, s7, 3
	s_mul_i32 s4, s7, 12
	s_add_u32 s0, s2, s0
	s_addc_u32 s1, s3, 0
	s_add_u32 s0, s0, 0xc4
	s_addc_u32 s1, s1, 0
	;; [unrolled: 2-line block ×3, first 2 shown]
	.p2align	6
.LBB27_82:                              ; =>This Inner Loop Header: Depth=1
	s_clause 0x1
	s_load_dwordx2 s[10:11], s[4:5], 0x4
	s_load_dword s7, s[4:5], 0xc
	s_load_dwordx2 s[12:13], s[0:1], 0x0
	s_add_u32 s4, s4, 12
	s_addc_u32 s5, s5, 0
	s_add_u32 s0, s0, 8
	s_addc_u32 s1, s1, 0
	s_add_i32 s8, s8, -1
	s_cmp_lg_u32 s8, 0
	s_waitcnt lgkmcnt(0)
	v_mul_hi_u32 v9, s11, v5
	v_add_nc_u32_e32 v9, v5, v9
	v_lshrrev_b32_e32 v9, s7, v9
	v_mul_lo_u32 v10, v9, s10
	v_sub_nc_u32_e32 v10, v5, v10
	v_mad_u64_u32 v[4:5], null, v10, s12, v[4:5]
	v_mad_u64_u32 v[15:16], null, v10, s13, v[15:16]
	v_mov_b32_e32 v5, v9
	s_cbranch_scc1 .LBB27_82
.LBB27_83:
	s_andn2_b32 vcc_lo, exec_lo, s6
	s_cbranch_vccnz .LBB27_86
; %bb.84:
	s_clause 0x1
	s_load_dwordx4 s[4:7], s[2:3], 0x4
	s_load_dwordx2 s[0:1], s[2:3], 0xc4
	s_cmp_lt_u32 s22, 2
	s_waitcnt lgkmcnt(0)
	v_mul_hi_u32 v4, s5, v6
	v_add_nc_u32_e32 v4, v6, v4
	v_lshrrev_b32_e32 v5, s6, v4
	v_mul_lo_u32 v4, v5, s4
	v_sub_nc_u32_e32 v6, v6, v4
	v_mul_lo_u32 v4, v6, s0
	v_mul_lo_u32 v15, v6, s1
	s_cbranch_scc1 .LBB27_86
; %bb.85:
	s_clause 0x1
	s_load_dwordx4 s[4:7], s[2:3], 0x10
	s_load_dwordx2 s[0:1], s[2:3], 0xcc
	s_waitcnt lgkmcnt(0)
	v_mul_hi_u32 v6, s5, v5
	v_add_nc_u32_e32 v6, v5, v6
	v_lshrrev_b32_e32 v6, s6, v6
	v_mul_lo_u32 v6, v6, s4
	v_sub_nc_u32_e32 v6, v5, v6
	v_mad_u64_u32 v[4:5], null, v6, s0, v[4:5]
	v_mad_u64_u32 v[15:16], null, v6, s1, v[15:16]
.LBB27_86:
	v_cmp_ne_u32_e32 vcc_lo, 1, v8
	v_add_nc_u32_e32 v9, 0x280, v7
	s_cbranch_vccnz .LBB27_92
; %bb.87:
	s_cmp_lg_u32 s22, 0
	s_mov_b32 s6, 0
	s_cbranch_scc0 .LBB27_93
; %bb.88:
	s_min_u32 s8, s23, 15
	s_add_i32 s8, s8, 1
	s_cmp_eq_u32 s23, 2
	s_cbranch_scc1 .LBB27_94
; %bb.89:
	v_mov_b32_e32 v13, 0
	v_mov_b32_e32 v5, 0
	;; [unrolled: 1-line block ×3, first 2 shown]
	s_and_b32 s7, s8, 28
	s_add_u32 s0, s2, 0xc4
	s_addc_u32 s1, s3, 0
	s_mov_b32 s9, 0
	s_mov_b64 s[4:5], s[2:3]
.LBB27_90:                              ; =>This Inner Loop Header: Depth=1
	s_clause 0x1
	s_load_dwordx8 s[12:19], s[4:5], 0x4
	s_load_dwordx4 s[36:39], s[4:5], 0x24
	s_load_dwordx8 s[24:31], s[0:1], 0x0
	s_add_u32 s4, s4, 48
	s_addc_u32 s5, s5, 0
	s_add_i32 s9, s9, 4
	s_add_u32 s0, s0, 32
	s_addc_u32 s1, s1, 0
	s_cmp_lg_u32 s7, s9
	s_waitcnt lgkmcnt(0)
	v_mul_hi_u32 v10, s13, v6
	v_add_nc_u32_e32 v10, v6, v10
	v_lshrrev_b32_e32 v10, s14, v10
	v_mul_hi_u32 v11, s16, v10
	v_mul_lo_u32 v14, v10, s12
	v_add_nc_u32_e32 v11, v10, v11
	v_sub_nc_u32_e32 v6, v6, v14
	v_lshrrev_b32_e32 v11, s17, v11
	v_mul_lo_u32 v14, v6, s24
	v_mul_lo_u32 v18, v6, s25
	v_mul_hi_u32 v12, s19, v11
	v_add_nc_u32_e32 v12, v11, v12
	v_lshrrev_b32_e32 v12, s36, v12
	v_mul_hi_u32 v16, s38, v12
	v_mul_lo_u32 v20, v12, s18
	v_add_nc_u32_e32 v6, v12, v16
	v_mul_lo_u32 v16, v11, s15
	v_sub_nc_u32_e32 v11, v11, v20
	v_lshrrev_b32_e32 v6, s39, v6
	v_mul_lo_u32 v20, v11, s28
	v_mul_lo_u32 v11, v11, s29
	v_sub_nc_u32_e32 v10, v10, v16
	v_mul_lo_u32 v22, v6, s37
	v_mul_lo_u32 v16, v10, s26
	v_mul_lo_u32 v10, v10, s27
	v_sub_nc_u32_e32 v12, v12, v22
	v_add3_u32 v5, v14, v5, v16
	v_mul_lo_u32 v22, v12, s30
	v_mul_lo_u32 v12, v12, s31
	v_add3_u32 v10, v18, v13, v10
	v_add3_u32 v5, v20, v5, v22
	;; [unrolled: 1-line block ×3, first 2 shown]
	s_cbranch_scc1 .LBB27_90
; %bb.91:
	s_and_b32 s8, s8, 3
	s_cmp_eq_u32 s8, 0
	s_cbranch_scc0 .LBB27_95
	s_branch .LBB27_97
.LBB27_92:
	s_mov_b32 s6, -1
                                        ; implicit-def: $vgpr5
                                        ; implicit-def: $vgpr13
	s_branch .LBB27_97
.LBB27_93:
	v_mov_b32_e32 v5, 0
	v_mov_b32_e32 v13, 0
	s_branch .LBB27_97
.LBB27_94:
	v_mov_b32_e32 v5, 0
	v_mov_b32_e32 v13, 0
	;; [unrolled: 1-line block ×3, first 2 shown]
	s_mov_b32 s7, 0
	s_and_b32 s8, s8, 3
	s_cmp_eq_u32 s8, 0
	s_cbranch_scc1 .LBB27_97
.LBB27_95:
	s_lshl_b32 s0, s7, 3
	s_mul_i32 s4, s7, 12
	s_add_u32 s0, s2, s0
	s_addc_u32 s1, s3, 0
	s_add_u32 s0, s0, 0xc4
	s_addc_u32 s1, s1, 0
	;; [unrolled: 2-line block ×3, first 2 shown]
	.p2align	6
.LBB27_96:                              ; =>This Inner Loop Header: Depth=1
	s_clause 0x1
	s_load_dwordx2 s[10:11], s[4:5], 0x4
	s_load_dword s7, s[4:5], 0xc
	s_load_dwordx2 s[12:13], s[0:1], 0x0
	s_add_u32 s4, s4, 12
	s_addc_u32 s5, s5, 0
	s_add_u32 s0, s0, 8
	s_addc_u32 s1, s1, 0
	s_add_i32 s8, s8, -1
	s_cmp_lg_u32 s8, 0
	s_waitcnt lgkmcnt(0)
	v_mul_hi_u32 v10, s11, v6
	v_add_nc_u32_e32 v10, v6, v10
	v_lshrrev_b32_e32 v10, s7, v10
	v_mul_lo_u32 v11, v10, s10
	v_sub_nc_u32_e32 v11, v6, v11
	v_mad_u64_u32 v[5:6], null, v11, s12, v[5:6]
	v_mad_u64_u32 v[13:14], null, v11, s13, v[13:14]
	v_mov_b32_e32 v6, v10
	s_cbranch_scc1 .LBB27_96
.LBB27_97:
	s_andn2_b32 vcc_lo, exec_lo, s6
	s_cbranch_vccnz .LBB27_100
; %bb.98:
	s_clause 0x1
	s_load_dwordx4 s[4:7], s[2:3], 0x4
	s_load_dwordx2 s[0:1], s[2:3], 0xc4
	s_cmp_lt_u32 s22, 2
	s_waitcnt lgkmcnt(0)
	v_mul_hi_u32 v5, s5, v9
	v_add_nc_u32_e32 v5, v9, v5
	v_lshrrev_b32_e32 v6, s6, v5
	v_mul_lo_u32 v5, v6, s4
	v_sub_nc_u32_e32 v9, v9, v5
	v_mul_lo_u32 v5, v9, s0
	v_mul_lo_u32 v13, v9, s1
	s_cbranch_scc1 .LBB27_100
; %bb.99:
	s_clause 0x1
	s_load_dwordx4 s[4:7], s[2:3], 0x10
	s_load_dwordx2 s[0:1], s[2:3], 0xcc
	s_waitcnt lgkmcnt(0)
	v_mul_hi_u32 v9, s5, v6
	v_add_nc_u32_e32 v9, v6, v9
	v_lshrrev_b32_e32 v9, s6, v9
	v_mul_lo_u32 v9, v9, s4
	v_sub_nc_u32_e32 v9, v6, v9
	v_mad_u64_u32 v[5:6], null, v9, s0, v[5:6]
	v_mad_u64_u32 v[13:14], null, v9, s1, v[13:14]
.LBB27_100:
	v_cmp_ne_u32_e32 vcc_lo, 1, v8
	v_add_nc_u32_e32 v9, 0x300, v7
	s_cbranch_vccnz .LBB27_106
; %bb.101:
	s_cmp_lg_u32 s22, 0
	s_mov_b32 s6, 0
	s_cbranch_scc0 .LBB27_107
; %bb.102:
	s_min_u32 s8, s23, 15
	s_add_i32 s8, s8, 1
	s_cmp_eq_u32 s23, 2
	s_cbranch_scc1 .LBB27_108
; %bb.103:
	v_mov_b32_e32 v11, 0
	v_mov_b32_e32 v6, 0
	;; [unrolled: 1-line block ×3, first 2 shown]
	s_and_b32 s7, s8, 28
	s_add_u32 s0, s2, 0xc4
	s_addc_u32 s1, s3, 0
	s_mov_b32 s9, 0
	s_mov_b64 s[4:5], s[2:3]
.LBB27_104:                             ; =>This Inner Loop Header: Depth=1
	s_clause 0x1
	s_load_dwordx8 s[12:19], s[4:5], 0x4
	s_load_dwordx4 s[36:39], s[4:5], 0x24
	s_load_dwordx8 s[24:31], s[0:1], 0x0
	s_add_u32 s4, s4, 48
	s_addc_u32 s5, s5, 0
	s_add_i32 s9, s9, 4
	s_add_u32 s0, s0, 32
	s_addc_u32 s1, s1, 0
	s_cmp_lg_u32 s7, s9
	s_waitcnt lgkmcnt(0)
	v_mul_hi_u32 v10, s13, v7
	v_add_nc_u32_e32 v10, v7, v10
	v_lshrrev_b32_e32 v10, s14, v10
	v_mul_hi_u32 v12, s16, v10
	v_mul_lo_u32 v16, v10, s12
	v_add_nc_u32_e32 v12, v10, v12
	v_sub_nc_u32_e32 v7, v7, v16
	v_lshrrev_b32_e32 v12, s17, v12
	v_mul_lo_u32 v16, v7, s24
	v_mul_lo_u32 v20, v7, s25
	v_mul_hi_u32 v14, s19, v12
	v_add_nc_u32_e32 v14, v12, v14
	v_lshrrev_b32_e32 v14, s36, v14
	v_mul_hi_u32 v18, s38, v14
	v_mul_lo_u32 v22, v14, s18
	v_add_nc_u32_e32 v7, v14, v18
	v_mul_lo_u32 v18, v12, s15
	v_sub_nc_u32_e32 v12, v12, v22
	v_lshrrev_b32_e32 v7, s39, v7
	v_mul_lo_u32 v22, v12, s28
	v_mul_lo_u32 v12, v12, s29
	v_sub_nc_u32_e32 v10, v10, v18
	v_mul_lo_u32 v24, v7, s37
	v_mul_lo_u32 v18, v10, s26
	;; [unrolled: 1-line block ×3, first 2 shown]
	v_sub_nc_u32_e32 v14, v14, v24
	v_add3_u32 v6, v16, v6, v18
	v_mul_lo_u32 v24, v14, s30
	v_mul_lo_u32 v14, v14, s31
	v_add3_u32 v10, v20, v11, v10
	v_add3_u32 v6, v22, v6, v24
	;; [unrolled: 1-line block ×3, first 2 shown]
	s_cbranch_scc1 .LBB27_104
; %bb.105:
	s_and_b32 s8, s8, 3
	s_cmp_eq_u32 s8, 0
	s_cbranch_scc0 .LBB27_109
	s_branch .LBB27_111
.LBB27_106:
	s_mov_b32 s6, -1
                                        ; implicit-def: $vgpr6
                                        ; implicit-def: $vgpr11
	s_branch .LBB27_111
.LBB27_107:
	v_mov_b32_e32 v6, 0
	v_mov_b32_e32 v11, 0
	s_branch .LBB27_111
.LBB27_108:
	v_mov_b32_e32 v6, 0
	v_mov_b32_e32 v11, 0
	;; [unrolled: 1-line block ×3, first 2 shown]
	s_mov_b32 s7, 0
	s_and_b32 s8, s8, 3
	s_cmp_eq_u32 s8, 0
	s_cbranch_scc1 .LBB27_111
.LBB27_109:
	s_lshl_b32 s0, s7, 3
	s_mul_i32 s4, s7, 12
	s_add_u32 s0, s2, s0
	s_addc_u32 s1, s3, 0
	s_add_u32 s0, s0, 0xc4
	s_addc_u32 s1, s1, 0
	;; [unrolled: 2-line block ×3, first 2 shown]
	.p2align	6
.LBB27_110:                             ; =>This Inner Loop Header: Depth=1
	s_clause 0x1
	s_load_dwordx2 s[10:11], s[4:5], 0x4
	s_load_dword s7, s[4:5], 0xc
	s_load_dwordx2 s[12:13], s[0:1], 0x0
	s_add_u32 s4, s4, 12
	s_addc_u32 s5, s5, 0
	s_add_u32 s0, s0, 8
	s_addc_u32 s1, s1, 0
	s_add_i32 s8, s8, -1
	s_cmp_lg_u32 s8, 0
	s_waitcnt lgkmcnt(0)
	v_mul_hi_u32 v10, s11, v7
	v_add_nc_u32_e32 v10, v7, v10
	v_lshrrev_b32_e32 v10, s7, v10
	v_mul_lo_u32 v12, v10, s10
	v_sub_nc_u32_e32 v12, v7, v12
	v_mad_u64_u32 v[6:7], null, v12, s12, v[6:7]
	v_mad_u64_u32 v[11:12], null, v12, s13, v[11:12]
	v_mov_b32_e32 v7, v10
	s_cbranch_scc1 .LBB27_110
.LBB27_111:
	s_andn2_b32 vcc_lo, exec_lo, s6
	s_cbranch_vccnz .LBB27_114
; %bb.112:
	s_clause 0x1
	s_load_dwordx4 s[4:7], s[2:3], 0x4
	s_load_dwordx2 s[0:1], s[2:3], 0xc4
	s_cmp_lt_u32 s22, 2
	s_waitcnt lgkmcnt(0)
	v_mul_hi_u32 v6, s5, v9
	v_add_nc_u32_e32 v6, v9, v6
	v_lshrrev_b32_e32 v7, s6, v6
	v_mul_lo_u32 v6, v7, s4
	v_sub_nc_u32_e32 v9, v9, v6
	v_mul_lo_u32 v6, v9, s0
	v_mul_lo_u32 v11, v9, s1
	s_cbranch_scc1 .LBB27_114
; %bb.113:
	s_clause 0x1
	s_load_dwordx4 s[4:7], s[2:3], 0x10
	s_load_dwordx2 s[0:1], s[2:3], 0xcc
	s_waitcnt lgkmcnt(0)
	v_mul_hi_u32 v9, s5, v7
	v_add_nc_u32_e32 v9, v7, v9
	v_lshrrev_b32_e32 v9, s6, v9
	v_mul_lo_u32 v9, v9, s4
	v_sub_nc_u32_e32 v9, v7, v9
	v_mad_u64_u32 v[6:7], null, v9, s0, v[6:7]
	v_mad_u64_u32 v[11:12], null, v9, s1, v[11:12]
.LBB27_114:
	v_cmp_ne_u32_e32 vcc_lo, 1, v8
	s_cbranch_vccnz .LBB27_120
; %bb.115:
	s_cmp_lg_u32 s22, 0
	s_mov_b32 s6, 0
	s_cbranch_scc0 .LBB27_121
; %bb.116:
	s_min_u32 s8, s23, 15
	s_add_i32 s8, s8, 1
	s_cmp_eq_u32 s23, 2
	s_cbranch_scc1 .LBB27_122
; %bb.117:
	v_mov_b32_e32 v9, 0
	v_mov_b32_e32 v7, 0
	;; [unrolled: 1-line block ×3, first 2 shown]
	s_and_b32 s7, s8, 28
	s_add_u32 s0, s2, 0xc4
	s_addc_u32 s1, s3, 0
	s_mov_b32 s9, 0
	s_mov_b64 s[4:5], s[2:3]
.LBB27_118:                             ; =>This Inner Loop Header: Depth=1
	s_clause 0x1
	s_load_dwordx8 s[12:19], s[4:5], 0x4
	s_load_dwordx4 s[36:39], s[4:5], 0x24
	s_load_dwordx8 s[24:31], s[0:1], 0x0
	s_add_u32 s4, s4, 48
	s_addc_u32 s5, s5, 0
	s_add_i32 s9, s9, 4
	s_add_u32 s0, s0, 32
	s_addc_u32 s1, s1, 0
	s_cmp_lg_u32 s7, s9
	s_waitcnt lgkmcnt(0)
	v_mul_hi_u32 v10, s13, v8
	v_add_nc_u32_e32 v10, v8, v10
	v_lshrrev_b32_e32 v10, s14, v10
	v_mul_hi_u32 v12, s16, v10
	v_mul_lo_u32 v16, v10, s12
	v_add_nc_u32_e32 v12, v10, v12
	v_sub_nc_u32_e32 v8, v8, v16
	v_lshrrev_b32_e32 v12, s17, v12
	v_mul_lo_u32 v16, v8, s24
	v_mul_lo_u32 v20, v8, s25
	v_mul_hi_u32 v14, s19, v12
	v_add_nc_u32_e32 v14, v12, v14
	v_lshrrev_b32_e32 v14, s36, v14
	v_mul_hi_u32 v18, s38, v14
	v_mul_lo_u32 v22, v14, s18
	v_add_nc_u32_e32 v8, v14, v18
	v_mul_lo_u32 v18, v12, s15
	v_sub_nc_u32_e32 v12, v12, v22
	v_lshrrev_b32_e32 v8, s39, v8
	v_mul_lo_u32 v22, v12, s28
	v_mul_lo_u32 v12, v12, s29
	v_sub_nc_u32_e32 v10, v10, v18
	v_mul_lo_u32 v24, v8, s37
	v_mul_lo_u32 v18, v10, s26
	;; [unrolled: 1-line block ×3, first 2 shown]
	v_sub_nc_u32_e32 v14, v14, v24
	v_add3_u32 v7, v16, v7, v18
	v_mul_lo_u32 v24, v14, s30
	v_mul_lo_u32 v14, v14, s31
	v_add3_u32 v9, v20, v9, v10
	v_add3_u32 v7, v22, v7, v24
	v_add3_u32 v9, v12, v9, v14
	s_cbranch_scc1 .LBB27_118
; %bb.119:
	s_and_b32 s8, s8, 3
	s_cmp_eq_u32 s8, 0
	s_cbranch_scc0 .LBB27_123
	s_branch .LBB27_125
.LBB27_120:
	s_mov_b32 s6, -1
                                        ; implicit-def: $vgpr7
                                        ; implicit-def: $vgpr9
	s_branch .LBB27_125
.LBB27_121:
	v_mov_b32_e32 v7, 0
	v_mov_b32_e32 v9, 0
	s_branch .LBB27_125
.LBB27_122:
	v_mov_b32_e32 v7, 0
	v_mov_b32_e32 v9, 0
	;; [unrolled: 1-line block ×3, first 2 shown]
	s_mov_b32 s7, 0
	s_and_b32 s8, s8, 3
	s_cmp_eq_u32 s8, 0
	s_cbranch_scc1 .LBB27_125
.LBB27_123:
	s_lshl_b32 s0, s7, 3
	s_mul_i32 s4, s7, 12
	s_add_u32 s0, s2, s0
	s_addc_u32 s1, s3, 0
	s_add_u32 s0, s0, 0xc4
	s_addc_u32 s1, s1, 0
	;; [unrolled: 2-line block ×3, first 2 shown]
	.p2align	6
.LBB27_124:                             ; =>This Inner Loop Header: Depth=1
	s_clause 0x1
	s_load_dwordx2 s[10:11], s[4:5], 0x4
	s_load_dword s7, s[4:5], 0xc
	s_load_dwordx2 s[12:13], s[0:1], 0x0
	s_add_u32 s4, s4, 12
	s_addc_u32 s5, s5, 0
	s_add_u32 s0, s0, 8
	s_addc_u32 s1, s1, 0
	s_add_i32 s8, s8, -1
	s_cmp_lg_u32 s8, 0
	s_waitcnt lgkmcnt(0)
	v_mul_hi_u32 v10, s11, v8
	v_add_nc_u32_e32 v10, v8, v10
	v_lshrrev_b32_e32 v12, s7, v10
	v_mul_lo_u32 v10, v12, s10
	v_sub_nc_u32_e32 v10, v8, v10
	v_mad_u64_u32 v[7:8], null, v10, s12, v[7:8]
	v_mad_u64_u32 v[9:10], null, v10, s13, v[9:10]
	v_mov_b32_e32 v8, v12
	s_cbranch_scc1 .LBB27_124
.LBB27_125:
	s_andn2_b32 vcc_lo, exec_lo, s6
	s_cbranch_vccnz .LBB27_128
; %bb.126:
	s_clause 0x1
	s_load_dwordx4 s[4:7], s[2:3], 0x4
	s_load_dwordx2 s[0:1], s[2:3], 0xc4
	s_cmp_lt_u32 s22, 2
	s_waitcnt lgkmcnt(0)
	v_mul_hi_u32 v7, s5, v25
	v_add_nc_u32_e32 v7, v25, v7
	v_lshrrev_b32_e32 v8, s6, v7
	v_mul_lo_u32 v7, v8, s4
	v_sub_nc_u32_e32 v9, v25, v7
	v_mul_lo_u32 v7, v9, s0
	v_mul_lo_u32 v9, v9, s1
	s_cbranch_scc1 .LBB27_128
; %bb.127:
	s_clause 0x1
	s_load_dwordx4 s[4:7], s[2:3], 0x10
	s_load_dwordx2 s[0:1], s[2:3], 0xcc
	s_waitcnt lgkmcnt(0)
	v_mul_hi_u32 v10, s5, v8
	v_add_nc_u32_e32 v10, v8, v10
	v_lshrrev_b32_e32 v10, s6, v10
	v_mul_lo_u32 v10, v10, s4
	v_sub_nc_u32_e32 v10, v8, v10
	v_mad_u64_u32 v[7:8], null, v10, s0, v[7:8]
	v_mad_u64_u32 v[9:10], null, v10, s1, v[9:10]
.LBB27_128:
	s_load_dwordx4 s[4:7], s[2:3], 0x148
                                        ; implicit-def: $vgpr26
	s_mov_b32 s0, exec_lo
	s_waitcnt lgkmcnt(0)
	global_load_ushort v12, v23, s[6:7]
	s_waitcnt vmcnt(0)
	v_cvt_f32_f16_e32 v8, v12
	v_cmpx_neq_f16_e32 0, v12
	s_xor_b32 s2, exec_lo, s0
	s_cbranch_execz .LBB27_150
; %bb.129:
	v_mov_b32_e32 v10, 0
	s_mov_b32 s0, -1
	s_mov_b32 s3, exec_lo
	v_cmpx_gt_f16_e32 0, v12
	s_cbranch_execz .LBB27_137
; %bb.130:
	v_trunc_f32_e32 v10, v8
	s_mov_b32 s1, 0
	v_cmp_neq_f32_e32 vcc_lo, v10, v8
	v_mov_b32_e32 v10, 0
	s_and_saveexec_b32 s8, vcc_lo
	s_cbranch_execz .LBB27_136
; %bb.131:
	v_cvt_f32_f16_e32 v10, v12
	s_mov_b32 s1, 0xc00921fb
	s_mov_b32 s0, 0x54442d18
	s_mov_b32 s9, exec_lo
                                        ; implicit-def: $vgpr26_vgpr27
	v_cvt_f64_f32_e32 v[22:23], v10
                                        ; implicit-def: $vgpr10
	v_trunc_f64_e32 v[24:25], v[22:23]
	v_cmp_neq_f64_e64 vcc_lo, 0x7ff00000, |v[22:23]|
	v_add_f64 v[24:25], v[22:23], -v[24:25]
	v_mul_f64 v[24:25], |v[24:25]|, s[0:1]
	v_cndmask_b32_e32 v23, 0x80000000, v25, vcc_lo
	v_cndmask_b32_e32 v22, 0, v24, vcc_lo
                                        ; implicit-def: $vgpr24_vgpr25
	v_cmpx_ngt_f64_e64 0x41d00000, |v[22:23]|
	s_xor_b32 s9, exec_lo, s9
	s_cbranch_execz .LBB27_133
; %bb.132:
	v_ldexp_f64 v[24:25], |v[22:23]|, 0xffffff80
	v_cmp_le_f64_e64 vcc_lo, 0x7b000000, |v[22:23]|
	v_trig_preop_f64 v[26:27], |v[22:23]|, 0
	v_and_b32_e32 v10, 0x7fffffff, v23
	v_trig_preop_f64 v[28:29], |v[22:23]|, 1
	v_trig_preop_f64 v[38:39], |v[22:23]|, 2
	v_mov_b32_e32 v46, 0
	s_mov_b32 s1, 0x3ff921fb
	s_mov_b32 s10, 0x33145c07
	;; [unrolled: 1-line block ×3, first 2 shown]
	v_cndmask_b32_e32 v25, v10, v25, vcc_lo
	v_cndmask_b32_e32 v24, v22, v24, vcc_lo
	v_mul_f64 v[30:31], v[26:27], v[24:25]
	v_mul_f64 v[32:33], v[28:29], v[24:25]
	;; [unrolled: 1-line block ×3, first 2 shown]
	v_fma_f64 v[26:27], v[26:27], v[24:25], -v[30:31]
	v_fma_f64 v[28:29], v[28:29], v[24:25], -v[32:33]
	v_fma_f64 v[24:25], v[38:39], v[24:25], -v[44:45]
	v_add_f64 v[34:35], v[32:33], v[26:27]
	v_add_f64 v[36:37], v[34:35], -v[32:33]
	v_add_f64 v[42:43], v[30:31], v[34:35]
	v_add_f64 v[40:41], v[34:35], -v[36:37]
	v_add_f64 v[26:27], v[26:27], -v[36:37]
	v_ldexp_f64 v[36:37], v[42:43], -2
	v_add_f64 v[30:31], v[42:43], -v[30:31]
	v_add_f64 v[32:33], v[32:33], -v[40:41]
	v_add_f64 v[40:41], v[44:45], v[28:29]
	v_cmp_neq_f64_e64 vcc_lo, 0x7ff00000, |v[36:37]|
	v_add_f64 v[30:31], v[34:35], -v[30:31]
	v_add_f64 v[26:27], v[26:27], v[32:33]
	v_fract_f64_e32 v[32:33], v[36:37]
	v_add_f64 v[34:35], v[40:41], v[26:27]
	v_ldexp_f64 v[32:33], v[32:33], 2
	v_add_f64 v[36:37], v[30:31], v[34:35]
	v_cndmask_b32_e32 v33, 0, v33, vcc_lo
	v_cndmask_b32_e32 v32, 0, v32, vcc_lo
	v_add_f64 v[42:43], v[36:37], v[32:33]
	v_add_f64 v[30:31], v[36:37], -v[30:31]
	v_cmp_gt_f64_e32 vcc_lo, 0, v[42:43]
	v_add_f64 v[42:43], v[40:41], -v[44:45]
	v_add_f64 v[30:31], v[34:35], -v[30:31]
	v_cndmask_b32_e64 v47, 0, 0x40100000, vcc_lo
	v_add_f64 v[51:52], v[40:41], -v[42:43]
	v_add_f64 v[28:29], v[28:29], -v[42:43]
	v_add_f64 v[32:33], v[32:33], v[46:47]
	v_add_f64 v[47:48], v[34:35], -v[40:41]
	v_add_f64 v[42:43], v[44:45], -v[51:52]
	v_add_f64 v[49:50], v[36:37], v[32:33]
	;; [unrolled: 3-line block ×3, first 2 shown]
	v_cvt_i32_f64_e32 v10, v[49:50]
	v_add_f64 v[40:41], v[40:41], -v[53:54]
	v_cvt_f64_i32_e32 v[47:48], v10
	v_add_f64 v[26:27], v[26:27], v[40:41]
	v_add_f64 v[32:33], v[32:33], -v[47:48]
	v_add_f64 v[26:27], v[28:29], v[26:27]
	v_add_f64 v[28:29], v[36:37], v[32:33]
	v_add_f64 v[24:25], v[24:25], v[26:27]
	v_add_f64 v[26:27], v[28:29], -v[32:33]
	v_cmp_le_f64_e32 vcc_lo, 0.5, v[28:29]
	v_add_f64 v[24:25], v[30:31], v[24:25]
	v_add_f64 v[26:27], v[36:37], -v[26:27]
	v_cndmask_b32_e64 v47, 0, 0x3ff00000, vcc_lo
	v_add_co_ci_u32_e64 v10, null, 0, v10, vcc_lo
	v_add_f64 v[24:25], v[24:25], v[26:27]
	v_add_f64 v[26:27], v[28:29], -v[46:47]
	v_add_f64 v[28:29], v[26:27], v[24:25]
	v_mul_f64 v[30:31], v[28:29], s[0:1]
	v_add_f64 v[26:27], v[28:29], -v[26:27]
	v_fma_f64 v[32:33], v[28:29], s[0:1], -v[30:31]
	v_add_f64 v[24:25], v[24:25], -v[26:27]
	v_fma_f64 v[26:27], v[28:29], s[10:11], v[32:33]
	v_fma_f64 v[26:27], v[24:25], s[0:1], v[26:27]
	v_add_f64 v[24:25], v[30:31], v[26:27]
	v_add_f64 v[28:29], v[24:25], -v[30:31]
	v_add_f64 v[26:27], v[26:27], -v[28:29]
.LBB27_133:
	s_andn2_saveexec_b32 s0, s9
	s_cbranch_execz .LBB27_135
; %bb.134:
	s_mov_b32 s10, 0x6dc9c883
	s_mov_b32 s11, 0x3fe45f30
	;; [unrolled: 1-line block ×3, first 2 shown]
	v_mul_f64 v[24:25], |v[22:23]|, s[10:11]
	s_mov_b32 s10, 0x54442d18
	s_mov_b32 s11, 0xbff921fb
	;; [unrolled: 1-line block ×3, first 2 shown]
	v_rndne_f64_e32 v[28:29], v[24:25]
	v_fma_f64 v[24:25], v[28:29], s[10:11], |v[22:23]|
	v_mul_f64 v[26:27], v[28:29], s[12:13]
	s_mov_b32 s10, 0x252049c0
	s_mov_b32 s11, 0xb97b839a
	v_cvt_i32_f64_e32 v10, v[28:29]
	v_fma_f64 v[32:33], v[28:29], s[12:13], v[24:25]
	v_add_f64 v[30:31], v[24:25], v[26:27]
	s_mov_b32 s13, 0x3c91a626
	v_add_f64 v[24:25], v[24:25], -v[30:31]
	v_add_f64 v[30:31], v[30:31], -v[32:33]
	v_add_f64 v[24:25], v[24:25], v[26:27]
	v_fma_f64 v[26:27], v[28:29], s[12:13], v[26:27]
	v_add_f64 v[24:25], v[30:31], v[24:25]
	v_add_f64 v[24:25], v[24:25], -v[26:27]
	v_fma_f64 v[26:27], v[28:29], s[10:11], v[24:25]
	v_add_f64 v[24:25], v[32:33], v[26:27]
	v_add_f64 v[30:31], v[24:25], -v[32:33]
	v_add_f64 v[26:27], v[26:27], -v[30:31]
.LBB27_135:
	s_or_b32 exec_lo, exec_lo, s0
	v_mul_f64 v[28:29], v[24:25], v[24:25]
	v_add_f64 v[30:31], v[26:27], v[26:27]
	s_mov_b32 s10, 0xa9a29f71
	s_mov_b32 s12, 0xc751c08c
	;; [unrolled: 1-line block ×4, first 2 shown]
	v_cmp_class_f64_e64 s0, v[22:23], 0x1f8
	v_and_b32_e32 v10, 1, v10
	v_and_b32_e32 v14, 0x80000000, v23
	v_sub_f32_e32 v8, 1.0, v8
	s_mov_b32 s1, exec_lo
	v_cmp_eq_u32_e32 vcc_lo, 0, v10
	v_fma_f64 v[32:33], v[24:25], v[24:25], -v[28:29]
	v_fma_f64 v[30:31], v[24:25], v[30:31], v[32:33]
	v_add_f64 v[28:29], v[28:29], v[30:31]
	v_fma_f64 v[30:31], v[28:29], s[12:13], s[10:11]
	s_mov_b32 s10, 0x90a8aae0
	s_mov_b32 s11, 0x3f17746f
	v_fma_f64 v[30:31], v[28:29], v[30:31], s[10:11]
	s_mov_b32 s10, 0xa6fbf144
	s_mov_b32 s11, 0xbefbb44d
	;; [unrolled: 3-line block ×13, first 2 shown]
	v_mul_f64 v[28:29], v[28:29], v[30:31]
	v_mul_f64 v[30:31], v[24:25], v[28:29]
	v_add_f64 v[32:33], v[24:25], v[30:31]
	v_fma_f64 v[28:29], v[24:25], v[28:29], -v[30:31]
	v_add_f64 v[24:25], v[32:33], -v[24:25]
	v_add_f64 v[26:27], v[26:27], v[28:29]
	v_add_f64 v[24:25], v[30:31], -v[24:25]
	v_add_f64 v[24:25], v[26:27], v[24:25]
	v_add_f64 v[26:27], v[32:33], v[24:25]
	v_rcp_f64_e32 v[28:29], v[26:27]
	v_fma_f64 v[30:31], -v[26:27], v[28:29], 1.0
	v_fma_f64 v[28:29], v[30:31], v[28:29], v[28:29]
	v_fma_f64 v[30:31], -v[26:27], v[28:29], 1.0
	v_fma_f64 v[28:29], v[30:31], v[28:29], v[28:29]
	v_add_f64 v[30:31], v[26:27], -v[32:33]
	v_mul_f64 v[32:33], v[26:27], v[28:29]
	v_add_f64 v[24:25], v[24:25], -v[30:31]
	v_fma_f64 v[30:31], v[28:29], v[26:27], -v[32:33]
	v_fma_f64 v[24:25], v[28:29], v[24:25], v[30:31]
	v_add_f64 v[30:31], v[32:33], v[24:25]
	v_add_f64 v[34:35], -v[30:31], 1.0
	v_add_f64 v[32:33], v[30:31], -v[32:33]
	v_add_f64 v[36:37], -v[34:35], 1.0
	v_add_f64 v[24:25], v[32:33], -v[24:25]
	v_add_f64 v[30:31], v[36:37], -v[30:31]
	v_add_f64 v[24:25], v[24:25], v[30:31]
	v_add_f64 v[24:25], v[34:35], v[24:25]
	v_mul_f64 v[24:25], v[28:29], v[24:25]
	v_add_f64 v[24:25], v[28:29], v[24:25]
	v_xor_b32_e32 v12, 0x80000000, v25
	v_cndmask_b32_e32 v10, v24, v26, vcc_lo
	v_cndmask_b32_e32 v12, v12, v27, vcc_lo
	v_cndmask_b32_e64 v22, 0, v10, s0
	v_xor_b32_e32 v12, v12, v14
	v_cndmask_b32_e64 v23, 0x7ff80000, v12, s0
	v_div_scale_f64 v[24:25], null, v[22:23], v[22:23], s[10:11]
	v_rcp_f64_e32 v[26:27], v[24:25]
	v_fma_f64 v[28:29], -v[24:25], v[26:27], 1.0
	v_fma_f64 v[26:27], v[26:27], v[28:29], v[26:27]
	v_fma_f64 v[28:29], -v[24:25], v[26:27], 1.0
	v_fma_f64 v[26:27], v[26:27], v[28:29], v[26:27]
	v_div_scale_f64 v[28:29], vcc_lo, s[10:11], v[22:23], s[10:11]
	v_mul_f64 v[30:31], v[28:29], v[26:27]
	v_fma_f64 v[24:25], -v[24:25], v[30:31], v[28:29]
	v_div_fmas_f64 v[24:25], v[24:25], v[26:27], v[30:31]
	v_div_fixup_f64 v[22:23], v[24:25], v[22:23], s[10:11]
	v_cvt_f32_f64_e32 v10, v[22:23]
.LBB27_136:
	s_or_b32 exec_lo, exec_lo, s8
	s_orn2_b32 s0, s1, exec_lo
.LBB27_137:
	s_or_b32 exec_lo, exec_lo, s3
	v_mov_b32_e32 v26, 0x7e00
	s_and_saveexec_b32 s3, s0
	s_cbranch_execz .LBB27_149
; %bb.138:
	s_mov_b32 s0, exec_lo
	v_cmpx_gt_f32_e32 0x41200000, v8
	s_cbranch_execz .LBB27_142
; %bb.139:
	s_mov_b32 s1, 0
	.p2align	6
.LBB27_140:                             ; =>This Inner Loop Header: Depth=1
	v_div_scale_f32 v12, null, v8, v8, 1.0
	v_div_scale_f32 v18, vcc_lo, 1.0, v8, 1.0
	v_rcp_f32_e32 v14, v12
	v_fma_f32 v16, -v12, v14, 1.0
	v_fmac_f32_e32 v14, v16, v14
	v_mul_f32_e32 v16, v18, v14
	v_fma_f32 v20, -v12, v16, v18
	v_fmac_f32_e32 v16, v20, v14
	v_fma_f32 v12, -v12, v16, v18
	v_div_fmas_f32 v12, v12, v14, v16
	v_div_fixup_f32 v12, v12, v8, 1.0
	v_add_f32_e32 v8, 1.0, v8
	v_sub_f32_e32 v10, v10, v12
	v_cmp_ngt_f32_e32 vcc_lo, 0x41200000, v8
	s_or_b32 s1, vcc_lo, s1
	s_andn2_b32 exec_lo, exec_lo, s1
	s_cbranch_execnz .LBB27_140
; %bb.141:
	s_or_b32 exec_lo, exec_lo, s1
.LBB27_142:
	s_or_b32 exec_lo, exec_lo, s0
                                        ; implicit-def: $vgpr26
	s_mov_b32 s0, exec_lo
	v_cmpx_neq_f32_e32 0x41200000, v8
	s_xor_b32 s8, exec_lo, s0
	s_cbranch_execz .LBB27_146
; %bb.143:
	v_cvt_f64_f32_e32 v[22:23], v8
	s_mov_b32 s0, 0x85d8a000
	s_mov_b32 s1, 0x43763457
	v_mov_b32_e32 v12, 0
	v_cmp_gt_f64_e32 vcc_lo, s[0:1], v[22:23]
	s_and_saveexec_b32 s0, vcc_lo
	s_cbranch_execz .LBB27_145
; %bb.144:
	v_mul_f32_e32 v12, v8, v8
	v_div_scale_f32 v14, null, v12, v12, 1.0
	v_rcp_f32_e32 v16, v14
	v_fma_f32 v18, -v14, v16, 1.0
	v_fmac_f32_e32 v16, v18, v16
	v_div_scale_f32 v18, vcc_lo, 1.0, v12, 1.0
	v_mul_f32_e32 v20, v18, v16
	v_fma_f32 v22, -v14, v20, v18
	v_fmac_f32_e32 v20, v22, v16
	v_fma_f32 v14, -v14, v20, v18
	v_div_fmas_f32 v14, v14, v16, v20
	v_div_fixup_f32 v12, v14, v12, 1.0
	v_fmaak_f32 v14, 0, v12, 0x3daaaaab
	v_fmaak_f32 v14, v12, v14, 0xbcaccacd
	;; [unrolled: 1-line block ×7, first 2 shown]
	v_mul_f32_e32 v12, v12, v14
.LBB27_145:
	s_or_b32 exec_lo, exec_lo, s0
	v_cmp_gt_f32_e32 vcc_lo, 0x800000, v8
	v_div_scale_f32 v14, null, v8, v8, -0.5
	v_div_scale_f32 v22, s0, -0.5, v8, -0.5
	v_cndmask_b32_e64 v16, 0, 32, vcc_lo
	v_rcp_f32_e32 v18, v14
	v_ldexp_f32 v16, v8, v16
	v_log_f32_e32 v16, v16
	v_fma_f32 v20, -v14, v18, 1.0
	v_fmac_f32_e32 v18, v20, v18
	v_mul_f32_e32 v20, 0x3f317217, v16
	v_mul_f32_e32 v23, v22, v18
	v_cmp_gt_f32_e64 s1, 0x7f800000, |v16|
	v_fma_f32 v20, 0x3f317217, v16, -v20
	v_fma_f32 v24, -v14, v23, v22
	v_fmamk_f32 v20, v16, 0x3377d1cf, v20
	v_fmac_f32_e32 v23, v24, v18
	v_fmac_f32_e32 v20, 0x3f317217, v16
	v_fma_f32 v14, -v14, v23, v22
	v_cndmask_b32_e64 v16, v16, v20, s1
	v_cndmask_b32_e64 v20, 0, 0x41b17218, vcc_lo
	s_mov_b32 vcc_lo, s0
	v_div_fmas_f32 v14, v14, v18, v23
	v_sub_f32_e32 v16, v16, v20
	v_div_fixup_f32 v8, v14, v8, -0.5
	v_add_f32_e32 v8, v16, v8
	v_sub_f32_e32 v8, v8, v12
	v_add_f32_e32 v8, v10, v8
                                        ; implicit-def: $vgpr10
	v_cvt_f16_f32_e32 v26, v8
.LBB27_146:
	s_andn2_saveexec_b32 s0, s8
; %bb.147:
	v_add_f32_e32 v8, 0x40101cb7, v10
	v_cvt_f16_f32_e32 v26, v8
; %bb.148:
	s_or_b32 exec_lo, exec_lo, s0
.LBB27_149:
	s_or_b32 exec_lo, exec_lo, s3
                                        ; implicit-def: $vgpr8
.LBB27_150:
	s_andn2_saveexec_b32 s0, s2
; %bb.151:
	v_xor_b32_e32 v8, 0x80000000, v8
	s_movk_i32 s1, 0x7c00
	v_lshrrev_b32_e32 v8, 16, v8
	v_bfi_b32 v26, 0x7fff, s1, v8
; %bb.152:
	s_or_b32 exec_lo, exec_lo, s0
	global_load_ushort v12, v21, s[6:7]
                                        ; implicit-def: $vgpr24
	s_mov_b32 s0, exec_lo
	s_waitcnt vmcnt(0)
	v_cvt_f32_f16_e32 v8, v12
	v_cmpx_neq_f16_e32 0, v12
	s_xor_b32 s2, exec_lo, s0
	s_cbranch_execz .LBB27_174
; %bb.153:
	v_mov_b32_e32 v10, 0
	s_mov_b32 s0, -1
	s_mov_b32 s3, exec_lo
	v_cmpx_gt_f16_e32 0, v12
	s_cbranch_execz .LBB27_161
; %bb.154:
	v_trunc_f32_e32 v10, v8
	s_mov_b32 s1, 0
	v_cmp_neq_f32_e32 vcc_lo, v10, v8
	v_mov_b32_e32 v10, 0
	s_and_saveexec_b32 s8, vcc_lo
	s_cbranch_execz .LBB27_160
; %bb.155:
	v_cvt_f32_f16_e32 v10, v12
	s_mov_b32 s1, 0xc00921fb
	s_mov_b32 s0, 0x54442d18
	s_mov_b32 s9, exec_lo
                                        ; implicit-def: $vgpr24_vgpr25
	v_cvt_f64_f32_e32 v[20:21], v10
                                        ; implicit-def: $vgpr10
	v_trunc_f64_e32 v[22:23], v[20:21]
	v_cmp_neq_f64_e64 vcc_lo, 0x7ff00000, |v[20:21]|
	v_add_f64 v[22:23], v[20:21], -v[22:23]
	v_mul_f64 v[22:23], |v[22:23]|, s[0:1]
	v_cndmask_b32_e32 v21, 0x80000000, v23, vcc_lo
	v_cndmask_b32_e32 v20, 0, v22, vcc_lo
                                        ; implicit-def: $vgpr22_vgpr23
	v_cmpx_ngt_f64_e64 0x41d00000, |v[20:21]|
	s_xor_b32 s9, exec_lo, s9
	s_cbranch_execz .LBB27_157
; %bb.156:
	v_ldexp_f64 v[22:23], |v[20:21]|, 0xffffff80
	v_cmp_le_f64_e64 vcc_lo, 0x7b000000, |v[20:21]|
	v_trig_preop_f64 v[24:25], |v[20:21]|, 0
	v_and_b32_e32 v10, 0x7fffffff, v21
	v_trig_preop_f64 v[27:28], |v[20:21]|, 1
	v_trig_preop_f64 v[37:38], |v[20:21]|, 2
	v_mov_b32_e32 v45, 0
	s_mov_b32 s1, 0x3ff921fb
	s_mov_b32 s10, 0x33145c07
	;; [unrolled: 1-line block ×3, first 2 shown]
	v_cndmask_b32_e32 v23, v10, v23, vcc_lo
	v_cndmask_b32_e32 v22, v20, v22, vcc_lo
	v_mul_f64 v[29:30], v[24:25], v[22:23]
	v_mul_f64 v[31:32], v[27:28], v[22:23]
	;; [unrolled: 1-line block ×3, first 2 shown]
	v_fma_f64 v[24:25], v[24:25], v[22:23], -v[29:30]
	v_fma_f64 v[27:28], v[27:28], v[22:23], -v[31:32]
	;; [unrolled: 1-line block ×3, first 2 shown]
	v_add_f64 v[33:34], v[31:32], v[24:25]
	v_add_f64 v[35:36], v[33:34], -v[31:32]
	v_add_f64 v[41:42], v[29:30], v[33:34]
	v_add_f64 v[39:40], v[33:34], -v[35:36]
	v_add_f64 v[24:25], v[24:25], -v[35:36]
	v_ldexp_f64 v[35:36], v[41:42], -2
	v_add_f64 v[29:30], v[41:42], -v[29:30]
	v_add_f64 v[31:32], v[31:32], -v[39:40]
	v_add_f64 v[39:40], v[43:44], v[27:28]
	v_cmp_neq_f64_e64 vcc_lo, 0x7ff00000, |v[35:36]|
	v_add_f64 v[29:30], v[33:34], -v[29:30]
	v_add_f64 v[24:25], v[24:25], v[31:32]
	v_fract_f64_e32 v[31:32], v[35:36]
	v_add_f64 v[33:34], v[39:40], v[24:25]
	v_ldexp_f64 v[31:32], v[31:32], 2
	v_add_f64 v[35:36], v[29:30], v[33:34]
	v_cndmask_b32_e32 v32, 0, v32, vcc_lo
	v_cndmask_b32_e32 v31, 0, v31, vcc_lo
	v_add_f64 v[41:42], v[35:36], v[31:32]
	v_add_f64 v[29:30], v[35:36], -v[29:30]
	v_cmp_gt_f64_e32 vcc_lo, 0, v[41:42]
	v_add_f64 v[41:42], v[39:40], -v[43:44]
	v_add_f64 v[29:30], v[33:34], -v[29:30]
	v_cndmask_b32_e64 v46, 0, 0x40100000, vcc_lo
	v_add_f64 v[50:51], v[39:40], -v[41:42]
	v_add_f64 v[27:28], v[27:28], -v[41:42]
	v_add_f64 v[31:32], v[31:32], v[45:46]
	v_add_f64 v[46:47], v[33:34], -v[39:40]
	v_add_f64 v[41:42], v[43:44], -v[50:51]
	v_add_f64 v[48:49], v[35:36], v[31:32]
	v_add_f64 v[52:53], v[33:34], -v[46:47]
	v_add_f64 v[24:25], v[24:25], -v[46:47]
	v_add_f64 v[27:28], v[27:28], v[41:42]
	v_cvt_i32_f64_e32 v10, v[48:49]
	v_add_f64 v[39:40], v[39:40], -v[52:53]
	v_cvt_f64_i32_e32 v[46:47], v10
	v_add_f64 v[24:25], v[24:25], v[39:40]
	v_add_f64 v[31:32], v[31:32], -v[46:47]
	v_add_f64 v[24:25], v[27:28], v[24:25]
	v_add_f64 v[27:28], v[35:36], v[31:32]
	;; [unrolled: 1-line block ×3, first 2 shown]
	v_add_f64 v[24:25], v[27:28], -v[31:32]
	v_cmp_le_f64_e32 vcc_lo, 0.5, v[27:28]
	v_add_f64 v[22:23], v[29:30], v[22:23]
	v_add_f64 v[24:25], v[35:36], -v[24:25]
	v_cndmask_b32_e64 v46, 0, 0x3ff00000, vcc_lo
	v_add_co_ci_u32_e64 v10, null, 0, v10, vcc_lo
	v_add_f64 v[22:23], v[22:23], v[24:25]
	v_add_f64 v[24:25], v[27:28], -v[45:46]
	v_add_f64 v[27:28], v[24:25], v[22:23]
	v_mul_f64 v[29:30], v[27:28], s[0:1]
	v_add_f64 v[24:25], v[27:28], -v[24:25]
	v_fma_f64 v[31:32], v[27:28], s[0:1], -v[29:30]
	v_add_f64 v[22:23], v[22:23], -v[24:25]
	v_fma_f64 v[24:25], v[27:28], s[10:11], v[31:32]
	v_fma_f64 v[24:25], v[22:23], s[0:1], v[24:25]
	v_add_f64 v[22:23], v[29:30], v[24:25]
	v_add_f64 v[27:28], v[22:23], -v[29:30]
	v_add_f64 v[24:25], v[24:25], -v[27:28]
.LBB27_157:
	s_andn2_saveexec_b32 s0, s9
	s_cbranch_execz .LBB27_159
; %bb.158:
	s_mov_b32 s10, 0x6dc9c883
	s_mov_b32 s11, 0x3fe45f30
	;; [unrolled: 1-line block ×3, first 2 shown]
	v_mul_f64 v[22:23], |v[20:21]|, s[10:11]
	s_mov_b32 s10, 0x54442d18
	s_mov_b32 s11, 0xbff921fb
	;; [unrolled: 1-line block ×3, first 2 shown]
	v_rndne_f64_e32 v[27:28], v[22:23]
	v_fma_f64 v[22:23], v[27:28], s[10:11], |v[20:21]|
	v_mul_f64 v[24:25], v[27:28], s[12:13]
	s_mov_b32 s10, 0x252049c0
	s_mov_b32 s11, 0xb97b839a
	v_cvt_i32_f64_e32 v10, v[27:28]
	v_fma_f64 v[31:32], v[27:28], s[12:13], v[22:23]
	v_add_f64 v[29:30], v[22:23], v[24:25]
	s_mov_b32 s13, 0x3c91a626
	v_add_f64 v[22:23], v[22:23], -v[29:30]
	v_add_f64 v[29:30], v[29:30], -v[31:32]
	v_add_f64 v[22:23], v[22:23], v[24:25]
	v_fma_f64 v[24:25], v[27:28], s[12:13], v[24:25]
	v_add_f64 v[22:23], v[29:30], v[22:23]
	v_add_f64 v[22:23], v[22:23], -v[24:25]
	v_fma_f64 v[24:25], v[27:28], s[10:11], v[22:23]
	v_add_f64 v[22:23], v[31:32], v[24:25]
	v_add_f64 v[29:30], v[22:23], -v[31:32]
	v_add_f64 v[24:25], v[24:25], -v[29:30]
.LBB27_159:
	s_or_b32 exec_lo, exec_lo, s0
	v_mul_f64 v[27:28], v[22:23], v[22:23]
	v_add_f64 v[29:30], v[24:25], v[24:25]
	s_mov_b32 s10, 0xa9a29f71
	s_mov_b32 s12, 0xc751c08c
	;; [unrolled: 1-line block ×4, first 2 shown]
	v_cmp_class_f64_e64 s0, v[20:21], 0x1f8
	v_and_b32_e32 v10, 1, v10
	v_and_b32_e32 v14, 0x80000000, v21
	v_sub_f32_e32 v8, 1.0, v8
	s_mov_b32 s1, exec_lo
	v_cmp_eq_u32_e32 vcc_lo, 0, v10
	v_fma_f64 v[31:32], v[22:23], v[22:23], -v[27:28]
	v_fma_f64 v[29:30], v[22:23], v[29:30], v[31:32]
	v_add_f64 v[27:28], v[27:28], v[29:30]
	v_fma_f64 v[29:30], v[27:28], s[12:13], s[10:11]
	s_mov_b32 s10, 0x90a8aae0
	s_mov_b32 s11, 0x3f17746f
	v_fma_f64 v[29:30], v[27:28], v[29:30], s[10:11]
	s_mov_b32 s10, 0xa6fbf144
	s_mov_b32 s11, 0xbefbb44d
	;; [unrolled: 3-line block ×13, first 2 shown]
	v_mul_f64 v[27:28], v[27:28], v[29:30]
	v_mul_f64 v[29:30], v[22:23], v[27:28]
	v_add_f64 v[31:32], v[22:23], v[29:30]
	v_fma_f64 v[27:28], v[22:23], v[27:28], -v[29:30]
	v_add_f64 v[22:23], v[31:32], -v[22:23]
	v_add_f64 v[24:25], v[24:25], v[27:28]
	v_add_f64 v[22:23], v[29:30], -v[22:23]
	v_add_f64 v[22:23], v[24:25], v[22:23]
	v_add_f64 v[24:25], v[31:32], v[22:23]
	v_rcp_f64_e32 v[27:28], v[24:25]
	v_fma_f64 v[29:30], -v[24:25], v[27:28], 1.0
	v_fma_f64 v[27:28], v[29:30], v[27:28], v[27:28]
	v_fma_f64 v[29:30], -v[24:25], v[27:28], 1.0
	v_fma_f64 v[27:28], v[29:30], v[27:28], v[27:28]
	v_add_f64 v[29:30], v[24:25], -v[31:32]
	v_mul_f64 v[31:32], v[24:25], v[27:28]
	v_add_f64 v[22:23], v[22:23], -v[29:30]
	v_fma_f64 v[29:30], v[27:28], v[24:25], -v[31:32]
	v_fma_f64 v[22:23], v[27:28], v[22:23], v[29:30]
	v_add_f64 v[29:30], v[31:32], v[22:23]
	v_add_f64 v[33:34], -v[29:30], 1.0
	v_add_f64 v[31:32], v[29:30], -v[31:32]
	v_add_f64 v[35:36], -v[33:34], 1.0
	v_add_f64 v[22:23], v[31:32], -v[22:23]
	v_add_f64 v[29:30], v[35:36], -v[29:30]
	v_add_f64 v[22:23], v[22:23], v[29:30]
	v_add_f64 v[22:23], v[33:34], v[22:23]
	v_mul_f64 v[22:23], v[27:28], v[22:23]
	v_add_f64 v[22:23], v[27:28], v[22:23]
	v_xor_b32_e32 v12, 0x80000000, v23
	v_cndmask_b32_e32 v10, v22, v24, vcc_lo
	v_cndmask_b32_e32 v12, v12, v25, vcc_lo
	v_cndmask_b32_e64 v20, 0, v10, s0
	v_xor_b32_e32 v12, v12, v14
	v_cndmask_b32_e64 v21, 0x7ff80000, v12, s0
	v_div_scale_f64 v[22:23], null, v[20:21], v[20:21], s[10:11]
	v_rcp_f64_e32 v[24:25], v[22:23]
	v_fma_f64 v[27:28], -v[22:23], v[24:25], 1.0
	v_fma_f64 v[24:25], v[24:25], v[27:28], v[24:25]
	v_fma_f64 v[27:28], -v[22:23], v[24:25], 1.0
	v_fma_f64 v[24:25], v[24:25], v[27:28], v[24:25]
	v_div_scale_f64 v[27:28], vcc_lo, s[10:11], v[20:21], s[10:11]
	v_mul_f64 v[29:30], v[27:28], v[24:25]
	v_fma_f64 v[22:23], -v[22:23], v[29:30], v[27:28]
	v_div_fmas_f64 v[22:23], v[22:23], v[24:25], v[29:30]
	v_div_fixup_f64 v[20:21], v[22:23], v[20:21], s[10:11]
	v_cvt_f32_f64_e32 v10, v[20:21]
.LBB27_160:
	s_or_b32 exec_lo, exec_lo, s8
	s_orn2_b32 s0, s1, exec_lo
.LBB27_161:
	s_or_b32 exec_lo, exec_lo, s3
	v_mov_b32_e32 v24, 0x7e00
	s_and_saveexec_b32 s3, s0
	s_cbranch_execz .LBB27_173
; %bb.162:
	s_mov_b32 s0, exec_lo
	v_cmpx_gt_f32_e32 0x41200000, v8
	s_cbranch_execz .LBB27_166
; %bb.163:
	s_mov_b32 s1, 0
	.p2align	6
.LBB27_164:                             ; =>This Inner Loop Header: Depth=1
	v_div_scale_f32 v12, null, v8, v8, 1.0
	v_div_scale_f32 v18, vcc_lo, 1.0, v8, 1.0
	v_rcp_f32_e32 v14, v12
	v_fma_f32 v16, -v12, v14, 1.0
	v_fmac_f32_e32 v14, v16, v14
	v_mul_f32_e32 v16, v18, v14
	v_fma_f32 v20, -v12, v16, v18
	v_fmac_f32_e32 v16, v20, v14
	v_fma_f32 v12, -v12, v16, v18
	v_div_fmas_f32 v12, v12, v14, v16
	v_div_fixup_f32 v12, v12, v8, 1.0
	v_add_f32_e32 v8, 1.0, v8
	v_sub_f32_e32 v10, v10, v12
	v_cmp_ngt_f32_e32 vcc_lo, 0x41200000, v8
	s_or_b32 s1, vcc_lo, s1
	s_andn2_b32 exec_lo, exec_lo, s1
	s_cbranch_execnz .LBB27_164
; %bb.165:
	s_or_b32 exec_lo, exec_lo, s1
.LBB27_166:
	s_or_b32 exec_lo, exec_lo, s0
                                        ; implicit-def: $vgpr24
	s_mov_b32 s0, exec_lo
	v_cmpx_neq_f32_e32 0x41200000, v8
	s_xor_b32 s8, exec_lo, s0
	s_cbranch_execz .LBB27_170
; %bb.167:
	v_cvt_f64_f32_e32 v[20:21], v8
	s_mov_b32 s0, 0x85d8a000
	s_mov_b32 s1, 0x43763457
	v_mov_b32_e32 v12, 0
	v_cmp_gt_f64_e32 vcc_lo, s[0:1], v[20:21]
	s_and_saveexec_b32 s0, vcc_lo
	s_cbranch_execz .LBB27_169
; %bb.168:
	v_mul_f32_e32 v12, v8, v8
	v_div_scale_f32 v14, null, v12, v12, 1.0
	v_rcp_f32_e32 v16, v14
	v_fma_f32 v18, -v14, v16, 1.0
	v_fmac_f32_e32 v16, v18, v16
	v_div_scale_f32 v18, vcc_lo, 1.0, v12, 1.0
	v_mul_f32_e32 v20, v18, v16
	v_fma_f32 v21, -v14, v20, v18
	v_fmac_f32_e32 v20, v21, v16
	v_fma_f32 v14, -v14, v20, v18
	v_div_fmas_f32 v14, v14, v16, v20
	v_div_fixup_f32 v12, v14, v12, 1.0
	v_fmaak_f32 v14, 0, v12, 0x3daaaaab
	v_fmaak_f32 v14, v12, v14, 0xbcaccacd
	;; [unrolled: 1-line block ×7, first 2 shown]
	v_mul_f32_e32 v12, v12, v14
.LBB27_169:
	s_or_b32 exec_lo, exec_lo, s0
	v_cmp_gt_f32_e32 vcc_lo, 0x800000, v8
	v_div_scale_f32 v14, null, v8, v8, -0.5
	v_div_scale_f32 v21, s0, -0.5, v8, -0.5
	v_cndmask_b32_e64 v16, 0, 32, vcc_lo
	v_rcp_f32_e32 v18, v14
	v_ldexp_f32 v16, v8, v16
	v_log_f32_e32 v16, v16
	v_fma_f32 v20, -v14, v18, 1.0
	v_fmac_f32_e32 v18, v20, v18
	v_mul_f32_e32 v20, 0x3f317217, v16
	v_mul_f32_e32 v22, v21, v18
	v_cmp_gt_f32_e64 s1, 0x7f800000, |v16|
	v_fma_f32 v20, 0x3f317217, v16, -v20
	v_fma_f32 v23, -v14, v22, v21
	v_fmamk_f32 v20, v16, 0x3377d1cf, v20
	v_fmac_f32_e32 v22, v23, v18
	v_fmac_f32_e32 v20, 0x3f317217, v16
	v_fma_f32 v14, -v14, v22, v21
	v_cndmask_b32_e64 v16, v16, v20, s1
	v_cndmask_b32_e64 v20, 0, 0x41b17218, vcc_lo
	s_mov_b32 vcc_lo, s0
	v_div_fmas_f32 v14, v14, v18, v22
	v_sub_f32_e32 v16, v16, v20
	v_div_fixup_f32 v8, v14, v8, -0.5
	v_add_f32_e32 v8, v16, v8
	v_sub_f32_e32 v8, v8, v12
	v_add_f32_e32 v8, v10, v8
                                        ; implicit-def: $vgpr10
	v_cvt_f16_f32_e32 v24, v8
.LBB27_170:
	s_andn2_saveexec_b32 s0, s8
; %bb.171:
	v_add_f32_e32 v8, 0x40101cb7, v10
	v_cvt_f16_f32_e32 v24, v8
; %bb.172:
	s_or_b32 exec_lo, exec_lo, s0
.LBB27_173:
	s_or_b32 exec_lo, exec_lo, s3
                                        ; implicit-def: $vgpr8
.LBB27_174:
	s_andn2_saveexec_b32 s0, s2
; %bb.175:
	v_xor_b32_e32 v8, 0x80000000, v8
	s_movk_i32 s1, 0x7c00
	v_lshrrev_b32_e32 v8, 16, v8
	v_bfi_b32 v24, 0x7fff, s1, v8
; %bb.176:
	s_or_b32 exec_lo, exec_lo, s0
	global_load_ushort v12, v19, s[6:7]
                                        ; implicit-def: $vgpr22
	s_mov_b32 s0, exec_lo
	s_waitcnt vmcnt(0)
	v_cvt_f32_f16_e32 v8, v12
	v_cmpx_neq_f16_e32 0, v12
	s_xor_b32 s2, exec_lo, s0
	s_cbranch_execz .LBB27_198
; %bb.177:
	v_mov_b32_e32 v10, 0
	s_mov_b32 s0, -1
	s_mov_b32 s3, exec_lo
	v_cmpx_gt_f16_e32 0, v12
	s_cbranch_execz .LBB27_185
; %bb.178:
	v_trunc_f32_e32 v10, v8
	s_mov_b32 s1, 0
	v_cmp_neq_f32_e32 vcc_lo, v10, v8
	v_mov_b32_e32 v10, 0
	s_and_saveexec_b32 s8, vcc_lo
	s_cbranch_execz .LBB27_184
; %bb.179:
	v_cvt_f32_f16_e32 v10, v12
	s_mov_b32 s1, 0xc00921fb
	s_mov_b32 s0, 0x54442d18
	s_mov_b32 s9, exec_lo
                                        ; implicit-def: $vgpr22_vgpr23
	v_cvt_f64_f32_e32 v[18:19], v10
                                        ; implicit-def: $vgpr10
	v_trunc_f64_e32 v[20:21], v[18:19]
	v_cmp_neq_f64_e64 vcc_lo, 0x7ff00000, |v[18:19]|
	v_add_f64 v[20:21], v[18:19], -v[20:21]
	v_mul_f64 v[20:21], |v[20:21]|, s[0:1]
	v_cndmask_b32_e32 v19, 0x80000000, v21, vcc_lo
	v_cndmask_b32_e32 v18, 0, v20, vcc_lo
                                        ; implicit-def: $vgpr20_vgpr21
	v_cmpx_ngt_f64_e64 0x41d00000, |v[18:19]|
	s_xor_b32 s9, exec_lo, s9
	s_cbranch_execz .LBB27_181
; %bb.180:
	v_ldexp_f64 v[20:21], |v[18:19]|, 0xffffff80
	v_cmp_le_f64_e64 vcc_lo, 0x7b000000, |v[18:19]|
	v_trig_preop_f64 v[22:23], |v[18:19]|, 0
	v_and_b32_e32 v10, 0x7fffffff, v19
	v_trig_preop_f64 v[27:28], |v[18:19]|, 1
	v_trig_preop_f64 v[37:38], |v[18:19]|, 2
	v_mov_b32_e32 v45, 0
	s_mov_b32 s1, 0x3ff921fb
	s_mov_b32 s10, 0x33145c07
	;; [unrolled: 1-line block ×3, first 2 shown]
	v_cndmask_b32_e32 v21, v10, v21, vcc_lo
	v_cndmask_b32_e32 v20, v18, v20, vcc_lo
	v_mul_f64 v[29:30], v[22:23], v[20:21]
	v_mul_f64 v[31:32], v[27:28], v[20:21]
	;; [unrolled: 1-line block ×3, first 2 shown]
	v_fma_f64 v[22:23], v[22:23], v[20:21], -v[29:30]
	v_fma_f64 v[27:28], v[27:28], v[20:21], -v[31:32]
	;; [unrolled: 1-line block ×3, first 2 shown]
	v_add_f64 v[33:34], v[31:32], v[22:23]
	v_add_f64 v[35:36], v[33:34], -v[31:32]
	v_add_f64 v[41:42], v[29:30], v[33:34]
	v_add_f64 v[39:40], v[33:34], -v[35:36]
	v_add_f64 v[22:23], v[22:23], -v[35:36]
	v_ldexp_f64 v[35:36], v[41:42], -2
	v_add_f64 v[29:30], v[41:42], -v[29:30]
	v_add_f64 v[31:32], v[31:32], -v[39:40]
	v_add_f64 v[39:40], v[43:44], v[27:28]
	v_cmp_neq_f64_e64 vcc_lo, 0x7ff00000, |v[35:36]|
	v_add_f64 v[29:30], v[33:34], -v[29:30]
	v_add_f64 v[22:23], v[22:23], v[31:32]
	v_fract_f64_e32 v[31:32], v[35:36]
	v_add_f64 v[33:34], v[39:40], v[22:23]
	v_ldexp_f64 v[31:32], v[31:32], 2
	v_add_f64 v[35:36], v[29:30], v[33:34]
	v_cndmask_b32_e32 v32, 0, v32, vcc_lo
	v_cndmask_b32_e32 v31, 0, v31, vcc_lo
	v_add_f64 v[41:42], v[35:36], v[31:32]
	v_add_f64 v[29:30], v[35:36], -v[29:30]
	v_cmp_gt_f64_e32 vcc_lo, 0, v[41:42]
	v_add_f64 v[41:42], v[39:40], -v[43:44]
	v_add_f64 v[29:30], v[33:34], -v[29:30]
	v_cndmask_b32_e64 v46, 0, 0x40100000, vcc_lo
	v_add_f64 v[50:51], v[39:40], -v[41:42]
	v_add_f64 v[27:28], v[27:28], -v[41:42]
	v_add_f64 v[31:32], v[31:32], v[45:46]
	v_add_f64 v[46:47], v[33:34], -v[39:40]
	v_add_f64 v[41:42], v[43:44], -v[50:51]
	v_add_f64 v[48:49], v[35:36], v[31:32]
	;; [unrolled: 3-line block ×3, first 2 shown]
	v_cvt_i32_f64_e32 v10, v[48:49]
	v_add_f64 v[39:40], v[39:40], -v[52:53]
	v_cvt_f64_i32_e32 v[46:47], v10
	v_add_f64 v[22:23], v[22:23], v[39:40]
	v_add_f64 v[31:32], v[31:32], -v[46:47]
	v_add_f64 v[22:23], v[27:28], v[22:23]
	v_add_f64 v[27:28], v[35:36], v[31:32]
	;; [unrolled: 1-line block ×3, first 2 shown]
	v_add_f64 v[22:23], v[27:28], -v[31:32]
	v_cmp_le_f64_e32 vcc_lo, 0.5, v[27:28]
	v_add_f64 v[20:21], v[29:30], v[20:21]
	v_add_f64 v[22:23], v[35:36], -v[22:23]
	v_cndmask_b32_e64 v46, 0, 0x3ff00000, vcc_lo
	v_add_co_ci_u32_e64 v10, null, 0, v10, vcc_lo
	v_add_f64 v[20:21], v[20:21], v[22:23]
	v_add_f64 v[22:23], v[27:28], -v[45:46]
	v_add_f64 v[27:28], v[22:23], v[20:21]
	v_mul_f64 v[29:30], v[27:28], s[0:1]
	v_add_f64 v[22:23], v[27:28], -v[22:23]
	v_fma_f64 v[31:32], v[27:28], s[0:1], -v[29:30]
	v_add_f64 v[20:21], v[20:21], -v[22:23]
	v_fma_f64 v[22:23], v[27:28], s[10:11], v[31:32]
	v_fma_f64 v[22:23], v[20:21], s[0:1], v[22:23]
	v_add_f64 v[20:21], v[29:30], v[22:23]
	v_add_f64 v[27:28], v[20:21], -v[29:30]
	v_add_f64 v[22:23], v[22:23], -v[27:28]
.LBB27_181:
	s_andn2_saveexec_b32 s0, s9
	s_cbranch_execz .LBB27_183
; %bb.182:
	s_mov_b32 s10, 0x6dc9c883
	s_mov_b32 s11, 0x3fe45f30
	;; [unrolled: 1-line block ×3, first 2 shown]
	v_mul_f64 v[20:21], |v[18:19]|, s[10:11]
	s_mov_b32 s10, 0x54442d18
	s_mov_b32 s11, 0xbff921fb
	;; [unrolled: 1-line block ×3, first 2 shown]
	v_rndne_f64_e32 v[27:28], v[20:21]
	v_fma_f64 v[20:21], v[27:28], s[10:11], |v[18:19]|
	v_mul_f64 v[22:23], v[27:28], s[12:13]
	s_mov_b32 s10, 0x252049c0
	s_mov_b32 s11, 0xb97b839a
	v_cvt_i32_f64_e32 v10, v[27:28]
	v_fma_f64 v[31:32], v[27:28], s[12:13], v[20:21]
	v_add_f64 v[29:30], v[20:21], v[22:23]
	s_mov_b32 s13, 0x3c91a626
	v_add_f64 v[20:21], v[20:21], -v[29:30]
	v_add_f64 v[29:30], v[29:30], -v[31:32]
	v_add_f64 v[20:21], v[20:21], v[22:23]
	v_fma_f64 v[22:23], v[27:28], s[12:13], v[22:23]
	v_add_f64 v[20:21], v[29:30], v[20:21]
	v_add_f64 v[20:21], v[20:21], -v[22:23]
	v_fma_f64 v[22:23], v[27:28], s[10:11], v[20:21]
	v_add_f64 v[20:21], v[31:32], v[22:23]
	v_add_f64 v[29:30], v[20:21], -v[31:32]
	v_add_f64 v[22:23], v[22:23], -v[29:30]
.LBB27_183:
	s_or_b32 exec_lo, exec_lo, s0
	v_mul_f64 v[27:28], v[20:21], v[20:21]
	v_add_f64 v[29:30], v[22:23], v[22:23]
	s_mov_b32 s10, 0xa9a29f71
	s_mov_b32 s12, 0xc751c08c
	;; [unrolled: 1-line block ×4, first 2 shown]
	v_cmp_class_f64_e64 s0, v[18:19], 0x1f8
	v_and_b32_e32 v10, 1, v10
	v_and_b32_e32 v14, 0x80000000, v19
	v_sub_f32_e32 v8, 1.0, v8
	s_mov_b32 s1, exec_lo
	v_cmp_eq_u32_e32 vcc_lo, 0, v10
	v_fma_f64 v[31:32], v[20:21], v[20:21], -v[27:28]
	v_fma_f64 v[29:30], v[20:21], v[29:30], v[31:32]
	v_add_f64 v[27:28], v[27:28], v[29:30]
	v_fma_f64 v[29:30], v[27:28], s[12:13], s[10:11]
	s_mov_b32 s10, 0x90a8aae0
	s_mov_b32 s11, 0x3f17746f
	v_fma_f64 v[29:30], v[27:28], v[29:30], s[10:11]
	s_mov_b32 s10, 0xa6fbf144
	s_mov_b32 s11, 0xbefbb44d
	;; [unrolled: 3-line block ×13, first 2 shown]
	v_mul_f64 v[27:28], v[27:28], v[29:30]
	v_mul_f64 v[29:30], v[20:21], v[27:28]
	v_add_f64 v[31:32], v[20:21], v[29:30]
	v_fma_f64 v[27:28], v[20:21], v[27:28], -v[29:30]
	v_add_f64 v[20:21], v[31:32], -v[20:21]
	v_add_f64 v[22:23], v[22:23], v[27:28]
	v_add_f64 v[20:21], v[29:30], -v[20:21]
	v_add_f64 v[20:21], v[22:23], v[20:21]
	v_add_f64 v[22:23], v[31:32], v[20:21]
	v_rcp_f64_e32 v[27:28], v[22:23]
	v_fma_f64 v[29:30], -v[22:23], v[27:28], 1.0
	v_fma_f64 v[27:28], v[29:30], v[27:28], v[27:28]
	v_fma_f64 v[29:30], -v[22:23], v[27:28], 1.0
	v_fma_f64 v[27:28], v[29:30], v[27:28], v[27:28]
	v_add_f64 v[29:30], v[22:23], -v[31:32]
	v_mul_f64 v[31:32], v[22:23], v[27:28]
	v_add_f64 v[20:21], v[20:21], -v[29:30]
	v_fma_f64 v[29:30], v[27:28], v[22:23], -v[31:32]
	v_fma_f64 v[20:21], v[27:28], v[20:21], v[29:30]
	v_add_f64 v[29:30], v[31:32], v[20:21]
	v_add_f64 v[33:34], -v[29:30], 1.0
	v_add_f64 v[31:32], v[29:30], -v[31:32]
	v_add_f64 v[35:36], -v[33:34], 1.0
	v_add_f64 v[20:21], v[31:32], -v[20:21]
	v_add_f64 v[29:30], v[35:36], -v[29:30]
	v_add_f64 v[20:21], v[20:21], v[29:30]
	v_add_f64 v[20:21], v[33:34], v[20:21]
	v_mul_f64 v[20:21], v[27:28], v[20:21]
	v_add_f64 v[20:21], v[27:28], v[20:21]
	v_xor_b32_e32 v12, 0x80000000, v21
	v_cndmask_b32_e32 v10, v20, v22, vcc_lo
	v_cndmask_b32_e32 v12, v12, v23, vcc_lo
	v_cndmask_b32_e64 v18, 0, v10, s0
	v_xor_b32_e32 v12, v12, v14
	v_cndmask_b32_e64 v19, 0x7ff80000, v12, s0
	v_div_scale_f64 v[20:21], null, v[18:19], v[18:19], s[10:11]
	v_rcp_f64_e32 v[22:23], v[20:21]
	v_fma_f64 v[27:28], -v[20:21], v[22:23], 1.0
	v_fma_f64 v[22:23], v[22:23], v[27:28], v[22:23]
	v_fma_f64 v[27:28], -v[20:21], v[22:23], 1.0
	v_fma_f64 v[22:23], v[22:23], v[27:28], v[22:23]
	v_div_scale_f64 v[27:28], vcc_lo, s[10:11], v[18:19], s[10:11]
	v_mul_f64 v[29:30], v[27:28], v[22:23]
	v_fma_f64 v[20:21], -v[20:21], v[29:30], v[27:28]
	v_div_fmas_f64 v[20:21], v[20:21], v[22:23], v[29:30]
	v_div_fixup_f64 v[18:19], v[20:21], v[18:19], s[10:11]
	v_cvt_f32_f64_e32 v10, v[18:19]
.LBB27_184:
	s_or_b32 exec_lo, exec_lo, s8
	s_orn2_b32 s0, s1, exec_lo
.LBB27_185:
	s_or_b32 exec_lo, exec_lo, s3
	v_mov_b32_e32 v22, 0x7e00
	s_and_saveexec_b32 s3, s0
	s_cbranch_execz .LBB27_197
; %bb.186:
	s_mov_b32 s0, exec_lo
	v_cmpx_gt_f32_e32 0x41200000, v8
	s_cbranch_execz .LBB27_190
; %bb.187:
	s_mov_b32 s1, 0
	.p2align	6
.LBB27_188:                             ; =>This Inner Loop Header: Depth=1
	v_div_scale_f32 v12, null, v8, v8, 1.0
	v_div_scale_f32 v18, vcc_lo, 1.0, v8, 1.0
	v_rcp_f32_e32 v14, v12
	v_fma_f32 v16, -v12, v14, 1.0
	v_fmac_f32_e32 v14, v16, v14
	v_mul_f32_e32 v16, v18, v14
	v_fma_f32 v19, -v12, v16, v18
	v_fmac_f32_e32 v16, v19, v14
	v_fma_f32 v12, -v12, v16, v18
	v_div_fmas_f32 v12, v12, v14, v16
	v_div_fixup_f32 v12, v12, v8, 1.0
	v_add_f32_e32 v8, 1.0, v8
	v_sub_f32_e32 v10, v10, v12
	v_cmp_ngt_f32_e32 vcc_lo, 0x41200000, v8
	s_or_b32 s1, vcc_lo, s1
	s_andn2_b32 exec_lo, exec_lo, s1
	s_cbranch_execnz .LBB27_188
; %bb.189:
	s_or_b32 exec_lo, exec_lo, s1
.LBB27_190:
	s_or_b32 exec_lo, exec_lo, s0
                                        ; implicit-def: $vgpr22
	s_mov_b32 s0, exec_lo
	v_cmpx_neq_f32_e32 0x41200000, v8
	s_xor_b32 s8, exec_lo, s0
	s_cbranch_execz .LBB27_194
; %bb.191:
	v_cvt_f64_f32_e32 v[18:19], v8
	s_mov_b32 s0, 0x85d8a000
	s_mov_b32 s1, 0x43763457
	v_mov_b32_e32 v12, 0
	v_cmp_gt_f64_e32 vcc_lo, s[0:1], v[18:19]
	s_and_saveexec_b32 s0, vcc_lo
	s_cbranch_execz .LBB27_193
; %bb.192:
	v_mul_f32_e32 v12, v8, v8
	v_div_scale_f32 v14, null, v12, v12, 1.0
	v_rcp_f32_e32 v16, v14
	v_fma_f32 v18, -v14, v16, 1.0
	v_fmac_f32_e32 v16, v18, v16
	v_div_scale_f32 v18, vcc_lo, 1.0, v12, 1.0
	v_mul_f32_e32 v19, v18, v16
	v_fma_f32 v20, -v14, v19, v18
	v_fmac_f32_e32 v19, v20, v16
	v_fma_f32 v14, -v14, v19, v18
	v_div_fmas_f32 v14, v14, v16, v19
	v_div_fixup_f32 v12, v14, v12, 1.0
	v_fmaak_f32 v14, 0, v12, 0x3daaaaab
	v_fmaak_f32 v14, v12, v14, 0xbcaccacd
	;; [unrolled: 1-line block ×7, first 2 shown]
	v_mul_f32_e32 v12, v12, v14
.LBB27_193:
	s_or_b32 exec_lo, exec_lo, s0
	v_cmp_gt_f32_e32 vcc_lo, 0x800000, v8
	v_div_scale_f32 v14, null, v8, v8, -0.5
	v_div_scale_f32 v20, s0, -0.5, v8, -0.5
	v_cndmask_b32_e64 v16, 0, 32, vcc_lo
	v_rcp_f32_e32 v18, v14
	v_ldexp_f32 v16, v8, v16
	v_log_f32_e32 v16, v16
	v_fma_f32 v19, -v14, v18, 1.0
	v_fmac_f32_e32 v18, v19, v18
	v_mul_f32_e32 v19, 0x3f317217, v16
	v_mul_f32_e32 v21, v20, v18
	v_cmp_gt_f32_e64 s1, 0x7f800000, |v16|
	v_fma_f32 v19, 0x3f317217, v16, -v19
	v_fma_f32 v22, -v14, v21, v20
	v_fmamk_f32 v19, v16, 0x3377d1cf, v19
	v_fmac_f32_e32 v21, v22, v18
	v_fmac_f32_e32 v19, 0x3f317217, v16
	v_fma_f32 v14, -v14, v21, v20
	v_cndmask_b32_e64 v16, v16, v19, s1
	v_cndmask_b32_e64 v19, 0, 0x41b17218, vcc_lo
	s_mov_b32 vcc_lo, s0
	v_div_fmas_f32 v14, v14, v18, v21
	v_sub_f32_e32 v16, v16, v19
	v_div_fixup_f32 v8, v14, v8, -0.5
	v_add_f32_e32 v8, v16, v8
	v_sub_f32_e32 v8, v8, v12
	v_add_f32_e32 v8, v10, v8
                                        ; implicit-def: $vgpr10
	v_cvt_f16_f32_e32 v22, v8
.LBB27_194:
	s_andn2_saveexec_b32 s0, s8
; %bb.195:
	v_add_f32_e32 v8, 0x40101cb7, v10
	v_cvt_f16_f32_e32 v22, v8
; %bb.196:
	s_or_b32 exec_lo, exec_lo, s0
.LBB27_197:
	s_or_b32 exec_lo, exec_lo, s3
                                        ; implicit-def: $vgpr8
.LBB27_198:
	s_andn2_saveexec_b32 s0, s2
; %bb.199:
	v_xor_b32_e32 v8, 0x80000000, v8
	s_movk_i32 s1, 0x7c00
	v_lshrrev_b32_e32 v8, 16, v8
	v_bfi_b32 v22, 0x7fff, s1, v8
; %bb.200:
	s_or_b32 exec_lo, exec_lo, s0
	global_load_ushort v12, v17, s[6:7]
                                        ; implicit-def: $vgpr20
	s_mov_b32 s0, exec_lo
	s_waitcnt vmcnt(0)
	v_cvt_f32_f16_e32 v8, v12
	v_cmpx_neq_f16_e32 0, v12
	s_xor_b32 s2, exec_lo, s0
	s_cbranch_execz .LBB27_222
; %bb.201:
	v_mov_b32_e32 v10, 0
	s_mov_b32 s0, -1
	s_mov_b32 s3, exec_lo
	v_cmpx_gt_f16_e32 0, v12
	s_cbranch_execz .LBB27_209
; %bb.202:
	v_trunc_f32_e32 v10, v8
	s_mov_b32 s1, 0
	v_cmp_neq_f32_e32 vcc_lo, v10, v8
	v_mov_b32_e32 v10, 0
	s_and_saveexec_b32 s8, vcc_lo
	s_cbranch_execz .LBB27_208
; %bb.203:
	v_cvt_f32_f16_e32 v10, v12
	s_mov_b32 s1, 0xc00921fb
	s_mov_b32 s0, 0x54442d18
	s_mov_b32 s9, exec_lo
                                        ; implicit-def: $vgpr20_vgpr21
	v_cvt_f64_f32_e32 v[16:17], v10
                                        ; implicit-def: $vgpr10
	v_trunc_f64_e32 v[18:19], v[16:17]
	v_cmp_neq_f64_e64 vcc_lo, 0x7ff00000, |v[16:17]|
	v_add_f64 v[18:19], v[16:17], -v[18:19]
	v_mul_f64 v[18:19], |v[18:19]|, s[0:1]
	v_cndmask_b32_e32 v17, 0x80000000, v19, vcc_lo
	v_cndmask_b32_e32 v16, 0, v18, vcc_lo
                                        ; implicit-def: $vgpr18_vgpr19
	v_cmpx_ngt_f64_e64 0x41d00000, |v[16:17]|
	s_xor_b32 s9, exec_lo, s9
	s_cbranch_execz .LBB27_205
; %bb.204:
	v_ldexp_f64 v[18:19], |v[16:17]|, 0xffffff80
	v_cmp_le_f64_e64 vcc_lo, 0x7b000000, |v[16:17]|
	v_trig_preop_f64 v[20:21], |v[16:17]|, 0
	v_and_b32_e32 v10, 0x7fffffff, v17
	v_trig_preop_f64 v[27:28], |v[16:17]|, 1
	v_trig_preop_f64 v[37:38], |v[16:17]|, 2
	v_mov_b32_e32 v45, 0
	s_mov_b32 s1, 0x3ff921fb
	s_mov_b32 s10, 0x33145c07
	;; [unrolled: 1-line block ×3, first 2 shown]
	v_cndmask_b32_e32 v19, v10, v19, vcc_lo
	v_cndmask_b32_e32 v18, v16, v18, vcc_lo
	v_mul_f64 v[29:30], v[20:21], v[18:19]
	v_mul_f64 v[31:32], v[27:28], v[18:19]
	;; [unrolled: 1-line block ×3, first 2 shown]
	v_fma_f64 v[20:21], v[20:21], v[18:19], -v[29:30]
	v_fma_f64 v[27:28], v[27:28], v[18:19], -v[31:32]
	;; [unrolled: 1-line block ×3, first 2 shown]
	v_add_f64 v[33:34], v[31:32], v[20:21]
	v_add_f64 v[35:36], v[33:34], -v[31:32]
	v_add_f64 v[41:42], v[29:30], v[33:34]
	v_add_f64 v[39:40], v[33:34], -v[35:36]
	v_add_f64 v[20:21], v[20:21], -v[35:36]
	v_ldexp_f64 v[35:36], v[41:42], -2
	v_add_f64 v[29:30], v[41:42], -v[29:30]
	v_add_f64 v[31:32], v[31:32], -v[39:40]
	v_add_f64 v[39:40], v[43:44], v[27:28]
	v_cmp_neq_f64_e64 vcc_lo, 0x7ff00000, |v[35:36]|
	v_add_f64 v[29:30], v[33:34], -v[29:30]
	v_add_f64 v[20:21], v[20:21], v[31:32]
	v_fract_f64_e32 v[31:32], v[35:36]
	v_add_f64 v[33:34], v[39:40], v[20:21]
	v_ldexp_f64 v[31:32], v[31:32], 2
	v_add_f64 v[35:36], v[29:30], v[33:34]
	v_cndmask_b32_e32 v32, 0, v32, vcc_lo
	v_cndmask_b32_e32 v31, 0, v31, vcc_lo
	v_add_f64 v[41:42], v[35:36], v[31:32]
	v_add_f64 v[29:30], v[35:36], -v[29:30]
	v_cmp_gt_f64_e32 vcc_lo, 0, v[41:42]
	v_add_f64 v[41:42], v[39:40], -v[43:44]
	v_add_f64 v[29:30], v[33:34], -v[29:30]
	v_cndmask_b32_e64 v46, 0, 0x40100000, vcc_lo
	v_add_f64 v[50:51], v[39:40], -v[41:42]
	v_add_f64 v[27:28], v[27:28], -v[41:42]
	v_add_f64 v[31:32], v[31:32], v[45:46]
	v_add_f64 v[46:47], v[33:34], -v[39:40]
	v_add_f64 v[41:42], v[43:44], -v[50:51]
	v_add_f64 v[48:49], v[35:36], v[31:32]
	;; [unrolled: 3-line block ×3, first 2 shown]
	v_cvt_i32_f64_e32 v10, v[48:49]
	v_add_f64 v[39:40], v[39:40], -v[52:53]
	v_cvt_f64_i32_e32 v[46:47], v10
	v_add_f64 v[20:21], v[20:21], v[39:40]
	v_add_f64 v[31:32], v[31:32], -v[46:47]
	v_add_f64 v[20:21], v[27:28], v[20:21]
	v_add_f64 v[27:28], v[35:36], v[31:32]
	;; [unrolled: 1-line block ×3, first 2 shown]
	v_add_f64 v[20:21], v[27:28], -v[31:32]
	v_cmp_le_f64_e32 vcc_lo, 0.5, v[27:28]
	v_add_f64 v[18:19], v[29:30], v[18:19]
	v_add_f64 v[20:21], v[35:36], -v[20:21]
	v_cndmask_b32_e64 v46, 0, 0x3ff00000, vcc_lo
	v_add_co_ci_u32_e64 v10, null, 0, v10, vcc_lo
	v_add_f64 v[18:19], v[18:19], v[20:21]
	v_add_f64 v[20:21], v[27:28], -v[45:46]
	v_add_f64 v[27:28], v[20:21], v[18:19]
	v_mul_f64 v[29:30], v[27:28], s[0:1]
	v_add_f64 v[20:21], v[27:28], -v[20:21]
	v_fma_f64 v[31:32], v[27:28], s[0:1], -v[29:30]
	v_add_f64 v[18:19], v[18:19], -v[20:21]
	v_fma_f64 v[20:21], v[27:28], s[10:11], v[31:32]
	v_fma_f64 v[20:21], v[18:19], s[0:1], v[20:21]
	v_add_f64 v[18:19], v[29:30], v[20:21]
	v_add_f64 v[27:28], v[18:19], -v[29:30]
	v_add_f64 v[20:21], v[20:21], -v[27:28]
.LBB27_205:
	s_andn2_saveexec_b32 s0, s9
	s_cbranch_execz .LBB27_207
; %bb.206:
	s_mov_b32 s10, 0x6dc9c883
	s_mov_b32 s11, 0x3fe45f30
	;; [unrolled: 1-line block ×3, first 2 shown]
	v_mul_f64 v[18:19], |v[16:17]|, s[10:11]
	s_mov_b32 s10, 0x54442d18
	s_mov_b32 s11, 0xbff921fb
	;; [unrolled: 1-line block ×3, first 2 shown]
	v_rndne_f64_e32 v[27:28], v[18:19]
	v_fma_f64 v[18:19], v[27:28], s[10:11], |v[16:17]|
	v_mul_f64 v[20:21], v[27:28], s[12:13]
	s_mov_b32 s10, 0x252049c0
	s_mov_b32 s11, 0xb97b839a
	v_cvt_i32_f64_e32 v10, v[27:28]
	v_fma_f64 v[31:32], v[27:28], s[12:13], v[18:19]
	v_add_f64 v[29:30], v[18:19], v[20:21]
	s_mov_b32 s13, 0x3c91a626
	v_add_f64 v[18:19], v[18:19], -v[29:30]
	v_add_f64 v[29:30], v[29:30], -v[31:32]
	v_add_f64 v[18:19], v[18:19], v[20:21]
	v_fma_f64 v[20:21], v[27:28], s[12:13], v[20:21]
	v_add_f64 v[18:19], v[29:30], v[18:19]
	v_add_f64 v[18:19], v[18:19], -v[20:21]
	v_fma_f64 v[20:21], v[27:28], s[10:11], v[18:19]
	v_add_f64 v[18:19], v[31:32], v[20:21]
	v_add_f64 v[29:30], v[18:19], -v[31:32]
	v_add_f64 v[20:21], v[20:21], -v[29:30]
.LBB27_207:
	s_or_b32 exec_lo, exec_lo, s0
	v_mul_f64 v[27:28], v[18:19], v[18:19]
	v_add_f64 v[29:30], v[20:21], v[20:21]
	s_mov_b32 s10, 0xa9a29f71
	s_mov_b32 s12, 0xc751c08c
	;; [unrolled: 1-line block ×4, first 2 shown]
	v_cmp_class_f64_e64 s0, v[16:17], 0x1f8
	v_and_b32_e32 v10, 1, v10
	v_and_b32_e32 v14, 0x80000000, v17
	v_sub_f32_e32 v8, 1.0, v8
	s_mov_b32 s1, exec_lo
	v_cmp_eq_u32_e32 vcc_lo, 0, v10
	v_fma_f64 v[31:32], v[18:19], v[18:19], -v[27:28]
	v_fma_f64 v[29:30], v[18:19], v[29:30], v[31:32]
	v_add_f64 v[27:28], v[27:28], v[29:30]
	v_fma_f64 v[29:30], v[27:28], s[12:13], s[10:11]
	s_mov_b32 s10, 0x90a8aae0
	s_mov_b32 s11, 0x3f17746f
	v_fma_f64 v[29:30], v[27:28], v[29:30], s[10:11]
	s_mov_b32 s10, 0xa6fbf144
	s_mov_b32 s11, 0xbefbb44d
	v_fma_f64 v[29:30], v[27:28], v[29:30], s[10:11]
	s_mov_b32 s10, 0xa7943acf
	s_mov_b32 s11, 0x3f21e634
	v_fma_f64 v[29:30], v[27:28], v[29:30], s[10:11]
	s_mov_b32 s10, 0xdeb68feb
	s_mov_b32 s11, 0x3f2d250f
	v_fma_f64 v[29:30], v[27:28], v[29:30], s[10:11]
	s_mov_b32 s10, 0xb58c4d95
	s_mov_b32 s11, 0x3f437fd9
	v_fma_f64 v[29:30], v[27:28], v[29:30], s[10:11]
	s_mov_b32 s10, 0x15120e2c
	s_mov_b32 s11, 0x3f57d5af
	v_fma_f64 v[29:30], v[27:28], v[29:30], s[10:11]
	s_mov_b32 s10, 0xe09491df
	s_mov_b32 s11, 0x3f6d6d93
	v_fma_f64 v[29:30], v[27:28], v[29:30], s[10:11]
	s_mov_b32 s10, 0x2033784d
	s_mov_b32 s11, 0x3f8226e1
	v_fma_f64 v[29:30], v[27:28], v[29:30], s[10:11]
	s_mov_b32 s10, 0x9ac36ae2
	s_mov_b32 s11, 0x3f9664f4
	v_fma_f64 v[29:30], v[27:28], v[29:30], s[10:11]
	s_mov_b32 s10, 0x1b451c21
	s_mov_b32 s11, 0x3faba1ba
	v_fma_f64 v[29:30], v[27:28], v[29:30], s[10:11]
	s_mov_b32 s10, 0x111185b7
	s_mov_b32 s11, 0x3fc11111
	v_fma_f64 v[29:30], v[27:28], v[29:30], s[10:11]
	s_mov_b32 s10, 0x555554ee
	s_mov_b32 s11, 0x3fd55555
	v_fma_f64 v[29:30], v[27:28], v[29:30], s[10:11]
	s_mov_b32 s10, 0x54442d18
	s_mov_b32 s11, 0xc00921fb
	v_mul_f64 v[27:28], v[27:28], v[29:30]
	v_mul_f64 v[29:30], v[18:19], v[27:28]
	v_add_f64 v[31:32], v[18:19], v[29:30]
	v_fma_f64 v[27:28], v[18:19], v[27:28], -v[29:30]
	v_add_f64 v[18:19], v[31:32], -v[18:19]
	v_add_f64 v[20:21], v[20:21], v[27:28]
	v_add_f64 v[18:19], v[29:30], -v[18:19]
	v_add_f64 v[18:19], v[20:21], v[18:19]
	v_add_f64 v[20:21], v[31:32], v[18:19]
	v_rcp_f64_e32 v[27:28], v[20:21]
	v_fma_f64 v[29:30], -v[20:21], v[27:28], 1.0
	v_fma_f64 v[27:28], v[29:30], v[27:28], v[27:28]
	v_fma_f64 v[29:30], -v[20:21], v[27:28], 1.0
	v_fma_f64 v[27:28], v[29:30], v[27:28], v[27:28]
	v_add_f64 v[29:30], v[20:21], -v[31:32]
	v_mul_f64 v[31:32], v[20:21], v[27:28]
	v_add_f64 v[18:19], v[18:19], -v[29:30]
	v_fma_f64 v[29:30], v[27:28], v[20:21], -v[31:32]
	v_fma_f64 v[18:19], v[27:28], v[18:19], v[29:30]
	v_add_f64 v[29:30], v[31:32], v[18:19]
	v_add_f64 v[33:34], -v[29:30], 1.0
	v_add_f64 v[31:32], v[29:30], -v[31:32]
	v_add_f64 v[35:36], -v[33:34], 1.0
	v_add_f64 v[18:19], v[31:32], -v[18:19]
	v_add_f64 v[29:30], v[35:36], -v[29:30]
	v_add_f64 v[18:19], v[18:19], v[29:30]
	v_add_f64 v[18:19], v[33:34], v[18:19]
	v_mul_f64 v[18:19], v[27:28], v[18:19]
	v_add_f64 v[18:19], v[27:28], v[18:19]
	v_xor_b32_e32 v12, 0x80000000, v19
	v_cndmask_b32_e32 v10, v18, v20, vcc_lo
	v_cndmask_b32_e32 v12, v12, v21, vcc_lo
	v_cndmask_b32_e64 v16, 0, v10, s0
	v_xor_b32_e32 v12, v12, v14
	v_cndmask_b32_e64 v17, 0x7ff80000, v12, s0
	v_div_scale_f64 v[18:19], null, v[16:17], v[16:17], s[10:11]
	v_rcp_f64_e32 v[20:21], v[18:19]
	v_fma_f64 v[27:28], -v[18:19], v[20:21], 1.0
	v_fma_f64 v[20:21], v[20:21], v[27:28], v[20:21]
	v_fma_f64 v[27:28], -v[18:19], v[20:21], 1.0
	v_fma_f64 v[20:21], v[20:21], v[27:28], v[20:21]
	v_div_scale_f64 v[27:28], vcc_lo, s[10:11], v[16:17], s[10:11]
	v_mul_f64 v[29:30], v[27:28], v[20:21]
	v_fma_f64 v[18:19], -v[18:19], v[29:30], v[27:28]
	v_div_fmas_f64 v[18:19], v[18:19], v[20:21], v[29:30]
	v_div_fixup_f64 v[16:17], v[18:19], v[16:17], s[10:11]
	v_cvt_f32_f64_e32 v10, v[16:17]
.LBB27_208:
	s_or_b32 exec_lo, exec_lo, s8
	s_orn2_b32 s0, s1, exec_lo
.LBB27_209:
	s_or_b32 exec_lo, exec_lo, s3
	v_mov_b32_e32 v20, 0x7e00
	s_and_saveexec_b32 s3, s0
	s_cbranch_execz .LBB27_221
; %bb.210:
	s_mov_b32 s0, exec_lo
	v_cmpx_gt_f32_e32 0x41200000, v8
	s_cbranch_execz .LBB27_214
; %bb.211:
	s_mov_b32 s1, 0
	.p2align	6
.LBB27_212:                             ; =>This Inner Loop Header: Depth=1
	v_div_scale_f32 v12, null, v8, v8, 1.0
	v_div_scale_f32 v17, vcc_lo, 1.0, v8, 1.0
	v_rcp_f32_e32 v14, v12
	v_fma_f32 v16, -v12, v14, 1.0
	v_fmac_f32_e32 v14, v16, v14
	v_mul_f32_e32 v16, v17, v14
	v_fma_f32 v18, -v12, v16, v17
	v_fmac_f32_e32 v16, v18, v14
	v_fma_f32 v12, -v12, v16, v17
	v_div_fmas_f32 v12, v12, v14, v16
	v_div_fixup_f32 v12, v12, v8, 1.0
	v_add_f32_e32 v8, 1.0, v8
	v_sub_f32_e32 v10, v10, v12
	v_cmp_ngt_f32_e32 vcc_lo, 0x41200000, v8
	s_or_b32 s1, vcc_lo, s1
	s_andn2_b32 exec_lo, exec_lo, s1
	s_cbranch_execnz .LBB27_212
; %bb.213:
	s_or_b32 exec_lo, exec_lo, s1
.LBB27_214:
	s_or_b32 exec_lo, exec_lo, s0
                                        ; implicit-def: $vgpr20
	s_mov_b32 s0, exec_lo
	v_cmpx_neq_f32_e32 0x41200000, v8
	s_xor_b32 s8, exec_lo, s0
	s_cbranch_execz .LBB27_218
; %bb.215:
	v_cvt_f64_f32_e32 v[16:17], v8
	s_mov_b32 s0, 0x85d8a000
	s_mov_b32 s1, 0x43763457
	v_mov_b32_e32 v12, 0
	v_cmp_gt_f64_e32 vcc_lo, s[0:1], v[16:17]
	s_and_saveexec_b32 s0, vcc_lo
	s_cbranch_execz .LBB27_217
; %bb.216:
	v_mul_f32_e32 v12, v8, v8
	v_div_scale_f32 v14, null, v12, v12, 1.0
	v_rcp_f32_e32 v16, v14
	v_fma_f32 v17, -v14, v16, 1.0
	v_fmac_f32_e32 v16, v17, v16
	v_div_scale_f32 v17, vcc_lo, 1.0, v12, 1.0
	v_mul_f32_e32 v18, v17, v16
	v_fma_f32 v19, -v14, v18, v17
	v_fmac_f32_e32 v18, v19, v16
	v_fma_f32 v14, -v14, v18, v17
	v_div_fmas_f32 v14, v14, v16, v18
	v_div_fixup_f32 v12, v14, v12, 1.0
	v_fmaak_f32 v14, 0, v12, 0x3daaaaab
	v_fmaak_f32 v14, v12, v14, 0xbcaccacd
	;; [unrolled: 1-line block ×7, first 2 shown]
	v_mul_f32_e32 v12, v12, v14
.LBB27_217:
	s_or_b32 exec_lo, exec_lo, s0
	v_cmp_gt_f32_e32 vcc_lo, 0x800000, v8
	v_div_scale_f32 v14, null, v8, v8, -0.5
	v_div_scale_f32 v19, s0, -0.5, v8, -0.5
	v_cndmask_b32_e64 v16, 0, 32, vcc_lo
	v_rcp_f32_e32 v17, v14
	v_ldexp_f32 v16, v8, v16
	v_log_f32_e32 v16, v16
	v_fma_f32 v18, -v14, v17, 1.0
	v_fmac_f32_e32 v17, v18, v17
	v_mul_f32_e32 v18, 0x3f317217, v16
	v_mul_f32_e32 v20, v19, v17
	v_cmp_gt_f32_e64 s1, 0x7f800000, |v16|
	v_fma_f32 v18, 0x3f317217, v16, -v18
	v_fma_f32 v21, -v14, v20, v19
	v_fmamk_f32 v18, v16, 0x3377d1cf, v18
	v_fmac_f32_e32 v20, v21, v17
	v_fmac_f32_e32 v18, 0x3f317217, v16
	v_fma_f32 v14, -v14, v20, v19
	v_cndmask_b32_e64 v16, v16, v18, s1
	v_cndmask_b32_e64 v18, 0, 0x41b17218, vcc_lo
	s_mov_b32 vcc_lo, s0
	v_div_fmas_f32 v14, v14, v17, v20
	v_sub_f32_e32 v16, v16, v18
	v_div_fixup_f32 v8, v14, v8, -0.5
	v_add_f32_e32 v8, v16, v8
	v_sub_f32_e32 v8, v8, v12
	v_add_f32_e32 v8, v10, v8
                                        ; implicit-def: $vgpr10
	v_cvt_f16_f32_e32 v20, v8
.LBB27_218:
	s_andn2_saveexec_b32 s0, s8
; %bb.219:
	v_add_f32_e32 v8, 0x40101cb7, v10
	v_cvt_f16_f32_e32 v20, v8
; %bb.220:
	s_or_b32 exec_lo, exec_lo, s0
.LBB27_221:
	s_or_b32 exec_lo, exec_lo, s3
                                        ; implicit-def: $vgpr8
.LBB27_222:
	s_andn2_saveexec_b32 s0, s2
; %bb.223:
	v_xor_b32_e32 v8, 0x80000000, v8
	s_movk_i32 s1, 0x7c00
	v_lshrrev_b32_e32 v8, 16, v8
	v_bfi_b32 v20, 0x7fff, s1, v8
; %bb.224:
	s_or_b32 exec_lo, exec_lo, s0
	global_load_ushort v12, v15, s[6:7]
                                        ; implicit-def: $vgpr18
	s_mov_b32 s0, exec_lo
	s_waitcnt vmcnt(0)
	v_cvt_f32_f16_e32 v8, v12
	v_cmpx_neq_f16_e32 0, v12
	s_xor_b32 s2, exec_lo, s0
	s_cbranch_execz .LBB27_246
; %bb.225:
	v_mov_b32_e32 v10, 0
	s_mov_b32 s0, -1
	s_mov_b32 s3, exec_lo
	v_cmpx_gt_f16_e32 0, v12
	s_cbranch_execz .LBB27_233
; %bb.226:
	v_trunc_f32_e32 v10, v8
	s_mov_b32 s1, 0
	v_cmp_neq_f32_e32 vcc_lo, v10, v8
	v_mov_b32_e32 v10, 0
	s_and_saveexec_b32 s8, vcc_lo
	s_cbranch_execz .LBB27_232
; %bb.227:
	v_cvt_f32_f16_e32 v10, v12
	s_mov_b32 s1, 0xc00921fb
	s_mov_b32 s0, 0x54442d18
	s_mov_b32 s9, exec_lo
                                        ; implicit-def: $vgpr18_vgpr19
	v_cvt_f64_f32_e32 v[14:15], v10
                                        ; implicit-def: $vgpr10
	v_trunc_f64_e32 v[16:17], v[14:15]
	v_cmp_neq_f64_e64 vcc_lo, 0x7ff00000, |v[14:15]|
	v_add_f64 v[16:17], v[14:15], -v[16:17]
	v_mul_f64 v[16:17], |v[16:17]|, s[0:1]
	v_cndmask_b32_e32 v15, 0x80000000, v17, vcc_lo
	v_cndmask_b32_e32 v14, 0, v16, vcc_lo
                                        ; implicit-def: $vgpr16_vgpr17
	v_cmpx_ngt_f64_e64 0x41d00000, |v[14:15]|
	s_xor_b32 s9, exec_lo, s9
	s_cbranch_execz .LBB27_229
; %bb.228:
	v_ldexp_f64 v[16:17], |v[14:15]|, 0xffffff80
	v_cmp_le_f64_e64 vcc_lo, 0x7b000000, |v[14:15]|
	v_trig_preop_f64 v[18:19], |v[14:15]|, 0
	v_and_b32_e32 v10, 0x7fffffff, v15
	v_trig_preop_f64 v[27:28], |v[14:15]|, 1
	v_trig_preop_f64 v[37:38], |v[14:15]|, 2
	v_mov_b32_e32 v45, 0
	s_mov_b32 s1, 0x3ff921fb
	s_mov_b32 s10, 0x33145c07
	;; [unrolled: 1-line block ×3, first 2 shown]
	v_cndmask_b32_e32 v17, v10, v17, vcc_lo
	v_cndmask_b32_e32 v16, v14, v16, vcc_lo
	v_mul_f64 v[29:30], v[18:19], v[16:17]
	v_mul_f64 v[31:32], v[27:28], v[16:17]
	;; [unrolled: 1-line block ×3, first 2 shown]
	v_fma_f64 v[18:19], v[18:19], v[16:17], -v[29:30]
	v_fma_f64 v[27:28], v[27:28], v[16:17], -v[31:32]
	;; [unrolled: 1-line block ×3, first 2 shown]
	v_add_f64 v[33:34], v[31:32], v[18:19]
	v_add_f64 v[35:36], v[33:34], -v[31:32]
	v_add_f64 v[41:42], v[29:30], v[33:34]
	v_add_f64 v[39:40], v[33:34], -v[35:36]
	v_add_f64 v[18:19], v[18:19], -v[35:36]
	v_ldexp_f64 v[35:36], v[41:42], -2
	v_add_f64 v[29:30], v[41:42], -v[29:30]
	v_add_f64 v[31:32], v[31:32], -v[39:40]
	v_add_f64 v[39:40], v[43:44], v[27:28]
	v_cmp_neq_f64_e64 vcc_lo, 0x7ff00000, |v[35:36]|
	v_add_f64 v[29:30], v[33:34], -v[29:30]
	v_add_f64 v[18:19], v[18:19], v[31:32]
	v_fract_f64_e32 v[31:32], v[35:36]
	v_add_f64 v[33:34], v[39:40], v[18:19]
	v_ldexp_f64 v[31:32], v[31:32], 2
	v_add_f64 v[35:36], v[29:30], v[33:34]
	v_cndmask_b32_e32 v32, 0, v32, vcc_lo
	v_cndmask_b32_e32 v31, 0, v31, vcc_lo
	v_add_f64 v[41:42], v[35:36], v[31:32]
	v_add_f64 v[29:30], v[35:36], -v[29:30]
	v_cmp_gt_f64_e32 vcc_lo, 0, v[41:42]
	v_add_f64 v[41:42], v[39:40], -v[43:44]
	v_add_f64 v[29:30], v[33:34], -v[29:30]
	v_cndmask_b32_e64 v46, 0, 0x40100000, vcc_lo
	v_add_f64 v[50:51], v[39:40], -v[41:42]
	v_add_f64 v[27:28], v[27:28], -v[41:42]
	v_add_f64 v[31:32], v[31:32], v[45:46]
	v_add_f64 v[46:47], v[33:34], -v[39:40]
	v_add_f64 v[41:42], v[43:44], -v[50:51]
	v_add_f64 v[48:49], v[35:36], v[31:32]
	;; [unrolled: 3-line block ×3, first 2 shown]
	v_cvt_i32_f64_e32 v10, v[48:49]
	v_add_f64 v[39:40], v[39:40], -v[52:53]
	v_cvt_f64_i32_e32 v[46:47], v10
	v_add_f64 v[18:19], v[18:19], v[39:40]
	v_add_f64 v[31:32], v[31:32], -v[46:47]
	v_add_f64 v[18:19], v[27:28], v[18:19]
	v_add_f64 v[27:28], v[35:36], v[31:32]
	;; [unrolled: 1-line block ×3, first 2 shown]
	v_add_f64 v[18:19], v[27:28], -v[31:32]
	v_cmp_le_f64_e32 vcc_lo, 0.5, v[27:28]
	v_add_f64 v[16:17], v[29:30], v[16:17]
	v_add_f64 v[18:19], v[35:36], -v[18:19]
	v_cndmask_b32_e64 v46, 0, 0x3ff00000, vcc_lo
	v_add_co_ci_u32_e64 v10, null, 0, v10, vcc_lo
	v_add_f64 v[16:17], v[16:17], v[18:19]
	v_add_f64 v[18:19], v[27:28], -v[45:46]
	v_add_f64 v[27:28], v[18:19], v[16:17]
	v_mul_f64 v[29:30], v[27:28], s[0:1]
	v_add_f64 v[18:19], v[27:28], -v[18:19]
	v_fma_f64 v[31:32], v[27:28], s[0:1], -v[29:30]
	v_add_f64 v[16:17], v[16:17], -v[18:19]
	v_fma_f64 v[18:19], v[27:28], s[10:11], v[31:32]
	v_fma_f64 v[18:19], v[16:17], s[0:1], v[18:19]
	v_add_f64 v[16:17], v[29:30], v[18:19]
	v_add_f64 v[27:28], v[16:17], -v[29:30]
	v_add_f64 v[18:19], v[18:19], -v[27:28]
.LBB27_229:
	s_andn2_saveexec_b32 s0, s9
	s_cbranch_execz .LBB27_231
; %bb.230:
	s_mov_b32 s10, 0x6dc9c883
	s_mov_b32 s11, 0x3fe45f30
	;; [unrolled: 1-line block ×3, first 2 shown]
	v_mul_f64 v[16:17], |v[14:15]|, s[10:11]
	s_mov_b32 s10, 0x54442d18
	s_mov_b32 s11, 0xbff921fb
	;; [unrolled: 1-line block ×3, first 2 shown]
	v_rndne_f64_e32 v[27:28], v[16:17]
	v_fma_f64 v[16:17], v[27:28], s[10:11], |v[14:15]|
	v_mul_f64 v[18:19], v[27:28], s[12:13]
	s_mov_b32 s10, 0x252049c0
	s_mov_b32 s11, 0xb97b839a
	v_cvt_i32_f64_e32 v10, v[27:28]
	v_fma_f64 v[31:32], v[27:28], s[12:13], v[16:17]
	v_add_f64 v[29:30], v[16:17], v[18:19]
	s_mov_b32 s13, 0x3c91a626
	v_add_f64 v[16:17], v[16:17], -v[29:30]
	v_add_f64 v[29:30], v[29:30], -v[31:32]
	v_add_f64 v[16:17], v[16:17], v[18:19]
	v_fma_f64 v[18:19], v[27:28], s[12:13], v[18:19]
	v_add_f64 v[16:17], v[29:30], v[16:17]
	v_add_f64 v[16:17], v[16:17], -v[18:19]
	v_fma_f64 v[18:19], v[27:28], s[10:11], v[16:17]
	v_add_f64 v[16:17], v[31:32], v[18:19]
	v_add_f64 v[29:30], v[16:17], -v[31:32]
	v_add_f64 v[18:19], v[18:19], -v[29:30]
.LBB27_231:
	s_or_b32 exec_lo, exec_lo, s0
	v_mul_f64 v[27:28], v[16:17], v[16:17]
	v_add_f64 v[29:30], v[18:19], v[18:19]
	s_mov_b32 s10, 0xa9a29f71
	s_mov_b32 s12, 0xc751c08c
	;; [unrolled: 1-line block ×4, first 2 shown]
	v_cmp_class_f64_e64 s0, v[14:15], 0x1f8
	v_and_b32_e32 v10, 1, v10
	v_and_b32_e32 v14, 0x80000000, v15
	v_sub_f32_e32 v8, 1.0, v8
	s_mov_b32 s1, exec_lo
	v_cmp_eq_u32_e32 vcc_lo, 0, v10
	v_fma_f64 v[31:32], v[16:17], v[16:17], -v[27:28]
	v_fma_f64 v[29:30], v[16:17], v[29:30], v[31:32]
	v_add_f64 v[27:28], v[27:28], v[29:30]
	v_fma_f64 v[29:30], v[27:28], s[12:13], s[10:11]
	s_mov_b32 s10, 0x90a8aae0
	s_mov_b32 s11, 0x3f17746f
	v_fma_f64 v[29:30], v[27:28], v[29:30], s[10:11]
	s_mov_b32 s10, 0xa6fbf144
	s_mov_b32 s11, 0xbefbb44d
	;; [unrolled: 3-line block ×13, first 2 shown]
	v_mul_f64 v[27:28], v[27:28], v[29:30]
	v_mul_f64 v[29:30], v[16:17], v[27:28]
	v_add_f64 v[31:32], v[16:17], v[29:30]
	v_fma_f64 v[27:28], v[16:17], v[27:28], -v[29:30]
	v_add_f64 v[16:17], v[31:32], -v[16:17]
	v_add_f64 v[18:19], v[18:19], v[27:28]
	v_add_f64 v[16:17], v[29:30], -v[16:17]
	v_add_f64 v[16:17], v[18:19], v[16:17]
	v_add_f64 v[18:19], v[31:32], v[16:17]
	v_rcp_f64_e32 v[27:28], v[18:19]
	v_fma_f64 v[29:30], -v[18:19], v[27:28], 1.0
	v_fma_f64 v[27:28], v[29:30], v[27:28], v[27:28]
	v_fma_f64 v[29:30], -v[18:19], v[27:28], 1.0
	v_fma_f64 v[27:28], v[29:30], v[27:28], v[27:28]
	v_add_f64 v[29:30], v[18:19], -v[31:32]
	v_mul_f64 v[31:32], v[18:19], v[27:28]
	v_add_f64 v[16:17], v[16:17], -v[29:30]
	v_fma_f64 v[29:30], v[27:28], v[18:19], -v[31:32]
	v_fma_f64 v[16:17], v[27:28], v[16:17], v[29:30]
	v_add_f64 v[29:30], v[31:32], v[16:17]
	v_add_f64 v[33:34], -v[29:30], 1.0
	v_add_f64 v[31:32], v[29:30], -v[31:32]
	v_add_f64 v[35:36], -v[33:34], 1.0
	v_add_f64 v[16:17], v[31:32], -v[16:17]
	v_add_f64 v[29:30], v[35:36], -v[29:30]
	v_add_f64 v[16:17], v[16:17], v[29:30]
	v_add_f64 v[16:17], v[33:34], v[16:17]
	v_mul_f64 v[16:17], v[27:28], v[16:17]
	v_add_f64 v[16:17], v[27:28], v[16:17]
	v_xor_b32_e32 v12, 0x80000000, v17
	v_cndmask_b32_e32 v10, v16, v18, vcc_lo
	v_cndmask_b32_e32 v12, v12, v19, vcc_lo
	v_xor_b32_e32 v12, v12, v14
	v_cndmask_b32_e64 v14, 0, v10, s0
	v_cndmask_b32_e64 v15, 0x7ff80000, v12, s0
	v_div_scale_f64 v[16:17], null, v[14:15], v[14:15], s[10:11]
	v_rcp_f64_e32 v[18:19], v[16:17]
	v_fma_f64 v[27:28], -v[16:17], v[18:19], 1.0
	v_fma_f64 v[18:19], v[18:19], v[27:28], v[18:19]
	v_fma_f64 v[27:28], -v[16:17], v[18:19], 1.0
	v_fma_f64 v[18:19], v[18:19], v[27:28], v[18:19]
	v_div_scale_f64 v[27:28], vcc_lo, s[10:11], v[14:15], s[10:11]
	v_mul_f64 v[29:30], v[27:28], v[18:19]
	v_fma_f64 v[16:17], -v[16:17], v[29:30], v[27:28]
	v_div_fmas_f64 v[16:17], v[16:17], v[18:19], v[29:30]
	v_div_fixup_f64 v[14:15], v[16:17], v[14:15], s[10:11]
	v_cvt_f32_f64_e32 v10, v[14:15]
.LBB27_232:
	s_or_b32 exec_lo, exec_lo, s8
	s_orn2_b32 s0, s1, exec_lo
.LBB27_233:
	s_or_b32 exec_lo, exec_lo, s3
	v_mov_b32_e32 v18, 0x7e00
	s_and_saveexec_b32 s3, s0
	s_cbranch_execz .LBB27_245
; %bb.234:
	s_mov_b32 s0, exec_lo
	v_cmpx_gt_f32_e32 0x41200000, v8
	s_cbranch_execz .LBB27_238
; %bb.235:
	s_mov_b32 s1, 0
	.p2align	6
.LBB27_236:                             ; =>This Inner Loop Header: Depth=1
	v_div_scale_f32 v12, null, v8, v8, 1.0
	v_div_scale_f32 v16, vcc_lo, 1.0, v8, 1.0
	v_rcp_f32_e32 v14, v12
	v_fma_f32 v15, -v12, v14, 1.0
	v_fmac_f32_e32 v14, v15, v14
	v_mul_f32_e32 v15, v16, v14
	v_fma_f32 v17, -v12, v15, v16
	v_fmac_f32_e32 v15, v17, v14
	v_fma_f32 v12, -v12, v15, v16
	v_div_fmas_f32 v12, v12, v14, v15
	v_div_fixup_f32 v12, v12, v8, 1.0
	v_add_f32_e32 v8, 1.0, v8
	v_sub_f32_e32 v10, v10, v12
	v_cmp_ngt_f32_e32 vcc_lo, 0x41200000, v8
	s_or_b32 s1, vcc_lo, s1
	s_andn2_b32 exec_lo, exec_lo, s1
	s_cbranch_execnz .LBB27_236
; %bb.237:
	s_or_b32 exec_lo, exec_lo, s1
.LBB27_238:
	s_or_b32 exec_lo, exec_lo, s0
                                        ; implicit-def: $vgpr18
	s_mov_b32 s0, exec_lo
	v_cmpx_neq_f32_e32 0x41200000, v8
	s_xor_b32 s8, exec_lo, s0
	s_cbranch_execz .LBB27_242
; %bb.239:
	v_cvt_f64_f32_e32 v[14:15], v8
	s_mov_b32 s0, 0x85d8a000
	s_mov_b32 s1, 0x43763457
	v_mov_b32_e32 v12, 0
	v_cmp_gt_f64_e32 vcc_lo, s[0:1], v[14:15]
	s_and_saveexec_b32 s0, vcc_lo
	s_cbranch_execz .LBB27_241
; %bb.240:
	v_mul_f32_e32 v12, v8, v8
	v_div_scale_f32 v14, null, v12, v12, 1.0
	v_rcp_f32_e32 v15, v14
	v_fma_f32 v16, -v14, v15, 1.0
	v_fmac_f32_e32 v15, v16, v15
	v_div_scale_f32 v16, vcc_lo, 1.0, v12, 1.0
	v_mul_f32_e32 v17, v16, v15
	v_fma_f32 v18, -v14, v17, v16
	v_fmac_f32_e32 v17, v18, v15
	v_fma_f32 v14, -v14, v17, v16
	v_div_fmas_f32 v14, v14, v15, v17
	v_div_fixup_f32 v12, v14, v12, 1.0
	v_fmaak_f32 v14, 0, v12, 0x3daaaaab
	v_fmaak_f32 v14, v12, v14, 0xbcaccacd
	v_fmaak_f32 v14, v12, v14, 0x3bf83e10
	v_fmaak_f32 v14, v12, v14, 0xbb888889
	v_fmaak_f32 v14, v12, v14, 0x3b820821
	v_fmaak_f32 v14, v12, v14, 0xbc088889
	v_fmaak_f32 v14, v12, v14, 0x3daaaaab
	v_mul_f32_e32 v12, v12, v14
.LBB27_241:
	s_or_b32 exec_lo, exec_lo, s0
	v_cmp_gt_f32_e32 vcc_lo, 0x800000, v8
	v_div_scale_f32 v14, null, v8, v8, -0.5
	v_div_scale_f32 v18, s0, -0.5, v8, -0.5
	v_cndmask_b32_e64 v15, 0, 32, vcc_lo
	v_rcp_f32_e32 v16, v14
	v_ldexp_f32 v15, v8, v15
	v_log_f32_e32 v15, v15
	v_fma_f32 v17, -v14, v16, 1.0
	v_fmac_f32_e32 v16, v17, v16
	v_mul_f32_e32 v17, 0x3f317217, v15
	v_mul_f32_e32 v19, v18, v16
	v_cmp_gt_f32_e64 s1, 0x7f800000, |v15|
	v_fma_f32 v17, 0x3f317217, v15, -v17
	v_fma_f32 v21, -v14, v19, v18
	v_fmamk_f32 v17, v15, 0x3377d1cf, v17
	v_fmac_f32_e32 v19, v21, v16
	v_fmac_f32_e32 v17, 0x3f317217, v15
	v_fma_f32 v14, -v14, v19, v18
	v_cndmask_b32_e64 v15, v15, v17, s1
	v_cndmask_b32_e64 v17, 0, 0x41b17218, vcc_lo
	s_mov_b32 vcc_lo, s0
	v_div_fmas_f32 v14, v14, v16, v19
	v_sub_f32_e32 v15, v15, v17
	v_div_fixup_f32 v8, v14, v8, -0.5
	v_add_f32_e32 v8, v15, v8
	v_sub_f32_e32 v8, v8, v12
	v_add_f32_e32 v8, v10, v8
                                        ; implicit-def: $vgpr10
	v_cvt_f16_f32_e32 v18, v8
.LBB27_242:
	s_andn2_saveexec_b32 s0, s8
; %bb.243:
	v_add_f32_e32 v8, 0x40101cb7, v10
	v_cvt_f16_f32_e32 v18, v8
; %bb.244:
	s_or_b32 exec_lo, exec_lo, s0
.LBB27_245:
	s_or_b32 exec_lo, exec_lo, s3
                                        ; implicit-def: $vgpr8
.LBB27_246:
	s_andn2_saveexec_b32 s0, s2
; %bb.247:
	v_xor_b32_e32 v8, 0x80000000, v8
	s_movk_i32 s1, 0x7c00
	v_lshrrev_b32_e32 v8, 16, v8
	v_bfi_b32 v18, 0x7fff, s1, v8
; %bb.248:
	s_or_b32 exec_lo, exec_lo, s0
	global_load_ushort v12, v13, s[6:7]
                                        ; implicit-def: $vgpr16
	s_mov_b32 s0, exec_lo
	s_waitcnt vmcnt(0)
	v_cvt_f32_f16_e32 v8, v12
	v_cmpx_neq_f16_e32 0, v12
	s_xor_b32 s2, exec_lo, s0
	s_cbranch_execz .LBB27_270
; %bb.249:
	v_mov_b32_e32 v10, 0
	s_mov_b32 s0, -1
	s_mov_b32 s3, exec_lo
	v_cmpx_gt_f16_e32 0, v12
	s_cbranch_execz .LBB27_257
; %bb.250:
	v_trunc_f32_e32 v10, v8
	s_mov_b32 s1, 0
	v_cmp_neq_f32_e32 vcc_lo, v10, v8
	v_mov_b32_e32 v10, 0
	s_and_saveexec_b32 s8, vcc_lo
	s_cbranch_execz .LBB27_256
; %bb.251:
	v_cvt_f32_f16_e32 v10, v12
	s_mov_b32 s1, 0xc00921fb
	s_mov_b32 s0, 0x54442d18
	s_mov_b32 s9, exec_lo
                                        ; implicit-def: $vgpr16_vgpr17
	v_cvt_f64_f32_e32 v[12:13], v10
                                        ; implicit-def: $vgpr10
	v_trunc_f64_e32 v[14:15], v[12:13]
	v_cmp_neq_f64_e64 vcc_lo, 0x7ff00000, |v[12:13]|
	v_add_f64 v[14:15], v[12:13], -v[14:15]
	v_mul_f64 v[14:15], |v[14:15]|, s[0:1]
	v_cndmask_b32_e32 v13, 0x80000000, v15, vcc_lo
	v_cndmask_b32_e32 v12, 0, v14, vcc_lo
                                        ; implicit-def: $vgpr14_vgpr15
	v_cmpx_ngt_f64_e64 0x41d00000, |v[12:13]|
	s_xor_b32 s9, exec_lo, s9
	s_cbranch_execz .LBB27_253
; %bb.252:
	v_ldexp_f64 v[14:15], |v[12:13]|, 0xffffff80
	v_cmp_le_f64_e64 vcc_lo, 0x7b000000, |v[12:13]|
	v_trig_preop_f64 v[16:17], |v[12:13]|, 0
	v_and_b32_e32 v10, 0x7fffffff, v13
	v_trig_preop_f64 v[27:28], |v[12:13]|, 1
	v_trig_preop_f64 v[37:38], |v[12:13]|, 2
	v_mov_b32_e32 v45, 0
	s_mov_b32 s1, 0x3ff921fb
	s_mov_b32 s10, 0x33145c07
	;; [unrolled: 1-line block ×3, first 2 shown]
	v_cndmask_b32_e32 v15, v10, v15, vcc_lo
	v_cndmask_b32_e32 v14, v12, v14, vcc_lo
	v_mul_f64 v[29:30], v[16:17], v[14:15]
	v_mul_f64 v[31:32], v[27:28], v[14:15]
	;; [unrolled: 1-line block ×3, first 2 shown]
	v_fma_f64 v[16:17], v[16:17], v[14:15], -v[29:30]
	v_fma_f64 v[27:28], v[27:28], v[14:15], -v[31:32]
	v_fma_f64 v[14:15], v[37:38], v[14:15], -v[43:44]
	v_add_f64 v[33:34], v[31:32], v[16:17]
	v_add_f64 v[35:36], v[33:34], -v[31:32]
	v_add_f64 v[41:42], v[29:30], v[33:34]
	v_add_f64 v[39:40], v[33:34], -v[35:36]
	v_add_f64 v[16:17], v[16:17], -v[35:36]
	v_ldexp_f64 v[35:36], v[41:42], -2
	v_add_f64 v[29:30], v[41:42], -v[29:30]
	v_add_f64 v[31:32], v[31:32], -v[39:40]
	v_add_f64 v[39:40], v[43:44], v[27:28]
	v_cmp_neq_f64_e64 vcc_lo, 0x7ff00000, |v[35:36]|
	v_add_f64 v[29:30], v[33:34], -v[29:30]
	v_add_f64 v[16:17], v[16:17], v[31:32]
	v_fract_f64_e32 v[31:32], v[35:36]
	v_add_f64 v[33:34], v[39:40], v[16:17]
	v_ldexp_f64 v[31:32], v[31:32], 2
	v_add_f64 v[35:36], v[29:30], v[33:34]
	v_cndmask_b32_e32 v32, 0, v32, vcc_lo
	v_cndmask_b32_e32 v31, 0, v31, vcc_lo
	v_add_f64 v[41:42], v[35:36], v[31:32]
	v_add_f64 v[29:30], v[35:36], -v[29:30]
	v_cmp_gt_f64_e32 vcc_lo, 0, v[41:42]
	v_add_f64 v[41:42], v[39:40], -v[43:44]
	v_add_f64 v[29:30], v[33:34], -v[29:30]
	v_cndmask_b32_e64 v46, 0, 0x40100000, vcc_lo
	v_add_f64 v[50:51], v[39:40], -v[41:42]
	v_add_f64 v[27:28], v[27:28], -v[41:42]
	v_add_f64 v[31:32], v[31:32], v[45:46]
	v_add_f64 v[46:47], v[33:34], -v[39:40]
	v_add_f64 v[41:42], v[43:44], -v[50:51]
	v_add_f64 v[48:49], v[35:36], v[31:32]
	;; [unrolled: 3-line block ×3, first 2 shown]
	v_cvt_i32_f64_e32 v10, v[48:49]
	v_add_f64 v[39:40], v[39:40], -v[52:53]
	v_cvt_f64_i32_e32 v[46:47], v10
	v_add_f64 v[16:17], v[16:17], v[39:40]
	v_add_f64 v[31:32], v[31:32], -v[46:47]
	v_add_f64 v[16:17], v[27:28], v[16:17]
	v_add_f64 v[27:28], v[35:36], v[31:32]
	;; [unrolled: 1-line block ×3, first 2 shown]
	v_add_f64 v[16:17], v[27:28], -v[31:32]
	v_cmp_le_f64_e32 vcc_lo, 0.5, v[27:28]
	v_add_f64 v[14:15], v[29:30], v[14:15]
	v_add_f64 v[16:17], v[35:36], -v[16:17]
	v_cndmask_b32_e64 v46, 0, 0x3ff00000, vcc_lo
	v_add_co_ci_u32_e64 v10, null, 0, v10, vcc_lo
	v_add_f64 v[14:15], v[14:15], v[16:17]
	v_add_f64 v[16:17], v[27:28], -v[45:46]
	v_add_f64 v[27:28], v[16:17], v[14:15]
	v_mul_f64 v[29:30], v[27:28], s[0:1]
	v_add_f64 v[16:17], v[27:28], -v[16:17]
	v_fma_f64 v[31:32], v[27:28], s[0:1], -v[29:30]
	v_add_f64 v[14:15], v[14:15], -v[16:17]
	v_fma_f64 v[16:17], v[27:28], s[10:11], v[31:32]
	v_fma_f64 v[16:17], v[14:15], s[0:1], v[16:17]
	v_add_f64 v[14:15], v[29:30], v[16:17]
	v_add_f64 v[27:28], v[14:15], -v[29:30]
	v_add_f64 v[16:17], v[16:17], -v[27:28]
.LBB27_253:
	s_andn2_saveexec_b32 s0, s9
	s_cbranch_execz .LBB27_255
; %bb.254:
	s_mov_b32 s10, 0x6dc9c883
	s_mov_b32 s11, 0x3fe45f30
	;; [unrolled: 1-line block ×3, first 2 shown]
	v_mul_f64 v[14:15], |v[12:13]|, s[10:11]
	s_mov_b32 s10, 0x54442d18
	s_mov_b32 s11, 0xbff921fb
	;; [unrolled: 1-line block ×3, first 2 shown]
	v_rndne_f64_e32 v[27:28], v[14:15]
	v_fma_f64 v[14:15], v[27:28], s[10:11], |v[12:13]|
	v_mul_f64 v[16:17], v[27:28], s[12:13]
	s_mov_b32 s10, 0x252049c0
	s_mov_b32 s11, 0xb97b839a
	v_cvt_i32_f64_e32 v10, v[27:28]
	v_fma_f64 v[31:32], v[27:28], s[12:13], v[14:15]
	v_add_f64 v[29:30], v[14:15], v[16:17]
	s_mov_b32 s13, 0x3c91a626
	v_add_f64 v[14:15], v[14:15], -v[29:30]
	v_add_f64 v[29:30], v[29:30], -v[31:32]
	v_add_f64 v[14:15], v[14:15], v[16:17]
	v_fma_f64 v[16:17], v[27:28], s[12:13], v[16:17]
	v_add_f64 v[14:15], v[29:30], v[14:15]
	v_add_f64 v[14:15], v[14:15], -v[16:17]
	v_fma_f64 v[16:17], v[27:28], s[10:11], v[14:15]
	v_add_f64 v[14:15], v[31:32], v[16:17]
	v_add_f64 v[29:30], v[14:15], -v[31:32]
	v_add_f64 v[16:17], v[16:17], -v[29:30]
.LBB27_255:
	s_or_b32 exec_lo, exec_lo, s0
	v_mul_f64 v[27:28], v[14:15], v[14:15]
	v_add_f64 v[29:30], v[16:17], v[16:17]
	s_mov_b32 s10, 0xa9a29f71
	s_mov_b32 s12, 0xc751c08c
	;; [unrolled: 1-line block ×4, first 2 shown]
	v_cmp_class_f64_e64 s0, v[12:13], 0x1f8
	v_and_b32_e32 v10, 1, v10
	v_and_b32_e32 v13, 0x80000000, v13
	v_sub_f32_e32 v8, 1.0, v8
	s_mov_b32 s1, exec_lo
	v_cmp_eq_u32_e32 vcc_lo, 0, v10
	v_fma_f64 v[31:32], v[14:15], v[14:15], -v[27:28]
	v_fma_f64 v[29:30], v[14:15], v[29:30], v[31:32]
	v_add_f64 v[27:28], v[27:28], v[29:30]
	v_fma_f64 v[29:30], v[27:28], s[12:13], s[10:11]
	s_mov_b32 s10, 0x90a8aae0
	s_mov_b32 s11, 0x3f17746f
	v_fma_f64 v[29:30], v[27:28], v[29:30], s[10:11]
	s_mov_b32 s10, 0xa6fbf144
	s_mov_b32 s11, 0xbefbb44d
	v_fma_f64 v[29:30], v[27:28], v[29:30], s[10:11]
	s_mov_b32 s10, 0xa7943acf
	s_mov_b32 s11, 0x3f21e634
	v_fma_f64 v[29:30], v[27:28], v[29:30], s[10:11]
	s_mov_b32 s10, 0xdeb68feb
	s_mov_b32 s11, 0x3f2d250f
	v_fma_f64 v[29:30], v[27:28], v[29:30], s[10:11]
	s_mov_b32 s10, 0xb58c4d95
	s_mov_b32 s11, 0x3f437fd9
	v_fma_f64 v[29:30], v[27:28], v[29:30], s[10:11]
	s_mov_b32 s10, 0x15120e2c
	s_mov_b32 s11, 0x3f57d5af
	v_fma_f64 v[29:30], v[27:28], v[29:30], s[10:11]
	s_mov_b32 s10, 0xe09491df
	s_mov_b32 s11, 0x3f6d6d93
	v_fma_f64 v[29:30], v[27:28], v[29:30], s[10:11]
	s_mov_b32 s10, 0x2033784d
	s_mov_b32 s11, 0x3f8226e1
	v_fma_f64 v[29:30], v[27:28], v[29:30], s[10:11]
	s_mov_b32 s10, 0x9ac36ae2
	s_mov_b32 s11, 0x3f9664f4
	v_fma_f64 v[29:30], v[27:28], v[29:30], s[10:11]
	s_mov_b32 s10, 0x1b451c21
	s_mov_b32 s11, 0x3faba1ba
	v_fma_f64 v[29:30], v[27:28], v[29:30], s[10:11]
	s_mov_b32 s10, 0x111185b7
	s_mov_b32 s11, 0x3fc11111
	v_fma_f64 v[29:30], v[27:28], v[29:30], s[10:11]
	s_mov_b32 s10, 0x555554ee
	s_mov_b32 s11, 0x3fd55555
	v_fma_f64 v[29:30], v[27:28], v[29:30], s[10:11]
	s_mov_b32 s10, 0x54442d18
	s_mov_b32 s11, 0xc00921fb
	v_mul_f64 v[27:28], v[27:28], v[29:30]
	v_mul_f64 v[29:30], v[14:15], v[27:28]
	v_add_f64 v[31:32], v[14:15], v[29:30]
	v_fma_f64 v[27:28], v[14:15], v[27:28], -v[29:30]
	v_add_f64 v[14:15], v[31:32], -v[14:15]
	v_add_f64 v[16:17], v[16:17], v[27:28]
	v_add_f64 v[14:15], v[29:30], -v[14:15]
	v_add_f64 v[14:15], v[16:17], v[14:15]
	v_add_f64 v[16:17], v[31:32], v[14:15]
	v_rcp_f64_e32 v[27:28], v[16:17]
	v_fma_f64 v[29:30], -v[16:17], v[27:28], 1.0
	v_fma_f64 v[27:28], v[29:30], v[27:28], v[27:28]
	v_fma_f64 v[29:30], -v[16:17], v[27:28], 1.0
	v_fma_f64 v[27:28], v[29:30], v[27:28], v[27:28]
	v_add_f64 v[29:30], v[16:17], -v[31:32]
	v_mul_f64 v[31:32], v[16:17], v[27:28]
	v_add_f64 v[14:15], v[14:15], -v[29:30]
	v_fma_f64 v[29:30], v[27:28], v[16:17], -v[31:32]
	v_fma_f64 v[14:15], v[27:28], v[14:15], v[29:30]
	v_add_f64 v[29:30], v[31:32], v[14:15]
	v_add_f64 v[33:34], -v[29:30], 1.0
	v_add_f64 v[31:32], v[29:30], -v[31:32]
	v_add_f64 v[35:36], -v[33:34], 1.0
	v_add_f64 v[14:15], v[31:32], -v[14:15]
	v_add_f64 v[29:30], v[35:36], -v[29:30]
	v_add_f64 v[14:15], v[14:15], v[29:30]
	v_add_f64 v[14:15], v[33:34], v[14:15]
	v_mul_f64 v[14:15], v[27:28], v[14:15]
	v_add_f64 v[14:15], v[27:28], v[14:15]
	v_xor_b32_e32 v12, 0x80000000, v15
	v_cndmask_b32_e32 v10, v14, v16, vcc_lo
	v_cndmask_b32_e32 v12, v12, v17, vcc_lo
	v_xor_b32_e32 v13, v12, v13
	v_cndmask_b32_e64 v12, 0, v10, s0
	v_cndmask_b32_e64 v13, 0x7ff80000, v13, s0
	v_div_scale_f64 v[14:15], null, v[12:13], v[12:13], s[10:11]
	v_rcp_f64_e32 v[16:17], v[14:15]
	v_fma_f64 v[27:28], -v[14:15], v[16:17], 1.0
	v_fma_f64 v[16:17], v[16:17], v[27:28], v[16:17]
	v_fma_f64 v[27:28], -v[14:15], v[16:17], 1.0
	v_fma_f64 v[16:17], v[16:17], v[27:28], v[16:17]
	v_div_scale_f64 v[27:28], vcc_lo, s[10:11], v[12:13], s[10:11]
	v_mul_f64 v[29:30], v[27:28], v[16:17]
	v_fma_f64 v[14:15], -v[14:15], v[29:30], v[27:28]
	v_div_fmas_f64 v[14:15], v[14:15], v[16:17], v[29:30]
	v_div_fixup_f64 v[12:13], v[14:15], v[12:13], s[10:11]
	v_cvt_f32_f64_e32 v10, v[12:13]
.LBB27_256:
	s_or_b32 exec_lo, exec_lo, s8
	s_orn2_b32 s0, s1, exec_lo
.LBB27_257:
	s_or_b32 exec_lo, exec_lo, s3
	v_mov_b32_e32 v16, 0x7e00
	s_and_saveexec_b32 s3, s0
	s_cbranch_execz .LBB27_269
; %bb.258:
	s_mov_b32 s0, exec_lo
	v_cmpx_gt_f32_e32 0x41200000, v8
	s_cbranch_execz .LBB27_262
; %bb.259:
	s_mov_b32 s1, 0
	.p2align	6
.LBB27_260:                             ; =>This Inner Loop Header: Depth=1
	v_div_scale_f32 v12, null, v8, v8, 1.0
	v_div_scale_f32 v15, vcc_lo, 1.0, v8, 1.0
	v_rcp_f32_e32 v13, v12
	v_fma_f32 v14, -v12, v13, 1.0
	v_fmac_f32_e32 v13, v14, v13
	v_mul_f32_e32 v14, v15, v13
	v_fma_f32 v16, -v12, v14, v15
	v_fmac_f32_e32 v14, v16, v13
	v_fma_f32 v12, -v12, v14, v15
	v_div_fmas_f32 v12, v12, v13, v14
	v_div_fixup_f32 v12, v12, v8, 1.0
	v_add_f32_e32 v8, 1.0, v8
	v_sub_f32_e32 v10, v10, v12
	v_cmp_ngt_f32_e32 vcc_lo, 0x41200000, v8
	s_or_b32 s1, vcc_lo, s1
	s_andn2_b32 exec_lo, exec_lo, s1
	s_cbranch_execnz .LBB27_260
; %bb.261:
	s_or_b32 exec_lo, exec_lo, s1
.LBB27_262:
	s_or_b32 exec_lo, exec_lo, s0
                                        ; implicit-def: $vgpr16
	s_mov_b32 s0, exec_lo
	v_cmpx_neq_f32_e32 0x41200000, v8
	s_xor_b32 s8, exec_lo, s0
	s_cbranch_execz .LBB27_266
; %bb.263:
	v_cvt_f64_f32_e32 v[12:13], v8
	s_mov_b32 s0, 0x85d8a000
	s_mov_b32 s1, 0x43763457
	v_cmp_gt_f64_e32 vcc_lo, s[0:1], v[12:13]
	v_mov_b32_e32 v12, 0
	s_and_saveexec_b32 s0, vcc_lo
	s_cbranch_execz .LBB27_265
; %bb.264:
	v_mul_f32_e32 v12, v8, v8
	v_div_scale_f32 v13, null, v12, v12, 1.0
	v_rcp_f32_e32 v14, v13
	v_fma_f32 v15, -v13, v14, 1.0
	v_fmac_f32_e32 v14, v15, v14
	v_div_scale_f32 v15, vcc_lo, 1.0, v12, 1.0
	v_mul_f32_e32 v16, v15, v14
	v_fma_f32 v17, -v13, v16, v15
	v_fmac_f32_e32 v16, v17, v14
	v_fma_f32 v13, -v13, v16, v15
	v_div_fmas_f32 v13, v13, v14, v16
	v_div_fixup_f32 v12, v13, v12, 1.0
	v_fmaak_f32 v13, 0, v12, 0x3daaaaab
	v_fmaak_f32 v13, v12, v13, 0xbcaccacd
	;; [unrolled: 1-line block ×7, first 2 shown]
	v_mul_f32_e32 v12, v12, v13
.LBB27_265:
	s_or_b32 exec_lo, exec_lo, s0
	v_cmp_gt_f32_e32 vcc_lo, 0x800000, v8
	v_div_scale_f32 v13, null, v8, v8, -0.5
	v_div_scale_f32 v17, s0, -0.5, v8, -0.5
	v_cndmask_b32_e64 v14, 0, 32, vcc_lo
	v_rcp_f32_e32 v15, v13
	v_ldexp_f32 v14, v8, v14
	v_log_f32_e32 v14, v14
	v_fma_f32 v16, -v13, v15, 1.0
	v_fmac_f32_e32 v15, v16, v15
	v_mul_f32_e32 v16, 0x3f317217, v14
	v_mul_f32_e32 v19, v17, v15
	v_cmp_gt_f32_e64 s1, 0x7f800000, |v14|
	v_fma_f32 v16, 0x3f317217, v14, -v16
	v_fma_f32 v21, -v13, v19, v17
	v_fmamk_f32 v16, v14, 0x3377d1cf, v16
	v_fmac_f32_e32 v19, v21, v15
	v_fmac_f32_e32 v16, 0x3f317217, v14
	v_fma_f32 v13, -v13, v19, v17
	v_cndmask_b32_e64 v14, v14, v16, s1
	v_cndmask_b32_e64 v16, 0, 0x41b17218, vcc_lo
	s_mov_b32 vcc_lo, s0
	v_div_fmas_f32 v13, v13, v15, v19
	v_sub_f32_e32 v14, v14, v16
	v_div_fixup_f32 v8, v13, v8, -0.5
	v_add_f32_e32 v8, v14, v8
	v_sub_f32_e32 v8, v8, v12
	v_add_f32_e32 v8, v10, v8
                                        ; implicit-def: $vgpr10
	v_cvt_f16_f32_e32 v16, v8
.LBB27_266:
	s_andn2_saveexec_b32 s0, s8
; %bb.267:
	v_add_f32_e32 v8, 0x40101cb7, v10
	v_cvt_f16_f32_e32 v16, v8
; %bb.268:
	s_or_b32 exec_lo, exec_lo, s0
.LBB27_269:
	s_or_b32 exec_lo, exec_lo, s3
                                        ; implicit-def: $vgpr8
.LBB27_270:
	s_andn2_saveexec_b32 s0, s2
; %bb.271:
	v_xor_b32_e32 v8, 0x80000000, v8
	s_movk_i32 s1, 0x7c00
	v_lshrrev_b32_e32 v8, 16, v8
	v_bfi_b32 v16, 0x7fff, s1, v8
; %bb.272:
	s_or_b32 exec_lo, exec_lo, s0
	global_load_ushort v11, v11, s[6:7]
                                        ; implicit-def: $vgpr14
	s_mov_b32 s0, exec_lo
	s_waitcnt vmcnt(0)
	v_cvt_f32_f16_e32 v8, v11
	v_cmpx_neq_f16_e32 0, v11
	s_xor_b32 s2, exec_lo, s0
	s_cbranch_execz .LBB27_294
; %bb.273:
	v_mov_b32_e32 v10, 0
	s_mov_b32 s0, -1
	s_mov_b32 s3, exec_lo
	v_cmpx_gt_f16_e32 0, v11
	s_cbranch_execz .LBB27_281
; %bb.274:
	v_trunc_f32_e32 v10, v8
	s_mov_b32 s1, 0
	v_cmp_neq_f32_e32 vcc_lo, v10, v8
	v_mov_b32_e32 v10, 0
	s_and_saveexec_b32 s8, vcc_lo
	s_cbranch_execz .LBB27_280
; %bb.275:
	v_cvt_f32_f16_e32 v10, v11
	s_mov_b32 s1, 0xc00921fb
	s_mov_b32 s0, 0x54442d18
	s_mov_b32 s9, exec_lo
                                        ; implicit-def: $vgpr17
                                        ; implicit-def: $vgpr14_vgpr15
	v_cvt_f64_f32_e32 v[10:11], v10
	v_trunc_f64_e32 v[12:13], v[10:11]
	v_cmp_neq_f64_e64 vcc_lo, 0x7ff00000, |v[10:11]|
	v_add_f64 v[12:13], v[10:11], -v[12:13]
	v_mul_f64 v[12:13], |v[12:13]|, s[0:1]
	v_cndmask_b32_e32 v11, 0x80000000, v13, vcc_lo
	v_cndmask_b32_e32 v10, 0, v12, vcc_lo
                                        ; implicit-def: $vgpr12_vgpr13
	v_cmpx_ngt_f64_e64 0x41d00000, |v[10:11]|
	s_xor_b32 s9, exec_lo, s9
	s_cbranch_execz .LBB27_277
; %bb.276:
	v_ldexp_f64 v[12:13], |v[10:11]|, 0xffffff80
	v_cmp_le_f64_e64 vcc_lo, 0x7b000000, |v[10:11]|
	v_trig_preop_f64 v[14:15], |v[10:11]|, 0
	v_and_b32_e32 v17, 0x7fffffff, v11
	v_trig_preop_f64 v[27:28], |v[10:11]|, 1
	v_trig_preop_f64 v[37:38], |v[10:11]|, 2
	v_mov_b32_e32 v45, 0
	s_mov_b32 s1, 0x3ff921fb
	s_mov_b32 s10, 0x33145c07
	;; [unrolled: 1-line block ×3, first 2 shown]
	v_cndmask_b32_e32 v13, v17, v13, vcc_lo
	v_cndmask_b32_e32 v12, v10, v12, vcc_lo
	v_mul_f64 v[29:30], v[14:15], v[12:13]
	v_mul_f64 v[31:32], v[27:28], v[12:13]
	;; [unrolled: 1-line block ×3, first 2 shown]
	v_fma_f64 v[14:15], v[14:15], v[12:13], -v[29:30]
	v_fma_f64 v[27:28], v[27:28], v[12:13], -v[31:32]
	;; [unrolled: 1-line block ×3, first 2 shown]
	v_add_f64 v[33:34], v[31:32], v[14:15]
	v_add_f64 v[35:36], v[33:34], -v[31:32]
	v_add_f64 v[41:42], v[29:30], v[33:34]
	v_add_f64 v[39:40], v[33:34], -v[35:36]
	v_add_f64 v[14:15], v[14:15], -v[35:36]
	v_ldexp_f64 v[35:36], v[41:42], -2
	v_add_f64 v[29:30], v[41:42], -v[29:30]
	v_add_f64 v[31:32], v[31:32], -v[39:40]
	v_add_f64 v[39:40], v[43:44], v[27:28]
	v_cmp_neq_f64_e64 vcc_lo, 0x7ff00000, |v[35:36]|
	v_add_f64 v[29:30], v[33:34], -v[29:30]
	v_add_f64 v[14:15], v[14:15], v[31:32]
	v_fract_f64_e32 v[31:32], v[35:36]
	v_add_f64 v[33:34], v[39:40], v[14:15]
	v_ldexp_f64 v[31:32], v[31:32], 2
	v_add_f64 v[35:36], v[29:30], v[33:34]
	v_cndmask_b32_e32 v32, 0, v32, vcc_lo
	v_cndmask_b32_e32 v31, 0, v31, vcc_lo
	v_add_f64 v[41:42], v[35:36], v[31:32]
	v_add_f64 v[29:30], v[35:36], -v[29:30]
	v_cmp_gt_f64_e32 vcc_lo, 0, v[41:42]
	v_add_f64 v[41:42], v[39:40], -v[43:44]
	v_add_f64 v[29:30], v[33:34], -v[29:30]
	v_cndmask_b32_e64 v46, 0, 0x40100000, vcc_lo
	v_add_f64 v[50:51], v[39:40], -v[41:42]
	v_add_f64 v[27:28], v[27:28], -v[41:42]
	v_add_f64 v[31:32], v[31:32], v[45:46]
	v_add_f64 v[46:47], v[33:34], -v[39:40]
	v_add_f64 v[41:42], v[43:44], -v[50:51]
	v_add_f64 v[48:49], v[35:36], v[31:32]
	;; [unrolled: 3-line block ×3, first 2 shown]
	v_cvt_i32_f64_e32 v17, v[48:49]
	v_add_f64 v[39:40], v[39:40], -v[52:53]
	v_cvt_f64_i32_e32 v[46:47], v17
	v_add_f64 v[14:15], v[14:15], v[39:40]
	v_add_f64 v[31:32], v[31:32], -v[46:47]
	v_add_f64 v[14:15], v[27:28], v[14:15]
	v_add_f64 v[27:28], v[35:36], v[31:32]
	v_add_f64 v[12:13], v[12:13], v[14:15]
	v_add_f64 v[14:15], v[27:28], -v[31:32]
	v_cmp_le_f64_e32 vcc_lo, 0.5, v[27:28]
	v_add_f64 v[12:13], v[29:30], v[12:13]
	v_add_f64 v[14:15], v[35:36], -v[14:15]
	v_cndmask_b32_e64 v46, 0, 0x3ff00000, vcc_lo
	v_add_co_ci_u32_e64 v17, null, 0, v17, vcc_lo
	v_add_f64 v[12:13], v[12:13], v[14:15]
	v_add_f64 v[14:15], v[27:28], -v[45:46]
	v_add_f64 v[27:28], v[14:15], v[12:13]
	v_mul_f64 v[29:30], v[27:28], s[0:1]
	v_add_f64 v[14:15], v[27:28], -v[14:15]
	v_fma_f64 v[31:32], v[27:28], s[0:1], -v[29:30]
	v_add_f64 v[12:13], v[12:13], -v[14:15]
	v_fma_f64 v[14:15], v[27:28], s[10:11], v[31:32]
	v_fma_f64 v[14:15], v[12:13], s[0:1], v[14:15]
	v_add_f64 v[12:13], v[29:30], v[14:15]
	v_add_f64 v[27:28], v[12:13], -v[29:30]
	v_add_f64 v[14:15], v[14:15], -v[27:28]
.LBB27_277:
	s_andn2_saveexec_b32 s0, s9
	s_cbranch_execz .LBB27_279
; %bb.278:
	s_mov_b32 s10, 0x6dc9c883
	s_mov_b32 s11, 0x3fe45f30
	;; [unrolled: 1-line block ×3, first 2 shown]
	v_mul_f64 v[12:13], |v[10:11]|, s[10:11]
	s_mov_b32 s10, 0x54442d18
	s_mov_b32 s11, 0xbff921fb
	s_mov_b32 s12, 0x33145c00
	v_rndne_f64_e32 v[27:28], v[12:13]
	v_fma_f64 v[12:13], v[27:28], s[10:11], |v[10:11]|
	v_mul_f64 v[14:15], v[27:28], s[12:13]
	s_mov_b32 s10, 0x252049c0
	s_mov_b32 s11, 0xb97b839a
	v_cvt_i32_f64_e32 v17, v[27:28]
	v_fma_f64 v[31:32], v[27:28], s[12:13], v[12:13]
	v_add_f64 v[29:30], v[12:13], v[14:15]
	s_mov_b32 s13, 0x3c91a626
	v_add_f64 v[12:13], v[12:13], -v[29:30]
	v_add_f64 v[29:30], v[29:30], -v[31:32]
	v_add_f64 v[12:13], v[12:13], v[14:15]
	v_fma_f64 v[14:15], v[27:28], s[12:13], v[14:15]
	v_add_f64 v[12:13], v[29:30], v[12:13]
	v_add_f64 v[12:13], v[12:13], -v[14:15]
	v_fma_f64 v[14:15], v[27:28], s[10:11], v[12:13]
	v_add_f64 v[12:13], v[31:32], v[14:15]
	v_add_f64 v[29:30], v[12:13], -v[31:32]
	v_add_f64 v[14:15], v[14:15], -v[29:30]
.LBB27_279:
	s_or_b32 exec_lo, exec_lo, s0
	v_mul_f64 v[27:28], v[12:13], v[12:13]
	v_add_f64 v[29:30], v[14:15], v[14:15]
	s_mov_b32 s10, 0xa9a29f71
	s_mov_b32 s12, 0xc751c08c
	;; [unrolled: 1-line block ×4, first 2 shown]
	v_cmp_class_f64_e64 s0, v[10:11], 0x1f8
	v_and_b32_e32 v17, 1, v17
	v_and_b32_e32 v11, 0x80000000, v11
	v_sub_f32_e32 v8, 1.0, v8
	s_mov_b32 s1, exec_lo
	v_cmp_eq_u32_e32 vcc_lo, 0, v17
	v_fma_f64 v[31:32], v[12:13], v[12:13], -v[27:28]
	v_fma_f64 v[29:30], v[12:13], v[29:30], v[31:32]
	v_add_f64 v[27:28], v[27:28], v[29:30]
	v_fma_f64 v[29:30], v[27:28], s[12:13], s[10:11]
	s_mov_b32 s10, 0x90a8aae0
	s_mov_b32 s11, 0x3f17746f
	v_fma_f64 v[29:30], v[27:28], v[29:30], s[10:11]
	s_mov_b32 s10, 0xa6fbf144
	s_mov_b32 s11, 0xbefbb44d
	;; [unrolled: 3-line block ×13, first 2 shown]
	v_mul_f64 v[27:28], v[27:28], v[29:30]
	v_mul_f64 v[29:30], v[12:13], v[27:28]
	v_add_f64 v[31:32], v[12:13], v[29:30]
	v_fma_f64 v[27:28], v[12:13], v[27:28], -v[29:30]
	v_add_f64 v[12:13], v[31:32], -v[12:13]
	v_add_f64 v[14:15], v[14:15], v[27:28]
	v_add_f64 v[12:13], v[29:30], -v[12:13]
	v_add_f64 v[12:13], v[14:15], v[12:13]
	v_add_f64 v[14:15], v[31:32], v[12:13]
	v_rcp_f64_e32 v[27:28], v[14:15]
	v_fma_f64 v[29:30], -v[14:15], v[27:28], 1.0
	v_fma_f64 v[27:28], v[29:30], v[27:28], v[27:28]
	v_fma_f64 v[29:30], -v[14:15], v[27:28], 1.0
	v_fma_f64 v[27:28], v[29:30], v[27:28], v[27:28]
	v_add_f64 v[29:30], v[14:15], -v[31:32]
	v_mul_f64 v[31:32], v[14:15], v[27:28]
	v_add_f64 v[12:13], v[12:13], -v[29:30]
	v_fma_f64 v[29:30], v[27:28], v[14:15], -v[31:32]
	v_fma_f64 v[12:13], v[27:28], v[12:13], v[29:30]
	v_add_f64 v[29:30], v[31:32], v[12:13]
	v_add_f64 v[33:34], -v[29:30], 1.0
	v_add_f64 v[31:32], v[29:30], -v[31:32]
	v_add_f64 v[35:36], -v[33:34], 1.0
	v_add_f64 v[12:13], v[31:32], -v[12:13]
	v_add_f64 v[29:30], v[35:36], -v[29:30]
	v_add_f64 v[12:13], v[12:13], v[29:30]
	v_add_f64 v[12:13], v[33:34], v[12:13]
	v_mul_f64 v[12:13], v[27:28], v[12:13]
	v_add_f64 v[12:13], v[27:28], v[12:13]
	v_xor_b32_e32 v10, 0x80000000, v13
	v_cndmask_b32_e32 v12, v12, v14, vcc_lo
	v_cndmask_b32_e32 v10, v10, v15, vcc_lo
	v_xor_b32_e32 v11, v10, v11
	v_cndmask_b32_e64 v10, 0, v12, s0
	v_cndmask_b32_e64 v11, 0x7ff80000, v11, s0
	v_div_scale_f64 v[12:13], null, v[10:11], v[10:11], s[10:11]
	v_rcp_f64_e32 v[14:15], v[12:13]
	v_fma_f64 v[27:28], -v[12:13], v[14:15], 1.0
	v_fma_f64 v[14:15], v[14:15], v[27:28], v[14:15]
	v_fma_f64 v[27:28], -v[12:13], v[14:15], 1.0
	v_fma_f64 v[14:15], v[14:15], v[27:28], v[14:15]
	v_div_scale_f64 v[27:28], vcc_lo, s[10:11], v[10:11], s[10:11]
	v_mul_f64 v[29:30], v[27:28], v[14:15]
	v_fma_f64 v[12:13], -v[12:13], v[29:30], v[27:28]
	v_div_fmas_f64 v[12:13], v[12:13], v[14:15], v[29:30]
	v_div_fixup_f64 v[10:11], v[12:13], v[10:11], s[10:11]
	v_cvt_f32_f64_e32 v10, v[10:11]
.LBB27_280:
	s_or_b32 exec_lo, exec_lo, s8
	s_orn2_b32 s0, s1, exec_lo
.LBB27_281:
	s_or_b32 exec_lo, exec_lo, s3
	v_mov_b32_e32 v14, 0x7e00
	s_and_saveexec_b32 s3, s0
	s_cbranch_execz .LBB27_293
; %bb.282:
	s_mov_b32 s0, exec_lo
	v_cmpx_gt_f32_e32 0x41200000, v8
	s_cbranch_execz .LBB27_286
; %bb.283:
	s_mov_b32 s1, 0
	.p2align	6
.LBB27_284:                             ; =>This Inner Loop Header: Depth=1
	v_div_scale_f32 v11, null, v8, v8, 1.0
	v_div_scale_f32 v14, vcc_lo, 1.0, v8, 1.0
	v_rcp_f32_e32 v12, v11
	v_fma_f32 v13, -v11, v12, 1.0
	v_fmac_f32_e32 v12, v13, v12
	v_mul_f32_e32 v13, v14, v12
	v_fma_f32 v15, -v11, v13, v14
	v_fmac_f32_e32 v13, v15, v12
	v_fma_f32 v11, -v11, v13, v14
	v_div_fmas_f32 v11, v11, v12, v13
	v_div_fixup_f32 v11, v11, v8, 1.0
	v_add_f32_e32 v8, 1.0, v8
	v_sub_f32_e32 v10, v10, v11
	v_cmp_ngt_f32_e32 vcc_lo, 0x41200000, v8
	s_or_b32 s1, vcc_lo, s1
	s_andn2_b32 exec_lo, exec_lo, s1
	s_cbranch_execnz .LBB27_284
; %bb.285:
	s_or_b32 exec_lo, exec_lo, s1
.LBB27_286:
	s_or_b32 exec_lo, exec_lo, s0
                                        ; implicit-def: $vgpr14
	s_mov_b32 s0, exec_lo
	v_cmpx_neq_f32_e32 0x41200000, v8
	s_xor_b32 s8, exec_lo, s0
	s_cbranch_execz .LBB27_290
; %bb.287:
	v_cvt_f64_f32_e32 v[11:12], v8
	s_mov_b32 s0, 0x85d8a000
	s_mov_b32 s1, 0x43763457
	v_cmp_gt_f64_e32 vcc_lo, s[0:1], v[11:12]
	v_mov_b32_e32 v11, 0
	s_and_saveexec_b32 s0, vcc_lo
	s_cbranch_execz .LBB27_289
; %bb.288:
	v_mul_f32_e32 v11, v8, v8
	v_div_scale_f32 v12, null, v11, v11, 1.0
	v_rcp_f32_e32 v13, v12
	v_fma_f32 v14, -v12, v13, 1.0
	v_fmac_f32_e32 v13, v14, v13
	v_div_scale_f32 v14, vcc_lo, 1.0, v11, 1.0
	v_mul_f32_e32 v15, v14, v13
	v_fma_f32 v17, -v12, v15, v14
	v_fmac_f32_e32 v15, v17, v13
	v_fma_f32 v12, -v12, v15, v14
	v_div_fmas_f32 v12, v12, v13, v15
	v_div_fixup_f32 v11, v12, v11, 1.0
	v_fmaak_f32 v12, 0, v11, 0x3daaaaab
	v_fmaak_f32 v12, v11, v12, 0xbcaccacd
	;; [unrolled: 1-line block ×7, first 2 shown]
	v_mul_f32_e32 v11, v11, v12
.LBB27_289:
	s_or_b32 exec_lo, exec_lo, s0
	v_cmp_gt_f32_e32 vcc_lo, 0x800000, v8
	v_div_scale_f32 v12, null, v8, v8, -0.5
	v_div_scale_f32 v17, s0, -0.5, v8, -0.5
	v_cndmask_b32_e64 v13, 0, 32, vcc_lo
	v_rcp_f32_e32 v14, v12
	v_ldexp_f32 v13, v8, v13
	v_log_f32_e32 v13, v13
	v_fma_f32 v15, -v12, v14, 1.0
	v_fmac_f32_e32 v14, v15, v14
	v_mul_f32_e32 v15, 0x3f317217, v13
	v_mul_f32_e32 v19, v17, v14
	v_cmp_gt_f32_e64 s1, 0x7f800000, |v13|
	v_fma_f32 v15, 0x3f317217, v13, -v15
	v_fma_f32 v21, -v12, v19, v17
	v_fmamk_f32 v15, v13, 0x3377d1cf, v15
	v_fmac_f32_e32 v19, v21, v14
	v_fmac_f32_e32 v15, 0x3f317217, v13
	v_fma_f32 v12, -v12, v19, v17
	v_cndmask_b32_e64 v13, v13, v15, s1
	v_cndmask_b32_e64 v15, 0, 0x41b17218, vcc_lo
	s_mov_b32 vcc_lo, s0
	v_div_fmas_f32 v12, v12, v14, v19
	v_sub_f32_e32 v13, v13, v15
	v_div_fixup_f32 v8, v12, v8, -0.5
	v_add_f32_e32 v8, v13, v8
	v_sub_f32_e32 v8, v8, v11
	v_add_f32_e32 v8, v10, v8
                                        ; implicit-def: $vgpr10
	v_cvt_f16_f32_e32 v14, v8
.LBB27_290:
	s_andn2_saveexec_b32 s0, s8
; %bb.291:
	v_add_f32_e32 v8, 0x40101cb7, v10
	v_cvt_f16_f32_e32 v14, v8
; %bb.292:
	s_or_b32 exec_lo, exec_lo, s0
.LBB27_293:
	s_or_b32 exec_lo, exec_lo, s3
                                        ; implicit-def: $vgpr8
.LBB27_294:
	s_andn2_saveexec_b32 s0, s2
; %bb.295:
	v_xor_b32_e32 v8, 0x80000000, v8
	s_movk_i32 s1, 0x7c00
	v_lshrrev_b32_e32 v8, 16, v8
	v_bfi_b32 v14, 0x7fff, s1, v8
; %bb.296:
	s_or_b32 exec_lo, exec_lo, s0
	global_load_ushort v10, v9, s[6:7]
                                        ; implicit-def: $vgpr9
	s_mov_b32 s0, exec_lo
	s_waitcnt vmcnt(0)
	v_cvt_f32_f16_e32 v15, v10
	v_cmpx_neq_f16_e32 0, v10
	s_xor_b32 s2, exec_lo, s0
	s_cbranch_execz .LBB27_318
; %bb.297:
	v_mov_b32_e32 v8, 0
	s_mov_b32 s0, -1
	s_mov_b32 s3, exec_lo
	v_cmpx_gt_f16_e32 0, v10
	s_cbranch_execz .LBB27_305
; %bb.298:
	v_trunc_f32_e32 v8, v15
	s_mov_b32 s1, 0
	v_cmp_neq_f32_e32 vcc_lo, v8, v15
	v_mov_b32_e32 v8, 0
	s_and_saveexec_b32 s6, vcc_lo
	s_cbranch_execz .LBB27_304
; %bb.299:
	v_cvt_f32_f16_e32 v8, v10
	s_mov_b32 s1, 0xc00921fb
	s_mov_b32 s0, 0x54442d18
	s_mov_b32 s7, exec_lo
                                        ; implicit-def: $vgpr17
                                        ; implicit-def: $vgpr12_vgpr13
	v_cvt_f64_f32_e32 v[8:9], v8
	v_trunc_f64_e32 v[10:11], v[8:9]
	v_cmp_neq_f64_e64 vcc_lo, 0x7ff00000, |v[8:9]|
	v_add_f64 v[10:11], v[8:9], -v[10:11]
	v_mul_f64 v[10:11], |v[10:11]|, s[0:1]
	v_cndmask_b32_e32 v9, 0x80000000, v11, vcc_lo
	v_cndmask_b32_e32 v8, 0, v10, vcc_lo
                                        ; implicit-def: $vgpr10_vgpr11
	v_cmpx_ngt_f64_e64 0x41d00000, |v[8:9]|
	s_xor_b32 s7, exec_lo, s7
	s_cbranch_execz .LBB27_301
; %bb.300:
	v_ldexp_f64 v[10:11], |v[8:9]|, 0xffffff80
	v_cmp_le_f64_e64 vcc_lo, 0x7b000000, |v[8:9]|
	v_trig_preop_f64 v[12:13], |v[8:9]|, 0
	v_and_b32_e32 v17, 0x7fffffff, v9
	v_trig_preop_f64 v[27:28], |v[8:9]|, 1
	v_trig_preop_f64 v[37:38], |v[8:9]|, 2
	v_mov_b32_e32 v45, 0
	s_mov_b32 s1, 0x3ff921fb
	s_mov_b32 s8, 0x33145c07
	;; [unrolled: 1-line block ×3, first 2 shown]
	v_cndmask_b32_e32 v11, v17, v11, vcc_lo
	v_cndmask_b32_e32 v10, v8, v10, vcc_lo
	v_mul_f64 v[29:30], v[12:13], v[10:11]
	v_mul_f64 v[31:32], v[27:28], v[10:11]
	;; [unrolled: 1-line block ×3, first 2 shown]
	v_fma_f64 v[12:13], v[12:13], v[10:11], -v[29:30]
	v_fma_f64 v[27:28], v[27:28], v[10:11], -v[31:32]
	;; [unrolled: 1-line block ×3, first 2 shown]
	v_add_f64 v[33:34], v[31:32], v[12:13]
	v_add_f64 v[35:36], v[33:34], -v[31:32]
	v_add_f64 v[41:42], v[29:30], v[33:34]
	v_add_f64 v[39:40], v[33:34], -v[35:36]
	v_add_f64 v[12:13], v[12:13], -v[35:36]
	v_ldexp_f64 v[35:36], v[41:42], -2
	v_add_f64 v[29:30], v[41:42], -v[29:30]
	v_add_f64 v[31:32], v[31:32], -v[39:40]
	v_add_f64 v[39:40], v[43:44], v[27:28]
	v_cmp_neq_f64_e64 vcc_lo, 0x7ff00000, |v[35:36]|
	v_add_f64 v[29:30], v[33:34], -v[29:30]
	v_add_f64 v[12:13], v[12:13], v[31:32]
	v_fract_f64_e32 v[31:32], v[35:36]
	v_add_f64 v[33:34], v[39:40], v[12:13]
	v_ldexp_f64 v[31:32], v[31:32], 2
	v_add_f64 v[35:36], v[29:30], v[33:34]
	v_cndmask_b32_e32 v32, 0, v32, vcc_lo
	v_cndmask_b32_e32 v31, 0, v31, vcc_lo
	v_add_f64 v[41:42], v[35:36], v[31:32]
	v_add_f64 v[29:30], v[35:36], -v[29:30]
	v_cmp_gt_f64_e32 vcc_lo, 0, v[41:42]
	v_add_f64 v[41:42], v[39:40], -v[43:44]
	v_add_f64 v[29:30], v[33:34], -v[29:30]
	v_cndmask_b32_e64 v46, 0, 0x40100000, vcc_lo
	v_add_f64 v[50:51], v[39:40], -v[41:42]
	v_add_f64 v[27:28], v[27:28], -v[41:42]
	v_add_f64 v[31:32], v[31:32], v[45:46]
	v_add_f64 v[46:47], v[33:34], -v[39:40]
	v_add_f64 v[41:42], v[43:44], -v[50:51]
	v_add_f64 v[48:49], v[35:36], v[31:32]
	v_add_f64 v[52:53], v[33:34], -v[46:47]
	v_add_f64 v[12:13], v[12:13], -v[46:47]
	v_add_f64 v[27:28], v[27:28], v[41:42]
	v_cvt_i32_f64_e32 v17, v[48:49]
	v_add_f64 v[39:40], v[39:40], -v[52:53]
	v_cvt_f64_i32_e32 v[46:47], v17
	v_add_f64 v[12:13], v[12:13], v[39:40]
	v_add_f64 v[31:32], v[31:32], -v[46:47]
	v_add_f64 v[12:13], v[27:28], v[12:13]
	v_add_f64 v[27:28], v[35:36], v[31:32]
	;; [unrolled: 1-line block ×3, first 2 shown]
	v_add_f64 v[12:13], v[27:28], -v[31:32]
	v_cmp_le_f64_e32 vcc_lo, 0.5, v[27:28]
	v_add_f64 v[10:11], v[29:30], v[10:11]
	v_add_f64 v[12:13], v[35:36], -v[12:13]
	v_cndmask_b32_e64 v46, 0, 0x3ff00000, vcc_lo
	v_add_co_ci_u32_e64 v17, null, 0, v17, vcc_lo
	v_add_f64 v[10:11], v[10:11], v[12:13]
	v_add_f64 v[12:13], v[27:28], -v[45:46]
	v_add_f64 v[27:28], v[12:13], v[10:11]
	v_mul_f64 v[29:30], v[27:28], s[0:1]
	v_add_f64 v[12:13], v[27:28], -v[12:13]
	v_fma_f64 v[31:32], v[27:28], s[0:1], -v[29:30]
	v_add_f64 v[10:11], v[10:11], -v[12:13]
	v_fma_f64 v[12:13], v[27:28], s[8:9], v[31:32]
	v_fma_f64 v[12:13], v[10:11], s[0:1], v[12:13]
	v_add_f64 v[10:11], v[29:30], v[12:13]
	v_add_f64 v[27:28], v[10:11], -v[29:30]
	v_add_f64 v[12:13], v[12:13], -v[27:28]
.LBB27_301:
	s_andn2_saveexec_b32 s0, s7
	s_cbranch_execz .LBB27_303
; %bb.302:
	s_mov_b32 s8, 0x6dc9c883
	s_mov_b32 s9, 0x3fe45f30
	;; [unrolled: 1-line block ×3, first 2 shown]
	v_mul_f64 v[10:11], |v[8:9]|, s[8:9]
	s_mov_b32 s8, 0x54442d18
	s_mov_b32 s9, 0xbff921fb
	;; [unrolled: 1-line block ×3, first 2 shown]
	v_rndne_f64_e32 v[27:28], v[10:11]
	v_fma_f64 v[10:11], v[27:28], s[8:9], |v[8:9]|
	v_mul_f64 v[12:13], v[27:28], s[10:11]
	s_mov_b32 s8, 0x252049c0
	s_mov_b32 s9, 0xb97b839a
	v_cvt_i32_f64_e32 v17, v[27:28]
	v_fma_f64 v[31:32], v[27:28], s[10:11], v[10:11]
	v_add_f64 v[29:30], v[10:11], v[12:13]
	s_mov_b32 s11, 0x3c91a626
	v_add_f64 v[10:11], v[10:11], -v[29:30]
	v_add_f64 v[29:30], v[29:30], -v[31:32]
	v_add_f64 v[10:11], v[10:11], v[12:13]
	v_fma_f64 v[12:13], v[27:28], s[10:11], v[12:13]
	v_add_f64 v[10:11], v[29:30], v[10:11]
	v_add_f64 v[10:11], v[10:11], -v[12:13]
	v_fma_f64 v[12:13], v[27:28], s[8:9], v[10:11]
	v_add_f64 v[10:11], v[31:32], v[12:13]
	v_add_f64 v[29:30], v[10:11], -v[31:32]
	v_add_f64 v[12:13], v[12:13], -v[29:30]
.LBB27_303:
	s_or_b32 exec_lo, exec_lo, s0
	v_mul_f64 v[27:28], v[10:11], v[10:11]
	v_add_f64 v[29:30], v[12:13], v[12:13]
	s_mov_b32 s8, 0xa9a29f71
	s_mov_b32 s10, 0xc751c08c
	;; [unrolled: 1-line block ×4, first 2 shown]
	v_cmp_class_f64_e64 s0, v[8:9], 0x1f8
	v_and_b32_e32 v17, 1, v17
	v_and_b32_e32 v9, 0x80000000, v9
	v_sub_f32_e32 v15, 1.0, v15
	s_mov_b32 s1, exec_lo
	v_cmp_eq_u32_e32 vcc_lo, 0, v17
	v_fma_f64 v[31:32], v[10:11], v[10:11], -v[27:28]
	v_fma_f64 v[29:30], v[10:11], v[29:30], v[31:32]
	v_add_f64 v[27:28], v[27:28], v[29:30]
	v_fma_f64 v[29:30], v[27:28], s[10:11], s[8:9]
	s_mov_b32 s8, 0x90a8aae0
	s_mov_b32 s9, 0x3f17746f
	v_fma_f64 v[29:30], v[27:28], v[29:30], s[8:9]
	s_mov_b32 s8, 0xa6fbf144
	s_mov_b32 s9, 0xbefbb44d
	v_fma_f64 v[29:30], v[27:28], v[29:30], s[8:9]
	s_mov_b32 s8, 0xa7943acf
	s_mov_b32 s9, 0x3f21e634
	v_fma_f64 v[29:30], v[27:28], v[29:30], s[8:9]
	s_mov_b32 s8, 0xdeb68feb
	s_mov_b32 s9, 0x3f2d250f
	v_fma_f64 v[29:30], v[27:28], v[29:30], s[8:9]
	s_mov_b32 s8, 0xb58c4d95
	s_mov_b32 s9, 0x3f437fd9
	v_fma_f64 v[29:30], v[27:28], v[29:30], s[8:9]
	s_mov_b32 s8, 0x15120e2c
	s_mov_b32 s9, 0x3f57d5af
	v_fma_f64 v[29:30], v[27:28], v[29:30], s[8:9]
	s_mov_b32 s8, 0xe09491df
	s_mov_b32 s9, 0x3f6d6d93
	v_fma_f64 v[29:30], v[27:28], v[29:30], s[8:9]
	s_mov_b32 s8, 0x2033784d
	s_mov_b32 s9, 0x3f8226e1
	v_fma_f64 v[29:30], v[27:28], v[29:30], s[8:9]
	s_mov_b32 s8, 0x9ac36ae2
	s_mov_b32 s9, 0x3f9664f4
	v_fma_f64 v[29:30], v[27:28], v[29:30], s[8:9]
	s_mov_b32 s8, 0x1b451c21
	s_mov_b32 s9, 0x3faba1ba
	v_fma_f64 v[29:30], v[27:28], v[29:30], s[8:9]
	s_mov_b32 s8, 0x111185b7
	s_mov_b32 s9, 0x3fc11111
	v_fma_f64 v[29:30], v[27:28], v[29:30], s[8:9]
	s_mov_b32 s8, 0x555554ee
	s_mov_b32 s9, 0x3fd55555
	v_fma_f64 v[29:30], v[27:28], v[29:30], s[8:9]
	s_mov_b32 s8, 0x54442d18
	s_mov_b32 s9, 0xc00921fb
	v_mul_f64 v[27:28], v[27:28], v[29:30]
	v_mul_f64 v[29:30], v[10:11], v[27:28]
	v_add_f64 v[31:32], v[10:11], v[29:30]
	v_fma_f64 v[27:28], v[10:11], v[27:28], -v[29:30]
	v_add_f64 v[10:11], v[31:32], -v[10:11]
	v_add_f64 v[12:13], v[12:13], v[27:28]
	v_add_f64 v[10:11], v[29:30], -v[10:11]
	v_add_f64 v[10:11], v[12:13], v[10:11]
	v_add_f64 v[12:13], v[31:32], v[10:11]
	v_rcp_f64_e32 v[27:28], v[12:13]
	v_fma_f64 v[29:30], -v[12:13], v[27:28], 1.0
	v_fma_f64 v[27:28], v[29:30], v[27:28], v[27:28]
	v_fma_f64 v[29:30], -v[12:13], v[27:28], 1.0
	v_fma_f64 v[27:28], v[29:30], v[27:28], v[27:28]
	v_add_f64 v[29:30], v[12:13], -v[31:32]
	v_mul_f64 v[31:32], v[12:13], v[27:28]
	v_add_f64 v[10:11], v[10:11], -v[29:30]
	v_fma_f64 v[29:30], v[27:28], v[12:13], -v[31:32]
	v_fma_f64 v[10:11], v[27:28], v[10:11], v[29:30]
	v_add_f64 v[29:30], v[31:32], v[10:11]
	v_add_f64 v[33:34], -v[29:30], 1.0
	v_add_f64 v[31:32], v[29:30], -v[31:32]
	v_add_f64 v[35:36], -v[33:34], 1.0
	v_add_f64 v[10:11], v[31:32], -v[10:11]
	v_add_f64 v[29:30], v[35:36], -v[29:30]
	v_add_f64 v[10:11], v[10:11], v[29:30]
	v_add_f64 v[10:11], v[33:34], v[10:11]
	v_mul_f64 v[10:11], v[27:28], v[10:11]
	v_add_f64 v[10:11], v[27:28], v[10:11]
	v_xor_b32_e32 v8, 0x80000000, v11
	v_cndmask_b32_e32 v10, v10, v12, vcc_lo
	v_cndmask_b32_e32 v8, v8, v13, vcc_lo
	v_xor_b32_e32 v9, v8, v9
	v_cndmask_b32_e64 v8, 0, v10, s0
	v_cndmask_b32_e64 v9, 0x7ff80000, v9, s0
	v_div_scale_f64 v[10:11], null, v[8:9], v[8:9], s[8:9]
	v_rcp_f64_e32 v[12:13], v[10:11]
	v_fma_f64 v[27:28], -v[10:11], v[12:13], 1.0
	v_fma_f64 v[12:13], v[12:13], v[27:28], v[12:13]
	v_fma_f64 v[27:28], -v[10:11], v[12:13], 1.0
	v_fma_f64 v[12:13], v[12:13], v[27:28], v[12:13]
	v_div_scale_f64 v[27:28], vcc_lo, s[8:9], v[8:9], s[8:9]
	v_mul_f64 v[29:30], v[27:28], v[12:13]
	v_fma_f64 v[10:11], -v[10:11], v[29:30], v[27:28]
	v_div_fmas_f64 v[10:11], v[10:11], v[12:13], v[29:30]
	v_div_fixup_f64 v[8:9], v[10:11], v[8:9], s[8:9]
	v_cvt_f32_f64_e32 v8, v[8:9]
.LBB27_304:
	s_or_b32 exec_lo, exec_lo, s6
	s_orn2_b32 s0, s1, exec_lo
.LBB27_305:
	s_or_b32 exec_lo, exec_lo, s3
	v_mov_b32_e32 v9, 0x7e00
	s_and_saveexec_b32 s3, s0
	s_cbranch_execz .LBB27_317
; %bb.306:
	s_mov_b32 s0, exec_lo
	v_cmpx_gt_f32_e32 0x41200000, v15
	s_cbranch_execz .LBB27_310
; %bb.307:
	s_mov_b32 s1, 0
	.p2align	6
.LBB27_308:                             ; =>This Inner Loop Header: Depth=1
	v_div_scale_f32 v9, null, v15, v15, 1.0
	v_div_scale_f32 v12, vcc_lo, 1.0, v15, 1.0
	v_rcp_f32_e32 v10, v9
	v_fma_f32 v11, -v9, v10, 1.0
	v_fmac_f32_e32 v10, v11, v10
	v_mul_f32_e32 v11, v12, v10
	v_fma_f32 v13, -v9, v11, v12
	v_fmac_f32_e32 v11, v13, v10
	v_fma_f32 v9, -v9, v11, v12
	v_div_fmas_f32 v9, v9, v10, v11
	v_div_fixup_f32 v9, v9, v15, 1.0
	v_add_f32_e32 v15, 1.0, v15
	v_sub_f32_e32 v8, v8, v9
	v_cmp_ngt_f32_e32 vcc_lo, 0x41200000, v15
	s_or_b32 s1, vcc_lo, s1
	s_andn2_b32 exec_lo, exec_lo, s1
	s_cbranch_execnz .LBB27_308
; %bb.309:
	s_or_b32 exec_lo, exec_lo, s1
.LBB27_310:
	s_or_b32 exec_lo, exec_lo, s0
                                        ; implicit-def: $vgpr9
	s_mov_b32 s0, exec_lo
	v_cmpx_neq_f32_e32 0x41200000, v15
	s_xor_b32 s6, exec_lo, s0
	s_cbranch_execz .LBB27_314
; %bb.311:
	v_cvt_f64_f32_e32 v[9:10], v15
	s_mov_b32 s0, 0x85d8a000
	s_mov_b32 s1, 0x43763457
	v_cmp_gt_f64_e32 vcc_lo, s[0:1], v[9:10]
	v_mov_b32_e32 v9, 0
	s_and_saveexec_b32 s0, vcc_lo
	s_cbranch_execz .LBB27_313
; %bb.312:
	v_mul_f32_e32 v9, v15, v15
	v_div_scale_f32 v10, null, v9, v9, 1.0
	v_rcp_f32_e32 v11, v10
	v_fma_f32 v12, -v10, v11, 1.0
	v_fmac_f32_e32 v11, v12, v11
	v_div_scale_f32 v12, vcc_lo, 1.0, v9, 1.0
	v_mul_f32_e32 v13, v12, v11
	v_fma_f32 v17, -v10, v13, v12
	v_fmac_f32_e32 v13, v17, v11
	v_fma_f32 v10, -v10, v13, v12
	v_div_fmas_f32 v10, v10, v11, v13
	v_div_fixup_f32 v9, v10, v9, 1.0
	v_fmaak_f32 v10, 0, v9, 0x3daaaaab
	v_fmaak_f32 v10, v9, v10, 0xbcaccacd
	;; [unrolled: 1-line block ×7, first 2 shown]
	v_mul_f32_e32 v9, v9, v10
.LBB27_313:
	s_or_b32 exec_lo, exec_lo, s0
	v_cmp_gt_f32_e32 vcc_lo, 0x800000, v15
	v_div_scale_f32 v10, null, v15, v15, -0.5
	v_div_scale_f32 v17, s0, -0.5, v15, -0.5
	v_cndmask_b32_e64 v11, 0, 32, vcc_lo
	v_rcp_f32_e32 v12, v10
	v_ldexp_f32 v11, v15, v11
	v_log_f32_e32 v11, v11
	v_fma_f32 v13, -v10, v12, 1.0
	v_fmac_f32_e32 v12, v13, v12
	v_mul_f32_e32 v13, 0x3f317217, v11
	v_mul_f32_e32 v19, v17, v12
	v_cmp_gt_f32_e64 s1, 0x7f800000, |v11|
	v_fma_f32 v13, 0x3f317217, v11, -v13
	v_fma_f32 v21, -v10, v19, v17
	v_fmamk_f32 v13, v11, 0x3377d1cf, v13
	v_fmac_f32_e32 v19, v21, v12
	v_fmac_f32_e32 v13, 0x3f317217, v11
	v_fma_f32 v10, -v10, v19, v17
	v_cndmask_b32_e64 v11, v11, v13, s1
	v_cndmask_b32_e64 v13, 0, 0x41b17218, vcc_lo
	s_mov_b32 vcc_lo, s0
	v_div_fmas_f32 v10, v10, v12, v19
	v_sub_f32_e32 v11, v11, v13
	v_div_fixup_f32 v10, v10, v15, -0.5
	v_add_f32_e32 v10, v11, v10
	v_sub_f32_e32 v9, v10, v9
	v_add_f32_e32 v8, v8, v9
	v_cvt_f16_f32_e32 v9, v8
                                        ; implicit-def: $vgpr8
.LBB27_314:
	s_andn2_saveexec_b32 s0, s6
; %bb.315:
	v_add_f32_e32 v8, 0x40101cb7, v8
	v_cvt_f16_f32_e32 v9, v8
; %bb.316:
	s_or_b32 exec_lo, exec_lo, s0
.LBB27_317:
	s_or_b32 exec_lo, exec_lo, s3
                                        ; implicit-def: $vgpr15
.LBB27_318:
	s_andn2_saveexec_b32 s0, s2
; %bb.319:
	v_xor_b32_e32 v8, 0x80000000, v15
	s_movk_i32 s1, 0x7c00
	v_lshrrev_b32_e32 v8, 16, v8
	v_bfi_b32 v9, 0x7fff, s1, v8
; %bb.320:
	s_or_b32 exec_lo, exec_lo, s0
	global_store_short v0, v26, s[4:5]
	global_store_short v1, v24, s[4:5]
	;; [unrolled: 1-line block ×8, first 2 shown]
	s_endpgm
.LBB27_321:
	v_mov_b32_e32 v0, 0
	v_mov_b32_e32 v2, 0
	s_branch .LBB27_327
.LBB27_322:
	v_mov_b32_e32 v0, 0
	v_mov_b32_e32 v2, 0
	s_branch .LBB27_367
.LBB27_323:
	v_mov_b32_e32 v0, 0
	v_mov_b32_e32 v2, 0
	;; [unrolled: 1-line block ×3, first 2 shown]
	s_mov_b32 s31, 0
.LBB27_324:
	s_and_b32 s33, s33, 3
	s_cmp_eq_u32 s33, 0
	s_cbranch_scc1 .LBB27_327
; %bb.325:
	s_lshl_b32 s0, s31, 3
	s_mul_i32 s20, s31, 12
	s_add_u32 s0, s2, s0
	s_addc_u32 s1, s3, 0
	s_add_u32 s0, s0, 0xc4
	s_addc_u32 s1, s1, 0
	;; [unrolled: 2-line block ×3, first 2 shown]
	.p2align	6
.LBB27_326:                             ; =>This Inner Loop Header: Depth=1
	s_clause 0x1
	s_load_dwordx2 s[34:35], s[20:21], 0x4
	s_load_dword s31, s[20:21], 0xc
	s_load_dwordx2 s[36:37], s[0:1], 0x0
	s_add_u32 s20, s20, 12
	s_addc_u32 s21, s21, 0
	s_add_u32 s0, s0, 8
	s_addc_u32 s1, s1, 0
	s_add_i32 s33, s33, -1
	s_cmp_lg_u32 s33, 0
	s_waitcnt lgkmcnt(0)
	v_mul_hi_u32 v3, s35, v1
	v_add_nc_u32_e32 v3, v1, v3
	v_lshrrev_b32_e32 v4, s31, v3
	v_mul_lo_u32 v3, v4, s34
	v_sub_nc_u32_e32 v3, v1, v3
	v_mad_u64_u32 v[0:1], null, v3, s36, v[0:1]
	v_mad_u64_u32 v[2:3], null, v3, s37, v[2:3]
	v_mov_b32_e32 v1, v4
	s_cbranch_scc1 .LBB27_326
.LBB27_327:
	s_cbranch_execnz .LBB27_330
.LBB27_328:
	s_waitcnt lgkmcnt(0)
	v_mul_hi_u32 v0, s13, v7
	s_andn2_b32 vcc_lo, exec_lo, s26
	v_add_nc_u32_e32 v0, v7, v0
	v_lshrrev_b32_e32 v1, s14, v0
	v_mul_lo_u32 v0, v1, s12
	v_sub_nc_u32_e32 v2, v7, v0
	v_mul_lo_u32 v0, v2, s8
	v_mul_lo_u32 v2, v2, s9
	s_cbranch_vccnz .LBB27_330
; %bb.329:
	v_mul_hi_u32 v3, s16, v1
	v_add_nc_u32_e32 v3, v1, v3
	v_lshrrev_b32_e32 v3, s17, v3
	v_mul_lo_u32 v3, v3, s15
	v_sub_nc_u32_e32 v3, v1, v3
	v_mad_u64_u32 v[0:1], null, v3, s10, v[0:1]
	v_mad_u64_u32 v[2:3], null, v3, s11, v[2:3]
.LBB27_330:
	s_waitcnt lgkmcnt(0)
	global_load_ushort v3, v2, s[6:7]
                                        ; implicit-def: $vgpr2
	s_mov_b32 s0, exec_lo
	s_waitcnt vmcnt(0)
	v_cvt_f32_f16_e32 v8, v3
	v_cmpx_neq_f16_e32 0, v3
	s_xor_b32 s20, exec_lo, s0
	s_cbranch_execz .LBB27_352
; %bb.331:
	v_mov_b32_e32 v1, 0
	s_mov_b32 s0, -1
	s_mov_b32 s21, exec_lo
	v_cmpx_gt_f16_e32 0, v3
	s_cbranch_execz .LBB27_339
; %bb.332:
	v_trunc_f32_e32 v1, v8
	s_mov_b32 s1, 0
	v_cmp_neq_f32_e32 vcc_lo, v1, v8
	v_mov_b32_e32 v1, 0
	s_and_saveexec_b32 s31, vcc_lo
	s_cbranch_execz .LBB27_338
; %bb.333:
	v_cvt_f32_f16_e32 v1, v3
	s_mov_b32 s1, 0xc00921fb
	s_mov_b32 s0, 0x54442d18
	s_mov_b32 s33, exec_lo
                                        ; implicit-def: $vgpr9
                                        ; implicit-def: $vgpr5_vgpr6
	v_cvt_f64_f32_e32 v[1:2], v1
	v_trunc_f64_e32 v[3:4], v[1:2]
	v_cmp_neq_f64_e64 vcc_lo, 0x7ff00000, |v[1:2]|
	v_add_f64 v[3:4], v[1:2], -v[3:4]
	v_mul_f64 v[3:4], |v[3:4]|, s[0:1]
	v_cndmask_b32_e32 v2, 0x80000000, v4, vcc_lo
	v_cndmask_b32_e32 v1, 0, v3, vcc_lo
                                        ; implicit-def: $vgpr3_vgpr4
	v_cmpx_ngt_f64_e64 0x41d00000, |v[1:2]|
	s_xor_b32 s33, exec_lo, s33
	s_cbranch_execz .LBB27_335
; %bb.334:
	v_ldexp_f64 v[3:4], |v[1:2]|, 0xffffff80
	v_cmp_le_f64_e64 vcc_lo, 0x7b000000, |v[1:2]|
	v_trig_preop_f64 v[5:6], |v[1:2]|, 0
	v_and_b32_e32 v9, 0x7fffffff, v2
	v_trig_preop_f64 v[19:20], |v[1:2]|, 2
	v_mov_b32_e32 v27, 0
	s_mov_b32 s1, 0x3ff921fb
	s_mov_b32 s34, 0x33145c07
	;; [unrolled: 1-line block ×3, first 2 shown]
	v_cndmask_b32_e32 v4, v9, v4, vcc_lo
	v_cndmask_b32_e32 v3, v1, v3, vcc_lo
	v_trig_preop_f64 v[9:10], |v[1:2]|, 1
	v_mul_f64 v[11:12], v[5:6], v[3:4]
	v_mul_f64 v[25:26], v[19:20], v[3:4]
	;; [unrolled: 1-line block ×3, first 2 shown]
	v_fma_f64 v[5:6], v[5:6], v[3:4], -v[11:12]
	v_fma_f64 v[9:10], v[9:10], v[3:4], -v[13:14]
	;; [unrolled: 1-line block ×3, first 2 shown]
	v_add_f64 v[15:16], v[13:14], v[5:6]
	v_add_f64 v[17:18], v[15:16], -v[13:14]
	v_add_f64 v[23:24], v[11:12], v[15:16]
	v_add_f64 v[21:22], v[15:16], -v[17:18]
	v_add_f64 v[5:6], v[5:6], -v[17:18]
	v_ldexp_f64 v[17:18], v[23:24], -2
	v_add_f64 v[11:12], v[23:24], -v[11:12]
	v_add_f64 v[13:14], v[13:14], -v[21:22]
	v_add_f64 v[21:22], v[25:26], v[9:10]
	v_cmp_neq_f64_e64 vcc_lo, 0x7ff00000, |v[17:18]|
	v_add_f64 v[11:12], v[15:16], -v[11:12]
	v_add_f64 v[5:6], v[5:6], v[13:14]
	v_fract_f64_e32 v[13:14], v[17:18]
	v_add_f64 v[15:16], v[21:22], v[5:6]
	v_ldexp_f64 v[13:14], v[13:14], 2
	v_add_f64 v[17:18], v[11:12], v[15:16]
	v_cndmask_b32_e32 v14, 0, v14, vcc_lo
	v_cndmask_b32_e32 v13, 0, v13, vcc_lo
	v_add_f64 v[23:24], v[17:18], v[13:14]
	v_add_f64 v[11:12], v[17:18], -v[11:12]
	v_cmp_gt_f64_e32 vcc_lo, 0, v[23:24]
	v_add_f64 v[23:24], v[21:22], -v[25:26]
	v_cndmask_b32_e64 v28, 0, 0x40100000, vcc_lo
	v_add_f64 v[32:33], v[21:22], -v[23:24]
	v_add_f64 v[9:10], v[9:10], -v[23:24]
	v_add_f64 v[13:14], v[13:14], v[27:28]
	v_add_f64 v[28:29], v[15:16], -v[21:22]
	v_add_f64 v[23:24], v[25:26], -v[32:33]
	v_add_f64 v[30:31], v[17:18], v[13:14]
	;; [unrolled: 3-line block ×3, first 2 shown]
	v_cvt_i32_f64_e32 v30, v[30:31]
	v_add_f64 v[21:22], v[21:22], -v[34:35]
	v_cvt_f64_i32_e32 v[28:29], v30
	v_add_f64 v[5:6], v[5:6], v[21:22]
	v_add_f64 v[13:14], v[13:14], -v[28:29]
	v_add_f64 v[5:6], v[9:10], v[5:6]
	v_add_f64 v[9:10], v[15:16], -v[11:12]
	v_add_f64 v[19:20], v[17:18], v[13:14]
	v_add_f64 v[3:4], v[3:4], v[5:6]
	v_add_f64 v[5:6], v[19:20], -v[13:14]
	v_cmp_le_f64_e32 vcc_lo, 0.5, v[19:20]
	v_add_f64 v[3:4], v[9:10], v[3:4]
	v_add_f64 v[5:6], v[17:18], -v[5:6]
	v_cndmask_b32_e64 v28, 0, 0x3ff00000, vcc_lo
	v_add_co_ci_u32_e64 v9, null, 0, v30, vcc_lo
	v_add_f64 v[3:4], v[3:4], v[5:6]
	v_add_f64 v[5:6], v[19:20], -v[27:28]
	v_add_f64 v[10:11], v[5:6], v[3:4]
	v_mul_f64 v[12:13], v[10:11], s[0:1]
	v_add_f64 v[5:6], v[10:11], -v[5:6]
	v_fma_f64 v[14:15], v[10:11], s[0:1], -v[12:13]
	v_add_f64 v[3:4], v[3:4], -v[5:6]
	v_fma_f64 v[5:6], v[10:11], s[34:35], v[14:15]
	v_fma_f64 v[5:6], v[3:4], s[0:1], v[5:6]
	v_add_f64 v[3:4], v[12:13], v[5:6]
	v_add_f64 v[10:11], v[3:4], -v[12:13]
	v_add_f64 v[5:6], v[5:6], -v[10:11]
.LBB27_335:
	s_andn2_saveexec_b32 s0, s33
	s_cbranch_execz .LBB27_337
; %bb.336:
	s_mov_b32 s34, 0x6dc9c883
	s_mov_b32 s35, 0x3fe45f30
	;; [unrolled: 1-line block ×3, first 2 shown]
	v_mul_f64 v[3:4], |v[1:2]|, s[34:35]
	s_mov_b32 s34, 0x54442d18
	s_mov_b32 s35, 0xbff921fb
	;; [unrolled: 1-line block ×3, first 2 shown]
	v_rndne_f64_e32 v[9:10], v[3:4]
	v_fma_f64 v[3:4], v[9:10], s[34:35], |v[1:2]|
	v_mul_f64 v[5:6], v[9:10], s[36:37]
	s_mov_b32 s34, 0x252049c0
	s_mov_b32 s35, 0xb97b839a
	v_fma_f64 v[13:14], v[9:10], s[36:37], v[3:4]
	v_add_f64 v[11:12], v[3:4], v[5:6]
	s_mov_b32 s37, 0x3c91a626
	v_add_f64 v[3:4], v[3:4], -v[11:12]
	v_add_f64 v[11:12], v[11:12], -v[13:14]
	v_add_f64 v[3:4], v[3:4], v[5:6]
	v_fma_f64 v[5:6], v[9:10], s[36:37], v[5:6]
	v_add_f64 v[3:4], v[11:12], v[3:4]
	v_add_f64 v[3:4], v[3:4], -v[5:6]
	v_fma_f64 v[5:6], v[9:10], s[34:35], v[3:4]
	v_cvt_i32_f64_e32 v9, v[9:10]
	v_add_f64 v[3:4], v[13:14], v[5:6]
	v_add_f64 v[11:12], v[3:4], -v[13:14]
	v_add_f64 v[5:6], v[5:6], -v[11:12]
.LBB27_337:
	s_or_b32 exec_lo, exec_lo, s0
	v_mul_f64 v[10:11], v[3:4], v[3:4]
	v_add_f64 v[12:13], v[5:6], v[5:6]
	s_mov_b32 s34, 0xa9a29f71
	s_mov_b32 s36, 0xc751c08c
	;; [unrolled: 1-line block ×4, first 2 shown]
	v_cmp_class_f64_e64 s0, v[1:2], 0x1f8
	v_and_b32_e32 v9, 1, v9
	v_and_b32_e32 v2, 0x80000000, v2
	v_sub_f32_e32 v8, 1.0, v8
	s_mov_b32 s1, exec_lo
	v_cmp_eq_u32_e32 vcc_lo, 0, v9
	v_fma_f64 v[14:15], v[3:4], v[3:4], -v[10:11]
	v_fma_f64 v[12:13], v[3:4], v[12:13], v[14:15]
	v_add_f64 v[10:11], v[10:11], v[12:13]
	v_fma_f64 v[12:13], v[10:11], s[36:37], s[34:35]
	s_mov_b32 s34, 0x90a8aae0
	s_mov_b32 s35, 0x3f17746f
	v_fma_f64 v[12:13], v[10:11], v[12:13], s[34:35]
	s_mov_b32 s34, 0xa6fbf144
	s_mov_b32 s35, 0xbefbb44d
	;; [unrolled: 3-line block ×13, first 2 shown]
	v_mul_f64 v[10:11], v[10:11], v[12:13]
	v_mul_f64 v[12:13], v[3:4], v[10:11]
	v_add_f64 v[14:15], v[3:4], v[12:13]
	v_fma_f64 v[10:11], v[3:4], v[10:11], -v[12:13]
	v_add_f64 v[3:4], v[14:15], -v[3:4]
	v_add_f64 v[5:6], v[5:6], v[10:11]
	v_add_f64 v[3:4], v[12:13], -v[3:4]
	v_add_f64 v[3:4], v[5:6], v[3:4]
	v_add_f64 v[5:6], v[14:15], v[3:4]
	v_rcp_f64_e32 v[10:11], v[5:6]
	v_fma_f64 v[12:13], -v[5:6], v[10:11], 1.0
	v_fma_f64 v[10:11], v[12:13], v[10:11], v[10:11]
	v_fma_f64 v[12:13], -v[5:6], v[10:11], 1.0
	v_fma_f64 v[10:11], v[12:13], v[10:11], v[10:11]
	v_add_f64 v[12:13], v[5:6], -v[14:15]
	v_mul_f64 v[14:15], v[5:6], v[10:11]
	v_add_f64 v[3:4], v[3:4], -v[12:13]
	v_fma_f64 v[12:13], v[10:11], v[5:6], -v[14:15]
	v_fma_f64 v[3:4], v[10:11], v[3:4], v[12:13]
	v_add_f64 v[12:13], v[14:15], v[3:4]
	v_add_f64 v[16:17], -v[12:13], 1.0
	v_add_f64 v[14:15], v[12:13], -v[14:15]
	v_add_f64 v[18:19], -v[16:17], 1.0
	v_add_f64 v[3:4], v[14:15], -v[3:4]
	v_add_f64 v[12:13], v[18:19], -v[12:13]
	v_add_f64 v[3:4], v[3:4], v[12:13]
	v_add_f64 v[3:4], v[16:17], v[3:4]
	v_mul_f64 v[3:4], v[10:11], v[3:4]
	v_add_f64 v[3:4], v[10:11], v[3:4]
	v_xor_b32_e32 v1, 0x80000000, v4
	v_cndmask_b32_e32 v3, v3, v5, vcc_lo
	v_cndmask_b32_e32 v1, v1, v6, vcc_lo
	v_xor_b32_e32 v2, v1, v2
	v_cndmask_b32_e64 v1, 0, v3, s0
	v_cndmask_b32_e64 v2, 0x7ff80000, v2, s0
	v_div_scale_f64 v[3:4], null, v[1:2], v[1:2], s[34:35]
	v_rcp_f64_e32 v[5:6], v[3:4]
	v_fma_f64 v[9:10], -v[3:4], v[5:6], 1.0
	v_fma_f64 v[5:6], v[5:6], v[9:10], v[5:6]
	v_fma_f64 v[9:10], -v[3:4], v[5:6], 1.0
	v_fma_f64 v[5:6], v[5:6], v[9:10], v[5:6]
	v_div_scale_f64 v[9:10], vcc_lo, s[34:35], v[1:2], s[34:35]
	v_mul_f64 v[11:12], v[9:10], v[5:6]
	v_fma_f64 v[3:4], -v[3:4], v[11:12], v[9:10]
	v_div_fmas_f64 v[3:4], v[3:4], v[5:6], v[11:12]
	v_div_fixup_f64 v[1:2], v[3:4], v[1:2], s[34:35]
	v_cvt_f32_f64_e32 v1, v[1:2]
.LBB27_338:
	s_or_b32 exec_lo, exec_lo, s31
	s_orn2_b32 s0, s1, exec_lo
.LBB27_339:
	s_or_b32 exec_lo, exec_lo, s21
	v_mov_b32_e32 v2, 0x7e00
	s_and_saveexec_b32 s21, s0
	s_cbranch_execz .LBB27_351
; %bb.340:
	s_mov_b32 s0, exec_lo
	v_cmpx_gt_f32_e32 0x41200000, v8
	s_cbranch_execz .LBB27_344
; %bb.341:
	s_mov_b32 s1, 0
	.p2align	6
.LBB27_342:                             ; =>This Inner Loop Header: Depth=1
	v_div_scale_f32 v2, null, v8, v8, 1.0
	v_div_scale_f32 v5, vcc_lo, 1.0, v8, 1.0
	v_rcp_f32_e32 v3, v2
	v_fma_f32 v4, -v2, v3, 1.0
	v_fmac_f32_e32 v3, v4, v3
	v_mul_f32_e32 v4, v5, v3
	v_fma_f32 v6, -v2, v4, v5
	v_fmac_f32_e32 v4, v6, v3
	v_fma_f32 v2, -v2, v4, v5
	v_div_fmas_f32 v2, v2, v3, v4
	v_div_fixup_f32 v2, v2, v8, 1.0
	v_add_f32_e32 v8, 1.0, v8
	v_sub_f32_e32 v1, v1, v2
	v_cmp_ngt_f32_e32 vcc_lo, 0x41200000, v8
	s_or_b32 s1, vcc_lo, s1
	s_andn2_b32 exec_lo, exec_lo, s1
	s_cbranch_execnz .LBB27_342
; %bb.343:
	s_or_b32 exec_lo, exec_lo, s1
.LBB27_344:
	s_or_b32 exec_lo, exec_lo, s0
                                        ; implicit-def: $vgpr2
	s_mov_b32 s0, exec_lo
	v_cmpx_neq_f32_e32 0x41200000, v8
	s_xor_b32 s31, exec_lo, s0
	s_cbranch_execz .LBB27_348
; %bb.345:
	v_cvt_f64_f32_e32 v[2:3], v8
	s_mov_b32 s0, 0x85d8a000
	s_mov_b32 s1, 0x43763457
	v_cmp_gt_f64_e32 vcc_lo, s[0:1], v[2:3]
	v_mov_b32_e32 v2, 0
	s_and_saveexec_b32 s0, vcc_lo
	s_cbranch_execz .LBB27_347
; %bb.346:
	v_mul_f32_e32 v2, v8, v8
	v_div_scale_f32 v3, null, v2, v2, 1.0
	v_rcp_f32_e32 v4, v3
	v_fma_f32 v5, -v3, v4, 1.0
	v_fmac_f32_e32 v4, v5, v4
	v_div_scale_f32 v5, vcc_lo, 1.0, v2, 1.0
	v_mul_f32_e32 v6, v5, v4
	v_fma_f32 v9, -v3, v6, v5
	v_fmac_f32_e32 v6, v9, v4
	v_fma_f32 v3, -v3, v6, v5
	v_div_fmas_f32 v3, v3, v4, v6
	v_div_fixup_f32 v2, v3, v2, 1.0
	v_fmaak_f32 v3, 0, v2, 0x3daaaaab
	v_fmaak_f32 v3, v2, v3, 0xbcaccacd
	;; [unrolled: 1-line block ×7, first 2 shown]
	v_mul_f32_e32 v2, v2, v3
.LBB27_347:
	s_or_b32 exec_lo, exec_lo, s0
	v_cmp_gt_f32_e32 vcc_lo, 0x800000, v8
	v_div_scale_f32 v3, null, v8, v8, -0.5
	v_div_scale_f32 v9, s0, -0.5, v8, -0.5
	v_cndmask_b32_e64 v4, 0, 32, vcc_lo
	v_rcp_f32_e32 v5, v3
	v_ldexp_f32 v4, v8, v4
	v_log_f32_e32 v4, v4
	v_fma_f32 v6, -v3, v5, 1.0
	v_fmac_f32_e32 v5, v6, v5
	v_mul_f32_e32 v6, 0x3f317217, v4
	v_mul_f32_e32 v10, v9, v5
	v_cmp_gt_f32_e64 s1, 0x7f800000, |v4|
	v_fma_f32 v6, 0x3f317217, v4, -v6
	v_fma_f32 v11, -v3, v10, v9
	v_fmamk_f32 v6, v4, 0x3377d1cf, v6
	v_fmac_f32_e32 v10, v11, v5
	v_fmac_f32_e32 v6, 0x3f317217, v4
	v_fma_f32 v3, -v3, v10, v9
	v_cndmask_b32_e64 v4, v4, v6, s1
	v_cndmask_b32_e64 v6, 0, 0x41b17218, vcc_lo
	s_mov_b32 vcc_lo, s0
	v_div_fmas_f32 v3, v3, v5, v10
	v_sub_f32_e32 v4, v4, v6
	v_div_fixup_f32 v3, v3, v8, -0.5
	v_add_f32_e32 v3, v4, v3
	v_sub_f32_e32 v2, v3, v2
	v_add_f32_e32 v1, v1, v2
	v_cvt_f16_f32_e32 v2, v1
                                        ; implicit-def: $vgpr1
.LBB27_348:
	s_andn2_saveexec_b32 s0, s31
; %bb.349:
	v_add_f32_e32 v1, 0x40101cb7, v1
	v_cvt_f16_f32_e32 v2, v1
; %bb.350:
	s_or_b32 exec_lo, exec_lo, s0
.LBB27_351:
	s_or_b32 exec_lo, exec_lo, s21
                                        ; implicit-def: $vgpr8
.LBB27_352:
	s_andn2_saveexec_b32 s0, s20
; %bb.353:
	v_xor_b32_e32 v1, 0x80000000, v8
	s_movk_i32 s1, 0x7c00
	v_lshrrev_b32_e32 v1, 16, v1
	v_bfi_b32 v2, 0x7fff, s1, v1
; %bb.354:
	s_or_b32 exec_lo, exec_lo, s0
	v_add_nc_u32_e32 v7, 0x80, v7
	global_store_short v0, v2, s[4:5]
	s_or_b32 exec_lo, exec_lo, s30
	s_mov_b32 s30, exec_lo
	v_cmpx_gt_i32_e64 s27, v7
	s_cbranch_execnz .LBB27_15
.LBB27_355:
	s_or_b32 exec_lo, exec_lo, s30
	s_mov_b32 s30, exec_lo
	v_cmpx_gt_i32_e64 s27, v7
	s_cbranch_execz .LBB27_395
.LBB27_356:
	s_andn2_b32 vcc_lo, exec_lo, s24
	s_cbranch_vccnz .LBB27_361
; %bb.357:
	s_andn2_b32 vcc_lo, exec_lo, s29
	s_cbranch_vccnz .LBB27_362
; %bb.358:
	s_add_i32 s33, s28, 1
	s_cmp_eq_u32 s23, 2
	s_cbranch_scc1 .LBB27_403
; %bb.359:
	v_mov_b32_e32 v2, 0
	v_mov_b32_e32 v0, 0
	;; [unrolled: 1-line block ×3, first 2 shown]
	s_and_b32 s31, s33, 28
	s_mov_b32 s34, 0
	s_mov_b64 s[0:1], s[2:3]
	s_mov_b64 s[20:21], s[18:19]
.LBB27_360:                             ; =>This Inner Loop Header: Depth=1
	s_clause 0x1
	s_load_dwordx8 s[36:43], s[0:1], 0x4
	s_load_dwordx4 s[52:55], s[0:1], 0x24
	s_load_dwordx8 s[44:51], s[20:21], 0x0
	s_add_u32 s0, s0, 48
	s_addc_u32 s1, s1, 0
	s_add_i32 s34, s34, 4
	s_add_u32 s20, s20, 32
	s_addc_u32 s21, s21, 0
	s_cmp_eq_u32 s31, s34
	s_waitcnt lgkmcnt(0)
	v_mul_hi_u32 v3, s37, v1
	v_add_nc_u32_e32 v3, v1, v3
	v_lshrrev_b32_e32 v3, s38, v3
	v_mul_hi_u32 v4, s40, v3
	v_mul_lo_u32 v6, v3, s36
	v_add_nc_u32_e32 v4, v3, v4
	v_sub_nc_u32_e32 v1, v1, v6
	v_lshrrev_b32_e32 v4, s41, v4
	v_mul_lo_u32 v6, v1, s44
	v_mul_lo_u32 v9, v1, s45
	v_mul_hi_u32 v5, s43, v4
	v_add_nc_u32_e32 v5, v4, v5
	v_lshrrev_b32_e32 v5, s52, v5
	v_mul_hi_u32 v8, s54, v5
	v_mul_lo_u32 v10, v5, s42
	v_add_nc_u32_e32 v1, v5, v8
	v_mul_lo_u32 v8, v4, s39
	v_sub_nc_u32_e32 v4, v4, v10
	v_lshrrev_b32_e32 v1, s55, v1
	v_mul_lo_u32 v10, v4, s48
	v_mul_lo_u32 v4, v4, s49
	v_sub_nc_u32_e32 v3, v3, v8
	v_mul_lo_u32 v11, v1, s53
	v_mul_lo_u32 v8, v3, s46
	;; [unrolled: 1-line block ×3, first 2 shown]
	v_sub_nc_u32_e32 v5, v5, v11
	v_add3_u32 v0, v6, v0, v8
	v_mul_lo_u32 v11, v5, s50
	v_mul_lo_u32 v5, v5, s51
	v_add3_u32 v2, v9, v2, v3
	v_add3_u32 v0, v10, v0, v11
	;; [unrolled: 1-line block ×3, first 2 shown]
	s_cbranch_scc0 .LBB27_360
	s_branch .LBB27_404
.LBB27_361:
                                        ; implicit-def: $vgpr0
                                        ; implicit-def: $vgpr2
	s_branch .LBB27_408
.LBB27_362:
	v_mov_b32_e32 v0, 0
	v_mov_b32_e32 v2, 0
	s_branch .LBB27_407
.LBB27_363:
	v_mov_b32_e32 v0, 0
	v_mov_b32_e32 v2, 0
	;; [unrolled: 1-line block ×3, first 2 shown]
	s_mov_b32 s31, 0
.LBB27_364:
	s_and_b32 s33, s33, 3
	s_cmp_eq_u32 s33, 0
	s_cbranch_scc1 .LBB27_367
; %bb.365:
	s_lshl_b32 s0, s31, 3
	s_mul_i32 s20, s31, 12
	s_add_u32 s0, s2, s0
	s_addc_u32 s1, s3, 0
	s_add_u32 s0, s0, 0xc4
	s_addc_u32 s1, s1, 0
	;; [unrolled: 2-line block ×3, first 2 shown]
	.p2align	6
.LBB27_366:                             ; =>This Inner Loop Header: Depth=1
	s_clause 0x1
	s_load_dwordx2 s[34:35], s[20:21], 0x4
	s_load_dword s31, s[20:21], 0xc
	s_load_dwordx2 s[36:37], s[0:1], 0x0
	s_add_u32 s20, s20, 12
	s_addc_u32 s21, s21, 0
	s_add_u32 s0, s0, 8
	s_addc_u32 s1, s1, 0
	s_add_i32 s33, s33, -1
	s_cmp_lg_u32 s33, 0
	s_waitcnt lgkmcnt(0)
	v_mul_hi_u32 v3, s35, v1
	v_add_nc_u32_e32 v3, v1, v3
	v_lshrrev_b32_e32 v4, s31, v3
	v_mul_lo_u32 v3, v4, s34
	v_sub_nc_u32_e32 v3, v1, v3
	v_mad_u64_u32 v[0:1], null, v3, s36, v[0:1]
	v_mad_u64_u32 v[2:3], null, v3, s37, v[2:3]
	v_mov_b32_e32 v1, v4
	s_cbranch_scc1 .LBB27_366
.LBB27_367:
	s_cbranch_execnz .LBB27_370
.LBB27_368:
	s_waitcnt lgkmcnt(0)
	v_mul_hi_u32 v0, s13, v7
	s_andn2_b32 vcc_lo, exec_lo, s26
	v_add_nc_u32_e32 v0, v7, v0
	v_lshrrev_b32_e32 v1, s14, v0
	v_mul_lo_u32 v0, v1, s12
	v_sub_nc_u32_e32 v2, v7, v0
	v_mul_lo_u32 v0, v2, s8
	v_mul_lo_u32 v2, v2, s9
	s_cbranch_vccnz .LBB27_370
; %bb.369:
	v_mul_hi_u32 v3, s16, v1
	v_add_nc_u32_e32 v3, v1, v3
	v_lshrrev_b32_e32 v3, s17, v3
	v_mul_lo_u32 v3, v3, s15
	v_sub_nc_u32_e32 v3, v1, v3
	v_mad_u64_u32 v[0:1], null, v3, s10, v[0:1]
	v_mad_u64_u32 v[2:3], null, v3, s11, v[2:3]
.LBB27_370:
	s_waitcnt lgkmcnt(0)
	global_load_ushort v3, v2, s[6:7]
                                        ; implicit-def: $vgpr2
	s_mov_b32 s0, exec_lo
	s_waitcnt vmcnt(0)
	v_cvt_f32_f16_e32 v8, v3
	v_cmpx_neq_f16_e32 0, v3
	s_xor_b32 s20, exec_lo, s0
	s_cbranch_execz .LBB27_392
; %bb.371:
	v_mov_b32_e32 v1, 0
	s_mov_b32 s0, -1
	s_mov_b32 s21, exec_lo
	v_cmpx_gt_f16_e32 0, v3
	s_cbranch_execz .LBB27_379
; %bb.372:
	v_trunc_f32_e32 v1, v8
	s_mov_b32 s1, 0
	v_cmp_neq_f32_e32 vcc_lo, v1, v8
	v_mov_b32_e32 v1, 0
	s_and_saveexec_b32 s31, vcc_lo
	s_cbranch_execz .LBB27_378
; %bb.373:
	v_cvt_f32_f16_e32 v1, v3
	s_mov_b32 s1, 0xc00921fb
	s_mov_b32 s0, 0x54442d18
	s_mov_b32 s33, exec_lo
                                        ; implicit-def: $vgpr9
                                        ; implicit-def: $vgpr5_vgpr6
	v_cvt_f64_f32_e32 v[1:2], v1
	v_trunc_f64_e32 v[3:4], v[1:2]
	v_cmp_neq_f64_e64 vcc_lo, 0x7ff00000, |v[1:2]|
	v_add_f64 v[3:4], v[1:2], -v[3:4]
	v_mul_f64 v[3:4], |v[3:4]|, s[0:1]
	v_cndmask_b32_e32 v2, 0x80000000, v4, vcc_lo
	v_cndmask_b32_e32 v1, 0, v3, vcc_lo
                                        ; implicit-def: $vgpr3_vgpr4
	v_cmpx_ngt_f64_e64 0x41d00000, |v[1:2]|
	s_xor_b32 s33, exec_lo, s33
	s_cbranch_execz .LBB27_375
; %bb.374:
	v_ldexp_f64 v[3:4], |v[1:2]|, 0xffffff80
	v_cmp_le_f64_e64 vcc_lo, 0x7b000000, |v[1:2]|
	v_trig_preop_f64 v[5:6], |v[1:2]|, 0
	v_and_b32_e32 v9, 0x7fffffff, v2
	v_trig_preop_f64 v[19:20], |v[1:2]|, 2
	v_mov_b32_e32 v27, 0
	s_mov_b32 s1, 0x3ff921fb
	s_mov_b32 s34, 0x33145c07
	;; [unrolled: 1-line block ×3, first 2 shown]
	v_cndmask_b32_e32 v4, v9, v4, vcc_lo
	v_cndmask_b32_e32 v3, v1, v3, vcc_lo
	v_trig_preop_f64 v[9:10], |v[1:2]|, 1
	v_mul_f64 v[11:12], v[5:6], v[3:4]
	v_mul_f64 v[25:26], v[19:20], v[3:4]
	;; [unrolled: 1-line block ×3, first 2 shown]
	v_fma_f64 v[5:6], v[5:6], v[3:4], -v[11:12]
	v_fma_f64 v[9:10], v[9:10], v[3:4], -v[13:14]
	;; [unrolled: 1-line block ×3, first 2 shown]
	v_add_f64 v[15:16], v[13:14], v[5:6]
	v_add_f64 v[17:18], v[15:16], -v[13:14]
	v_add_f64 v[23:24], v[11:12], v[15:16]
	v_add_f64 v[21:22], v[15:16], -v[17:18]
	v_add_f64 v[5:6], v[5:6], -v[17:18]
	v_ldexp_f64 v[17:18], v[23:24], -2
	v_add_f64 v[11:12], v[23:24], -v[11:12]
	v_add_f64 v[13:14], v[13:14], -v[21:22]
	v_add_f64 v[21:22], v[25:26], v[9:10]
	v_cmp_neq_f64_e64 vcc_lo, 0x7ff00000, |v[17:18]|
	v_add_f64 v[11:12], v[15:16], -v[11:12]
	v_add_f64 v[5:6], v[5:6], v[13:14]
	v_fract_f64_e32 v[13:14], v[17:18]
	v_add_f64 v[15:16], v[21:22], v[5:6]
	v_ldexp_f64 v[13:14], v[13:14], 2
	v_add_f64 v[17:18], v[11:12], v[15:16]
	v_cndmask_b32_e32 v14, 0, v14, vcc_lo
	v_cndmask_b32_e32 v13, 0, v13, vcc_lo
	v_add_f64 v[23:24], v[17:18], v[13:14]
	v_add_f64 v[11:12], v[17:18], -v[11:12]
	v_cmp_gt_f64_e32 vcc_lo, 0, v[23:24]
	v_add_f64 v[23:24], v[21:22], -v[25:26]
	v_cndmask_b32_e64 v28, 0, 0x40100000, vcc_lo
	v_add_f64 v[32:33], v[21:22], -v[23:24]
	v_add_f64 v[9:10], v[9:10], -v[23:24]
	v_add_f64 v[13:14], v[13:14], v[27:28]
	v_add_f64 v[28:29], v[15:16], -v[21:22]
	v_add_f64 v[23:24], v[25:26], -v[32:33]
	v_add_f64 v[30:31], v[17:18], v[13:14]
	v_add_f64 v[34:35], v[15:16], -v[28:29]
	v_add_f64 v[5:6], v[5:6], -v[28:29]
	v_add_f64 v[9:10], v[9:10], v[23:24]
	v_cvt_i32_f64_e32 v30, v[30:31]
	v_add_f64 v[21:22], v[21:22], -v[34:35]
	v_cvt_f64_i32_e32 v[28:29], v30
	v_add_f64 v[5:6], v[5:6], v[21:22]
	v_add_f64 v[13:14], v[13:14], -v[28:29]
	v_add_f64 v[5:6], v[9:10], v[5:6]
	v_add_f64 v[9:10], v[15:16], -v[11:12]
	v_add_f64 v[19:20], v[17:18], v[13:14]
	v_add_f64 v[3:4], v[3:4], v[5:6]
	v_add_f64 v[5:6], v[19:20], -v[13:14]
	v_cmp_le_f64_e32 vcc_lo, 0.5, v[19:20]
	v_add_f64 v[3:4], v[9:10], v[3:4]
	v_add_f64 v[5:6], v[17:18], -v[5:6]
	v_cndmask_b32_e64 v28, 0, 0x3ff00000, vcc_lo
	v_add_co_ci_u32_e64 v9, null, 0, v30, vcc_lo
	v_add_f64 v[3:4], v[3:4], v[5:6]
	v_add_f64 v[5:6], v[19:20], -v[27:28]
	v_add_f64 v[10:11], v[5:6], v[3:4]
	v_mul_f64 v[12:13], v[10:11], s[0:1]
	v_add_f64 v[5:6], v[10:11], -v[5:6]
	v_fma_f64 v[14:15], v[10:11], s[0:1], -v[12:13]
	v_add_f64 v[3:4], v[3:4], -v[5:6]
	v_fma_f64 v[5:6], v[10:11], s[34:35], v[14:15]
	v_fma_f64 v[5:6], v[3:4], s[0:1], v[5:6]
	v_add_f64 v[3:4], v[12:13], v[5:6]
	v_add_f64 v[10:11], v[3:4], -v[12:13]
	v_add_f64 v[5:6], v[5:6], -v[10:11]
.LBB27_375:
	s_andn2_saveexec_b32 s0, s33
	s_cbranch_execz .LBB27_377
; %bb.376:
	s_mov_b32 s34, 0x6dc9c883
	s_mov_b32 s35, 0x3fe45f30
	;; [unrolled: 1-line block ×3, first 2 shown]
	v_mul_f64 v[3:4], |v[1:2]|, s[34:35]
	s_mov_b32 s34, 0x54442d18
	s_mov_b32 s35, 0xbff921fb
	;; [unrolled: 1-line block ×3, first 2 shown]
	v_rndne_f64_e32 v[9:10], v[3:4]
	v_fma_f64 v[3:4], v[9:10], s[34:35], |v[1:2]|
	v_mul_f64 v[5:6], v[9:10], s[36:37]
	s_mov_b32 s34, 0x252049c0
	s_mov_b32 s35, 0xb97b839a
	v_fma_f64 v[13:14], v[9:10], s[36:37], v[3:4]
	v_add_f64 v[11:12], v[3:4], v[5:6]
	s_mov_b32 s37, 0x3c91a626
	v_add_f64 v[3:4], v[3:4], -v[11:12]
	v_add_f64 v[11:12], v[11:12], -v[13:14]
	v_add_f64 v[3:4], v[3:4], v[5:6]
	v_fma_f64 v[5:6], v[9:10], s[36:37], v[5:6]
	v_add_f64 v[3:4], v[11:12], v[3:4]
	v_add_f64 v[3:4], v[3:4], -v[5:6]
	v_fma_f64 v[5:6], v[9:10], s[34:35], v[3:4]
	v_cvt_i32_f64_e32 v9, v[9:10]
	v_add_f64 v[3:4], v[13:14], v[5:6]
	v_add_f64 v[11:12], v[3:4], -v[13:14]
	v_add_f64 v[5:6], v[5:6], -v[11:12]
.LBB27_377:
	s_or_b32 exec_lo, exec_lo, s0
	v_mul_f64 v[10:11], v[3:4], v[3:4]
	v_add_f64 v[12:13], v[5:6], v[5:6]
	s_mov_b32 s34, 0xa9a29f71
	s_mov_b32 s36, 0xc751c08c
	;; [unrolled: 1-line block ×4, first 2 shown]
	v_cmp_class_f64_e64 s0, v[1:2], 0x1f8
	v_and_b32_e32 v9, 1, v9
	v_and_b32_e32 v2, 0x80000000, v2
	v_sub_f32_e32 v8, 1.0, v8
	s_mov_b32 s1, exec_lo
	v_cmp_eq_u32_e32 vcc_lo, 0, v9
	v_fma_f64 v[14:15], v[3:4], v[3:4], -v[10:11]
	v_fma_f64 v[12:13], v[3:4], v[12:13], v[14:15]
	v_add_f64 v[10:11], v[10:11], v[12:13]
	v_fma_f64 v[12:13], v[10:11], s[36:37], s[34:35]
	s_mov_b32 s34, 0x90a8aae0
	s_mov_b32 s35, 0x3f17746f
	v_fma_f64 v[12:13], v[10:11], v[12:13], s[34:35]
	s_mov_b32 s34, 0xa6fbf144
	s_mov_b32 s35, 0xbefbb44d
	v_fma_f64 v[12:13], v[10:11], v[12:13], s[34:35]
	s_mov_b32 s34, 0xa7943acf
	s_mov_b32 s35, 0x3f21e634
	v_fma_f64 v[12:13], v[10:11], v[12:13], s[34:35]
	s_mov_b32 s34, 0xdeb68feb
	s_mov_b32 s35, 0x3f2d250f
	v_fma_f64 v[12:13], v[10:11], v[12:13], s[34:35]
	s_mov_b32 s34, 0xb58c4d95
	s_mov_b32 s35, 0x3f437fd9
	v_fma_f64 v[12:13], v[10:11], v[12:13], s[34:35]
	s_mov_b32 s34, 0x15120e2c
	s_mov_b32 s35, 0x3f57d5af
	v_fma_f64 v[12:13], v[10:11], v[12:13], s[34:35]
	s_mov_b32 s34, 0xe09491df
	s_mov_b32 s35, 0x3f6d6d93
	v_fma_f64 v[12:13], v[10:11], v[12:13], s[34:35]
	s_mov_b32 s34, 0x2033784d
	s_mov_b32 s35, 0x3f8226e1
	v_fma_f64 v[12:13], v[10:11], v[12:13], s[34:35]
	s_mov_b32 s34, 0x9ac36ae2
	s_mov_b32 s35, 0x3f9664f4
	v_fma_f64 v[12:13], v[10:11], v[12:13], s[34:35]
	s_mov_b32 s34, 0x1b451c21
	s_mov_b32 s35, 0x3faba1ba
	v_fma_f64 v[12:13], v[10:11], v[12:13], s[34:35]
	s_mov_b32 s34, 0x111185b7
	s_mov_b32 s35, 0x3fc11111
	v_fma_f64 v[12:13], v[10:11], v[12:13], s[34:35]
	s_mov_b32 s34, 0x555554ee
	s_mov_b32 s35, 0x3fd55555
	v_fma_f64 v[12:13], v[10:11], v[12:13], s[34:35]
	s_mov_b32 s34, 0x54442d18
	s_mov_b32 s35, 0xc00921fb
	v_mul_f64 v[10:11], v[10:11], v[12:13]
	v_mul_f64 v[12:13], v[3:4], v[10:11]
	v_add_f64 v[14:15], v[3:4], v[12:13]
	v_fma_f64 v[10:11], v[3:4], v[10:11], -v[12:13]
	v_add_f64 v[3:4], v[14:15], -v[3:4]
	v_add_f64 v[5:6], v[5:6], v[10:11]
	v_add_f64 v[3:4], v[12:13], -v[3:4]
	v_add_f64 v[3:4], v[5:6], v[3:4]
	v_add_f64 v[5:6], v[14:15], v[3:4]
	v_rcp_f64_e32 v[10:11], v[5:6]
	v_fma_f64 v[12:13], -v[5:6], v[10:11], 1.0
	v_fma_f64 v[10:11], v[12:13], v[10:11], v[10:11]
	v_fma_f64 v[12:13], -v[5:6], v[10:11], 1.0
	v_fma_f64 v[10:11], v[12:13], v[10:11], v[10:11]
	v_add_f64 v[12:13], v[5:6], -v[14:15]
	v_mul_f64 v[14:15], v[5:6], v[10:11]
	v_add_f64 v[3:4], v[3:4], -v[12:13]
	v_fma_f64 v[12:13], v[10:11], v[5:6], -v[14:15]
	v_fma_f64 v[3:4], v[10:11], v[3:4], v[12:13]
	v_add_f64 v[12:13], v[14:15], v[3:4]
	v_add_f64 v[16:17], -v[12:13], 1.0
	v_add_f64 v[14:15], v[12:13], -v[14:15]
	v_add_f64 v[18:19], -v[16:17], 1.0
	v_add_f64 v[3:4], v[14:15], -v[3:4]
	v_add_f64 v[12:13], v[18:19], -v[12:13]
	v_add_f64 v[3:4], v[3:4], v[12:13]
	v_add_f64 v[3:4], v[16:17], v[3:4]
	v_mul_f64 v[3:4], v[10:11], v[3:4]
	v_add_f64 v[3:4], v[10:11], v[3:4]
	v_xor_b32_e32 v1, 0x80000000, v4
	v_cndmask_b32_e32 v3, v3, v5, vcc_lo
	v_cndmask_b32_e32 v1, v1, v6, vcc_lo
	v_xor_b32_e32 v2, v1, v2
	v_cndmask_b32_e64 v1, 0, v3, s0
	v_cndmask_b32_e64 v2, 0x7ff80000, v2, s0
	v_div_scale_f64 v[3:4], null, v[1:2], v[1:2], s[34:35]
	v_rcp_f64_e32 v[5:6], v[3:4]
	v_fma_f64 v[9:10], -v[3:4], v[5:6], 1.0
	v_fma_f64 v[5:6], v[5:6], v[9:10], v[5:6]
	v_fma_f64 v[9:10], -v[3:4], v[5:6], 1.0
	v_fma_f64 v[5:6], v[5:6], v[9:10], v[5:6]
	v_div_scale_f64 v[9:10], vcc_lo, s[34:35], v[1:2], s[34:35]
	v_mul_f64 v[11:12], v[9:10], v[5:6]
	v_fma_f64 v[3:4], -v[3:4], v[11:12], v[9:10]
	v_div_fmas_f64 v[3:4], v[3:4], v[5:6], v[11:12]
	v_div_fixup_f64 v[1:2], v[3:4], v[1:2], s[34:35]
	v_cvt_f32_f64_e32 v1, v[1:2]
.LBB27_378:
	s_or_b32 exec_lo, exec_lo, s31
	s_orn2_b32 s0, s1, exec_lo
.LBB27_379:
	s_or_b32 exec_lo, exec_lo, s21
	v_mov_b32_e32 v2, 0x7e00
	s_and_saveexec_b32 s21, s0
	s_cbranch_execz .LBB27_391
; %bb.380:
	s_mov_b32 s0, exec_lo
	v_cmpx_gt_f32_e32 0x41200000, v8
	s_cbranch_execz .LBB27_384
; %bb.381:
	s_mov_b32 s1, 0
	.p2align	6
.LBB27_382:                             ; =>This Inner Loop Header: Depth=1
	v_div_scale_f32 v2, null, v8, v8, 1.0
	v_div_scale_f32 v5, vcc_lo, 1.0, v8, 1.0
	v_rcp_f32_e32 v3, v2
	v_fma_f32 v4, -v2, v3, 1.0
	v_fmac_f32_e32 v3, v4, v3
	v_mul_f32_e32 v4, v5, v3
	v_fma_f32 v6, -v2, v4, v5
	v_fmac_f32_e32 v4, v6, v3
	v_fma_f32 v2, -v2, v4, v5
	v_div_fmas_f32 v2, v2, v3, v4
	v_div_fixup_f32 v2, v2, v8, 1.0
	v_add_f32_e32 v8, 1.0, v8
	v_sub_f32_e32 v1, v1, v2
	v_cmp_ngt_f32_e32 vcc_lo, 0x41200000, v8
	s_or_b32 s1, vcc_lo, s1
	s_andn2_b32 exec_lo, exec_lo, s1
	s_cbranch_execnz .LBB27_382
; %bb.383:
	s_or_b32 exec_lo, exec_lo, s1
.LBB27_384:
	s_or_b32 exec_lo, exec_lo, s0
                                        ; implicit-def: $vgpr2
	s_mov_b32 s0, exec_lo
	v_cmpx_neq_f32_e32 0x41200000, v8
	s_xor_b32 s31, exec_lo, s0
	s_cbranch_execz .LBB27_388
; %bb.385:
	v_cvt_f64_f32_e32 v[2:3], v8
	s_mov_b32 s0, 0x85d8a000
	s_mov_b32 s1, 0x43763457
	v_cmp_gt_f64_e32 vcc_lo, s[0:1], v[2:3]
	v_mov_b32_e32 v2, 0
	s_and_saveexec_b32 s0, vcc_lo
	s_cbranch_execz .LBB27_387
; %bb.386:
	v_mul_f32_e32 v2, v8, v8
	v_div_scale_f32 v3, null, v2, v2, 1.0
	v_rcp_f32_e32 v4, v3
	v_fma_f32 v5, -v3, v4, 1.0
	v_fmac_f32_e32 v4, v5, v4
	v_div_scale_f32 v5, vcc_lo, 1.0, v2, 1.0
	v_mul_f32_e32 v6, v5, v4
	v_fma_f32 v9, -v3, v6, v5
	v_fmac_f32_e32 v6, v9, v4
	v_fma_f32 v3, -v3, v6, v5
	v_div_fmas_f32 v3, v3, v4, v6
	v_div_fixup_f32 v2, v3, v2, 1.0
	v_fmaak_f32 v3, 0, v2, 0x3daaaaab
	v_fmaak_f32 v3, v2, v3, 0xbcaccacd
	;; [unrolled: 1-line block ×7, first 2 shown]
	v_mul_f32_e32 v2, v2, v3
.LBB27_387:
	s_or_b32 exec_lo, exec_lo, s0
	v_cmp_gt_f32_e32 vcc_lo, 0x800000, v8
	v_div_scale_f32 v3, null, v8, v8, -0.5
	v_div_scale_f32 v9, s0, -0.5, v8, -0.5
	v_cndmask_b32_e64 v4, 0, 32, vcc_lo
	v_rcp_f32_e32 v5, v3
	v_ldexp_f32 v4, v8, v4
	v_log_f32_e32 v4, v4
	v_fma_f32 v6, -v3, v5, 1.0
	v_fmac_f32_e32 v5, v6, v5
	v_mul_f32_e32 v6, 0x3f317217, v4
	v_mul_f32_e32 v10, v9, v5
	v_cmp_gt_f32_e64 s1, 0x7f800000, |v4|
	v_fma_f32 v6, 0x3f317217, v4, -v6
	v_fma_f32 v11, -v3, v10, v9
	v_fmamk_f32 v6, v4, 0x3377d1cf, v6
	v_fmac_f32_e32 v10, v11, v5
	v_fmac_f32_e32 v6, 0x3f317217, v4
	v_fma_f32 v3, -v3, v10, v9
	v_cndmask_b32_e64 v4, v4, v6, s1
	v_cndmask_b32_e64 v6, 0, 0x41b17218, vcc_lo
	s_mov_b32 vcc_lo, s0
	v_div_fmas_f32 v3, v3, v5, v10
	v_sub_f32_e32 v4, v4, v6
	v_div_fixup_f32 v3, v3, v8, -0.5
	v_add_f32_e32 v3, v4, v3
	v_sub_f32_e32 v2, v3, v2
	v_add_f32_e32 v1, v1, v2
	v_cvt_f16_f32_e32 v2, v1
                                        ; implicit-def: $vgpr1
.LBB27_388:
	s_andn2_saveexec_b32 s0, s31
; %bb.389:
	v_add_f32_e32 v1, 0x40101cb7, v1
	v_cvt_f16_f32_e32 v2, v1
; %bb.390:
	s_or_b32 exec_lo, exec_lo, s0
.LBB27_391:
	s_or_b32 exec_lo, exec_lo, s21
                                        ; implicit-def: $vgpr8
.LBB27_392:
	s_andn2_saveexec_b32 s0, s20
; %bb.393:
	v_xor_b32_e32 v1, 0x80000000, v8
	s_movk_i32 s1, 0x7c00
	v_lshrrev_b32_e32 v1, 16, v1
	v_bfi_b32 v2, 0x7fff, s1, v1
; %bb.394:
	s_or_b32 exec_lo, exec_lo, s0
	v_add_nc_u32_e32 v7, 0x80, v7
	global_store_short v0, v2, s[4:5]
	s_or_b32 exec_lo, exec_lo, s30
	s_mov_b32 s30, exec_lo
	v_cmpx_gt_i32_e64 s27, v7
	s_cbranch_execnz .LBB27_356
.LBB27_395:
	s_or_b32 exec_lo, exec_lo, s30
	s_mov_b32 s30, exec_lo
	v_cmpx_gt_i32_e64 s27, v7
	s_cbranch_execz .LBB27_435
.LBB27_396:
	s_andn2_b32 vcc_lo, exec_lo, s24
	s_cbranch_vccnz .LBB27_401
; %bb.397:
	s_andn2_b32 vcc_lo, exec_lo, s29
	s_cbranch_vccnz .LBB27_402
; %bb.398:
	s_add_i32 s33, s28, 1
	s_cmp_eq_u32 s23, 2
	s_cbranch_scc1 .LBB27_443
; %bb.399:
	v_mov_b32_e32 v2, 0
	v_mov_b32_e32 v0, 0
	v_mov_b32_e32 v1, v7
	s_and_b32 s31, s33, 28
	s_mov_b32 s34, 0
	s_mov_b64 s[0:1], s[2:3]
	s_mov_b64 s[20:21], s[18:19]
.LBB27_400:                             ; =>This Inner Loop Header: Depth=1
	s_clause 0x1
	s_load_dwordx8 s[36:43], s[0:1], 0x4
	s_load_dwordx4 s[52:55], s[0:1], 0x24
	s_load_dwordx8 s[44:51], s[20:21], 0x0
	s_add_u32 s0, s0, 48
	s_addc_u32 s1, s1, 0
	s_add_i32 s34, s34, 4
	s_add_u32 s20, s20, 32
	s_addc_u32 s21, s21, 0
	s_cmp_eq_u32 s31, s34
	s_waitcnt lgkmcnt(0)
	v_mul_hi_u32 v3, s37, v1
	v_add_nc_u32_e32 v3, v1, v3
	v_lshrrev_b32_e32 v3, s38, v3
	v_mul_hi_u32 v4, s40, v3
	v_mul_lo_u32 v6, v3, s36
	v_add_nc_u32_e32 v4, v3, v4
	v_sub_nc_u32_e32 v1, v1, v6
	v_lshrrev_b32_e32 v4, s41, v4
	v_mul_lo_u32 v6, v1, s44
	v_mul_lo_u32 v9, v1, s45
	v_mul_hi_u32 v5, s43, v4
	v_add_nc_u32_e32 v5, v4, v5
	v_lshrrev_b32_e32 v5, s52, v5
	v_mul_hi_u32 v8, s54, v5
	v_mul_lo_u32 v10, v5, s42
	v_add_nc_u32_e32 v1, v5, v8
	v_mul_lo_u32 v8, v4, s39
	v_sub_nc_u32_e32 v4, v4, v10
	v_lshrrev_b32_e32 v1, s55, v1
	v_mul_lo_u32 v10, v4, s48
	v_mul_lo_u32 v4, v4, s49
	v_sub_nc_u32_e32 v3, v3, v8
	v_mul_lo_u32 v11, v1, s53
	v_mul_lo_u32 v8, v3, s46
	;; [unrolled: 1-line block ×3, first 2 shown]
	v_sub_nc_u32_e32 v5, v5, v11
	v_add3_u32 v0, v6, v0, v8
	v_mul_lo_u32 v11, v5, s50
	v_mul_lo_u32 v5, v5, s51
	v_add3_u32 v2, v9, v2, v3
	v_add3_u32 v0, v10, v0, v11
	;; [unrolled: 1-line block ×3, first 2 shown]
	s_cbranch_scc0 .LBB27_400
	s_branch .LBB27_444
.LBB27_401:
                                        ; implicit-def: $vgpr0
                                        ; implicit-def: $vgpr2
	s_branch .LBB27_448
.LBB27_402:
	v_mov_b32_e32 v0, 0
	v_mov_b32_e32 v2, 0
	s_branch .LBB27_447
.LBB27_403:
	v_mov_b32_e32 v0, 0
	v_mov_b32_e32 v2, 0
	;; [unrolled: 1-line block ×3, first 2 shown]
	s_mov_b32 s31, 0
.LBB27_404:
	s_and_b32 s33, s33, 3
	s_cmp_eq_u32 s33, 0
	s_cbranch_scc1 .LBB27_407
; %bb.405:
	s_lshl_b32 s0, s31, 3
	s_mul_i32 s20, s31, 12
	s_add_u32 s0, s2, s0
	s_addc_u32 s1, s3, 0
	s_add_u32 s0, s0, 0xc4
	s_addc_u32 s1, s1, 0
	;; [unrolled: 2-line block ×3, first 2 shown]
	.p2align	6
.LBB27_406:                             ; =>This Inner Loop Header: Depth=1
	s_clause 0x1
	s_load_dwordx2 s[34:35], s[20:21], 0x4
	s_load_dword s31, s[20:21], 0xc
	s_load_dwordx2 s[36:37], s[0:1], 0x0
	s_add_u32 s20, s20, 12
	s_addc_u32 s21, s21, 0
	s_add_u32 s0, s0, 8
	s_addc_u32 s1, s1, 0
	s_add_i32 s33, s33, -1
	s_cmp_lg_u32 s33, 0
	s_waitcnt lgkmcnt(0)
	v_mul_hi_u32 v3, s35, v1
	v_add_nc_u32_e32 v3, v1, v3
	v_lshrrev_b32_e32 v4, s31, v3
	v_mul_lo_u32 v3, v4, s34
	v_sub_nc_u32_e32 v3, v1, v3
	v_mad_u64_u32 v[0:1], null, v3, s36, v[0:1]
	v_mad_u64_u32 v[2:3], null, v3, s37, v[2:3]
	v_mov_b32_e32 v1, v4
	s_cbranch_scc1 .LBB27_406
.LBB27_407:
	s_cbranch_execnz .LBB27_410
.LBB27_408:
	s_waitcnt lgkmcnt(0)
	v_mul_hi_u32 v0, s13, v7
	s_andn2_b32 vcc_lo, exec_lo, s26
	v_add_nc_u32_e32 v0, v7, v0
	v_lshrrev_b32_e32 v1, s14, v0
	v_mul_lo_u32 v0, v1, s12
	v_sub_nc_u32_e32 v2, v7, v0
	v_mul_lo_u32 v0, v2, s8
	v_mul_lo_u32 v2, v2, s9
	s_cbranch_vccnz .LBB27_410
; %bb.409:
	v_mul_hi_u32 v3, s16, v1
	v_add_nc_u32_e32 v3, v1, v3
	v_lshrrev_b32_e32 v3, s17, v3
	v_mul_lo_u32 v3, v3, s15
	v_sub_nc_u32_e32 v3, v1, v3
	v_mad_u64_u32 v[0:1], null, v3, s10, v[0:1]
	v_mad_u64_u32 v[2:3], null, v3, s11, v[2:3]
.LBB27_410:
	s_waitcnt lgkmcnt(0)
	global_load_ushort v3, v2, s[6:7]
                                        ; implicit-def: $vgpr2
	s_mov_b32 s0, exec_lo
	s_waitcnt vmcnt(0)
	v_cvt_f32_f16_e32 v8, v3
	v_cmpx_neq_f16_e32 0, v3
	s_xor_b32 s20, exec_lo, s0
	s_cbranch_execz .LBB27_432
; %bb.411:
	v_mov_b32_e32 v1, 0
	s_mov_b32 s0, -1
	s_mov_b32 s21, exec_lo
	v_cmpx_gt_f16_e32 0, v3
	s_cbranch_execz .LBB27_419
; %bb.412:
	v_trunc_f32_e32 v1, v8
	s_mov_b32 s1, 0
	v_cmp_neq_f32_e32 vcc_lo, v1, v8
	v_mov_b32_e32 v1, 0
	s_and_saveexec_b32 s31, vcc_lo
	s_cbranch_execz .LBB27_418
; %bb.413:
	v_cvt_f32_f16_e32 v1, v3
	s_mov_b32 s1, 0xc00921fb
	s_mov_b32 s0, 0x54442d18
	s_mov_b32 s33, exec_lo
                                        ; implicit-def: $vgpr9
                                        ; implicit-def: $vgpr5_vgpr6
	v_cvt_f64_f32_e32 v[1:2], v1
	v_trunc_f64_e32 v[3:4], v[1:2]
	v_cmp_neq_f64_e64 vcc_lo, 0x7ff00000, |v[1:2]|
	v_add_f64 v[3:4], v[1:2], -v[3:4]
	v_mul_f64 v[3:4], |v[3:4]|, s[0:1]
	v_cndmask_b32_e32 v2, 0x80000000, v4, vcc_lo
	v_cndmask_b32_e32 v1, 0, v3, vcc_lo
                                        ; implicit-def: $vgpr3_vgpr4
	v_cmpx_ngt_f64_e64 0x41d00000, |v[1:2]|
	s_xor_b32 s33, exec_lo, s33
	s_cbranch_execz .LBB27_415
; %bb.414:
	v_ldexp_f64 v[3:4], |v[1:2]|, 0xffffff80
	v_cmp_le_f64_e64 vcc_lo, 0x7b000000, |v[1:2]|
	v_trig_preop_f64 v[5:6], |v[1:2]|, 0
	v_and_b32_e32 v9, 0x7fffffff, v2
	v_trig_preop_f64 v[19:20], |v[1:2]|, 2
	v_mov_b32_e32 v27, 0
	s_mov_b32 s1, 0x3ff921fb
	s_mov_b32 s34, 0x33145c07
	;; [unrolled: 1-line block ×3, first 2 shown]
	v_cndmask_b32_e32 v4, v9, v4, vcc_lo
	v_cndmask_b32_e32 v3, v1, v3, vcc_lo
	v_trig_preop_f64 v[9:10], |v[1:2]|, 1
	v_mul_f64 v[11:12], v[5:6], v[3:4]
	v_mul_f64 v[25:26], v[19:20], v[3:4]
	;; [unrolled: 1-line block ×3, first 2 shown]
	v_fma_f64 v[5:6], v[5:6], v[3:4], -v[11:12]
	v_fma_f64 v[9:10], v[9:10], v[3:4], -v[13:14]
	;; [unrolled: 1-line block ×3, first 2 shown]
	v_add_f64 v[15:16], v[13:14], v[5:6]
	v_add_f64 v[17:18], v[15:16], -v[13:14]
	v_add_f64 v[23:24], v[11:12], v[15:16]
	v_add_f64 v[21:22], v[15:16], -v[17:18]
	v_add_f64 v[5:6], v[5:6], -v[17:18]
	v_ldexp_f64 v[17:18], v[23:24], -2
	v_add_f64 v[11:12], v[23:24], -v[11:12]
	v_add_f64 v[13:14], v[13:14], -v[21:22]
	v_add_f64 v[21:22], v[25:26], v[9:10]
	v_cmp_neq_f64_e64 vcc_lo, 0x7ff00000, |v[17:18]|
	v_add_f64 v[11:12], v[15:16], -v[11:12]
	v_add_f64 v[5:6], v[5:6], v[13:14]
	v_fract_f64_e32 v[13:14], v[17:18]
	v_add_f64 v[15:16], v[21:22], v[5:6]
	v_ldexp_f64 v[13:14], v[13:14], 2
	v_add_f64 v[17:18], v[11:12], v[15:16]
	v_cndmask_b32_e32 v14, 0, v14, vcc_lo
	v_cndmask_b32_e32 v13, 0, v13, vcc_lo
	v_add_f64 v[23:24], v[17:18], v[13:14]
	v_add_f64 v[11:12], v[17:18], -v[11:12]
	v_cmp_gt_f64_e32 vcc_lo, 0, v[23:24]
	v_add_f64 v[23:24], v[21:22], -v[25:26]
	v_cndmask_b32_e64 v28, 0, 0x40100000, vcc_lo
	v_add_f64 v[32:33], v[21:22], -v[23:24]
	v_add_f64 v[9:10], v[9:10], -v[23:24]
	v_add_f64 v[13:14], v[13:14], v[27:28]
	v_add_f64 v[28:29], v[15:16], -v[21:22]
	v_add_f64 v[23:24], v[25:26], -v[32:33]
	v_add_f64 v[30:31], v[17:18], v[13:14]
	;; [unrolled: 3-line block ×3, first 2 shown]
	v_cvt_i32_f64_e32 v30, v[30:31]
	v_add_f64 v[21:22], v[21:22], -v[34:35]
	v_cvt_f64_i32_e32 v[28:29], v30
	v_add_f64 v[5:6], v[5:6], v[21:22]
	v_add_f64 v[13:14], v[13:14], -v[28:29]
	v_add_f64 v[5:6], v[9:10], v[5:6]
	v_add_f64 v[9:10], v[15:16], -v[11:12]
	v_add_f64 v[19:20], v[17:18], v[13:14]
	v_add_f64 v[3:4], v[3:4], v[5:6]
	v_add_f64 v[5:6], v[19:20], -v[13:14]
	v_cmp_le_f64_e32 vcc_lo, 0.5, v[19:20]
	v_add_f64 v[3:4], v[9:10], v[3:4]
	v_add_f64 v[5:6], v[17:18], -v[5:6]
	v_cndmask_b32_e64 v28, 0, 0x3ff00000, vcc_lo
	v_add_co_ci_u32_e64 v9, null, 0, v30, vcc_lo
	v_add_f64 v[3:4], v[3:4], v[5:6]
	v_add_f64 v[5:6], v[19:20], -v[27:28]
	v_add_f64 v[10:11], v[5:6], v[3:4]
	v_mul_f64 v[12:13], v[10:11], s[0:1]
	v_add_f64 v[5:6], v[10:11], -v[5:6]
	v_fma_f64 v[14:15], v[10:11], s[0:1], -v[12:13]
	v_add_f64 v[3:4], v[3:4], -v[5:6]
	v_fma_f64 v[5:6], v[10:11], s[34:35], v[14:15]
	v_fma_f64 v[5:6], v[3:4], s[0:1], v[5:6]
	v_add_f64 v[3:4], v[12:13], v[5:6]
	v_add_f64 v[10:11], v[3:4], -v[12:13]
	v_add_f64 v[5:6], v[5:6], -v[10:11]
.LBB27_415:
	s_andn2_saveexec_b32 s0, s33
	s_cbranch_execz .LBB27_417
; %bb.416:
	s_mov_b32 s34, 0x6dc9c883
	s_mov_b32 s35, 0x3fe45f30
	;; [unrolled: 1-line block ×3, first 2 shown]
	v_mul_f64 v[3:4], |v[1:2]|, s[34:35]
	s_mov_b32 s34, 0x54442d18
	s_mov_b32 s35, 0xbff921fb
	;; [unrolled: 1-line block ×3, first 2 shown]
	v_rndne_f64_e32 v[9:10], v[3:4]
	v_fma_f64 v[3:4], v[9:10], s[34:35], |v[1:2]|
	v_mul_f64 v[5:6], v[9:10], s[36:37]
	s_mov_b32 s34, 0x252049c0
	s_mov_b32 s35, 0xb97b839a
	v_fma_f64 v[13:14], v[9:10], s[36:37], v[3:4]
	v_add_f64 v[11:12], v[3:4], v[5:6]
	s_mov_b32 s37, 0x3c91a626
	v_add_f64 v[3:4], v[3:4], -v[11:12]
	v_add_f64 v[11:12], v[11:12], -v[13:14]
	v_add_f64 v[3:4], v[3:4], v[5:6]
	v_fma_f64 v[5:6], v[9:10], s[36:37], v[5:6]
	v_add_f64 v[3:4], v[11:12], v[3:4]
	v_add_f64 v[3:4], v[3:4], -v[5:6]
	v_fma_f64 v[5:6], v[9:10], s[34:35], v[3:4]
	v_cvt_i32_f64_e32 v9, v[9:10]
	v_add_f64 v[3:4], v[13:14], v[5:6]
	v_add_f64 v[11:12], v[3:4], -v[13:14]
	v_add_f64 v[5:6], v[5:6], -v[11:12]
.LBB27_417:
	s_or_b32 exec_lo, exec_lo, s0
	v_mul_f64 v[10:11], v[3:4], v[3:4]
	v_add_f64 v[12:13], v[5:6], v[5:6]
	s_mov_b32 s34, 0xa9a29f71
	s_mov_b32 s36, 0xc751c08c
	;; [unrolled: 1-line block ×4, first 2 shown]
	v_cmp_class_f64_e64 s0, v[1:2], 0x1f8
	v_and_b32_e32 v9, 1, v9
	v_and_b32_e32 v2, 0x80000000, v2
	v_sub_f32_e32 v8, 1.0, v8
	s_mov_b32 s1, exec_lo
	v_cmp_eq_u32_e32 vcc_lo, 0, v9
	v_fma_f64 v[14:15], v[3:4], v[3:4], -v[10:11]
	v_fma_f64 v[12:13], v[3:4], v[12:13], v[14:15]
	v_add_f64 v[10:11], v[10:11], v[12:13]
	v_fma_f64 v[12:13], v[10:11], s[36:37], s[34:35]
	s_mov_b32 s34, 0x90a8aae0
	s_mov_b32 s35, 0x3f17746f
	v_fma_f64 v[12:13], v[10:11], v[12:13], s[34:35]
	s_mov_b32 s34, 0xa6fbf144
	s_mov_b32 s35, 0xbefbb44d
	;; [unrolled: 3-line block ×13, first 2 shown]
	v_mul_f64 v[10:11], v[10:11], v[12:13]
	v_mul_f64 v[12:13], v[3:4], v[10:11]
	v_add_f64 v[14:15], v[3:4], v[12:13]
	v_fma_f64 v[10:11], v[3:4], v[10:11], -v[12:13]
	v_add_f64 v[3:4], v[14:15], -v[3:4]
	v_add_f64 v[5:6], v[5:6], v[10:11]
	v_add_f64 v[3:4], v[12:13], -v[3:4]
	v_add_f64 v[3:4], v[5:6], v[3:4]
	v_add_f64 v[5:6], v[14:15], v[3:4]
	v_rcp_f64_e32 v[10:11], v[5:6]
	v_fma_f64 v[12:13], -v[5:6], v[10:11], 1.0
	v_fma_f64 v[10:11], v[12:13], v[10:11], v[10:11]
	v_fma_f64 v[12:13], -v[5:6], v[10:11], 1.0
	v_fma_f64 v[10:11], v[12:13], v[10:11], v[10:11]
	v_add_f64 v[12:13], v[5:6], -v[14:15]
	v_mul_f64 v[14:15], v[5:6], v[10:11]
	v_add_f64 v[3:4], v[3:4], -v[12:13]
	v_fma_f64 v[12:13], v[10:11], v[5:6], -v[14:15]
	v_fma_f64 v[3:4], v[10:11], v[3:4], v[12:13]
	v_add_f64 v[12:13], v[14:15], v[3:4]
	v_add_f64 v[16:17], -v[12:13], 1.0
	v_add_f64 v[14:15], v[12:13], -v[14:15]
	v_add_f64 v[18:19], -v[16:17], 1.0
	v_add_f64 v[3:4], v[14:15], -v[3:4]
	v_add_f64 v[12:13], v[18:19], -v[12:13]
	v_add_f64 v[3:4], v[3:4], v[12:13]
	v_add_f64 v[3:4], v[16:17], v[3:4]
	v_mul_f64 v[3:4], v[10:11], v[3:4]
	v_add_f64 v[3:4], v[10:11], v[3:4]
	v_xor_b32_e32 v1, 0x80000000, v4
	v_cndmask_b32_e32 v3, v3, v5, vcc_lo
	v_cndmask_b32_e32 v1, v1, v6, vcc_lo
	v_xor_b32_e32 v2, v1, v2
	v_cndmask_b32_e64 v1, 0, v3, s0
	v_cndmask_b32_e64 v2, 0x7ff80000, v2, s0
	v_div_scale_f64 v[3:4], null, v[1:2], v[1:2], s[34:35]
	v_rcp_f64_e32 v[5:6], v[3:4]
	v_fma_f64 v[9:10], -v[3:4], v[5:6], 1.0
	v_fma_f64 v[5:6], v[5:6], v[9:10], v[5:6]
	v_fma_f64 v[9:10], -v[3:4], v[5:6], 1.0
	v_fma_f64 v[5:6], v[5:6], v[9:10], v[5:6]
	v_div_scale_f64 v[9:10], vcc_lo, s[34:35], v[1:2], s[34:35]
	v_mul_f64 v[11:12], v[9:10], v[5:6]
	v_fma_f64 v[3:4], -v[3:4], v[11:12], v[9:10]
	v_div_fmas_f64 v[3:4], v[3:4], v[5:6], v[11:12]
	v_div_fixup_f64 v[1:2], v[3:4], v[1:2], s[34:35]
	v_cvt_f32_f64_e32 v1, v[1:2]
.LBB27_418:
	s_or_b32 exec_lo, exec_lo, s31
	s_orn2_b32 s0, s1, exec_lo
.LBB27_419:
	s_or_b32 exec_lo, exec_lo, s21
	v_mov_b32_e32 v2, 0x7e00
	s_and_saveexec_b32 s21, s0
	s_cbranch_execz .LBB27_431
; %bb.420:
	s_mov_b32 s0, exec_lo
	v_cmpx_gt_f32_e32 0x41200000, v8
	s_cbranch_execz .LBB27_424
; %bb.421:
	s_mov_b32 s1, 0
	.p2align	6
.LBB27_422:                             ; =>This Inner Loop Header: Depth=1
	v_div_scale_f32 v2, null, v8, v8, 1.0
	v_div_scale_f32 v5, vcc_lo, 1.0, v8, 1.0
	v_rcp_f32_e32 v3, v2
	v_fma_f32 v4, -v2, v3, 1.0
	v_fmac_f32_e32 v3, v4, v3
	v_mul_f32_e32 v4, v5, v3
	v_fma_f32 v6, -v2, v4, v5
	v_fmac_f32_e32 v4, v6, v3
	v_fma_f32 v2, -v2, v4, v5
	v_div_fmas_f32 v2, v2, v3, v4
	v_div_fixup_f32 v2, v2, v8, 1.0
	v_add_f32_e32 v8, 1.0, v8
	v_sub_f32_e32 v1, v1, v2
	v_cmp_ngt_f32_e32 vcc_lo, 0x41200000, v8
	s_or_b32 s1, vcc_lo, s1
	s_andn2_b32 exec_lo, exec_lo, s1
	s_cbranch_execnz .LBB27_422
; %bb.423:
	s_or_b32 exec_lo, exec_lo, s1
.LBB27_424:
	s_or_b32 exec_lo, exec_lo, s0
                                        ; implicit-def: $vgpr2
	s_mov_b32 s0, exec_lo
	v_cmpx_neq_f32_e32 0x41200000, v8
	s_xor_b32 s31, exec_lo, s0
	s_cbranch_execz .LBB27_428
; %bb.425:
	v_cvt_f64_f32_e32 v[2:3], v8
	s_mov_b32 s0, 0x85d8a000
	s_mov_b32 s1, 0x43763457
	v_cmp_gt_f64_e32 vcc_lo, s[0:1], v[2:3]
	v_mov_b32_e32 v2, 0
	s_and_saveexec_b32 s0, vcc_lo
	s_cbranch_execz .LBB27_427
; %bb.426:
	v_mul_f32_e32 v2, v8, v8
	v_div_scale_f32 v3, null, v2, v2, 1.0
	v_rcp_f32_e32 v4, v3
	v_fma_f32 v5, -v3, v4, 1.0
	v_fmac_f32_e32 v4, v5, v4
	v_div_scale_f32 v5, vcc_lo, 1.0, v2, 1.0
	v_mul_f32_e32 v6, v5, v4
	v_fma_f32 v9, -v3, v6, v5
	v_fmac_f32_e32 v6, v9, v4
	v_fma_f32 v3, -v3, v6, v5
	v_div_fmas_f32 v3, v3, v4, v6
	v_div_fixup_f32 v2, v3, v2, 1.0
	v_fmaak_f32 v3, 0, v2, 0x3daaaaab
	v_fmaak_f32 v3, v2, v3, 0xbcaccacd
	;; [unrolled: 1-line block ×7, first 2 shown]
	v_mul_f32_e32 v2, v2, v3
.LBB27_427:
	s_or_b32 exec_lo, exec_lo, s0
	v_cmp_gt_f32_e32 vcc_lo, 0x800000, v8
	v_div_scale_f32 v3, null, v8, v8, -0.5
	v_div_scale_f32 v9, s0, -0.5, v8, -0.5
	v_cndmask_b32_e64 v4, 0, 32, vcc_lo
	v_rcp_f32_e32 v5, v3
	v_ldexp_f32 v4, v8, v4
	v_log_f32_e32 v4, v4
	v_fma_f32 v6, -v3, v5, 1.0
	v_fmac_f32_e32 v5, v6, v5
	v_mul_f32_e32 v6, 0x3f317217, v4
	v_mul_f32_e32 v10, v9, v5
	v_cmp_gt_f32_e64 s1, 0x7f800000, |v4|
	v_fma_f32 v6, 0x3f317217, v4, -v6
	v_fma_f32 v11, -v3, v10, v9
	v_fmamk_f32 v6, v4, 0x3377d1cf, v6
	v_fmac_f32_e32 v10, v11, v5
	v_fmac_f32_e32 v6, 0x3f317217, v4
	v_fma_f32 v3, -v3, v10, v9
	v_cndmask_b32_e64 v4, v4, v6, s1
	v_cndmask_b32_e64 v6, 0, 0x41b17218, vcc_lo
	s_mov_b32 vcc_lo, s0
	v_div_fmas_f32 v3, v3, v5, v10
	v_sub_f32_e32 v4, v4, v6
	v_div_fixup_f32 v3, v3, v8, -0.5
	v_add_f32_e32 v3, v4, v3
	v_sub_f32_e32 v2, v3, v2
	v_add_f32_e32 v1, v1, v2
	v_cvt_f16_f32_e32 v2, v1
                                        ; implicit-def: $vgpr1
.LBB27_428:
	s_andn2_saveexec_b32 s0, s31
; %bb.429:
	v_add_f32_e32 v1, 0x40101cb7, v1
	v_cvt_f16_f32_e32 v2, v1
; %bb.430:
	s_or_b32 exec_lo, exec_lo, s0
.LBB27_431:
	s_or_b32 exec_lo, exec_lo, s21
                                        ; implicit-def: $vgpr8
.LBB27_432:
	s_andn2_saveexec_b32 s0, s20
; %bb.433:
	v_xor_b32_e32 v1, 0x80000000, v8
	s_movk_i32 s1, 0x7c00
	v_lshrrev_b32_e32 v1, 16, v1
	v_bfi_b32 v2, 0x7fff, s1, v1
; %bb.434:
	s_or_b32 exec_lo, exec_lo, s0
	v_add_nc_u32_e32 v7, 0x80, v7
	global_store_short v0, v2, s[4:5]
	s_or_b32 exec_lo, exec_lo, s30
	s_mov_b32 s30, exec_lo
	v_cmpx_gt_i32_e64 s27, v7
	s_cbranch_execnz .LBB27_396
.LBB27_435:
	s_or_b32 exec_lo, exec_lo, s30
	s_mov_b32 s30, exec_lo
	v_cmpx_gt_i32_e64 s27, v7
	s_cbranch_execz .LBB27_475
.LBB27_436:
	s_andn2_b32 vcc_lo, exec_lo, s24
	s_cbranch_vccnz .LBB27_441
; %bb.437:
	s_andn2_b32 vcc_lo, exec_lo, s29
	s_cbranch_vccnz .LBB27_442
; %bb.438:
	s_add_i32 s33, s28, 1
	s_cmp_eq_u32 s23, 2
	s_cbranch_scc1 .LBB27_483
; %bb.439:
	v_mov_b32_e32 v2, 0
	v_mov_b32_e32 v0, 0
	v_mov_b32_e32 v1, v7
	s_and_b32 s31, s33, 28
	s_mov_b32 s34, 0
	s_mov_b64 s[0:1], s[2:3]
	s_mov_b64 s[20:21], s[18:19]
.LBB27_440:                             ; =>This Inner Loop Header: Depth=1
	s_clause 0x1
	s_load_dwordx8 s[36:43], s[0:1], 0x4
	s_load_dwordx4 s[52:55], s[0:1], 0x24
	s_load_dwordx8 s[44:51], s[20:21], 0x0
	s_add_u32 s0, s0, 48
	s_addc_u32 s1, s1, 0
	s_add_i32 s34, s34, 4
	s_add_u32 s20, s20, 32
	s_addc_u32 s21, s21, 0
	s_cmp_eq_u32 s31, s34
	s_waitcnt lgkmcnt(0)
	v_mul_hi_u32 v3, s37, v1
	v_add_nc_u32_e32 v3, v1, v3
	v_lshrrev_b32_e32 v3, s38, v3
	v_mul_hi_u32 v4, s40, v3
	v_mul_lo_u32 v6, v3, s36
	v_add_nc_u32_e32 v4, v3, v4
	v_sub_nc_u32_e32 v1, v1, v6
	v_lshrrev_b32_e32 v4, s41, v4
	v_mul_lo_u32 v6, v1, s44
	v_mul_lo_u32 v9, v1, s45
	v_mul_hi_u32 v5, s43, v4
	v_add_nc_u32_e32 v5, v4, v5
	v_lshrrev_b32_e32 v5, s52, v5
	v_mul_hi_u32 v8, s54, v5
	v_mul_lo_u32 v10, v5, s42
	v_add_nc_u32_e32 v1, v5, v8
	v_mul_lo_u32 v8, v4, s39
	v_sub_nc_u32_e32 v4, v4, v10
	v_lshrrev_b32_e32 v1, s55, v1
	v_mul_lo_u32 v10, v4, s48
	v_mul_lo_u32 v4, v4, s49
	v_sub_nc_u32_e32 v3, v3, v8
	v_mul_lo_u32 v11, v1, s53
	v_mul_lo_u32 v8, v3, s46
	;; [unrolled: 1-line block ×3, first 2 shown]
	v_sub_nc_u32_e32 v5, v5, v11
	v_add3_u32 v0, v6, v0, v8
	v_mul_lo_u32 v11, v5, s50
	v_mul_lo_u32 v5, v5, s51
	v_add3_u32 v2, v9, v2, v3
	v_add3_u32 v0, v10, v0, v11
	;; [unrolled: 1-line block ×3, first 2 shown]
	s_cbranch_scc0 .LBB27_440
	s_branch .LBB27_484
.LBB27_441:
                                        ; implicit-def: $vgpr0
                                        ; implicit-def: $vgpr2
	s_branch .LBB27_488
.LBB27_442:
	v_mov_b32_e32 v0, 0
	v_mov_b32_e32 v2, 0
	s_branch .LBB27_487
.LBB27_443:
	v_mov_b32_e32 v0, 0
	v_mov_b32_e32 v2, 0
	;; [unrolled: 1-line block ×3, first 2 shown]
	s_mov_b32 s31, 0
.LBB27_444:
	s_and_b32 s33, s33, 3
	s_cmp_eq_u32 s33, 0
	s_cbranch_scc1 .LBB27_447
; %bb.445:
	s_lshl_b32 s0, s31, 3
	s_mul_i32 s20, s31, 12
	s_add_u32 s0, s2, s0
	s_addc_u32 s1, s3, 0
	s_add_u32 s0, s0, 0xc4
	s_addc_u32 s1, s1, 0
	;; [unrolled: 2-line block ×3, first 2 shown]
	.p2align	6
.LBB27_446:                             ; =>This Inner Loop Header: Depth=1
	s_clause 0x1
	s_load_dwordx2 s[34:35], s[20:21], 0x4
	s_load_dword s31, s[20:21], 0xc
	s_load_dwordx2 s[36:37], s[0:1], 0x0
	s_add_u32 s20, s20, 12
	s_addc_u32 s21, s21, 0
	s_add_u32 s0, s0, 8
	s_addc_u32 s1, s1, 0
	s_add_i32 s33, s33, -1
	s_cmp_lg_u32 s33, 0
	s_waitcnt lgkmcnt(0)
	v_mul_hi_u32 v3, s35, v1
	v_add_nc_u32_e32 v3, v1, v3
	v_lshrrev_b32_e32 v4, s31, v3
	v_mul_lo_u32 v3, v4, s34
	v_sub_nc_u32_e32 v3, v1, v3
	v_mad_u64_u32 v[0:1], null, v3, s36, v[0:1]
	v_mad_u64_u32 v[2:3], null, v3, s37, v[2:3]
	v_mov_b32_e32 v1, v4
	s_cbranch_scc1 .LBB27_446
.LBB27_447:
	s_cbranch_execnz .LBB27_450
.LBB27_448:
	s_waitcnt lgkmcnt(0)
	v_mul_hi_u32 v0, s13, v7
	s_andn2_b32 vcc_lo, exec_lo, s26
	v_add_nc_u32_e32 v0, v7, v0
	v_lshrrev_b32_e32 v1, s14, v0
	v_mul_lo_u32 v0, v1, s12
	v_sub_nc_u32_e32 v2, v7, v0
	v_mul_lo_u32 v0, v2, s8
	v_mul_lo_u32 v2, v2, s9
	s_cbranch_vccnz .LBB27_450
; %bb.449:
	v_mul_hi_u32 v3, s16, v1
	v_add_nc_u32_e32 v3, v1, v3
	v_lshrrev_b32_e32 v3, s17, v3
	v_mul_lo_u32 v3, v3, s15
	v_sub_nc_u32_e32 v3, v1, v3
	v_mad_u64_u32 v[0:1], null, v3, s10, v[0:1]
	v_mad_u64_u32 v[2:3], null, v3, s11, v[2:3]
.LBB27_450:
	s_waitcnt lgkmcnt(0)
	global_load_ushort v3, v2, s[6:7]
                                        ; implicit-def: $vgpr2
	s_mov_b32 s0, exec_lo
	s_waitcnt vmcnt(0)
	v_cvt_f32_f16_e32 v8, v3
	v_cmpx_neq_f16_e32 0, v3
	s_xor_b32 s20, exec_lo, s0
	s_cbranch_execz .LBB27_472
; %bb.451:
	v_mov_b32_e32 v1, 0
	s_mov_b32 s0, -1
	s_mov_b32 s21, exec_lo
	v_cmpx_gt_f16_e32 0, v3
	s_cbranch_execz .LBB27_459
; %bb.452:
	v_trunc_f32_e32 v1, v8
	s_mov_b32 s1, 0
	v_cmp_neq_f32_e32 vcc_lo, v1, v8
	v_mov_b32_e32 v1, 0
	s_and_saveexec_b32 s31, vcc_lo
	s_cbranch_execz .LBB27_458
; %bb.453:
	v_cvt_f32_f16_e32 v1, v3
	s_mov_b32 s1, 0xc00921fb
	s_mov_b32 s0, 0x54442d18
	s_mov_b32 s33, exec_lo
                                        ; implicit-def: $vgpr9
                                        ; implicit-def: $vgpr5_vgpr6
	v_cvt_f64_f32_e32 v[1:2], v1
	v_trunc_f64_e32 v[3:4], v[1:2]
	v_cmp_neq_f64_e64 vcc_lo, 0x7ff00000, |v[1:2]|
	v_add_f64 v[3:4], v[1:2], -v[3:4]
	v_mul_f64 v[3:4], |v[3:4]|, s[0:1]
	v_cndmask_b32_e32 v2, 0x80000000, v4, vcc_lo
	v_cndmask_b32_e32 v1, 0, v3, vcc_lo
                                        ; implicit-def: $vgpr3_vgpr4
	v_cmpx_ngt_f64_e64 0x41d00000, |v[1:2]|
	s_xor_b32 s33, exec_lo, s33
	s_cbranch_execz .LBB27_455
; %bb.454:
	v_ldexp_f64 v[3:4], |v[1:2]|, 0xffffff80
	v_cmp_le_f64_e64 vcc_lo, 0x7b000000, |v[1:2]|
	v_trig_preop_f64 v[5:6], |v[1:2]|, 0
	v_and_b32_e32 v9, 0x7fffffff, v2
	v_trig_preop_f64 v[19:20], |v[1:2]|, 2
	v_mov_b32_e32 v27, 0
	s_mov_b32 s1, 0x3ff921fb
	s_mov_b32 s34, 0x33145c07
	;; [unrolled: 1-line block ×3, first 2 shown]
	v_cndmask_b32_e32 v4, v9, v4, vcc_lo
	v_cndmask_b32_e32 v3, v1, v3, vcc_lo
	v_trig_preop_f64 v[9:10], |v[1:2]|, 1
	v_mul_f64 v[11:12], v[5:6], v[3:4]
	v_mul_f64 v[25:26], v[19:20], v[3:4]
	;; [unrolled: 1-line block ×3, first 2 shown]
	v_fma_f64 v[5:6], v[5:6], v[3:4], -v[11:12]
	v_fma_f64 v[9:10], v[9:10], v[3:4], -v[13:14]
	;; [unrolled: 1-line block ×3, first 2 shown]
	v_add_f64 v[15:16], v[13:14], v[5:6]
	v_add_f64 v[17:18], v[15:16], -v[13:14]
	v_add_f64 v[23:24], v[11:12], v[15:16]
	v_add_f64 v[21:22], v[15:16], -v[17:18]
	v_add_f64 v[5:6], v[5:6], -v[17:18]
	v_ldexp_f64 v[17:18], v[23:24], -2
	v_add_f64 v[11:12], v[23:24], -v[11:12]
	v_add_f64 v[13:14], v[13:14], -v[21:22]
	v_add_f64 v[21:22], v[25:26], v[9:10]
	v_cmp_neq_f64_e64 vcc_lo, 0x7ff00000, |v[17:18]|
	v_add_f64 v[11:12], v[15:16], -v[11:12]
	v_add_f64 v[5:6], v[5:6], v[13:14]
	v_fract_f64_e32 v[13:14], v[17:18]
	v_add_f64 v[15:16], v[21:22], v[5:6]
	v_ldexp_f64 v[13:14], v[13:14], 2
	v_add_f64 v[17:18], v[11:12], v[15:16]
	v_cndmask_b32_e32 v14, 0, v14, vcc_lo
	v_cndmask_b32_e32 v13, 0, v13, vcc_lo
	v_add_f64 v[23:24], v[17:18], v[13:14]
	v_add_f64 v[11:12], v[17:18], -v[11:12]
	v_cmp_gt_f64_e32 vcc_lo, 0, v[23:24]
	v_add_f64 v[23:24], v[21:22], -v[25:26]
	v_cndmask_b32_e64 v28, 0, 0x40100000, vcc_lo
	v_add_f64 v[32:33], v[21:22], -v[23:24]
	v_add_f64 v[9:10], v[9:10], -v[23:24]
	v_add_f64 v[13:14], v[13:14], v[27:28]
	v_add_f64 v[28:29], v[15:16], -v[21:22]
	v_add_f64 v[23:24], v[25:26], -v[32:33]
	v_add_f64 v[30:31], v[17:18], v[13:14]
	;; [unrolled: 3-line block ×3, first 2 shown]
	v_cvt_i32_f64_e32 v30, v[30:31]
	v_add_f64 v[21:22], v[21:22], -v[34:35]
	v_cvt_f64_i32_e32 v[28:29], v30
	v_add_f64 v[5:6], v[5:6], v[21:22]
	v_add_f64 v[13:14], v[13:14], -v[28:29]
	v_add_f64 v[5:6], v[9:10], v[5:6]
	v_add_f64 v[9:10], v[15:16], -v[11:12]
	v_add_f64 v[19:20], v[17:18], v[13:14]
	v_add_f64 v[3:4], v[3:4], v[5:6]
	v_add_f64 v[5:6], v[19:20], -v[13:14]
	v_cmp_le_f64_e32 vcc_lo, 0.5, v[19:20]
	v_add_f64 v[3:4], v[9:10], v[3:4]
	v_add_f64 v[5:6], v[17:18], -v[5:6]
	v_cndmask_b32_e64 v28, 0, 0x3ff00000, vcc_lo
	v_add_co_ci_u32_e64 v9, null, 0, v30, vcc_lo
	v_add_f64 v[3:4], v[3:4], v[5:6]
	v_add_f64 v[5:6], v[19:20], -v[27:28]
	v_add_f64 v[10:11], v[5:6], v[3:4]
	v_mul_f64 v[12:13], v[10:11], s[0:1]
	v_add_f64 v[5:6], v[10:11], -v[5:6]
	v_fma_f64 v[14:15], v[10:11], s[0:1], -v[12:13]
	v_add_f64 v[3:4], v[3:4], -v[5:6]
	v_fma_f64 v[5:6], v[10:11], s[34:35], v[14:15]
	v_fma_f64 v[5:6], v[3:4], s[0:1], v[5:6]
	v_add_f64 v[3:4], v[12:13], v[5:6]
	v_add_f64 v[10:11], v[3:4], -v[12:13]
	v_add_f64 v[5:6], v[5:6], -v[10:11]
.LBB27_455:
	s_andn2_saveexec_b32 s0, s33
	s_cbranch_execz .LBB27_457
; %bb.456:
	s_mov_b32 s34, 0x6dc9c883
	s_mov_b32 s35, 0x3fe45f30
	;; [unrolled: 1-line block ×3, first 2 shown]
	v_mul_f64 v[3:4], |v[1:2]|, s[34:35]
	s_mov_b32 s34, 0x54442d18
	s_mov_b32 s35, 0xbff921fb
	;; [unrolled: 1-line block ×3, first 2 shown]
	v_rndne_f64_e32 v[9:10], v[3:4]
	v_fma_f64 v[3:4], v[9:10], s[34:35], |v[1:2]|
	v_mul_f64 v[5:6], v[9:10], s[36:37]
	s_mov_b32 s34, 0x252049c0
	s_mov_b32 s35, 0xb97b839a
	v_fma_f64 v[13:14], v[9:10], s[36:37], v[3:4]
	v_add_f64 v[11:12], v[3:4], v[5:6]
	s_mov_b32 s37, 0x3c91a626
	v_add_f64 v[3:4], v[3:4], -v[11:12]
	v_add_f64 v[11:12], v[11:12], -v[13:14]
	v_add_f64 v[3:4], v[3:4], v[5:6]
	v_fma_f64 v[5:6], v[9:10], s[36:37], v[5:6]
	v_add_f64 v[3:4], v[11:12], v[3:4]
	v_add_f64 v[3:4], v[3:4], -v[5:6]
	v_fma_f64 v[5:6], v[9:10], s[34:35], v[3:4]
	v_cvt_i32_f64_e32 v9, v[9:10]
	v_add_f64 v[3:4], v[13:14], v[5:6]
	v_add_f64 v[11:12], v[3:4], -v[13:14]
	v_add_f64 v[5:6], v[5:6], -v[11:12]
.LBB27_457:
	s_or_b32 exec_lo, exec_lo, s0
	v_mul_f64 v[10:11], v[3:4], v[3:4]
	v_add_f64 v[12:13], v[5:6], v[5:6]
	s_mov_b32 s34, 0xa9a29f71
	s_mov_b32 s36, 0xc751c08c
	;; [unrolled: 1-line block ×4, first 2 shown]
	v_cmp_class_f64_e64 s0, v[1:2], 0x1f8
	v_and_b32_e32 v9, 1, v9
	v_and_b32_e32 v2, 0x80000000, v2
	v_sub_f32_e32 v8, 1.0, v8
	s_mov_b32 s1, exec_lo
	v_cmp_eq_u32_e32 vcc_lo, 0, v9
	v_fma_f64 v[14:15], v[3:4], v[3:4], -v[10:11]
	v_fma_f64 v[12:13], v[3:4], v[12:13], v[14:15]
	v_add_f64 v[10:11], v[10:11], v[12:13]
	v_fma_f64 v[12:13], v[10:11], s[36:37], s[34:35]
	s_mov_b32 s34, 0x90a8aae0
	s_mov_b32 s35, 0x3f17746f
	v_fma_f64 v[12:13], v[10:11], v[12:13], s[34:35]
	s_mov_b32 s34, 0xa6fbf144
	s_mov_b32 s35, 0xbefbb44d
	;; [unrolled: 3-line block ×13, first 2 shown]
	v_mul_f64 v[10:11], v[10:11], v[12:13]
	v_mul_f64 v[12:13], v[3:4], v[10:11]
	v_add_f64 v[14:15], v[3:4], v[12:13]
	v_fma_f64 v[10:11], v[3:4], v[10:11], -v[12:13]
	v_add_f64 v[3:4], v[14:15], -v[3:4]
	v_add_f64 v[5:6], v[5:6], v[10:11]
	v_add_f64 v[3:4], v[12:13], -v[3:4]
	v_add_f64 v[3:4], v[5:6], v[3:4]
	v_add_f64 v[5:6], v[14:15], v[3:4]
	v_rcp_f64_e32 v[10:11], v[5:6]
	v_fma_f64 v[12:13], -v[5:6], v[10:11], 1.0
	v_fma_f64 v[10:11], v[12:13], v[10:11], v[10:11]
	v_fma_f64 v[12:13], -v[5:6], v[10:11], 1.0
	v_fma_f64 v[10:11], v[12:13], v[10:11], v[10:11]
	v_add_f64 v[12:13], v[5:6], -v[14:15]
	v_mul_f64 v[14:15], v[5:6], v[10:11]
	v_add_f64 v[3:4], v[3:4], -v[12:13]
	v_fma_f64 v[12:13], v[10:11], v[5:6], -v[14:15]
	v_fma_f64 v[3:4], v[10:11], v[3:4], v[12:13]
	v_add_f64 v[12:13], v[14:15], v[3:4]
	v_add_f64 v[16:17], -v[12:13], 1.0
	v_add_f64 v[14:15], v[12:13], -v[14:15]
	v_add_f64 v[18:19], -v[16:17], 1.0
	v_add_f64 v[3:4], v[14:15], -v[3:4]
	v_add_f64 v[12:13], v[18:19], -v[12:13]
	v_add_f64 v[3:4], v[3:4], v[12:13]
	v_add_f64 v[3:4], v[16:17], v[3:4]
	v_mul_f64 v[3:4], v[10:11], v[3:4]
	v_add_f64 v[3:4], v[10:11], v[3:4]
	v_xor_b32_e32 v1, 0x80000000, v4
	v_cndmask_b32_e32 v3, v3, v5, vcc_lo
	v_cndmask_b32_e32 v1, v1, v6, vcc_lo
	v_xor_b32_e32 v2, v1, v2
	v_cndmask_b32_e64 v1, 0, v3, s0
	v_cndmask_b32_e64 v2, 0x7ff80000, v2, s0
	v_div_scale_f64 v[3:4], null, v[1:2], v[1:2], s[34:35]
	v_rcp_f64_e32 v[5:6], v[3:4]
	v_fma_f64 v[9:10], -v[3:4], v[5:6], 1.0
	v_fma_f64 v[5:6], v[5:6], v[9:10], v[5:6]
	v_fma_f64 v[9:10], -v[3:4], v[5:6], 1.0
	v_fma_f64 v[5:6], v[5:6], v[9:10], v[5:6]
	v_div_scale_f64 v[9:10], vcc_lo, s[34:35], v[1:2], s[34:35]
	v_mul_f64 v[11:12], v[9:10], v[5:6]
	v_fma_f64 v[3:4], -v[3:4], v[11:12], v[9:10]
	v_div_fmas_f64 v[3:4], v[3:4], v[5:6], v[11:12]
	v_div_fixup_f64 v[1:2], v[3:4], v[1:2], s[34:35]
	v_cvt_f32_f64_e32 v1, v[1:2]
.LBB27_458:
	s_or_b32 exec_lo, exec_lo, s31
	s_orn2_b32 s0, s1, exec_lo
.LBB27_459:
	s_or_b32 exec_lo, exec_lo, s21
	v_mov_b32_e32 v2, 0x7e00
	s_and_saveexec_b32 s21, s0
	s_cbranch_execz .LBB27_471
; %bb.460:
	s_mov_b32 s0, exec_lo
	v_cmpx_gt_f32_e32 0x41200000, v8
	s_cbranch_execz .LBB27_464
; %bb.461:
	s_mov_b32 s1, 0
	.p2align	6
.LBB27_462:                             ; =>This Inner Loop Header: Depth=1
	v_div_scale_f32 v2, null, v8, v8, 1.0
	v_div_scale_f32 v5, vcc_lo, 1.0, v8, 1.0
	v_rcp_f32_e32 v3, v2
	v_fma_f32 v4, -v2, v3, 1.0
	v_fmac_f32_e32 v3, v4, v3
	v_mul_f32_e32 v4, v5, v3
	v_fma_f32 v6, -v2, v4, v5
	v_fmac_f32_e32 v4, v6, v3
	v_fma_f32 v2, -v2, v4, v5
	v_div_fmas_f32 v2, v2, v3, v4
	v_div_fixup_f32 v2, v2, v8, 1.0
	v_add_f32_e32 v8, 1.0, v8
	v_sub_f32_e32 v1, v1, v2
	v_cmp_ngt_f32_e32 vcc_lo, 0x41200000, v8
	s_or_b32 s1, vcc_lo, s1
	s_andn2_b32 exec_lo, exec_lo, s1
	s_cbranch_execnz .LBB27_462
; %bb.463:
	s_or_b32 exec_lo, exec_lo, s1
.LBB27_464:
	s_or_b32 exec_lo, exec_lo, s0
                                        ; implicit-def: $vgpr2
	s_mov_b32 s0, exec_lo
	v_cmpx_neq_f32_e32 0x41200000, v8
	s_xor_b32 s31, exec_lo, s0
	s_cbranch_execz .LBB27_468
; %bb.465:
	v_cvt_f64_f32_e32 v[2:3], v8
	s_mov_b32 s0, 0x85d8a000
	s_mov_b32 s1, 0x43763457
	v_cmp_gt_f64_e32 vcc_lo, s[0:1], v[2:3]
	v_mov_b32_e32 v2, 0
	s_and_saveexec_b32 s0, vcc_lo
	s_cbranch_execz .LBB27_467
; %bb.466:
	v_mul_f32_e32 v2, v8, v8
	v_div_scale_f32 v3, null, v2, v2, 1.0
	v_rcp_f32_e32 v4, v3
	v_fma_f32 v5, -v3, v4, 1.0
	v_fmac_f32_e32 v4, v5, v4
	v_div_scale_f32 v5, vcc_lo, 1.0, v2, 1.0
	v_mul_f32_e32 v6, v5, v4
	v_fma_f32 v9, -v3, v6, v5
	v_fmac_f32_e32 v6, v9, v4
	v_fma_f32 v3, -v3, v6, v5
	v_div_fmas_f32 v3, v3, v4, v6
	v_div_fixup_f32 v2, v3, v2, 1.0
	v_fmaak_f32 v3, 0, v2, 0x3daaaaab
	v_fmaak_f32 v3, v2, v3, 0xbcaccacd
	;; [unrolled: 1-line block ×7, first 2 shown]
	v_mul_f32_e32 v2, v2, v3
.LBB27_467:
	s_or_b32 exec_lo, exec_lo, s0
	v_cmp_gt_f32_e32 vcc_lo, 0x800000, v8
	v_div_scale_f32 v3, null, v8, v8, -0.5
	v_div_scale_f32 v9, s0, -0.5, v8, -0.5
	v_cndmask_b32_e64 v4, 0, 32, vcc_lo
	v_rcp_f32_e32 v5, v3
	v_ldexp_f32 v4, v8, v4
	v_log_f32_e32 v4, v4
	v_fma_f32 v6, -v3, v5, 1.0
	v_fmac_f32_e32 v5, v6, v5
	v_mul_f32_e32 v6, 0x3f317217, v4
	v_mul_f32_e32 v10, v9, v5
	v_cmp_gt_f32_e64 s1, 0x7f800000, |v4|
	v_fma_f32 v6, 0x3f317217, v4, -v6
	v_fma_f32 v11, -v3, v10, v9
	v_fmamk_f32 v6, v4, 0x3377d1cf, v6
	v_fmac_f32_e32 v10, v11, v5
	v_fmac_f32_e32 v6, 0x3f317217, v4
	v_fma_f32 v3, -v3, v10, v9
	v_cndmask_b32_e64 v4, v4, v6, s1
	v_cndmask_b32_e64 v6, 0, 0x41b17218, vcc_lo
	s_mov_b32 vcc_lo, s0
	v_div_fmas_f32 v3, v3, v5, v10
	v_sub_f32_e32 v4, v4, v6
	v_div_fixup_f32 v3, v3, v8, -0.5
	v_add_f32_e32 v3, v4, v3
	v_sub_f32_e32 v2, v3, v2
	v_add_f32_e32 v1, v1, v2
	v_cvt_f16_f32_e32 v2, v1
                                        ; implicit-def: $vgpr1
.LBB27_468:
	s_andn2_saveexec_b32 s0, s31
; %bb.469:
	v_add_f32_e32 v1, 0x40101cb7, v1
	v_cvt_f16_f32_e32 v2, v1
; %bb.470:
	s_or_b32 exec_lo, exec_lo, s0
.LBB27_471:
	s_or_b32 exec_lo, exec_lo, s21
                                        ; implicit-def: $vgpr8
.LBB27_472:
	s_andn2_saveexec_b32 s0, s20
; %bb.473:
	v_xor_b32_e32 v1, 0x80000000, v8
	s_movk_i32 s1, 0x7c00
	v_lshrrev_b32_e32 v1, 16, v1
	v_bfi_b32 v2, 0x7fff, s1, v1
; %bb.474:
	s_or_b32 exec_lo, exec_lo, s0
	v_add_nc_u32_e32 v7, 0x80, v7
	global_store_short v0, v2, s[4:5]
	s_or_b32 exec_lo, exec_lo, s30
	s_mov_b32 s30, exec_lo
	v_cmpx_gt_i32_e64 s27, v7
	s_cbranch_execnz .LBB27_436
.LBB27_475:
	s_or_b32 exec_lo, exec_lo, s30
	s_mov_b32 s30, exec_lo
	v_cmpx_gt_i32_e64 s27, v7
	s_cbranch_execz .LBB27_515
.LBB27_476:
	s_andn2_b32 vcc_lo, exec_lo, s24
	s_cbranch_vccnz .LBB27_481
; %bb.477:
	s_andn2_b32 vcc_lo, exec_lo, s29
	s_cbranch_vccnz .LBB27_482
; %bb.478:
	s_add_i32 s33, s28, 1
	s_cmp_eq_u32 s23, 2
	s_cbranch_scc1 .LBB27_523
; %bb.479:
	v_mov_b32_e32 v2, 0
	v_mov_b32_e32 v0, 0
	;; [unrolled: 1-line block ×3, first 2 shown]
	s_and_b32 s31, s33, 28
	s_mov_b32 s34, 0
	s_mov_b64 s[0:1], s[2:3]
	s_mov_b64 s[20:21], s[18:19]
.LBB27_480:                             ; =>This Inner Loop Header: Depth=1
	s_clause 0x1
	s_load_dwordx8 s[36:43], s[0:1], 0x4
	s_load_dwordx4 s[52:55], s[0:1], 0x24
	s_load_dwordx8 s[44:51], s[20:21], 0x0
	s_add_u32 s0, s0, 48
	s_addc_u32 s1, s1, 0
	s_add_i32 s34, s34, 4
	s_add_u32 s20, s20, 32
	s_addc_u32 s21, s21, 0
	s_cmp_eq_u32 s31, s34
	s_waitcnt lgkmcnt(0)
	v_mul_hi_u32 v3, s37, v1
	v_add_nc_u32_e32 v3, v1, v3
	v_lshrrev_b32_e32 v3, s38, v3
	v_mul_hi_u32 v4, s40, v3
	v_mul_lo_u32 v6, v3, s36
	v_add_nc_u32_e32 v4, v3, v4
	v_sub_nc_u32_e32 v1, v1, v6
	v_lshrrev_b32_e32 v4, s41, v4
	v_mul_lo_u32 v6, v1, s44
	v_mul_lo_u32 v9, v1, s45
	v_mul_hi_u32 v5, s43, v4
	v_add_nc_u32_e32 v5, v4, v5
	v_lshrrev_b32_e32 v5, s52, v5
	v_mul_hi_u32 v8, s54, v5
	v_mul_lo_u32 v10, v5, s42
	v_add_nc_u32_e32 v1, v5, v8
	v_mul_lo_u32 v8, v4, s39
	v_sub_nc_u32_e32 v4, v4, v10
	v_lshrrev_b32_e32 v1, s55, v1
	v_mul_lo_u32 v10, v4, s48
	v_mul_lo_u32 v4, v4, s49
	v_sub_nc_u32_e32 v3, v3, v8
	v_mul_lo_u32 v11, v1, s53
	v_mul_lo_u32 v8, v3, s46
	v_mul_lo_u32 v3, v3, s47
	v_sub_nc_u32_e32 v5, v5, v11
	v_add3_u32 v0, v6, v0, v8
	v_mul_lo_u32 v11, v5, s50
	v_mul_lo_u32 v5, v5, s51
	v_add3_u32 v2, v9, v2, v3
	v_add3_u32 v0, v10, v0, v11
	;; [unrolled: 1-line block ×3, first 2 shown]
	s_cbranch_scc0 .LBB27_480
	s_branch .LBB27_524
.LBB27_481:
                                        ; implicit-def: $vgpr0
                                        ; implicit-def: $vgpr2
	s_branch .LBB27_528
.LBB27_482:
	v_mov_b32_e32 v0, 0
	v_mov_b32_e32 v2, 0
	s_branch .LBB27_527
.LBB27_483:
	v_mov_b32_e32 v0, 0
	v_mov_b32_e32 v2, 0
	;; [unrolled: 1-line block ×3, first 2 shown]
	s_mov_b32 s31, 0
.LBB27_484:
	s_and_b32 s33, s33, 3
	s_cmp_eq_u32 s33, 0
	s_cbranch_scc1 .LBB27_487
; %bb.485:
	s_lshl_b32 s0, s31, 3
	s_mul_i32 s20, s31, 12
	s_add_u32 s0, s2, s0
	s_addc_u32 s1, s3, 0
	s_add_u32 s0, s0, 0xc4
	s_addc_u32 s1, s1, 0
	;; [unrolled: 2-line block ×3, first 2 shown]
	.p2align	6
.LBB27_486:                             ; =>This Inner Loop Header: Depth=1
	s_clause 0x1
	s_load_dwordx2 s[34:35], s[20:21], 0x4
	s_load_dword s31, s[20:21], 0xc
	s_load_dwordx2 s[36:37], s[0:1], 0x0
	s_add_u32 s20, s20, 12
	s_addc_u32 s21, s21, 0
	s_add_u32 s0, s0, 8
	s_addc_u32 s1, s1, 0
	s_add_i32 s33, s33, -1
	s_cmp_lg_u32 s33, 0
	s_waitcnt lgkmcnt(0)
	v_mul_hi_u32 v3, s35, v1
	v_add_nc_u32_e32 v3, v1, v3
	v_lshrrev_b32_e32 v4, s31, v3
	v_mul_lo_u32 v3, v4, s34
	v_sub_nc_u32_e32 v3, v1, v3
	v_mad_u64_u32 v[0:1], null, v3, s36, v[0:1]
	v_mad_u64_u32 v[2:3], null, v3, s37, v[2:3]
	v_mov_b32_e32 v1, v4
	s_cbranch_scc1 .LBB27_486
.LBB27_487:
	s_cbranch_execnz .LBB27_490
.LBB27_488:
	s_waitcnt lgkmcnt(0)
	v_mul_hi_u32 v0, s13, v7
	s_andn2_b32 vcc_lo, exec_lo, s26
	v_add_nc_u32_e32 v0, v7, v0
	v_lshrrev_b32_e32 v1, s14, v0
	v_mul_lo_u32 v0, v1, s12
	v_sub_nc_u32_e32 v2, v7, v0
	v_mul_lo_u32 v0, v2, s8
	v_mul_lo_u32 v2, v2, s9
	s_cbranch_vccnz .LBB27_490
; %bb.489:
	v_mul_hi_u32 v3, s16, v1
	v_add_nc_u32_e32 v3, v1, v3
	v_lshrrev_b32_e32 v3, s17, v3
	v_mul_lo_u32 v3, v3, s15
	v_sub_nc_u32_e32 v3, v1, v3
	v_mad_u64_u32 v[0:1], null, v3, s10, v[0:1]
	v_mad_u64_u32 v[2:3], null, v3, s11, v[2:3]
.LBB27_490:
	s_waitcnt lgkmcnt(0)
	global_load_ushort v3, v2, s[6:7]
                                        ; implicit-def: $vgpr2
	s_mov_b32 s0, exec_lo
	s_waitcnt vmcnt(0)
	v_cvt_f32_f16_e32 v8, v3
	v_cmpx_neq_f16_e32 0, v3
	s_xor_b32 s20, exec_lo, s0
	s_cbranch_execz .LBB27_512
; %bb.491:
	v_mov_b32_e32 v1, 0
	s_mov_b32 s0, -1
	s_mov_b32 s21, exec_lo
	v_cmpx_gt_f16_e32 0, v3
	s_cbranch_execz .LBB27_499
; %bb.492:
	v_trunc_f32_e32 v1, v8
	s_mov_b32 s1, 0
	v_cmp_neq_f32_e32 vcc_lo, v1, v8
	v_mov_b32_e32 v1, 0
	s_and_saveexec_b32 s31, vcc_lo
	s_cbranch_execz .LBB27_498
; %bb.493:
	v_cvt_f32_f16_e32 v1, v3
	s_mov_b32 s1, 0xc00921fb
	s_mov_b32 s0, 0x54442d18
	s_mov_b32 s33, exec_lo
                                        ; implicit-def: $vgpr9
                                        ; implicit-def: $vgpr5_vgpr6
	v_cvt_f64_f32_e32 v[1:2], v1
	v_trunc_f64_e32 v[3:4], v[1:2]
	v_cmp_neq_f64_e64 vcc_lo, 0x7ff00000, |v[1:2]|
	v_add_f64 v[3:4], v[1:2], -v[3:4]
	v_mul_f64 v[3:4], |v[3:4]|, s[0:1]
	v_cndmask_b32_e32 v2, 0x80000000, v4, vcc_lo
	v_cndmask_b32_e32 v1, 0, v3, vcc_lo
                                        ; implicit-def: $vgpr3_vgpr4
	v_cmpx_ngt_f64_e64 0x41d00000, |v[1:2]|
	s_xor_b32 s33, exec_lo, s33
	s_cbranch_execz .LBB27_495
; %bb.494:
	v_ldexp_f64 v[3:4], |v[1:2]|, 0xffffff80
	v_cmp_le_f64_e64 vcc_lo, 0x7b000000, |v[1:2]|
	v_trig_preop_f64 v[5:6], |v[1:2]|, 0
	v_and_b32_e32 v9, 0x7fffffff, v2
	v_trig_preop_f64 v[19:20], |v[1:2]|, 2
	v_mov_b32_e32 v27, 0
	s_mov_b32 s1, 0x3ff921fb
	s_mov_b32 s34, 0x33145c07
	;; [unrolled: 1-line block ×3, first 2 shown]
	v_cndmask_b32_e32 v4, v9, v4, vcc_lo
	v_cndmask_b32_e32 v3, v1, v3, vcc_lo
	v_trig_preop_f64 v[9:10], |v[1:2]|, 1
	v_mul_f64 v[11:12], v[5:6], v[3:4]
	v_mul_f64 v[25:26], v[19:20], v[3:4]
	;; [unrolled: 1-line block ×3, first 2 shown]
	v_fma_f64 v[5:6], v[5:6], v[3:4], -v[11:12]
	v_fma_f64 v[9:10], v[9:10], v[3:4], -v[13:14]
	;; [unrolled: 1-line block ×3, first 2 shown]
	v_add_f64 v[15:16], v[13:14], v[5:6]
	v_add_f64 v[17:18], v[15:16], -v[13:14]
	v_add_f64 v[23:24], v[11:12], v[15:16]
	v_add_f64 v[21:22], v[15:16], -v[17:18]
	v_add_f64 v[5:6], v[5:6], -v[17:18]
	v_ldexp_f64 v[17:18], v[23:24], -2
	v_add_f64 v[11:12], v[23:24], -v[11:12]
	v_add_f64 v[13:14], v[13:14], -v[21:22]
	v_add_f64 v[21:22], v[25:26], v[9:10]
	v_cmp_neq_f64_e64 vcc_lo, 0x7ff00000, |v[17:18]|
	v_add_f64 v[11:12], v[15:16], -v[11:12]
	v_add_f64 v[5:6], v[5:6], v[13:14]
	v_fract_f64_e32 v[13:14], v[17:18]
	v_add_f64 v[15:16], v[21:22], v[5:6]
	v_ldexp_f64 v[13:14], v[13:14], 2
	v_add_f64 v[17:18], v[11:12], v[15:16]
	v_cndmask_b32_e32 v14, 0, v14, vcc_lo
	v_cndmask_b32_e32 v13, 0, v13, vcc_lo
	v_add_f64 v[23:24], v[17:18], v[13:14]
	v_add_f64 v[11:12], v[17:18], -v[11:12]
	v_cmp_gt_f64_e32 vcc_lo, 0, v[23:24]
	v_add_f64 v[23:24], v[21:22], -v[25:26]
	v_cndmask_b32_e64 v28, 0, 0x40100000, vcc_lo
	v_add_f64 v[32:33], v[21:22], -v[23:24]
	v_add_f64 v[9:10], v[9:10], -v[23:24]
	v_add_f64 v[13:14], v[13:14], v[27:28]
	v_add_f64 v[28:29], v[15:16], -v[21:22]
	v_add_f64 v[23:24], v[25:26], -v[32:33]
	v_add_f64 v[30:31], v[17:18], v[13:14]
	v_add_f64 v[34:35], v[15:16], -v[28:29]
	v_add_f64 v[5:6], v[5:6], -v[28:29]
	v_add_f64 v[9:10], v[9:10], v[23:24]
	v_cvt_i32_f64_e32 v30, v[30:31]
	v_add_f64 v[21:22], v[21:22], -v[34:35]
	v_cvt_f64_i32_e32 v[28:29], v30
	v_add_f64 v[5:6], v[5:6], v[21:22]
	v_add_f64 v[13:14], v[13:14], -v[28:29]
	v_add_f64 v[5:6], v[9:10], v[5:6]
	v_add_f64 v[9:10], v[15:16], -v[11:12]
	v_add_f64 v[19:20], v[17:18], v[13:14]
	v_add_f64 v[3:4], v[3:4], v[5:6]
	v_add_f64 v[5:6], v[19:20], -v[13:14]
	v_cmp_le_f64_e32 vcc_lo, 0.5, v[19:20]
	v_add_f64 v[3:4], v[9:10], v[3:4]
	v_add_f64 v[5:6], v[17:18], -v[5:6]
	v_cndmask_b32_e64 v28, 0, 0x3ff00000, vcc_lo
	v_add_co_ci_u32_e64 v9, null, 0, v30, vcc_lo
	v_add_f64 v[3:4], v[3:4], v[5:6]
	v_add_f64 v[5:6], v[19:20], -v[27:28]
	v_add_f64 v[10:11], v[5:6], v[3:4]
	v_mul_f64 v[12:13], v[10:11], s[0:1]
	v_add_f64 v[5:6], v[10:11], -v[5:6]
	v_fma_f64 v[14:15], v[10:11], s[0:1], -v[12:13]
	v_add_f64 v[3:4], v[3:4], -v[5:6]
	v_fma_f64 v[5:6], v[10:11], s[34:35], v[14:15]
	v_fma_f64 v[5:6], v[3:4], s[0:1], v[5:6]
	v_add_f64 v[3:4], v[12:13], v[5:6]
	v_add_f64 v[10:11], v[3:4], -v[12:13]
	v_add_f64 v[5:6], v[5:6], -v[10:11]
.LBB27_495:
	s_andn2_saveexec_b32 s0, s33
	s_cbranch_execz .LBB27_497
; %bb.496:
	s_mov_b32 s34, 0x6dc9c883
	s_mov_b32 s35, 0x3fe45f30
	;; [unrolled: 1-line block ×3, first 2 shown]
	v_mul_f64 v[3:4], |v[1:2]|, s[34:35]
	s_mov_b32 s34, 0x54442d18
	s_mov_b32 s35, 0xbff921fb
	;; [unrolled: 1-line block ×3, first 2 shown]
	v_rndne_f64_e32 v[9:10], v[3:4]
	v_fma_f64 v[3:4], v[9:10], s[34:35], |v[1:2]|
	v_mul_f64 v[5:6], v[9:10], s[36:37]
	s_mov_b32 s34, 0x252049c0
	s_mov_b32 s35, 0xb97b839a
	v_fma_f64 v[13:14], v[9:10], s[36:37], v[3:4]
	v_add_f64 v[11:12], v[3:4], v[5:6]
	s_mov_b32 s37, 0x3c91a626
	v_add_f64 v[3:4], v[3:4], -v[11:12]
	v_add_f64 v[11:12], v[11:12], -v[13:14]
	v_add_f64 v[3:4], v[3:4], v[5:6]
	v_fma_f64 v[5:6], v[9:10], s[36:37], v[5:6]
	v_add_f64 v[3:4], v[11:12], v[3:4]
	v_add_f64 v[3:4], v[3:4], -v[5:6]
	v_fma_f64 v[5:6], v[9:10], s[34:35], v[3:4]
	v_cvt_i32_f64_e32 v9, v[9:10]
	v_add_f64 v[3:4], v[13:14], v[5:6]
	v_add_f64 v[11:12], v[3:4], -v[13:14]
	v_add_f64 v[5:6], v[5:6], -v[11:12]
.LBB27_497:
	s_or_b32 exec_lo, exec_lo, s0
	v_mul_f64 v[10:11], v[3:4], v[3:4]
	v_add_f64 v[12:13], v[5:6], v[5:6]
	s_mov_b32 s34, 0xa9a29f71
	s_mov_b32 s36, 0xc751c08c
	;; [unrolled: 1-line block ×4, first 2 shown]
	v_cmp_class_f64_e64 s0, v[1:2], 0x1f8
	v_and_b32_e32 v9, 1, v9
	v_and_b32_e32 v2, 0x80000000, v2
	v_sub_f32_e32 v8, 1.0, v8
	s_mov_b32 s1, exec_lo
	v_cmp_eq_u32_e32 vcc_lo, 0, v9
	v_fma_f64 v[14:15], v[3:4], v[3:4], -v[10:11]
	v_fma_f64 v[12:13], v[3:4], v[12:13], v[14:15]
	v_add_f64 v[10:11], v[10:11], v[12:13]
	v_fma_f64 v[12:13], v[10:11], s[36:37], s[34:35]
	s_mov_b32 s34, 0x90a8aae0
	s_mov_b32 s35, 0x3f17746f
	v_fma_f64 v[12:13], v[10:11], v[12:13], s[34:35]
	s_mov_b32 s34, 0xa6fbf144
	s_mov_b32 s35, 0xbefbb44d
	;; [unrolled: 3-line block ×13, first 2 shown]
	v_mul_f64 v[10:11], v[10:11], v[12:13]
	v_mul_f64 v[12:13], v[3:4], v[10:11]
	v_add_f64 v[14:15], v[3:4], v[12:13]
	v_fma_f64 v[10:11], v[3:4], v[10:11], -v[12:13]
	v_add_f64 v[3:4], v[14:15], -v[3:4]
	v_add_f64 v[5:6], v[5:6], v[10:11]
	v_add_f64 v[3:4], v[12:13], -v[3:4]
	v_add_f64 v[3:4], v[5:6], v[3:4]
	v_add_f64 v[5:6], v[14:15], v[3:4]
	v_rcp_f64_e32 v[10:11], v[5:6]
	v_fma_f64 v[12:13], -v[5:6], v[10:11], 1.0
	v_fma_f64 v[10:11], v[12:13], v[10:11], v[10:11]
	v_fma_f64 v[12:13], -v[5:6], v[10:11], 1.0
	v_fma_f64 v[10:11], v[12:13], v[10:11], v[10:11]
	v_add_f64 v[12:13], v[5:6], -v[14:15]
	v_mul_f64 v[14:15], v[5:6], v[10:11]
	v_add_f64 v[3:4], v[3:4], -v[12:13]
	v_fma_f64 v[12:13], v[10:11], v[5:6], -v[14:15]
	v_fma_f64 v[3:4], v[10:11], v[3:4], v[12:13]
	v_add_f64 v[12:13], v[14:15], v[3:4]
	v_add_f64 v[16:17], -v[12:13], 1.0
	v_add_f64 v[14:15], v[12:13], -v[14:15]
	v_add_f64 v[18:19], -v[16:17], 1.0
	v_add_f64 v[3:4], v[14:15], -v[3:4]
	v_add_f64 v[12:13], v[18:19], -v[12:13]
	v_add_f64 v[3:4], v[3:4], v[12:13]
	v_add_f64 v[3:4], v[16:17], v[3:4]
	v_mul_f64 v[3:4], v[10:11], v[3:4]
	v_add_f64 v[3:4], v[10:11], v[3:4]
	v_xor_b32_e32 v1, 0x80000000, v4
	v_cndmask_b32_e32 v3, v3, v5, vcc_lo
	v_cndmask_b32_e32 v1, v1, v6, vcc_lo
	v_xor_b32_e32 v2, v1, v2
	v_cndmask_b32_e64 v1, 0, v3, s0
	v_cndmask_b32_e64 v2, 0x7ff80000, v2, s0
	v_div_scale_f64 v[3:4], null, v[1:2], v[1:2], s[34:35]
	v_rcp_f64_e32 v[5:6], v[3:4]
	v_fma_f64 v[9:10], -v[3:4], v[5:6], 1.0
	v_fma_f64 v[5:6], v[5:6], v[9:10], v[5:6]
	v_fma_f64 v[9:10], -v[3:4], v[5:6], 1.0
	v_fma_f64 v[5:6], v[5:6], v[9:10], v[5:6]
	v_div_scale_f64 v[9:10], vcc_lo, s[34:35], v[1:2], s[34:35]
	v_mul_f64 v[11:12], v[9:10], v[5:6]
	v_fma_f64 v[3:4], -v[3:4], v[11:12], v[9:10]
	v_div_fmas_f64 v[3:4], v[3:4], v[5:6], v[11:12]
	v_div_fixup_f64 v[1:2], v[3:4], v[1:2], s[34:35]
	v_cvt_f32_f64_e32 v1, v[1:2]
.LBB27_498:
	s_or_b32 exec_lo, exec_lo, s31
	s_orn2_b32 s0, s1, exec_lo
.LBB27_499:
	s_or_b32 exec_lo, exec_lo, s21
	v_mov_b32_e32 v2, 0x7e00
	s_and_saveexec_b32 s21, s0
	s_cbranch_execz .LBB27_511
; %bb.500:
	s_mov_b32 s0, exec_lo
	v_cmpx_gt_f32_e32 0x41200000, v8
	s_cbranch_execz .LBB27_504
; %bb.501:
	s_mov_b32 s1, 0
	.p2align	6
.LBB27_502:                             ; =>This Inner Loop Header: Depth=1
	v_div_scale_f32 v2, null, v8, v8, 1.0
	v_div_scale_f32 v5, vcc_lo, 1.0, v8, 1.0
	v_rcp_f32_e32 v3, v2
	v_fma_f32 v4, -v2, v3, 1.0
	v_fmac_f32_e32 v3, v4, v3
	v_mul_f32_e32 v4, v5, v3
	v_fma_f32 v6, -v2, v4, v5
	v_fmac_f32_e32 v4, v6, v3
	v_fma_f32 v2, -v2, v4, v5
	v_div_fmas_f32 v2, v2, v3, v4
	v_div_fixup_f32 v2, v2, v8, 1.0
	v_add_f32_e32 v8, 1.0, v8
	v_sub_f32_e32 v1, v1, v2
	v_cmp_ngt_f32_e32 vcc_lo, 0x41200000, v8
	s_or_b32 s1, vcc_lo, s1
	s_andn2_b32 exec_lo, exec_lo, s1
	s_cbranch_execnz .LBB27_502
; %bb.503:
	s_or_b32 exec_lo, exec_lo, s1
.LBB27_504:
	s_or_b32 exec_lo, exec_lo, s0
                                        ; implicit-def: $vgpr2
	s_mov_b32 s0, exec_lo
	v_cmpx_neq_f32_e32 0x41200000, v8
	s_xor_b32 s31, exec_lo, s0
	s_cbranch_execz .LBB27_508
; %bb.505:
	v_cvt_f64_f32_e32 v[2:3], v8
	s_mov_b32 s0, 0x85d8a000
	s_mov_b32 s1, 0x43763457
	v_cmp_gt_f64_e32 vcc_lo, s[0:1], v[2:3]
	v_mov_b32_e32 v2, 0
	s_and_saveexec_b32 s0, vcc_lo
	s_cbranch_execz .LBB27_507
; %bb.506:
	v_mul_f32_e32 v2, v8, v8
	v_div_scale_f32 v3, null, v2, v2, 1.0
	v_rcp_f32_e32 v4, v3
	v_fma_f32 v5, -v3, v4, 1.0
	v_fmac_f32_e32 v4, v5, v4
	v_div_scale_f32 v5, vcc_lo, 1.0, v2, 1.0
	v_mul_f32_e32 v6, v5, v4
	v_fma_f32 v9, -v3, v6, v5
	v_fmac_f32_e32 v6, v9, v4
	v_fma_f32 v3, -v3, v6, v5
	v_div_fmas_f32 v3, v3, v4, v6
	v_div_fixup_f32 v2, v3, v2, 1.0
	v_fmaak_f32 v3, 0, v2, 0x3daaaaab
	v_fmaak_f32 v3, v2, v3, 0xbcaccacd
	;; [unrolled: 1-line block ×7, first 2 shown]
	v_mul_f32_e32 v2, v2, v3
.LBB27_507:
	s_or_b32 exec_lo, exec_lo, s0
	v_cmp_gt_f32_e32 vcc_lo, 0x800000, v8
	v_div_scale_f32 v3, null, v8, v8, -0.5
	v_div_scale_f32 v9, s0, -0.5, v8, -0.5
	v_cndmask_b32_e64 v4, 0, 32, vcc_lo
	v_rcp_f32_e32 v5, v3
	v_ldexp_f32 v4, v8, v4
	v_log_f32_e32 v4, v4
	v_fma_f32 v6, -v3, v5, 1.0
	v_fmac_f32_e32 v5, v6, v5
	v_mul_f32_e32 v6, 0x3f317217, v4
	v_mul_f32_e32 v10, v9, v5
	v_cmp_gt_f32_e64 s1, 0x7f800000, |v4|
	v_fma_f32 v6, 0x3f317217, v4, -v6
	v_fma_f32 v11, -v3, v10, v9
	v_fmamk_f32 v6, v4, 0x3377d1cf, v6
	v_fmac_f32_e32 v10, v11, v5
	v_fmac_f32_e32 v6, 0x3f317217, v4
	v_fma_f32 v3, -v3, v10, v9
	v_cndmask_b32_e64 v4, v4, v6, s1
	v_cndmask_b32_e64 v6, 0, 0x41b17218, vcc_lo
	s_mov_b32 vcc_lo, s0
	v_div_fmas_f32 v3, v3, v5, v10
	v_sub_f32_e32 v4, v4, v6
	v_div_fixup_f32 v3, v3, v8, -0.5
	v_add_f32_e32 v3, v4, v3
	v_sub_f32_e32 v2, v3, v2
	v_add_f32_e32 v1, v1, v2
	v_cvt_f16_f32_e32 v2, v1
                                        ; implicit-def: $vgpr1
.LBB27_508:
	s_andn2_saveexec_b32 s0, s31
; %bb.509:
	v_add_f32_e32 v1, 0x40101cb7, v1
	v_cvt_f16_f32_e32 v2, v1
; %bb.510:
	s_or_b32 exec_lo, exec_lo, s0
.LBB27_511:
	s_or_b32 exec_lo, exec_lo, s21
                                        ; implicit-def: $vgpr8
.LBB27_512:
	s_andn2_saveexec_b32 s0, s20
; %bb.513:
	v_xor_b32_e32 v1, 0x80000000, v8
	s_movk_i32 s1, 0x7c00
	v_lshrrev_b32_e32 v1, 16, v1
	v_bfi_b32 v2, 0x7fff, s1, v1
; %bb.514:
	s_or_b32 exec_lo, exec_lo, s0
	v_add_nc_u32_e32 v7, 0x80, v7
	global_store_short v0, v2, s[4:5]
	s_or_b32 exec_lo, exec_lo, s30
	s_mov_b32 s30, exec_lo
	v_cmpx_gt_i32_e64 s27, v7
	s_cbranch_execnz .LBB27_476
.LBB27_515:
	s_or_b32 exec_lo, exec_lo, s30
	s_mov_b32 s30, exec_lo
	v_cmpx_gt_i32_e64 s27, v7
	s_cbranch_execz .LBB27_555
.LBB27_516:
	s_andn2_b32 vcc_lo, exec_lo, s24
	s_cbranch_vccnz .LBB27_521
; %bb.517:
	s_andn2_b32 vcc_lo, exec_lo, s29
	s_cbranch_vccnz .LBB27_522
; %bb.518:
	s_add_i32 s33, s28, 1
	s_cmp_eq_u32 s23, 2
	s_cbranch_scc1 .LBB27_558
; %bb.519:
	v_mov_b32_e32 v2, 0
	v_mov_b32_e32 v0, 0
	;; [unrolled: 1-line block ×3, first 2 shown]
	s_and_b32 s31, s33, 28
	s_mov_b32 s34, 0
	s_mov_b64 s[0:1], s[2:3]
	s_mov_b64 s[20:21], s[18:19]
.LBB27_520:                             ; =>This Inner Loop Header: Depth=1
	s_clause 0x1
	s_load_dwordx8 s[36:43], s[0:1], 0x4
	s_load_dwordx4 s[52:55], s[0:1], 0x24
	s_load_dwordx8 s[44:51], s[20:21], 0x0
	s_add_u32 s0, s0, 48
	s_addc_u32 s1, s1, 0
	s_add_i32 s34, s34, 4
	s_add_u32 s20, s20, 32
	s_addc_u32 s21, s21, 0
	s_cmp_eq_u32 s31, s34
	s_waitcnt lgkmcnt(0)
	v_mul_hi_u32 v3, s37, v1
	v_add_nc_u32_e32 v3, v1, v3
	v_lshrrev_b32_e32 v3, s38, v3
	v_mul_hi_u32 v4, s40, v3
	v_mul_lo_u32 v6, v3, s36
	v_add_nc_u32_e32 v4, v3, v4
	v_sub_nc_u32_e32 v1, v1, v6
	v_lshrrev_b32_e32 v4, s41, v4
	v_mul_lo_u32 v6, v1, s44
	v_mul_lo_u32 v9, v1, s45
	v_mul_hi_u32 v5, s43, v4
	v_add_nc_u32_e32 v5, v4, v5
	v_lshrrev_b32_e32 v5, s52, v5
	v_mul_hi_u32 v8, s54, v5
	v_mul_lo_u32 v10, v5, s42
	v_add_nc_u32_e32 v1, v5, v8
	v_mul_lo_u32 v8, v4, s39
	v_sub_nc_u32_e32 v4, v4, v10
	v_lshrrev_b32_e32 v1, s55, v1
	v_mul_lo_u32 v10, v4, s48
	v_mul_lo_u32 v4, v4, s49
	v_sub_nc_u32_e32 v3, v3, v8
	v_mul_lo_u32 v11, v1, s53
	v_mul_lo_u32 v8, v3, s46
	;; [unrolled: 1-line block ×3, first 2 shown]
	v_sub_nc_u32_e32 v5, v5, v11
	v_add3_u32 v0, v6, v0, v8
	v_mul_lo_u32 v11, v5, s50
	v_mul_lo_u32 v5, v5, s51
	v_add3_u32 v2, v9, v2, v3
	v_add3_u32 v0, v10, v0, v11
	;; [unrolled: 1-line block ×3, first 2 shown]
	s_cbranch_scc0 .LBB27_520
	s_branch .LBB27_559
.LBB27_521:
                                        ; implicit-def: $vgpr0
                                        ; implicit-def: $vgpr2
	s_branch .LBB27_563
.LBB27_522:
	v_mov_b32_e32 v0, 0
	v_mov_b32_e32 v2, 0
	s_branch .LBB27_562
.LBB27_523:
	v_mov_b32_e32 v0, 0
	v_mov_b32_e32 v2, 0
	v_mov_b32_e32 v1, v7
	s_mov_b32 s31, 0
.LBB27_524:
	s_and_b32 s33, s33, 3
	s_cmp_eq_u32 s33, 0
	s_cbranch_scc1 .LBB27_527
; %bb.525:
	s_lshl_b32 s0, s31, 3
	s_mul_i32 s20, s31, 12
	s_add_u32 s0, s2, s0
	s_addc_u32 s1, s3, 0
	s_add_u32 s0, s0, 0xc4
	s_addc_u32 s1, s1, 0
	;; [unrolled: 2-line block ×3, first 2 shown]
	.p2align	6
.LBB27_526:                             ; =>This Inner Loop Header: Depth=1
	s_clause 0x1
	s_load_dwordx2 s[34:35], s[20:21], 0x4
	s_load_dword s31, s[20:21], 0xc
	s_load_dwordx2 s[36:37], s[0:1], 0x0
	s_add_u32 s20, s20, 12
	s_addc_u32 s21, s21, 0
	s_add_u32 s0, s0, 8
	s_addc_u32 s1, s1, 0
	s_add_i32 s33, s33, -1
	s_cmp_lg_u32 s33, 0
	s_waitcnt lgkmcnt(0)
	v_mul_hi_u32 v3, s35, v1
	v_add_nc_u32_e32 v3, v1, v3
	v_lshrrev_b32_e32 v4, s31, v3
	v_mul_lo_u32 v3, v4, s34
	v_sub_nc_u32_e32 v3, v1, v3
	v_mad_u64_u32 v[0:1], null, v3, s36, v[0:1]
	v_mad_u64_u32 v[2:3], null, v3, s37, v[2:3]
	v_mov_b32_e32 v1, v4
	s_cbranch_scc1 .LBB27_526
.LBB27_527:
	s_cbranch_execnz .LBB27_530
.LBB27_528:
	s_waitcnt lgkmcnt(0)
	v_mul_hi_u32 v0, s13, v7
	s_andn2_b32 vcc_lo, exec_lo, s26
	v_add_nc_u32_e32 v0, v7, v0
	v_lshrrev_b32_e32 v1, s14, v0
	v_mul_lo_u32 v0, v1, s12
	v_sub_nc_u32_e32 v2, v7, v0
	v_mul_lo_u32 v0, v2, s8
	v_mul_lo_u32 v2, v2, s9
	s_cbranch_vccnz .LBB27_530
; %bb.529:
	v_mul_hi_u32 v3, s16, v1
	v_add_nc_u32_e32 v3, v1, v3
	v_lshrrev_b32_e32 v3, s17, v3
	v_mul_lo_u32 v3, v3, s15
	v_sub_nc_u32_e32 v3, v1, v3
	v_mad_u64_u32 v[0:1], null, v3, s10, v[0:1]
	v_mad_u64_u32 v[2:3], null, v3, s11, v[2:3]
.LBB27_530:
	s_waitcnt lgkmcnt(0)
	global_load_ushort v3, v2, s[6:7]
                                        ; implicit-def: $vgpr2
	s_mov_b32 s0, exec_lo
	s_waitcnt vmcnt(0)
	v_cvt_f32_f16_e32 v8, v3
	v_cmpx_neq_f16_e32 0, v3
	s_xor_b32 s20, exec_lo, s0
	s_cbranch_execz .LBB27_552
; %bb.531:
	v_mov_b32_e32 v1, 0
	s_mov_b32 s0, -1
	s_mov_b32 s21, exec_lo
	v_cmpx_gt_f16_e32 0, v3
	s_cbranch_execz .LBB27_539
; %bb.532:
	v_trunc_f32_e32 v1, v8
	s_mov_b32 s1, 0
	v_cmp_neq_f32_e32 vcc_lo, v1, v8
	v_mov_b32_e32 v1, 0
	s_and_saveexec_b32 s31, vcc_lo
	s_cbranch_execz .LBB27_538
; %bb.533:
	v_cvt_f32_f16_e32 v1, v3
	s_mov_b32 s1, 0xc00921fb
	s_mov_b32 s0, 0x54442d18
	s_mov_b32 s33, exec_lo
                                        ; implicit-def: $vgpr9
                                        ; implicit-def: $vgpr5_vgpr6
	v_cvt_f64_f32_e32 v[1:2], v1
	v_trunc_f64_e32 v[3:4], v[1:2]
	v_cmp_neq_f64_e64 vcc_lo, 0x7ff00000, |v[1:2]|
	v_add_f64 v[3:4], v[1:2], -v[3:4]
	v_mul_f64 v[3:4], |v[3:4]|, s[0:1]
	v_cndmask_b32_e32 v2, 0x80000000, v4, vcc_lo
	v_cndmask_b32_e32 v1, 0, v3, vcc_lo
                                        ; implicit-def: $vgpr3_vgpr4
	v_cmpx_ngt_f64_e64 0x41d00000, |v[1:2]|
	s_xor_b32 s33, exec_lo, s33
	s_cbranch_execz .LBB27_535
; %bb.534:
	v_ldexp_f64 v[3:4], |v[1:2]|, 0xffffff80
	v_cmp_le_f64_e64 vcc_lo, 0x7b000000, |v[1:2]|
	v_trig_preop_f64 v[5:6], |v[1:2]|, 0
	v_and_b32_e32 v9, 0x7fffffff, v2
	v_trig_preop_f64 v[19:20], |v[1:2]|, 2
	v_mov_b32_e32 v27, 0
	s_mov_b32 s1, 0x3ff921fb
	s_mov_b32 s34, 0x33145c07
	;; [unrolled: 1-line block ×3, first 2 shown]
	v_cndmask_b32_e32 v4, v9, v4, vcc_lo
	v_cndmask_b32_e32 v3, v1, v3, vcc_lo
	v_trig_preop_f64 v[9:10], |v[1:2]|, 1
	v_mul_f64 v[11:12], v[5:6], v[3:4]
	v_mul_f64 v[25:26], v[19:20], v[3:4]
	;; [unrolled: 1-line block ×3, first 2 shown]
	v_fma_f64 v[5:6], v[5:6], v[3:4], -v[11:12]
	v_fma_f64 v[9:10], v[9:10], v[3:4], -v[13:14]
	;; [unrolled: 1-line block ×3, first 2 shown]
	v_add_f64 v[15:16], v[13:14], v[5:6]
	v_add_f64 v[17:18], v[15:16], -v[13:14]
	v_add_f64 v[23:24], v[11:12], v[15:16]
	v_add_f64 v[21:22], v[15:16], -v[17:18]
	v_add_f64 v[5:6], v[5:6], -v[17:18]
	v_ldexp_f64 v[17:18], v[23:24], -2
	v_add_f64 v[11:12], v[23:24], -v[11:12]
	v_add_f64 v[13:14], v[13:14], -v[21:22]
	v_add_f64 v[21:22], v[25:26], v[9:10]
	v_cmp_neq_f64_e64 vcc_lo, 0x7ff00000, |v[17:18]|
	v_add_f64 v[11:12], v[15:16], -v[11:12]
	v_add_f64 v[5:6], v[5:6], v[13:14]
	v_fract_f64_e32 v[13:14], v[17:18]
	v_add_f64 v[15:16], v[21:22], v[5:6]
	v_ldexp_f64 v[13:14], v[13:14], 2
	v_add_f64 v[17:18], v[11:12], v[15:16]
	v_cndmask_b32_e32 v14, 0, v14, vcc_lo
	v_cndmask_b32_e32 v13, 0, v13, vcc_lo
	v_add_f64 v[23:24], v[17:18], v[13:14]
	v_add_f64 v[11:12], v[17:18], -v[11:12]
	v_cmp_gt_f64_e32 vcc_lo, 0, v[23:24]
	v_add_f64 v[23:24], v[21:22], -v[25:26]
	v_cndmask_b32_e64 v28, 0, 0x40100000, vcc_lo
	v_add_f64 v[32:33], v[21:22], -v[23:24]
	v_add_f64 v[9:10], v[9:10], -v[23:24]
	v_add_f64 v[13:14], v[13:14], v[27:28]
	v_add_f64 v[28:29], v[15:16], -v[21:22]
	v_add_f64 v[23:24], v[25:26], -v[32:33]
	v_add_f64 v[30:31], v[17:18], v[13:14]
	v_add_f64 v[34:35], v[15:16], -v[28:29]
	v_add_f64 v[5:6], v[5:6], -v[28:29]
	v_add_f64 v[9:10], v[9:10], v[23:24]
	v_cvt_i32_f64_e32 v30, v[30:31]
	v_add_f64 v[21:22], v[21:22], -v[34:35]
	v_cvt_f64_i32_e32 v[28:29], v30
	v_add_f64 v[5:6], v[5:6], v[21:22]
	v_add_f64 v[13:14], v[13:14], -v[28:29]
	v_add_f64 v[5:6], v[9:10], v[5:6]
	v_add_f64 v[9:10], v[15:16], -v[11:12]
	v_add_f64 v[19:20], v[17:18], v[13:14]
	v_add_f64 v[3:4], v[3:4], v[5:6]
	v_add_f64 v[5:6], v[19:20], -v[13:14]
	v_cmp_le_f64_e32 vcc_lo, 0.5, v[19:20]
	v_add_f64 v[3:4], v[9:10], v[3:4]
	v_add_f64 v[5:6], v[17:18], -v[5:6]
	v_cndmask_b32_e64 v28, 0, 0x3ff00000, vcc_lo
	v_add_co_ci_u32_e64 v9, null, 0, v30, vcc_lo
	v_add_f64 v[3:4], v[3:4], v[5:6]
	v_add_f64 v[5:6], v[19:20], -v[27:28]
	v_add_f64 v[10:11], v[5:6], v[3:4]
	v_mul_f64 v[12:13], v[10:11], s[0:1]
	v_add_f64 v[5:6], v[10:11], -v[5:6]
	v_fma_f64 v[14:15], v[10:11], s[0:1], -v[12:13]
	v_add_f64 v[3:4], v[3:4], -v[5:6]
	v_fma_f64 v[5:6], v[10:11], s[34:35], v[14:15]
	v_fma_f64 v[5:6], v[3:4], s[0:1], v[5:6]
	v_add_f64 v[3:4], v[12:13], v[5:6]
	v_add_f64 v[10:11], v[3:4], -v[12:13]
	v_add_f64 v[5:6], v[5:6], -v[10:11]
.LBB27_535:
	s_andn2_saveexec_b32 s0, s33
	s_cbranch_execz .LBB27_537
; %bb.536:
	s_mov_b32 s34, 0x6dc9c883
	s_mov_b32 s35, 0x3fe45f30
	;; [unrolled: 1-line block ×3, first 2 shown]
	v_mul_f64 v[3:4], |v[1:2]|, s[34:35]
	s_mov_b32 s34, 0x54442d18
	s_mov_b32 s35, 0xbff921fb
	;; [unrolled: 1-line block ×3, first 2 shown]
	v_rndne_f64_e32 v[9:10], v[3:4]
	v_fma_f64 v[3:4], v[9:10], s[34:35], |v[1:2]|
	v_mul_f64 v[5:6], v[9:10], s[36:37]
	s_mov_b32 s34, 0x252049c0
	s_mov_b32 s35, 0xb97b839a
	v_fma_f64 v[13:14], v[9:10], s[36:37], v[3:4]
	v_add_f64 v[11:12], v[3:4], v[5:6]
	s_mov_b32 s37, 0x3c91a626
	v_add_f64 v[3:4], v[3:4], -v[11:12]
	v_add_f64 v[11:12], v[11:12], -v[13:14]
	v_add_f64 v[3:4], v[3:4], v[5:6]
	v_fma_f64 v[5:6], v[9:10], s[36:37], v[5:6]
	v_add_f64 v[3:4], v[11:12], v[3:4]
	v_add_f64 v[3:4], v[3:4], -v[5:6]
	v_fma_f64 v[5:6], v[9:10], s[34:35], v[3:4]
	v_cvt_i32_f64_e32 v9, v[9:10]
	v_add_f64 v[3:4], v[13:14], v[5:6]
	v_add_f64 v[11:12], v[3:4], -v[13:14]
	v_add_f64 v[5:6], v[5:6], -v[11:12]
.LBB27_537:
	s_or_b32 exec_lo, exec_lo, s0
	v_mul_f64 v[10:11], v[3:4], v[3:4]
	v_add_f64 v[12:13], v[5:6], v[5:6]
	s_mov_b32 s34, 0xa9a29f71
	s_mov_b32 s36, 0xc751c08c
	;; [unrolled: 1-line block ×4, first 2 shown]
	v_cmp_class_f64_e64 s0, v[1:2], 0x1f8
	v_and_b32_e32 v9, 1, v9
	v_and_b32_e32 v2, 0x80000000, v2
	v_sub_f32_e32 v8, 1.0, v8
	s_mov_b32 s1, exec_lo
	v_cmp_eq_u32_e32 vcc_lo, 0, v9
	v_fma_f64 v[14:15], v[3:4], v[3:4], -v[10:11]
	v_fma_f64 v[12:13], v[3:4], v[12:13], v[14:15]
	v_add_f64 v[10:11], v[10:11], v[12:13]
	v_fma_f64 v[12:13], v[10:11], s[36:37], s[34:35]
	s_mov_b32 s34, 0x90a8aae0
	s_mov_b32 s35, 0x3f17746f
	v_fma_f64 v[12:13], v[10:11], v[12:13], s[34:35]
	s_mov_b32 s34, 0xa6fbf144
	s_mov_b32 s35, 0xbefbb44d
	;; [unrolled: 3-line block ×13, first 2 shown]
	v_mul_f64 v[10:11], v[10:11], v[12:13]
	v_mul_f64 v[12:13], v[3:4], v[10:11]
	v_add_f64 v[14:15], v[3:4], v[12:13]
	v_fma_f64 v[10:11], v[3:4], v[10:11], -v[12:13]
	v_add_f64 v[3:4], v[14:15], -v[3:4]
	v_add_f64 v[5:6], v[5:6], v[10:11]
	v_add_f64 v[3:4], v[12:13], -v[3:4]
	v_add_f64 v[3:4], v[5:6], v[3:4]
	v_add_f64 v[5:6], v[14:15], v[3:4]
	v_rcp_f64_e32 v[10:11], v[5:6]
	v_fma_f64 v[12:13], -v[5:6], v[10:11], 1.0
	v_fma_f64 v[10:11], v[12:13], v[10:11], v[10:11]
	v_fma_f64 v[12:13], -v[5:6], v[10:11], 1.0
	v_fma_f64 v[10:11], v[12:13], v[10:11], v[10:11]
	v_add_f64 v[12:13], v[5:6], -v[14:15]
	v_mul_f64 v[14:15], v[5:6], v[10:11]
	v_add_f64 v[3:4], v[3:4], -v[12:13]
	v_fma_f64 v[12:13], v[10:11], v[5:6], -v[14:15]
	v_fma_f64 v[3:4], v[10:11], v[3:4], v[12:13]
	v_add_f64 v[12:13], v[14:15], v[3:4]
	v_add_f64 v[16:17], -v[12:13], 1.0
	v_add_f64 v[14:15], v[12:13], -v[14:15]
	v_add_f64 v[18:19], -v[16:17], 1.0
	v_add_f64 v[3:4], v[14:15], -v[3:4]
	v_add_f64 v[12:13], v[18:19], -v[12:13]
	v_add_f64 v[3:4], v[3:4], v[12:13]
	v_add_f64 v[3:4], v[16:17], v[3:4]
	v_mul_f64 v[3:4], v[10:11], v[3:4]
	v_add_f64 v[3:4], v[10:11], v[3:4]
	v_xor_b32_e32 v1, 0x80000000, v4
	v_cndmask_b32_e32 v3, v3, v5, vcc_lo
	v_cndmask_b32_e32 v1, v1, v6, vcc_lo
	v_xor_b32_e32 v2, v1, v2
	v_cndmask_b32_e64 v1, 0, v3, s0
	v_cndmask_b32_e64 v2, 0x7ff80000, v2, s0
	v_div_scale_f64 v[3:4], null, v[1:2], v[1:2], s[34:35]
	v_rcp_f64_e32 v[5:6], v[3:4]
	v_fma_f64 v[9:10], -v[3:4], v[5:6], 1.0
	v_fma_f64 v[5:6], v[5:6], v[9:10], v[5:6]
	v_fma_f64 v[9:10], -v[3:4], v[5:6], 1.0
	v_fma_f64 v[5:6], v[5:6], v[9:10], v[5:6]
	v_div_scale_f64 v[9:10], vcc_lo, s[34:35], v[1:2], s[34:35]
	v_mul_f64 v[11:12], v[9:10], v[5:6]
	v_fma_f64 v[3:4], -v[3:4], v[11:12], v[9:10]
	v_div_fmas_f64 v[3:4], v[3:4], v[5:6], v[11:12]
	v_div_fixup_f64 v[1:2], v[3:4], v[1:2], s[34:35]
	v_cvt_f32_f64_e32 v1, v[1:2]
.LBB27_538:
	s_or_b32 exec_lo, exec_lo, s31
	s_orn2_b32 s0, s1, exec_lo
.LBB27_539:
	s_or_b32 exec_lo, exec_lo, s21
	v_mov_b32_e32 v2, 0x7e00
	s_and_saveexec_b32 s21, s0
	s_cbranch_execz .LBB27_551
; %bb.540:
	s_mov_b32 s0, exec_lo
	v_cmpx_gt_f32_e32 0x41200000, v8
	s_cbranch_execz .LBB27_544
; %bb.541:
	s_mov_b32 s1, 0
	.p2align	6
.LBB27_542:                             ; =>This Inner Loop Header: Depth=1
	v_div_scale_f32 v2, null, v8, v8, 1.0
	v_div_scale_f32 v5, vcc_lo, 1.0, v8, 1.0
	v_rcp_f32_e32 v3, v2
	v_fma_f32 v4, -v2, v3, 1.0
	v_fmac_f32_e32 v3, v4, v3
	v_mul_f32_e32 v4, v5, v3
	v_fma_f32 v6, -v2, v4, v5
	v_fmac_f32_e32 v4, v6, v3
	v_fma_f32 v2, -v2, v4, v5
	v_div_fmas_f32 v2, v2, v3, v4
	v_div_fixup_f32 v2, v2, v8, 1.0
	v_add_f32_e32 v8, 1.0, v8
	v_sub_f32_e32 v1, v1, v2
	v_cmp_ngt_f32_e32 vcc_lo, 0x41200000, v8
	s_or_b32 s1, vcc_lo, s1
	s_andn2_b32 exec_lo, exec_lo, s1
	s_cbranch_execnz .LBB27_542
; %bb.543:
	s_or_b32 exec_lo, exec_lo, s1
.LBB27_544:
	s_or_b32 exec_lo, exec_lo, s0
                                        ; implicit-def: $vgpr2
	s_mov_b32 s0, exec_lo
	v_cmpx_neq_f32_e32 0x41200000, v8
	s_xor_b32 s31, exec_lo, s0
	s_cbranch_execz .LBB27_548
; %bb.545:
	v_cvt_f64_f32_e32 v[2:3], v8
	s_mov_b32 s0, 0x85d8a000
	s_mov_b32 s1, 0x43763457
	v_cmp_gt_f64_e32 vcc_lo, s[0:1], v[2:3]
	v_mov_b32_e32 v2, 0
	s_and_saveexec_b32 s0, vcc_lo
	s_cbranch_execz .LBB27_547
; %bb.546:
	v_mul_f32_e32 v2, v8, v8
	v_div_scale_f32 v3, null, v2, v2, 1.0
	v_rcp_f32_e32 v4, v3
	v_fma_f32 v5, -v3, v4, 1.0
	v_fmac_f32_e32 v4, v5, v4
	v_div_scale_f32 v5, vcc_lo, 1.0, v2, 1.0
	v_mul_f32_e32 v6, v5, v4
	v_fma_f32 v9, -v3, v6, v5
	v_fmac_f32_e32 v6, v9, v4
	v_fma_f32 v3, -v3, v6, v5
	v_div_fmas_f32 v3, v3, v4, v6
	v_div_fixup_f32 v2, v3, v2, 1.0
	v_fmaak_f32 v3, 0, v2, 0x3daaaaab
	v_fmaak_f32 v3, v2, v3, 0xbcaccacd
	;; [unrolled: 1-line block ×7, first 2 shown]
	v_mul_f32_e32 v2, v2, v3
.LBB27_547:
	s_or_b32 exec_lo, exec_lo, s0
	v_cmp_gt_f32_e32 vcc_lo, 0x800000, v8
	v_div_scale_f32 v3, null, v8, v8, -0.5
	v_div_scale_f32 v9, s0, -0.5, v8, -0.5
	v_cndmask_b32_e64 v4, 0, 32, vcc_lo
	v_rcp_f32_e32 v5, v3
	v_ldexp_f32 v4, v8, v4
	v_log_f32_e32 v4, v4
	v_fma_f32 v6, -v3, v5, 1.0
	v_fmac_f32_e32 v5, v6, v5
	v_mul_f32_e32 v6, 0x3f317217, v4
	v_mul_f32_e32 v10, v9, v5
	v_cmp_gt_f32_e64 s1, 0x7f800000, |v4|
	v_fma_f32 v6, 0x3f317217, v4, -v6
	v_fma_f32 v11, -v3, v10, v9
	v_fmamk_f32 v6, v4, 0x3377d1cf, v6
	v_fmac_f32_e32 v10, v11, v5
	v_fmac_f32_e32 v6, 0x3f317217, v4
	v_fma_f32 v3, -v3, v10, v9
	v_cndmask_b32_e64 v4, v4, v6, s1
	v_cndmask_b32_e64 v6, 0, 0x41b17218, vcc_lo
	s_mov_b32 vcc_lo, s0
	v_div_fmas_f32 v3, v3, v5, v10
	v_sub_f32_e32 v4, v4, v6
	v_div_fixup_f32 v3, v3, v8, -0.5
	v_add_f32_e32 v3, v4, v3
	v_sub_f32_e32 v2, v3, v2
	v_add_f32_e32 v1, v1, v2
	v_cvt_f16_f32_e32 v2, v1
                                        ; implicit-def: $vgpr1
.LBB27_548:
	s_andn2_saveexec_b32 s0, s31
; %bb.549:
	v_add_f32_e32 v1, 0x40101cb7, v1
	v_cvt_f16_f32_e32 v2, v1
; %bb.550:
	s_or_b32 exec_lo, exec_lo, s0
.LBB27_551:
	s_or_b32 exec_lo, exec_lo, s21
                                        ; implicit-def: $vgpr8
.LBB27_552:
	s_andn2_saveexec_b32 s0, s20
; %bb.553:
	v_xor_b32_e32 v1, 0x80000000, v8
	s_movk_i32 s1, 0x7c00
	v_lshrrev_b32_e32 v1, 16, v1
	v_bfi_b32 v2, 0x7fff, s1, v1
; %bb.554:
	s_or_b32 exec_lo, exec_lo, s0
	v_add_nc_u32_e32 v7, 0x80, v7
	global_store_short v0, v2, s[4:5]
	s_or_b32 exec_lo, exec_lo, s30
	s_mov_b32 s30, exec_lo
	v_cmpx_gt_i32_e64 s27, v7
	s_cbranch_execnz .LBB27_516
.LBB27_555:
	s_or_b32 exec_lo, exec_lo, s30
	s_mov_b32 s20, exec_lo
	v_cmpx_gt_i32_e64 s27, v7
	s_cbranch_execnz .LBB27_590
.LBB27_556:
	s_or_b32 exec_lo, exec_lo, s20
                                        ; implicit-def: $vgpr25
                                        ; implicit-def: $vgpr7
	s_andn2_saveexec_b32 s0, s25
	s_cbranch_execnz .LBB27_8
.LBB27_557:
	s_endpgm
.LBB27_558:
	v_mov_b32_e32 v0, 0
	v_mov_b32_e32 v2, 0
	;; [unrolled: 1-line block ×3, first 2 shown]
	s_mov_b32 s31, 0
.LBB27_559:
	s_and_b32 s33, s33, 3
	s_cmp_eq_u32 s33, 0
	s_cbranch_scc1 .LBB27_562
; %bb.560:
	s_lshl_b32 s0, s31, 3
	s_mul_i32 s20, s31, 12
	s_add_u32 s0, s2, s0
	s_addc_u32 s1, s3, 0
	s_add_u32 s0, s0, 0xc4
	s_addc_u32 s1, s1, 0
	s_add_u32 s20, s2, s20
	s_addc_u32 s21, s3, 0
	.p2align	6
.LBB27_561:                             ; =>This Inner Loop Header: Depth=1
	s_clause 0x1
	s_load_dwordx2 s[34:35], s[20:21], 0x4
	s_load_dword s31, s[20:21], 0xc
	s_load_dwordx2 s[36:37], s[0:1], 0x0
	s_add_u32 s20, s20, 12
	s_addc_u32 s21, s21, 0
	s_add_u32 s0, s0, 8
	s_addc_u32 s1, s1, 0
	s_add_i32 s33, s33, -1
	s_cmp_lg_u32 s33, 0
	s_waitcnt lgkmcnt(0)
	v_mul_hi_u32 v3, s35, v1
	v_add_nc_u32_e32 v3, v1, v3
	v_lshrrev_b32_e32 v4, s31, v3
	v_mul_lo_u32 v3, v4, s34
	v_sub_nc_u32_e32 v3, v1, v3
	v_mad_u64_u32 v[0:1], null, v3, s36, v[0:1]
	v_mad_u64_u32 v[2:3], null, v3, s37, v[2:3]
	v_mov_b32_e32 v1, v4
	s_cbranch_scc1 .LBB27_561
.LBB27_562:
	s_cbranch_execnz .LBB27_565
.LBB27_563:
	s_waitcnt lgkmcnt(0)
	v_mul_hi_u32 v0, s13, v7
	s_andn2_b32 vcc_lo, exec_lo, s26
	v_add_nc_u32_e32 v0, v7, v0
	v_lshrrev_b32_e32 v1, s14, v0
	v_mul_lo_u32 v0, v1, s12
	v_sub_nc_u32_e32 v2, v7, v0
	v_mul_lo_u32 v0, v2, s8
	v_mul_lo_u32 v2, v2, s9
	s_cbranch_vccnz .LBB27_565
; %bb.564:
	v_mul_hi_u32 v3, s16, v1
	v_add_nc_u32_e32 v3, v1, v3
	v_lshrrev_b32_e32 v3, s17, v3
	v_mul_lo_u32 v3, v3, s15
	v_sub_nc_u32_e32 v3, v1, v3
	v_mad_u64_u32 v[0:1], null, v3, s10, v[0:1]
	v_mad_u64_u32 v[2:3], null, v3, s11, v[2:3]
.LBB27_565:
	s_waitcnt lgkmcnt(0)
	global_load_ushort v3, v2, s[6:7]
                                        ; implicit-def: $vgpr2
	s_mov_b32 s0, exec_lo
	s_waitcnt vmcnt(0)
	v_cvt_f32_f16_e32 v8, v3
	v_cmpx_neq_f16_e32 0, v3
	s_xor_b32 s20, exec_lo, s0
	s_cbranch_execz .LBB27_587
; %bb.566:
	v_mov_b32_e32 v1, 0
	s_mov_b32 s0, -1
	s_mov_b32 s21, exec_lo
	v_cmpx_gt_f16_e32 0, v3
	s_cbranch_execz .LBB27_574
; %bb.567:
	v_trunc_f32_e32 v1, v8
	s_mov_b32 s1, 0
	v_cmp_neq_f32_e32 vcc_lo, v1, v8
	v_mov_b32_e32 v1, 0
	s_and_saveexec_b32 s31, vcc_lo
	s_cbranch_execz .LBB27_573
; %bb.568:
	v_cvt_f32_f16_e32 v1, v3
	s_mov_b32 s1, 0xc00921fb
	s_mov_b32 s0, 0x54442d18
	s_mov_b32 s33, exec_lo
                                        ; implicit-def: $vgpr9
                                        ; implicit-def: $vgpr5_vgpr6
	v_cvt_f64_f32_e32 v[1:2], v1
	v_trunc_f64_e32 v[3:4], v[1:2]
	v_cmp_neq_f64_e64 vcc_lo, 0x7ff00000, |v[1:2]|
	v_add_f64 v[3:4], v[1:2], -v[3:4]
	v_mul_f64 v[3:4], |v[3:4]|, s[0:1]
	v_cndmask_b32_e32 v2, 0x80000000, v4, vcc_lo
	v_cndmask_b32_e32 v1, 0, v3, vcc_lo
                                        ; implicit-def: $vgpr3_vgpr4
	v_cmpx_ngt_f64_e64 0x41d00000, |v[1:2]|
	s_xor_b32 s33, exec_lo, s33
	s_cbranch_execz .LBB27_570
; %bb.569:
	v_ldexp_f64 v[3:4], |v[1:2]|, 0xffffff80
	v_cmp_le_f64_e64 vcc_lo, 0x7b000000, |v[1:2]|
	v_trig_preop_f64 v[5:6], |v[1:2]|, 0
	v_and_b32_e32 v9, 0x7fffffff, v2
	v_trig_preop_f64 v[19:20], |v[1:2]|, 2
	v_mov_b32_e32 v27, 0
	s_mov_b32 s1, 0x3ff921fb
	s_mov_b32 s34, 0x33145c07
	;; [unrolled: 1-line block ×3, first 2 shown]
	v_cndmask_b32_e32 v4, v9, v4, vcc_lo
	v_cndmask_b32_e32 v3, v1, v3, vcc_lo
	v_trig_preop_f64 v[9:10], |v[1:2]|, 1
	v_mul_f64 v[11:12], v[5:6], v[3:4]
	v_mul_f64 v[25:26], v[19:20], v[3:4]
	;; [unrolled: 1-line block ×3, first 2 shown]
	v_fma_f64 v[5:6], v[5:6], v[3:4], -v[11:12]
	v_fma_f64 v[9:10], v[9:10], v[3:4], -v[13:14]
	v_fma_f64 v[3:4], v[19:20], v[3:4], -v[25:26]
	v_add_f64 v[15:16], v[13:14], v[5:6]
	v_add_f64 v[17:18], v[15:16], -v[13:14]
	v_add_f64 v[23:24], v[11:12], v[15:16]
	v_add_f64 v[21:22], v[15:16], -v[17:18]
	v_add_f64 v[5:6], v[5:6], -v[17:18]
	v_ldexp_f64 v[17:18], v[23:24], -2
	v_add_f64 v[11:12], v[23:24], -v[11:12]
	v_add_f64 v[13:14], v[13:14], -v[21:22]
	v_add_f64 v[21:22], v[25:26], v[9:10]
	v_cmp_neq_f64_e64 vcc_lo, 0x7ff00000, |v[17:18]|
	v_add_f64 v[11:12], v[15:16], -v[11:12]
	v_add_f64 v[5:6], v[5:6], v[13:14]
	v_fract_f64_e32 v[13:14], v[17:18]
	v_add_f64 v[15:16], v[21:22], v[5:6]
	v_ldexp_f64 v[13:14], v[13:14], 2
	v_add_f64 v[17:18], v[11:12], v[15:16]
	v_cndmask_b32_e32 v14, 0, v14, vcc_lo
	v_cndmask_b32_e32 v13, 0, v13, vcc_lo
	v_add_f64 v[23:24], v[17:18], v[13:14]
	v_add_f64 v[11:12], v[17:18], -v[11:12]
	v_cmp_gt_f64_e32 vcc_lo, 0, v[23:24]
	v_add_f64 v[23:24], v[21:22], -v[25:26]
	v_cndmask_b32_e64 v28, 0, 0x40100000, vcc_lo
	v_add_f64 v[32:33], v[21:22], -v[23:24]
	v_add_f64 v[9:10], v[9:10], -v[23:24]
	v_add_f64 v[13:14], v[13:14], v[27:28]
	v_add_f64 v[28:29], v[15:16], -v[21:22]
	v_add_f64 v[23:24], v[25:26], -v[32:33]
	v_add_f64 v[30:31], v[17:18], v[13:14]
	;; [unrolled: 3-line block ×3, first 2 shown]
	v_cvt_i32_f64_e32 v30, v[30:31]
	v_add_f64 v[21:22], v[21:22], -v[34:35]
	v_cvt_f64_i32_e32 v[28:29], v30
	v_add_f64 v[5:6], v[5:6], v[21:22]
	v_add_f64 v[13:14], v[13:14], -v[28:29]
	v_add_f64 v[5:6], v[9:10], v[5:6]
	v_add_f64 v[9:10], v[15:16], -v[11:12]
	v_add_f64 v[19:20], v[17:18], v[13:14]
	v_add_f64 v[3:4], v[3:4], v[5:6]
	v_add_f64 v[5:6], v[19:20], -v[13:14]
	v_cmp_le_f64_e32 vcc_lo, 0.5, v[19:20]
	v_add_f64 v[3:4], v[9:10], v[3:4]
	v_add_f64 v[5:6], v[17:18], -v[5:6]
	v_cndmask_b32_e64 v28, 0, 0x3ff00000, vcc_lo
	v_add_co_ci_u32_e64 v9, null, 0, v30, vcc_lo
	v_add_f64 v[3:4], v[3:4], v[5:6]
	v_add_f64 v[5:6], v[19:20], -v[27:28]
	v_add_f64 v[10:11], v[5:6], v[3:4]
	v_mul_f64 v[12:13], v[10:11], s[0:1]
	v_add_f64 v[5:6], v[10:11], -v[5:6]
	v_fma_f64 v[14:15], v[10:11], s[0:1], -v[12:13]
	v_add_f64 v[3:4], v[3:4], -v[5:6]
	v_fma_f64 v[5:6], v[10:11], s[34:35], v[14:15]
	v_fma_f64 v[5:6], v[3:4], s[0:1], v[5:6]
	v_add_f64 v[3:4], v[12:13], v[5:6]
	v_add_f64 v[10:11], v[3:4], -v[12:13]
	v_add_f64 v[5:6], v[5:6], -v[10:11]
.LBB27_570:
	s_andn2_saveexec_b32 s0, s33
	s_cbranch_execz .LBB27_572
; %bb.571:
	s_mov_b32 s34, 0x6dc9c883
	s_mov_b32 s35, 0x3fe45f30
	;; [unrolled: 1-line block ×3, first 2 shown]
	v_mul_f64 v[3:4], |v[1:2]|, s[34:35]
	s_mov_b32 s34, 0x54442d18
	s_mov_b32 s35, 0xbff921fb
	;; [unrolled: 1-line block ×3, first 2 shown]
	v_rndne_f64_e32 v[9:10], v[3:4]
	v_fma_f64 v[3:4], v[9:10], s[34:35], |v[1:2]|
	v_mul_f64 v[5:6], v[9:10], s[36:37]
	s_mov_b32 s34, 0x252049c0
	s_mov_b32 s35, 0xb97b839a
	v_fma_f64 v[13:14], v[9:10], s[36:37], v[3:4]
	v_add_f64 v[11:12], v[3:4], v[5:6]
	s_mov_b32 s37, 0x3c91a626
	v_add_f64 v[3:4], v[3:4], -v[11:12]
	v_add_f64 v[11:12], v[11:12], -v[13:14]
	v_add_f64 v[3:4], v[3:4], v[5:6]
	v_fma_f64 v[5:6], v[9:10], s[36:37], v[5:6]
	v_add_f64 v[3:4], v[11:12], v[3:4]
	v_add_f64 v[3:4], v[3:4], -v[5:6]
	v_fma_f64 v[5:6], v[9:10], s[34:35], v[3:4]
	v_cvt_i32_f64_e32 v9, v[9:10]
	v_add_f64 v[3:4], v[13:14], v[5:6]
	v_add_f64 v[11:12], v[3:4], -v[13:14]
	v_add_f64 v[5:6], v[5:6], -v[11:12]
.LBB27_572:
	s_or_b32 exec_lo, exec_lo, s0
	v_mul_f64 v[10:11], v[3:4], v[3:4]
	v_add_f64 v[12:13], v[5:6], v[5:6]
	s_mov_b32 s34, 0xa9a29f71
	s_mov_b32 s36, 0xc751c08c
	;; [unrolled: 1-line block ×4, first 2 shown]
	v_cmp_class_f64_e64 s0, v[1:2], 0x1f8
	v_and_b32_e32 v9, 1, v9
	v_and_b32_e32 v2, 0x80000000, v2
	v_sub_f32_e32 v8, 1.0, v8
	s_mov_b32 s1, exec_lo
	v_cmp_eq_u32_e32 vcc_lo, 0, v9
	v_fma_f64 v[14:15], v[3:4], v[3:4], -v[10:11]
	v_fma_f64 v[12:13], v[3:4], v[12:13], v[14:15]
	v_add_f64 v[10:11], v[10:11], v[12:13]
	v_fma_f64 v[12:13], v[10:11], s[36:37], s[34:35]
	s_mov_b32 s34, 0x90a8aae0
	s_mov_b32 s35, 0x3f17746f
	v_fma_f64 v[12:13], v[10:11], v[12:13], s[34:35]
	s_mov_b32 s34, 0xa6fbf144
	s_mov_b32 s35, 0xbefbb44d
	;; [unrolled: 3-line block ×13, first 2 shown]
	v_mul_f64 v[10:11], v[10:11], v[12:13]
	v_mul_f64 v[12:13], v[3:4], v[10:11]
	v_add_f64 v[14:15], v[3:4], v[12:13]
	v_fma_f64 v[10:11], v[3:4], v[10:11], -v[12:13]
	v_add_f64 v[3:4], v[14:15], -v[3:4]
	v_add_f64 v[5:6], v[5:6], v[10:11]
	v_add_f64 v[3:4], v[12:13], -v[3:4]
	v_add_f64 v[3:4], v[5:6], v[3:4]
	v_add_f64 v[5:6], v[14:15], v[3:4]
	v_rcp_f64_e32 v[10:11], v[5:6]
	v_fma_f64 v[12:13], -v[5:6], v[10:11], 1.0
	v_fma_f64 v[10:11], v[12:13], v[10:11], v[10:11]
	v_fma_f64 v[12:13], -v[5:6], v[10:11], 1.0
	v_fma_f64 v[10:11], v[12:13], v[10:11], v[10:11]
	v_add_f64 v[12:13], v[5:6], -v[14:15]
	v_mul_f64 v[14:15], v[5:6], v[10:11]
	v_add_f64 v[3:4], v[3:4], -v[12:13]
	v_fma_f64 v[12:13], v[10:11], v[5:6], -v[14:15]
	v_fma_f64 v[3:4], v[10:11], v[3:4], v[12:13]
	v_add_f64 v[12:13], v[14:15], v[3:4]
	v_add_f64 v[16:17], -v[12:13], 1.0
	v_add_f64 v[14:15], v[12:13], -v[14:15]
	v_add_f64 v[18:19], -v[16:17], 1.0
	v_add_f64 v[3:4], v[14:15], -v[3:4]
	v_add_f64 v[12:13], v[18:19], -v[12:13]
	v_add_f64 v[3:4], v[3:4], v[12:13]
	v_add_f64 v[3:4], v[16:17], v[3:4]
	v_mul_f64 v[3:4], v[10:11], v[3:4]
	v_add_f64 v[3:4], v[10:11], v[3:4]
	v_xor_b32_e32 v1, 0x80000000, v4
	v_cndmask_b32_e32 v3, v3, v5, vcc_lo
	v_cndmask_b32_e32 v1, v1, v6, vcc_lo
	v_xor_b32_e32 v2, v1, v2
	v_cndmask_b32_e64 v1, 0, v3, s0
	v_cndmask_b32_e64 v2, 0x7ff80000, v2, s0
	v_div_scale_f64 v[3:4], null, v[1:2], v[1:2], s[34:35]
	v_rcp_f64_e32 v[5:6], v[3:4]
	v_fma_f64 v[9:10], -v[3:4], v[5:6], 1.0
	v_fma_f64 v[5:6], v[5:6], v[9:10], v[5:6]
	v_fma_f64 v[9:10], -v[3:4], v[5:6], 1.0
	v_fma_f64 v[5:6], v[5:6], v[9:10], v[5:6]
	v_div_scale_f64 v[9:10], vcc_lo, s[34:35], v[1:2], s[34:35]
	v_mul_f64 v[11:12], v[9:10], v[5:6]
	v_fma_f64 v[3:4], -v[3:4], v[11:12], v[9:10]
	v_div_fmas_f64 v[3:4], v[3:4], v[5:6], v[11:12]
	v_div_fixup_f64 v[1:2], v[3:4], v[1:2], s[34:35]
	v_cvt_f32_f64_e32 v1, v[1:2]
.LBB27_573:
	s_or_b32 exec_lo, exec_lo, s31
	s_orn2_b32 s0, s1, exec_lo
.LBB27_574:
	s_or_b32 exec_lo, exec_lo, s21
	v_mov_b32_e32 v2, 0x7e00
	s_and_saveexec_b32 s21, s0
	s_cbranch_execz .LBB27_586
; %bb.575:
	s_mov_b32 s0, exec_lo
	v_cmpx_gt_f32_e32 0x41200000, v8
	s_cbranch_execz .LBB27_579
; %bb.576:
	s_mov_b32 s1, 0
	.p2align	6
.LBB27_577:                             ; =>This Inner Loop Header: Depth=1
	v_div_scale_f32 v2, null, v8, v8, 1.0
	v_div_scale_f32 v5, vcc_lo, 1.0, v8, 1.0
	v_rcp_f32_e32 v3, v2
	v_fma_f32 v4, -v2, v3, 1.0
	v_fmac_f32_e32 v3, v4, v3
	v_mul_f32_e32 v4, v5, v3
	v_fma_f32 v6, -v2, v4, v5
	v_fmac_f32_e32 v4, v6, v3
	v_fma_f32 v2, -v2, v4, v5
	v_div_fmas_f32 v2, v2, v3, v4
	v_div_fixup_f32 v2, v2, v8, 1.0
	v_add_f32_e32 v8, 1.0, v8
	v_sub_f32_e32 v1, v1, v2
	v_cmp_ngt_f32_e32 vcc_lo, 0x41200000, v8
	s_or_b32 s1, vcc_lo, s1
	s_andn2_b32 exec_lo, exec_lo, s1
	s_cbranch_execnz .LBB27_577
; %bb.578:
	s_or_b32 exec_lo, exec_lo, s1
.LBB27_579:
	s_or_b32 exec_lo, exec_lo, s0
                                        ; implicit-def: $vgpr2
	s_mov_b32 s0, exec_lo
	v_cmpx_neq_f32_e32 0x41200000, v8
	s_xor_b32 s31, exec_lo, s0
	s_cbranch_execz .LBB27_583
; %bb.580:
	v_cvt_f64_f32_e32 v[2:3], v8
	s_mov_b32 s0, 0x85d8a000
	s_mov_b32 s1, 0x43763457
	v_cmp_gt_f64_e32 vcc_lo, s[0:1], v[2:3]
	v_mov_b32_e32 v2, 0
	s_and_saveexec_b32 s0, vcc_lo
	s_cbranch_execz .LBB27_582
; %bb.581:
	v_mul_f32_e32 v2, v8, v8
	v_div_scale_f32 v3, null, v2, v2, 1.0
	v_rcp_f32_e32 v4, v3
	v_fma_f32 v5, -v3, v4, 1.0
	v_fmac_f32_e32 v4, v5, v4
	v_div_scale_f32 v5, vcc_lo, 1.0, v2, 1.0
	v_mul_f32_e32 v6, v5, v4
	v_fma_f32 v9, -v3, v6, v5
	v_fmac_f32_e32 v6, v9, v4
	v_fma_f32 v3, -v3, v6, v5
	v_div_fmas_f32 v3, v3, v4, v6
	v_div_fixup_f32 v2, v3, v2, 1.0
	v_fmaak_f32 v3, 0, v2, 0x3daaaaab
	v_fmaak_f32 v3, v2, v3, 0xbcaccacd
	;; [unrolled: 1-line block ×7, first 2 shown]
	v_mul_f32_e32 v2, v2, v3
.LBB27_582:
	s_or_b32 exec_lo, exec_lo, s0
	v_cmp_gt_f32_e32 vcc_lo, 0x800000, v8
	v_div_scale_f32 v3, null, v8, v8, -0.5
	v_div_scale_f32 v9, s0, -0.5, v8, -0.5
	v_cndmask_b32_e64 v4, 0, 32, vcc_lo
	v_rcp_f32_e32 v5, v3
	v_ldexp_f32 v4, v8, v4
	v_log_f32_e32 v4, v4
	v_fma_f32 v6, -v3, v5, 1.0
	v_fmac_f32_e32 v5, v6, v5
	v_mul_f32_e32 v6, 0x3f317217, v4
	v_mul_f32_e32 v10, v9, v5
	v_cmp_gt_f32_e64 s1, 0x7f800000, |v4|
	v_fma_f32 v6, 0x3f317217, v4, -v6
	v_fma_f32 v11, -v3, v10, v9
	v_fmamk_f32 v6, v4, 0x3377d1cf, v6
	v_fmac_f32_e32 v10, v11, v5
	v_fmac_f32_e32 v6, 0x3f317217, v4
	v_fma_f32 v3, -v3, v10, v9
	v_cndmask_b32_e64 v4, v4, v6, s1
	v_cndmask_b32_e64 v6, 0, 0x41b17218, vcc_lo
	s_mov_b32 vcc_lo, s0
	v_div_fmas_f32 v3, v3, v5, v10
	v_sub_f32_e32 v4, v4, v6
	v_div_fixup_f32 v3, v3, v8, -0.5
	v_add_f32_e32 v3, v4, v3
	v_sub_f32_e32 v2, v3, v2
	v_add_f32_e32 v1, v1, v2
	v_cvt_f16_f32_e32 v2, v1
                                        ; implicit-def: $vgpr1
.LBB27_583:
	s_andn2_saveexec_b32 s0, s31
; %bb.584:
	v_add_f32_e32 v1, 0x40101cb7, v1
	v_cvt_f16_f32_e32 v2, v1
; %bb.585:
	s_or_b32 exec_lo, exec_lo, s0
.LBB27_586:
	s_or_b32 exec_lo, exec_lo, s21
                                        ; implicit-def: $vgpr8
.LBB27_587:
	s_andn2_saveexec_b32 s0, s20
; %bb.588:
	v_xor_b32_e32 v1, 0x80000000, v8
	s_movk_i32 s1, 0x7c00
	v_lshrrev_b32_e32 v1, 16, v1
	v_bfi_b32 v2, 0x7fff, s1, v1
; %bb.589:
	s_or_b32 exec_lo, exec_lo, s0
	v_add_nc_u32_e32 v7, 0x80, v7
	global_store_short v0, v2, s[4:5]
	s_or_b32 exec_lo, exec_lo, s30
	s_mov_b32 s20, exec_lo
	v_cmpx_gt_i32_e64 s27, v7
	s_cbranch_execz .LBB27_556
.LBB27_590:
	s_andn2_b32 vcc_lo, exec_lo, s24
	s_cbranch_vccnz .LBB27_595
; %bb.591:
	s_andn2_b32 vcc_lo, exec_lo, s29
	s_cbranch_vccnz .LBB27_596
; %bb.592:
	s_add_i32 s28, s28, 1
	s_cmp_eq_u32 s23, 2
	s_cbranch_scc1 .LBB27_597
; %bb.593:
	v_mov_b32_e32 v2, 0
	v_mov_b32_e32 v0, 0
	;; [unrolled: 1-line block ×3, first 2 shown]
	s_and_b32 s21, s28, 28
	s_mov_b32 s27, 0
	s_mov_b64 s[0:1], s[2:3]
.LBB27_594:                             ; =>This Inner Loop Header: Depth=1
	s_clause 0x1
	s_load_dwordx8 s[36:43], s[0:1], 0x4
	s_load_dwordx4 s[52:55], s[0:1], 0x24
	s_load_dwordx8 s[44:51], s[18:19], 0x0
	s_add_u32 s0, s0, 48
	s_addc_u32 s1, s1, 0
	s_add_i32 s27, s27, 4
	s_add_u32 s18, s18, 32
	s_addc_u32 s19, s19, 0
	s_cmp_eq_u32 s21, s27
	s_waitcnt lgkmcnt(0)
	v_mul_hi_u32 v3, s37, v1
	v_add_nc_u32_e32 v3, v1, v3
	v_lshrrev_b32_e32 v3, s38, v3
	v_mul_hi_u32 v4, s40, v3
	v_mul_lo_u32 v6, v3, s36
	v_add_nc_u32_e32 v4, v3, v4
	v_sub_nc_u32_e32 v1, v1, v6
	v_lshrrev_b32_e32 v4, s41, v4
	v_mul_lo_u32 v6, v1, s44
	v_mul_lo_u32 v9, v1, s45
	v_mul_hi_u32 v5, s43, v4
	v_add_nc_u32_e32 v5, v4, v5
	v_lshrrev_b32_e32 v5, s52, v5
	v_mul_hi_u32 v8, s54, v5
	v_mul_lo_u32 v10, v5, s42
	v_add_nc_u32_e32 v1, v5, v8
	v_mul_lo_u32 v8, v4, s39
	v_sub_nc_u32_e32 v4, v4, v10
	v_lshrrev_b32_e32 v1, s55, v1
	v_mul_lo_u32 v10, v4, s48
	v_mul_lo_u32 v4, v4, s49
	v_sub_nc_u32_e32 v3, v3, v8
	v_mul_lo_u32 v11, v1, s53
	v_mul_lo_u32 v8, v3, s46
	v_mul_lo_u32 v3, v3, s47
	v_sub_nc_u32_e32 v5, v5, v11
	v_add3_u32 v0, v6, v0, v8
	v_mul_lo_u32 v11, v5, s50
	v_mul_lo_u32 v5, v5, s51
	v_add3_u32 v2, v9, v2, v3
	v_add3_u32 v0, v10, v0, v11
	;; [unrolled: 1-line block ×3, first 2 shown]
	s_cbranch_scc0 .LBB27_594
	s_branch .LBB27_598
.LBB27_595:
                                        ; implicit-def: $vgpr0
                                        ; implicit-def: $vgpr2
	s_branch .LBB27_602
.LBB27_596:
	v_mov_b32_e32 v0, 0
	v_mov_b32_e32 v2, 0
	s_branch .LBB27_601
.LBB27_597:
	v_mov_b32_e32 v0, 0
	v_mov_b32_e32 v2, 0
	;; [unrolled: 1-line block ×3, first 2 shown]
	s_mov_b32 s21, 0
.LBB27_598:
	s_and_b32 s27, s28, 3
	s_cmp_eq_u32 s27, 0
	s_cbranch_scc1 .LBB27_601
; %bb.599:
	s_lshl_b32 s0, s21, 3
	s_mul_i32 s18, s21, 12
	s_add_u32 s0, s2, s0
	s_addc_u32 s1, s3, 0
	s_add_u32 s0, s0, 0xc4
	s_addc_u32 s1, s1, 0
	;; [unrolled: 2-line block ×3, first 2 shown]
	.p2align	6
.LBB27_600:                             ; =>This Inner Loop Header: Depth=1
	s_clause 0x1
	s_load_dwordx2 s[28:29], s[18:19], 0x4
	s_load_dword s21, s[18:19], 0xc
	s_load_dwordx2 s[30:31], s[0:1], 0x0
	s_add_u32 s18, s18, 12
	s_addc_u32 s19, s19, 0
	s_add_u32 s0, s0, 8
	s_addc_u32 s1, s1, 0
	s_add_i32 s27, s27, -1
	s_cmp_lg_u32 s27, 0
	s_waitcnt lgkmcnt(0)
	v_mul_hi_u32 v3, s29, v1
	v_add_nc_u32_e32 v3, v1, v3
	v_lshrrev_b32_e32 v4, s21, v3
	v_mul_lo_u32 v3, v4, s28
	v_sub_nc_u32_e32 v3, v1, v3
	v_mad_u64_u32 v[0:1], null, v3, s30, v[0:1]
	v_mad_u64_u32 v[2:3], null, v3, s31, v[2:3]
	v_mov_b32_e32 v1, v4
	s_cbranch_scc1 .LBB27_600
.LBB27_601:
	s_cbranch_execnz .LBB27_604
.LBB27_602:
	s_waitcnt lgkmcnt(0)
	v_mul_hi_u32 v0, s13, v7
	s_andn2_b32 vcc_lo, exec_lo, s26
	v_add_nc_u32_e32 v0, v7, v0
	v_lshrrev_b32_e32 v1, s14, v0
	v_mul_lo_u32 v0, v1, s12
	v_sub_nc_u32_e32 v2, v7, v0
	v_mul_lo_u32 v0, v2, s8
	v_mul_lo_u32 v2, v2, s9
	s_cbranch_vccnz .LBB27_604
; %bb.603:
	v_mul_hi_u32 v3, s16, v1
	v_add_nc_u32_e32 v3, v1, v3
	v_lshrrev_b32_e32 v3, s17, v3
	v_mul_lo_u32 v3, v3, s15
	v_sub_nc_u32_e32 v3, v1, v3
	v_mad_u64_u32 v[0:1], null, v3, s10, v[0:1]
	v_mad_u64_u32 v[2:3], null, v3, s11, v[2:3]
.LBB27_604:
	s_waitcnt lgkmcnt(0)
	global_load_ushort v3, v2, s[6:7]
                                        ; implicit-def: $vgpr2
	s_mov_b32 s0, exec_lo
	s_waitcnt vmcnt(0)
	v_cvt_f32_f16_e32 v7, v3
	v_cmpx_neq_f16_e32 0, v3
	s_xor_b32 s6, exec_lo, s0
	s_cbranch_execz .LBB27_626
; %bb.605:
	v_mov_b32_e32 v1, 0
	s_mov_b32 s0, -1
	s_mov_b32 s7, exec_lo
	v_cmpx_gt_f16_e32 0, v3
	s_cbranch_execz .LBB27_613
; %bb.606:
	v_trunc_f32_e32 v1, v7
	s_mov_b32 s1, 0
	v_cmp_neq_f32_e32 vcc_lo, v1, v7
	v_mov_b32_e32 v1, 0
	s_and_saveexec_b32 s8, vcc_lo
	s_cbranch_execz .LBB27_612
; %bb.607:
	v_cvt_f32_f16_e32 v1, v3
	s_mov_b32 s1, 0xc00921fb
	s_mov_b32 s0, 0x54442d18
	s_mov_b32 s9, exec_lo
                                        ; implicit-def: $vgpr8
                                        ; implicit-def: $vgpr5_vgpr6
	v_cvt_f64_f32_e32 v[1:2], v1
	v_trunc_f64_e32 v[3:4], v[1:2]
	v_cmp_neq_f64_e64 vcc_lo, 0x7ff00000, |v[1:2]|
	v_add_f64 v[3:4], v[1:2], -v[3:4]
	v_mul_f64 v[3:4], |v[3:4]|, s[0:1]
	v_cndmask_b32_e32 v2, 0x80000000, v4, vcc_lo
	v_cndmask_b32_e32 v1, 0, v3, vcc_lo
                                        ; implicit-def: $vgpr3_vgpr4
	v_cmpx_ngt_f64_e64 0x41d00000, |v[1:2]|
	s_xor_b32 s9, exec_lo, s9
	s_cbranch_execz .LBB27_609
; %bb.608:
	v_ldexp_f64 v[3:4], |v[1:2]|, 0xffffff80
	v_cmp_le_f64_e64 vcc_lo, 0x7b000000, |v[1:2]|
	v_trig_preop_f64 v[5:6], |v[1:2]|, 0
	v_and_b32_e32 v8, 0x7fffffff, v2
	v_trig_preop_f64 v[18:19], |v[1:2]|, 2
	v_mov_b32_e32 v26, 0
	s_mov_b32 s1, 0x3ff921fb
	s_mov_b32 s10, 0x33145c07
	;; [unrolled: 1-line block ×3, first 2 shown]
	v_cndmask_b32_e32 v4, v8, v4, vcc_lo
	v_cndmask_b32_e32 v3, v1, v3, vcc_lo
	v_trig_preop_f64 v[8:9], |v[1:2]|, 1
	v_mul_f64 v[10:11], v[5:6], v[3:4]
	v_mul_f64 v[24:25], v[18:19], v[3:4]
	;; [unrolled: 1-line block ×3, first 2 shown]
	v_fma_f64 v[5:6], v[5:6], v[3:4], -v[10:11]
	v_fma_f64 v[8:9], v[8:9], v[3:4], -v[12:13]
	;; [unrolled: 1-line block ×3, first 2 shown]
	v_add_f64 v[14:15], v[12:13], v[5:6]
	v_add_f64 v[16:17], v[14:15], -v[12:13]
	v_add_f64 v[22:23], v[10:11], v[14:15]
	v_add_f64 v[20:21], v[14:15], -v[16:17]
	v_add_f64 v[5:6], v[5:6], -v[16:17]
	v_ldexp_f64 v[16:17], v[22:23], -2
	v_add_f64 v[10:11], v[22:23], -v[10:11]
	v_add_f64 v[12:13], v[12:13], -v[20:21]
	v_add_f64 v[20:21], v[24:25], v[8:9]
	v_cmp_neq_f64_e64 vcc_lo, 0x7ff00000, |v[16:17]|
	v_add_f64 v[10:11], v[14:15], -v[10:11]
	v_add_f64 v[5:6], v[5:6], v[12:13]
	v_fract_f64_e32 v[12:13], v[16:17]
	v_add_f64 v[14:15], v[20:21], v[5:6]
	v_ldexp_f64 v[12:13], v[12:13], 2
	v_add_f64 v[16:17], v[10:11], v[14:15]
	v_cndmask_b32_e32 v13, 0, v13, vcc_lo
	v_cndmask_b32_e32 v12, 0, v12, vcc_lo
	v_add_f64 v[22:23], v[16:17], v[12:13]
	v_add_f64 v[10:11], v[16:17], -v[10:11]
	v_cmp_gt_f64_e32 vcc_lo, 0, v[22:23]
	v_add_f64 v[22:23], v[20:21], -v[24:25]
	v_cndmask_b32_e64 v27, 0, 0x40100000, vcc_lo
	v_add_f64 v[31:32], v[20:21], -v[22:23]
	v_add_f64 v[8:9], v[8:9], -v[22:23]
	v_add_f64 v[12:13], v[12:13], v[26:27]
	v_add_f64 v[27:28], v[14:15], -v[20:21]
	v_add_f64 v[22:23], v[24:25], -v[31:32]
	v_add_f64 v[29:30], v[16:17], v[12:13]
	;; [unrolled: 3-line block ×3, first 2 shown]
	v_cvt_i32_f64_e32 v29, v[29:30]
	v_add_f64 v[20:21], v[20:21], -v[33:34]
	v_cvt_f64_i32_e32 v[27:28], v29
	v_add_f64 v[5:6], v[5:6], v[20:21]
	v_add_f64 v[12:13], v[12:13], -v[27:28]
	v_add_f64 v[5:6], v[8:9], v[5:6]
	v_add_f64 v[8:9], v[14:15], -v[10:11]
	v_add_f64 v[18:19], v[16:17], v[12:13]
	v_add_f64 v[3:4], v[3:4], v[5:6]
	v_add_f64 v[5:6], v[18:19], -v[12:13]
	v_cmp_le_f64_e32 vcc_lo, 0.5, v[18:19]
	v_add_f64 v[3:4], v[8:9], v[3:4]
	v_add_f64 v[5:6], v[16:17], -v[5:6]
	v_cndmask_b32_e64 v27, 0, 0x3ff00000, vcc_lo
	v_add_co_ci_u32_e64 v8, null, 0, v29, vcc_lo
	v_add_f64 v[3:4], v[3:4], v[5:6]
	v_add_f64 v[5:6], v[18:19], -v[26:27]
	v_add_f64 v[9:10], v[5:6], v[3:4]
	v_mul_f64 v[11:12], v[9:10], s[0:1]
	v_add_f64 v[5:6], v[9:10], -v[5:6]
	v_fma_f64 v[13:14], v[9:10], s[0:1], -v[11:12]
	v_add_f64 v[3:4], v[3:4], -v[5:6]
	v_fma_f64 v[5:6], v[9:10], s[10:11], v[13:14]
	v_fma_f64 v[5:6], v[3:4], s[0:1], v[5:6]
	v_add_f64 v[3:4], v[11:12], v[5:6]
	v_add_f64 v[9:10], v[3:4], -v[11:12]
	v_add_f64 v[5:6], v[5:6], -v[9:10]
.LBB27_609:
	s_andn2_saveexec_b32 s0, s9
	s_cbranch_execz .LBB27_611
; %bb.610:
	s_mov_b32 s10, 0x6dc9c883
	s_mov_b32 s11, 0x3fe45f30
	;; [unrolled: 1-line block ×3, first 2 shown]
	v_mul_f64 v[3:4], |v[1:2]|, s[10:11]
	s_mov_b32 s10, 0x54442d18
	s_mov_b32 s11, 0xbff921fb
	;; [unrolled: 1-line block ×3, first 2 shown]
	v_rndne_f64_e32 v[8:9], v[3:4]
	v_fma_f64 v[3:4], v[8:9], s[10:11], |v[1:2]|
	v_mul_f64 v[5:6], v[8:9], s[12:13]
	s_mov_b32 s10, 0x252049c0
	s_mov_b32 s11, 0xb97b839a
	v_fma_f64 v[12:13], v[8:9], s[12:13], v[3:4]
	v_add_f64 v[10:11], v[3:4], v[5:6]
	s_mov_b32 s13, 0x3c91a626
	v_add_f64 v[3:4], v[3:4], -v[10:11]
	v_add_f64 v[10:11], v[10:11], -v[12:13]
	v_add_f64 v[3:4], v[3:4], v[5:6]
	v_fma_f64 v[5:6], v[8:9], s[12:13], v[5:6]
	v_add_f64 v[3:4], v[10:11], v[3:4]
	v_add_f64 v[3:4], v[3:4], -v[5:6]
	v_fma_f64 v[5:6], v[8:9], s[10:11], v[3:4]
	v_cvt_i32_f64_e32 v8, v[8:9]
	v_add_f64 v[3:4], v[12:13], v[5:6]
	v_add_f64 v[10:11], v[3:4], -v[12:13]
	v_add_f64 v[5:6], v[5:6], -v[10:11]
.LBB27_611:
	s_or_b32 exec_lo, exec_lo, s0
	v_mul_f64 v[9:10], v[3:4], v[3:4]
	v_add_f64 v[11:12], v[5:6], v[5:6]
	s_mov_b32 s10, 0xa9a29f71
	s_mov_b32 s12, 0xc751c08c
	;; [unrolled: 1-line block ×4, first 2 shown]
	v_cmp_class_f64_e64 s0, v[1:2], 0x1f8
	v_and_b32_e32 v8, 1, v8
	v_and_b32_e32 v2, 0x80000000, v2
	v_sub_f32_e32 v7, 1.0, v7
	s_mov_b32 s1, exec_lo
	v_cmp_eq_u32_e32 vcc_lo, 0, v8
	v_fma_f64 v[13:14], v[3:4], v[3:4], -v[9:10]
	v_fma_f64 v[11:12], v[3:4], v[11:12], v[13:14]
	v_add_f64 v[9:10], v[9:10], v[11:12]
	v_fma_f64 v[11:12], v[9:10], s[12:13], s[10:11]
	s_mov_b32 s10, 0x90a8aae0
	s_mov_b32 s11, 0x3f17746f
	v_fma_f64 v[11:12], v[9:10], v[11:12], s[10:11]
	s_mov_b32 s10, 0xa6fbf144
	s_mov_b32 s11, 0xbefbb44d
	;; [unrolled: 3-line block ×13, first 2 shown]
	v_mul_f64 v[9:10], v[9:10], v[11:12]
	v_mul_f64 v[11:12], v[3:4], v[9:10]
	v_add_f64 v[13:14], v[3:4], v[11:12]
	v_fma_f64 v[9:10], v[3:4], v[9:10], -v[11:12]
	v_add_f64 v[3:4], v[13:14], -v[3:4]
	v_add_f64 v[5:6], v[5:6], v[9:10]
	v_add_f64 v[3:4], v[11:12], -v[3:4]
	v_add_f64 v[3:4], v[5:6], v[3:4]
	v_add_f64 v[5:6], v[13:14], v[3:4]
	v_rcp_f64_e32 v[9:10], v[5:6]
	v_fma_f64 v[11:12], -v[5:6], v[9:10], 1.0
	v_fma_f64 v[9:10], v[11:12], v[9:10], v[9:10]
	v_fma_f64 v[11:12], -v[5:6], v[9:10], 1.0
	v_fma_f64 v[9:10], v[11:12], v[9:10], v[9:10]
	v_add_f64 v[11:12], v[5:6], -v[13:14]
	v_mul_f64 v[13:14], v[5:6], v[9:10]
	v_add_f64 v[3:4], v[3:4], -v[11:12]
	v_fma_f64 v[11:12], v[9:10], v[5:6], -v[13:14]
	v_fma_f64 v[3:4], v[9:10], v[3:4], v[11:12]
	v_add_f64 v[11:12], v[13:14], v[3:4]
	v_add_f64 v[15:16], -v[11:12], 1.0
	v_add_f64 v[13:14], v[11:12], -v[13:14]
	v_add_f64 v[17:18], -v[15:16], 1.0
	v_add_f64 v[3:4], v[13:14], -v[3:4]
	v_add_f64 v[11:12], v[17:18], -v[11:12]
	v_add_f64 v[3:4], v[3:4], v[11:12]
	v_add_f64 v[3:4], v[15:16], v[3:4]
	v_mul_f64 v[3:4], v[9:10], v[3:4]
	v_add_f64 v[3:4], v[9:10], v[3:4]
	v_xor_b32_e32 v1, 0x80000000, v4
	v_cndmask_b32_e32 v3, v3, v5, vcc_lo
	v_cndmask_b32_e32 v1, v1, v6, vcc_lo
	v_xor_b32_e32 v2, v1, v2
	v_cndmask_b32_e64 v1, 0, v3, s0
	v_cndmask_b32_e64 v2, 0x7ff80000, v2, s0
	v_div_scale_f64 v[3:4], null, v[1:2], v[1:2], s[10:11]
	v_rcp_f64_e32 v[5:6], v[3:4]
	v_fma_f64 v[8:9], -v[3:4], v[5:6], 1.0
	v_fma_f64 v[5:6], v[5:6], v[8:9], v[5:6]
	v_fma_f64 v[8:9], -v[3:4], v[5:6], 1.0
	v_fma_f64 v[5:6], v[5:6], v[8:9], v[5:6]
	v_div_scale_f64 v[8:9], vcc_lo, s[10:11], v[1:2], s[10:11]
	v_mul_f64 v[10:11], v[8:9], v[5:6]
	v_fma_f64 v[3:4], -v[3:4], v[10:11], v[8:9]
	v_div_fmas_f64 v[3:4], v[3:4], v[5:6], v[10:11]
	v_div_fixup_f64 v[1:2], v[3:4], v[1:2], s[10:11]
	v_cvt_f32_f64_e32 v1, v[1:2]
.LBB27_612:
	s_or_b32 exec_lo, exec_lo, s8
	s_orn2_b32 s0, s1, exec_lo
.LBB27_613:
	s_or_b32 exec_lo, exec_lo, s7
	v_mov_b32_e32 v2, 0x7e00
	s_and_saveexec_b32 s7, s0
	s_cbranch_execz .LBB27_625
; %bb.614:
	s_mov_b32 s0, exec_lo
	v_cmpx_gt_f32_e32 0x41200000, v7
	s_cbranch_execz .LBB27_618
; %bb.615:
	s_mov_b32 s1, 0
	.p2align	6
.LBB27_616:                             ; =>This Inner Loop Header: Depth=1
	v_div_scale_f32 v2, null, v7, v7, 1.0
	v_div_scale_f32 v5, vcc_lo, 1.0, v7, 1.0
	v_rcp_f32_e32 v3, v2
	v_fma_f32 v4, -v2, v3, 1.0
	v_fmac_f32_e32 v3, v4, v3
	v_mul_f32_e32 v4, v5, v3
	v_fma_f32 v6, -v2, v4, v5
	v_fmac_f32_e32 v4, v6, v3
	v_fma_f32 v2, -v2, v4, v5
	v_div_fmas_f32 v2, v2, v3, v4
	v_div_fixup_f32 v2, v2, v7, 1.0
	v_add_f32_e32 v7, 1.0, v7
	v_sub_f32_e32 v1, v1, v2
	v_cmp_ngt_f32_e32 vcc_lo, 0x41200000, v7
	s_or_b32 s1, vcc_lo, s1
	s_andn2_b32 exec_lo, exec_lo, s1
	s_cbranch_execnz .LBB27_616
; %bb.617:
	s_or_b32 exec_lo, exec_lo, s1
.LBB27_618:
	s_or_b32 exec_lo, exec_lo, s0
                                        ; implicit-def: $vgpr2
	s_mov_b32 s0, exec_lo
	v_cmpx_neq_f32_e32 0x41200000, v7
	s_xor_b32 s8, exec_lo, s0
	s_cbranch_execz .LBB27_622
; %bb.619:
	v_cvt_f64_f32_e32 v[2:3], v7
	s_mov_b32 s0, 0x85d8a000
	s_mov_b32 s1, 0x43763457
	v_cmp_gt_f64_e32 vcc_lo, s[0:1], v[2:3]
	v_mov_b32_e32 v2, 0
	s_and_saveexec_b32 s0, vcc_lo
	s_cbranch_execz .LBB27_621
; %bb.620:
	v_mul_f32_e32 v2, v7, v7
	v_div_scale_f32 v3, null, v2, v2, 1.0
	v_rcp_f32_e32 v4, v3
	v_fma_f32 v5, -v3, v4, 1.0
	v_fmac_f32_e32 v4, v5, v4
	v_div_scale_f32 v5, vcc_lo, 1.0, v2, 1.0
	v_mul_f32_e32 v6, v5, v4
	v_fma_f32 v8, -v3, v6, v5
	v_fmac_f32_e32 v6, v8, v4
	v_fma_f32 v3, -v3, v6, v5
	v_div_fmas_f32 v3, v3, v4, v6
	v_div_fixup_f32 v2, v3, v2, 1.0
	v_fmaak_f32 v3, 0, v2, 0x3daaaaab
	v_fmaak_f32 v3, v2, v3, 0xbcaccacd
	;; [unrolled: 1-line block ×7, first 2 shown]
	v_mul_f32_e32 v2, v2, v3
.LBB27_621:
	s_or_b32 exec_lo, exec_lo, s0
	v_cmp_gt_f32_e32 vcc_lo, 0x800000, v7
	v_div_scale_f32 v3, null, v7, v7, -0.5
	v_div_scale_f32 v8, s0, -0.5, v7, -0.5
	v_cndmask_b32_e64 v4, 0, 32, vcc_lo
	v_rcp_f32_e32 v5, v3
	v_ldexp_f32 v4, v7, v4
	v_log_f32_e32 v4, v4
	v_fma_f32 v6, -v3, v5, 1.0
	v_fmac_f32_e32 v5, v6, v5
	v_mul_f32_e32 v6, 0x3f317217, v4
	v_mul_f32_e32 v9, v8, v5
	v_cmp_gt_f32_e64 s1, 0x7f800000, |v4|
	v_fma_f32 v6, 0x3f317217, v4, -v6
	v_fma_f32 v10, -v3, v9, v8
	v_fmamk_f32 v6, v4, 0x3377d1cf, v6
	v_fmac_f32_e32 v9, v10, v5
	v_fmac_f32_e32 v6, 0x3f317217, v4
	v_fma_f32 v3, -v3, v9, v8
	v_cndmask_b32_e64 v4, v4, v6, s1
	v_cndmask_b32_e64 v6, 0, 0x41b17218, vcc_lo
	s_mov_b32 vcc_lo, s0
	v_div_fmas_f32 v3, v3, v5, v9
	v_sub_f32_e32 v4, v4, v6
	v_div_fixup_f32 v3, v3, v7, -0.5
	v_add_f32_e32 v3, v4, v3
	v_sub_f32_e32 v2, v3, v2
	v_add_f32_e32 v1, v1, v2
	v_cvt_f16_f32_e32 v2, v1
                                        ; implicit-def: $vgpr1
.LBB27_622:
	s_andn2_saveexec_b32 s0, s8
; %bb.623:
	v_add_f32_e32 v1, 0x40101cb7, v1
	v_cvt_f16_f32_e32 v2, v1
; %bb.624:
	s_or_b32 exec_lo, exec_lo, s0
.LBB27_625:
	s_or_b32 exec_lo, exec_lo, s7
                                        ; implicit-def: $vgpr7
.LBB27_626:
	s_andn2_saveexec_b32 s0, s6
; %bb.627:
	v_xor_b32_e32 v1, 0x80000000, v7
	s_movk_i32 s1, 0x7c00
	v_lshrrev_b32_e32 v1, 16, v1
	v_bfi_b32 v2, 0x7fff, s1, v1
; %bb.628:
	s_or_b32 exec_lo, exec_lo, s0
	global_store_short v0, v2, s[4:5]
	s_or_b32 exec_lo, exec_lo, s20
                                        ; implicit-def: $vgpr25
                                        ; implicit-def: $vgpr7
	s_andn2_saveexec_b32 s0, s25
	s_cbranch_execz .LBB27_557
	s_branch .LBB27_8
	.section	.rodata,"a",@progbits
	.p2align	6, 0x0
	.amdhsa_kernel _ZN2at6native32elementwise_kernel_manual_unrollILi128ELi8EZNS0_22gpu_kernel_impl_nocastIZZZNS0_19digamma_kernel_cudaERNS_18TensorIteratorBaseEENKUlvE_clEvENKUlvE1_clEvEUlN3c104HalfEE_EEvS4_RKT_EUlibE_EEviT1_
		.amdhsa_group_segment_fixed_size 0
		.amdhsa_private_segment_fixed_size 0
		.amdhsa_kernarg_size 360
		.amdhsa_user_sgpr_count 6
		.amdhsa_user_sgpr_private_segment_buffer 1
		.amdhsa_user_sgpr_dispatch_ptr 0
		.amdhsa_user_sgpr_queue_ptr 0
		.amdhsa_user_sgpr_kernarg_segment_ptr 1
		.amdhsa_user_sgpr_dispatch_id 0
		.amdhsa_user_sgpr_flat_scratch_init 0
		.amdhsa_user_sgpr_private_segment_size 0
		.amdhsa_wavefront_size32 1
		.amdhsa_uses_dynamic_stack 0
		.amdhsa_system_sgpr_private_segment_wavefront_offset 0
		.amdhsa_system_sgpr_workgroup_id_x 1
		.amdhsa_system_sgpr_workgroup_id_y 0
		.amdhsa_system_sgpr_workgroup_id_z 0
		.amdhsa_system_sgpr_workgroup_info 0
		.amdhsa_system_vgpr_workitem_id 0
		.amdhsa_next_free_vgpr 55
		.amdhsa_next_free_sgpr 56
		.amdhsa_reserve_vcc 1
		.amdhsa_reserve_flat_scratch 0
		.amdhsa_float_round_mode_32 0
		.amdhsa_float_round_mode_16_64 0
		.amdhsa_float_denorm_mode_32 3
		.amdhsa_float_denorm_mode_16_64 3
		.amdhsa_dx10_clamp 1
		.amdhsa_ieee_mode 1
		.amdhsa_fp16_overflow 0
		.amdhsa_workgroup_processor_mode 1
		.amdhsa_memory_ordered 1
		.amdhsa_forward_progress 1
		.amdhsa_shared_vgpr_count 0
		.amdhsa_exception_fp_ieee_invalid_op 0
		.amdhsa_exception_fp_denorm_src 0
		.amdhsa_exception_fp_ieee_div_zero 0
		.amdhsa_exception_fp_ieee_overflow 0
		.amdhsa_exception_fp_ieee_underflow 0
		.amdhsa_exception_fp_ieee_inexact 0
		.amdhsa_exception_int_div_zero 0
	.end_amdhsa_kernel
	.section	.text._ZN2at6native32elementwise_kernel_manual_unrollILi128ELi8EZNS0_22gpu_kernel_impl_nocastIZZZNS0_19digamma_kernel_cudaERNS_18TensorIteratorBaseEENKUlvE_clEvENKUlvE1_clEvEUlN3c104HalfEE_EEvS4_RKT_EUlibE_EEviT1_,"axG",@progbits,_ZN2at6native32elementwise_kernel_manual_unrollILi128ELi8EZNS0_22gpu_kernel_impl_nocastIZZZNS0_19digamma_kernel_cudaERNS_18TensorIteratorBaseEENKUlvE_clEvENKUlvE1_clEvEUlN3c104HalfEE_EEvS4_RKT_EUlibE_EEviT1_,comdat
.Lfunc_end27:
	.size	_ZN2at6native32elementwise_kernel_manual_unrollILi128ELi8EZNS0_22gpu_kernel_impl_nocastIZZZNS0_19digamma_kernel_cudaERNS_18TensorIteratorBaseEENKUlvE_clEvENKUlvE1_clEvEUlN3c104HalfEE_EEvS4_RKT_EUlibE_EEviT1_, .Lfunc_end27-_ZN2at6native32elementwise_kernel_manual_unrollILi128ELi8EZNS0_22gpu_kernel_impl_nocastIZZZNS0_19digamma_kernel_cudaERNS_18TensorIteratorBaseEENKUlvE_clEvENKUlvE1_clEvEUlN3c104HalfEE_EEvS4_RKT_EUlibE_EEviT1_
                                        ; -- End function
	.set _ZN2at6native32elementwise_kernel_manual_unrollILi128ELi8EZNS0_22gpu_kernel_impl_nocastIZZZNS0_19digamma_kernel_cudaERNS_18TensorIteratorBaseEENKUlvE_clEvENKUlvE1_clEvEUlN3c104HalfEE_EEvS4_RKT_EUlibE_EEviT1_.num_vgpr, 55
	.set _ZN2at6native32elementwise_kernel_manual_unrollILi128ELi8EZNS0_22gpu_kernel_impl_nocastIZZZNS0_19digamma_kernel_cudaERNS_18TensorIteratorBaseEENKUlvE_clEvENKUlvE1_clEvEUlN3c104HalfEE_EEvS4_RKT_EUlibE_EEviT1_.num_agpr, 0
	.set _ZN2at6native32elementwise_kernel_manual_unrollILi128ELi8EZNS0_22gpu_kernel_impl_nocastIZZZNS0_19digamma_kernel_cudaERNS_18TensorIteratorBaseEENKUlvE_clEvENKUlvE1_clEvEUlN3c104HalfEE_EEvS4_RKT_EUlibE_EEviT1_.numbered_sgpr, 56
	.set _ZN2at6native32elementwise_kernel_manual_unrollILi128ELi8EZNS0_22gpu_kernel_impl_nocastIZZZNS0_19digamma_kernel_cudaERNS_18TensorIteratorBaseEENKUlvE_clEvENKUlvE1_clEvEUlN3c104HalfEE_EEvS4_RKT_EUlibE_EEviT1_.num_named_barrier, 0
	.set _ZN2at6native32elementwise_kernel_manual_unrollILi128ELi8EZNS0_22gpu_kernel_impl_nocastIZZZNS0_19digamma_kernel_cudaERNS_18TensorIteratorBaseEENKUlvE_clEvENKUlvE1_clEvEUlN3c104HalfEE_EEvS4_RKT_EUlibE_EEviT1_.private_seg_size, 0
	.set _ZN2at6native32elementwise_kernel_manual_unrollILi128ELi8EZNS0_22gpu_kernel_impl_nocastIZZZNS0_19digamma_kernel_cudaERNS_18TensorIteratorBaseEENKUlvE_clEvENKUlvE1_clEvEUlN3c104HalfEE_EEvS4_RKT_EUlibE_EEviT1_.uses_vcc, 1
	.set _ZN2at6native32elementwise_kernel_manual_unrollILi128ELi8EZNS0_22gpu_kernel_impl_nocastIZZZNS0_19digamma_kernel_cudaERNS_18TensorIteratorBaseEENKUlvE_clEvENKUlvE1_clEvEUlN3c104HalfEE_EEvS4_RKT_EUlibE_EEviT1_.uses_flat_scratch, 0
	.set _ZN2at6native32elementwise_kernel_manual_unrollILi128ELi8EZNS0_22gpu_kernel_impl_nocastIZZZNS0_19digamma_kernel_cudaERNS_18TensorIteratorBaseEENKUlvE_clEvENKUlvE1_clEvEUlN3c104HalfEE_EEvS4_RKT_EUlibE_EEviT1_.has_dyn_sized_stack, 0
	.set _ZN2at6native32elementwise_kernel_manual_unrollILi128ELi8EZNS0_22gpu_kernel_impl_nocastIZZZNS0_19digamma_kernel_cudaERNS_18TensorIteratorBaseEENKUlvE_clEvENKUlvE1_clEvEUlN3c104HalfEE_EEvS4_RKT_EUlibE_EEviT1_.has_recursion, 0
	.set _ZN2at6native32elementwise_kernel_manual_unrollILi128ELi8EZNS0_22gpu_kernel_impl_nocastIZZZNS0_19digamma_kernel_cudaERNS_18TensorIteratorBaseEENKUlvE_clEvENKUlvE1_clEvEUlN3c104HalfEE_EEvS4_RKT_EUlibE_EEviT1_.has_indirect_call, 0
	.section	.AMDGPU.csdata,"",@progbits
; Kernel info:
; codeLenInByte = 49924
; TotalNumSgprs: 58
; NumVgprs: 55
; ScratchSize: 0
; MemoryBound: 0
; FloatMode: 240
; IeeeMode: 1
; LDSByteSize: 0 bytes/workgroup (compile time only)
; SGPRBlocks: 0
; VGPRBlocks: 6
; NumSGPRsForWavesPerEU: 58
; NumVGPRsForWavesPerEU: 55
; Occupancy: 16
; WaveLimiterHint : 1
; COMPUTE_PGM_RSRC2:SCRATCH_EN: 0
; COMPUTE_PGM_RSRC2:USER_SGPR: 6
; COMPUTE_PGM_RSRC2:TRAP_HANDLER: 0
; COMPUTE_PGM_RSRC2:TGID_X_EN: 1
; COMPUTE_PGM_RSRC2:TGID_Y_EN: 0
; COMPUTE_PGM_RSRC2:TGID_Z_EN: 0
; COMPUTE_PGM_RSRC2:TIDIG_COMP_CNT: 0
	.section	.text._ZN2at6native32elementwise_kernel_manual_unrollILi128ELi4EZNS0_15gpu_kernel_implIZZZNS0_19digamma_kernel_cudaERNS_18TensorIteratorBaseEENKUlvE_clEvENKUlvE1_clEvEUlN3c104HalfEE_EEvS4_RKT_EUlibE_EEviT1_,"axG",@progbits,_ZN2at6native32elementwise_kernel_manual_unrollILi128ELi4EZNS0_15gpu_kernel_implIZZZNS0_19digamma_kernel_cudaERNS_18TensorIteratorBaseEENKUlvE_clEvENKUlvE1_clEvEUlN3c104HalfEE_EEvS4_RKT_EUlibE_EEviT1_,comdat
	.globl	_ZN2at6native32elementwise_kernel_manual_unrollILi128ELi4EZNS0_15gpu_kernel_implIZZZNS0_19digamma_kernel_cudaERNS_18TensorIteratorBaseEENKUlvE_clEvENKUlvE1_clEvEUlN3c104HalfEE_EEvS4_RKT_EUlibE_EEviT1_ ; -- Begin function _ZN2at6native32elementwise_kernel_manual_unrollILi128ELi4EZNS0_15gpu_kernel_implIZZZNS0_19digamma_kernel_cudaERNS_18TensorIteratorBaseEENKUlvE_clEvENKUlvE1_clEvEUlN3c104HalfEE_EEvS4_RKT_EUlibE_EEviT1_
	.p2align	8
	.type	_ZN2at6native32elementwise_kernel_manual_unrollILi128ELi4EZNS0_15gpu_kernel_implIZZZNS0_19digamma_kernel_cudaERNS_18TensorIteratorBaseEENKUlvE_clEvENKUlvE1_clEvEUlN3c104HalfEE_EEvS4_RKT_EUlibE_EEviT1_,@function
_ZN2at6native32elementwise_kernel_manual_unrollILi128ELi4EZNS0_15gpu_kernel_implIZZZNS0_19digamma_kernel_cudaERNS_18TensorIteratorBaseEENKUlvE_clEvENKUlvE1_clEvEUlN3c104HalfEE_EEvS4_RKT_EUlibE_EEviT1_: ; @_ZN2at6native32elementwise_kernel_manual_unrollILi128ELi4EZNS0_15gpu_kernel_implIZZZNS0_19digamma_kernel_cudaERNS_18TensorIteratorBaseEENKUlvE_clEvENKUlvE1_clEvEUlN3c104HalfEE_EEvS4_RKT_EUlibE_EEviT1_
; %bb.0:
	v_mov_b32_e32 v1, 0
	s_clause 0x2
	s_load_dword s13, s[4:5], 0x0
	s_load_dwordx2 s[2:3], s[4:5], 0x18
	s_load_dwordx4 s[8:11], s[4:5], 0x8
	v_lshl_or_b32 v6, s6, 9, v0
	s_mov_b32 s12, 0
	global_load_ushort v1, v1, s[4:5] offset:33
	s_mov_b32 s5, 0
	v_or_b32_e32 v0, 0x180, v6
	s_waitcnt vmcnt(0)
	v_readfirstlane_b32 s4, v1
	s_and_b32 s0, 0xffff, s4
	s_lshr_b32 s6, s0, 8
	s_mov_b32 s0, exec_lo
	s_waitcnt lgkmcnt(0)
	v_cmpx_le_i32_e64 s13, v0
	s_xor_b32 s7, exec_lo, s0
	s_cbranch_execz .LBB28_1127
; %bb.1:
	s_mov_b32 s1, -1
	s_mov_b32 s16, 0
	s_mov_b32 s14, 0
	s_mov_b32 s15, exec_lo
	v_cmpx_gt_i32_e64 s13, v6
	s_cbranch_execz .LBB28_276
; %bb.2:
	v_mul_lo_u32 v0, v6, s3
	s_and_b32 s0, 0xffff, s6
	s_cmp_lt_i32 s0, 11
	v_ashrrev_i32_e32 v1, 31, v0
	v_add_co_u32 v0, vcc_lo, s10, v0
	v_add_co_ci_u32_e64 v1, null, s11, v1, vcc_lo
	s_cbranch_scc1 .LBB28_9
; %bb.3:
	s_cmp_gt_i32 s0, 25
	s_cbranch_scc0 .LBB28_42
; %bb.4:
	s_cmp_gt_i32 s0, 28
	s_cbranch_scc0 .LBB28_45
	;; [unrolled: 3-line block ×4, first 2 shown]
; %bb.7:
	s_cmp_eq_u32 s0, 46
	s_cbranch_scc0 .LBB28_51
; %bb.8:
	global_load_dword v2, v[0:1], off
	s_waitcnt vmcnt(0)
	v_lshlrev_b32_e32 v2, 16, v2
	v_cvt_f16_f32_e32 v3, v2
	s_branch .LBB28_53
.LBB28_9:
	s_mov_b32 s1, 0
                                        ; implicit-def: $vgpr3
	s_cbranch_execnz .LBB28_226
.LBB28_10:
	s_andn2_b32 vcc_lo, exec_lo, s1
	s_cbranch_vccnz .LBB28_273
.LBB28_11:
	s_waitcnt vmcnt(0)
	v_cvt_f32_f16_e32 v7, v3
                                        ; implicit-def: $vgpr2
	s_mov_b32 s0, exec_lo
	v_cmpx_neq_f16_e32 0, v3
	s_xor_b32 s12, exec_lo, s0
	s_cbranch_execz .LBB28_33
; %bb.12:
	v_mov_b32_e32 v0, 0
	s_mov_b32 s0, -1
	s_mov_b32 s17, exec_lo
	v_cmpx_gt_f16_e32 0, v3
	s_cbranch_execz .LBB28_20
; %bb.13:
	v_trunc_f32_e32 v0, v7
	s_mov_b32 s1, 0
	v_cmp_neq_f32_e32 vcc_lo, v0, v7
	v_mov_b32_e32 v0, 0
	s_and_saveexec_b32 s18, vcc_lo
	s_cbranch_execz .LBB28_19
; %bb.14:
	v_cvt_f32_f16_e32 v0, v3
	s_mov_b32 s1, 0xc00921fb
	s_mov_b32 s0, 0x54442d18
	s_mov_b32 s19, exec_lo
                                        ; implicit-def: $vgpr8
                                        ; implicit-def: $vgpr4_vgpr5
	v_cvt_f64_f32_e32 v[0:1], v0
	v_trunc_f64_e32 v[2:3], v[0:1]
	v_cmp_neq_f64_e64 vcc_lo, 0x7ff00000, |v[0:1]|
	v_add_f64 v[2:3], v[0:1], -v[2:3]
	v_mul_f64 v[2:3], |v[2:3]|, s[0:1]
	v_cndmask_b32_e32 v1, 0x80000000, v3, vcc_lo
	v_cndmask_b32_e32 v0, 0, v2, vcc_lo
                                        ; implicit-def: $vgpr2_vgpr3
	v_cmpx_ngt_f64_e64 0x41d00000, |v[0:1]|
	s_xor_b32 s19, exec_lo, s19
	s_cbranch_execz .LBB28_16
; %bb.15:
	v_ldexp_f64 v[2:3], |v[0:1]|, 0xffffff80
	v_cmp_le_f64_e64 vcc_lo, 0x7b000000, |v[0:1]|
	v_trig_preop_f64 v[4:5], |v[0:1]|, 0
	v_and_b32_e32 v8, 0x7fffffff, v1
	v_trig_preop_f64 v[18:19], |v[0:1]|, 2
	v_mov_b32_e32 v26, 0
	s_mov_b32 s1, 0x3ff921fb
	s_mov_b32 s20, 0x33145c07
	;; [unrolled: 1-line block ×3, first 2 shown]
	v_cndmask_b32_e32 v3, v8, v3, vcc_lo
	v_cndmask_b32_e32 v2, v0, v2, vcc_lo
	v_trig_preop_f64 v[8:9], |v[0:1]|, 1
	v_mul_f64 v[10:11], v[4:5], v[2:3]
	v_mul_f64 v[24:25], v[18:19], v[2:3]
	;; [unrolled: 1-line block ×3, first 2 shown]
	v_fma_f64 v[4:5], v[4:5], v[2:3], -v[10:11]
	v_fma_f64 v[8:9], v[8:9], v[2:3], -v[12:13]
	;; [unrolled: 1-line block ×3, first 2 shown]
	v_add_f64 v[14:15], v[12:13], v[4:5]
	v_add_f64 v[16:17], v[14:15], -v[12:13]
	v_add_f64 v[22:23], v[10:11], v[14:15]
	v_add_f64 v[20:21], v[14:15], -v[16:17]
	v_add_f64 v[4:5], v[4:5], -v[16:17]
	v_ldexp_f64 v[16:17], v[22:23], -2
	v_add_f64 v[10:11], v[22:23], -v[10:11]
	v_add_f64 v[12:13], v[12:13], -v[20:21]
	v_add_f64 v[20:21], v[24:25], v[8:9]
	v_cmp_neq_f64_e64 vcc_lo, 0x7ff00000, |v[16:17]|
	v_add_f64 v[10:11], v[14:15], -v[10:11]
	v_add_f64 v[4:5], v[4:5], v[12:13]
	v_fract_f64_e32 v[12:13], v[16:17]
	v_add_f64 v[14:15], v[20:21], v[4:5]
	v_ldexp_f64 v[12:13], v[12:13], 2
	v_add_f64 v[16:17], v[10:11], v[14:15]
	v_cndmask_b32_e32 v13, 0, v13, vcc_lo
	v_cndmask_b32_e32 v12, 0, v12, vcc_lo
	v_add_f64 v[22:23], v[16:17], v[12:13]
	v_add_f64 v[10:11], v[16:17], -v[10:11]
	v_cmp_gt_f64_e32 vcc_lo, 0, v[22:23]
	v_add_f64 v[22:23], v[20:21], -v[24:25]
	v_cndmask_b32_e64 v27, 0, 0x40100000, vcc_lo
	v_add_f64 v[31:32], v[20:21], -v[22:23]
	v_add_f64 v[8:9], v[8:9], -v[22:23]
	v_add_f64 v[12:13], v[12:13], v[26:27]
	v_add_f64 v[27:28], v[14:15], -v[20:21]
	v_add_f64 v[22:23], v[24:25], -v[31:32]
	v_add_f64 v[29:30], v[16:17], v[12:13]
	v_add_f64 v[33:34], v[14:15], -v[27:28]
	v_add_f64 v[4:5], v[4:5], -v[27:28]
	v_add_f64 v[8:9], v[8:9], v[22:23]
	v_cvt_i32_f64_e32 v29, v[29:30]
	v_add_f64 v[20:21], v[20:21], -v[33:34]
	v_cvt_f64_i32_e32 v[27:28], v29
	v_add_f64 v[4:5], v[4:5], v[20:21]
	v_add_f64 v[12:13], v[12:13], -v[27:28]
	v_add_f64 v[4:5], v[8:9], v[4:5]
	v_add_f64 v[8:9], v[14:15], -v[10:11]
	v_add_f64 v[18:19], v[16:17], v[12:13]
	v_add_f64 v[2:3], v[2:3], v[4:5]
	v_add_f64 v[4:5], v[18:19], -v[12:13]
	v_cmp_le_f64_e32 vcc_lo, 0.5, v[18:19]
	v_add_f64 v[2:3], v[8:9], v[2:3]
	v_add_f64 v[4:5], v[16:17], -v[4:5]
	v_cndmask_b32_e64 v27, 0, 0x3ff00000, vcc_lo
	v_add_co_ci_u32_e64 v8, null, 0, v29, vcc_lo
	v_add_f64 v[2:3], v[2:3], v[4:5]
	v_add_f64 v[4:5], v[18:19], -v[26:27]
	v_add_f64 v[9:10], v[4:5], v[2:3]
	v_mul_f64 v[11:12], v[9:10], s[0:1]
	v_add_f64 v[4:5], v[9:10], -v[4:5]
	v_fma_f64 v[13:14], v[9:10], s[0:1], -v[11:12]
	v_add_f64 v[2:3], v[2:3], -v[4:5]
	v_fma_f64 v[4:5], v[9:10], s[20:21], v[13:14]
	v_fma_f64 v[4:5], v[2:3], s[0:1], v[4:5]
	v_add_f64 v[2:3], v[11:12], v[4:5]
	v_add_f64 v[9:10], v[2:3], -v[11:12]
	v_add_f64 v[4:5], v[4:5], -v[9:10]
.LBB28_16:
	s_andn2_saveexec_b32 s0, s19
	s_cbranch_execz .LBB28_18
; %bb.17:
	s_mov_b32 s20, 0x6dc9c883
	s_mov_b32 s21, 0x3fe45f30
	;; [unrolled: 1-line block ×3, first 2 shown]
	v_mul_f64 v[2:3], |v[0:1]|, s[20:21]
	s_mov_b32 s20, 0x54442d18
	s_mov_b32 s21, 0xbff921fb
	;; [unrolled: 1-line block ×3, first 2 shown]
	v_rndne_f64_e32 v[8:9], v[2:3]
	v_fma_f64 v[2:3], v[8:9], s[20:21], |v[0:1]|
	v_mul_f64 v[4:5], v[8:9], s[22:23]
	s_mov_b32 s20, 0x252049c0
	s_mov_b32 s21, 0xb97b839a
	v_fma_f64 v[12:13], v[8:9], s[22:23], v[2:3]
	v_add_f64 v[10:11], v[2:3], v[4:5]
	s_mov_b32 s23, 0x3c91a626
	v_add_f64 v[2:3], v[2:3], -v[10:11]
	v_add_f64 v[10:11], v[10:11], -v[12:13]
	v_add_f64 v[2:3], v[2:3], v[4:5]
	v_fma_f64 v[4:5], v[8:9], s[22:23], v[4:5]
	v_add_f64 v[2:3], v[10:11], v[2:3]
	v_add_f64 v[2:3], v[2:3], -v[4:5]
	v_fma_f64 v[4:5], v[8:9], s[20:21], v[2:3]
	v_cvt_i32_f64_e32 v8, v[8:9]
	v_add_f64 v[2:3], v[12:13], v[4:5]
	v_add_f64 v[10:11], v[2:3], -v[12:13]
	v_add_f64 v[4:5], v[4:5], -v[10:11]
.LBB28_18:
	s_or_b32 exec_lo, exec_lo, s0
	v_mul_f64 v[9:10], v[2:3], v[2:3]
	v_add_f64 v[11:12], v[4:5], v[4:5]
	s_mov_b32 s20, 0xa9a29f71
	s_mov_b32 s22, 0xc751c08c
	;; [unrolled: 1-line block ×4, first 2 shown]
	v_cmp_class_f64_e64 s0, v[0:1], 0x1f8
	v_and_b32_e32 v8, 1, v8
	v_and_b32_e32 v1, 0x80000000, v1
	v_sub_f32_e32 v7, 1.0, v7
	s_mov_b32 s1, exec_lo
	v_cmp_eq_u32_e32 vcc_lo, 0, v8
	v_fma_f64 v[13:14], v[2:3], v[2:3], -v[9:10]
	v_fma_f64 v[11:12], v[2:3], v[11:12], v[13:14]
	v_add_f64 v[9:10], v[9:10], v[11:12]
	v_fma_f64 v[11:12], v[9:10], s[22:23], s[20:21]
	s_mov_b32 s20, 0x90a8aae0
	s_mov_b32 s21, 0x3f17746f
	v_fma_f64 v[11:12], v[9:10], v[11:12], s[20:21]
	s_mov_b32 s20, 0xa6fbf144
	s_mov_b32 s21, 0xbefbb44d
	;; [unrolled: 3-line block ×13, first 2 shown]
	v_mul_f64 v[9:10], v[9:10], v[11:12]
	v_mul_f64 v[11:12], v[2:3], v[9:10]
	v_add_f64 v[13:14], v[2:3], v[11:12]
	v_fma_f64 v[9:10], v[2:3], v[9:10], -v[11:12]
	v_add_f64 v[2:3], v[13:14], -v[2:3]
	v_add_f64 v[4:5], v[4:5], v[9:10]
	v_add_f64 v[2:3], v[11:12], -v[2:3]
	v_add_f64 v[2:3], v[4:5], v[2:3]
	v_add_f64 v[4:5], v[13:14], v[2:3]
	v_rcp_f64_e32 v[9:10], v[4:5]
	v_fma_f64 v[11:12], -v[4:5], v[9:10], 1.0
	v_fma_f64 v[9:10], v[11:12], v[9:10], v[9:10]
	v_fma_f64 v[11:12], -v[4:5], v[9:10], 1.0
	v_fma_f64 v[9:10], v[11:12], v[9:10], v[9:10]
	v_add_f64 v[11:12], v[4:5], -v[13:14]
	v_mul_f64 v[13:14], v[4:5], v[9:10]
	v_add_f64 v[2:3], v[2:3], -v[11:12]
	v_fma_f64 v[11:12], v[9:10], v[4:5], -v[13:14]
	v_fma_f64 v[2:3], v[9:10], v[2:3], v[11:12]
	v_add_f64 v[11:12], v[13:14], v[2:3]
	v_add_f64 v[15:16], -v[11:12], 1.0
	v_add_f64 v[13:14], v[11:12], -v[13:14]
	v_add_f64 v[17:18], -v[15:16], 1.0
	v_add_f64 v[2:3], v[13:14], -v[2:3]
	v_add_f64 v[11:12], v[17:18], -v[11:12]
	v_add_f64 v[2:3], v[2:3], v[11:12]
	v_add_f64 v[2:3], v[15:16], v[2:3]
	v_mul_f64 v[2:3], v[9:10], v[2:3]
	v_add_f64 v[2:3], v[9:10], v[2:3]
	v_xor_b32_e32 v0, 0x80000000, v3
	v_cndmask_b32_e32 v2, v2, v4, vcc_lo
	v_cndmask_b32_e32 v0, v0, v5, vcc_lo
	v_xor_b32_e32 v1, v0, v1
	v_cndmask_b32_e64 v0, 0, v2, s0
	v_cndmask_b32_e64 v1, 0x7ff80000, v1, s0
	v_div_scale_f64 v[2:3], null, v[0:1], v[0:1], s[20:21]
	v_rcp_f64_e32 v[4:5], v[2:3]
	v_fma_f64 v[8:9], -v[2:3], v[4:5], 1.0
	v_fma_f64 v[4:5], v[4:5], v[8:9], v[4:5]
	v_fma_f64 v[8:9], -v[2:3], v[4:5], 1.0
	v_fma_f64 v[4:5], v[4:5], v[8:9], v[4:5]
	v_div_scale_f64 v[8:9], vcc_lo, s[20:21], v[0:1], s[20:21]
	v_mul_f64 v[10:11], v[8:9], v[4:5]
	v_fma_f64 v[2:3], -v[2:3], v[10:11], v[8:9]
	v_div_fmas_f64 v[2:3], v[2:3], v[4:5], v[10:11]
	v_div_fixup_f64 v[0:1], v[2:3], v[0:1], s[20:21]
	v_cvt_f32_f64_e32 v0, v[0:1]
.LBB28_19:
	s_or_b32 exec_lo, exec_lo, s18
	s_orn2_b32 s0, s1, exec_lo
.LBB28_20:
	s_or_b32 exec_lo, exec_lo, s17
	v_mov_b32_e32 v2, 0x7e00
	s_and_saveexec_b32 s17, s0
	s_cbranch_execz .LBB28_32
; %bb.21:
	s_mov_b32 s0, exec_lo
	v_cmpx_gt_f32_e32 0x41200000, v7
	s_cbranch_execz .LBB28_25
; %bb.22:
	s_mov_b32 s1, 0
	.p2align	6
.LBB28_23:                              ; =>This Inner Loop Header: Depth=1
	v_div_scale_f32 v1, null, v7, v7, 1.0
	v_div_scale_f32 v4, vcc_lo, 1.0, v7, 1.0
	v_rcp_f32_e32 v2, v1
	v_fma_f32 v3, -v1, v2, 1.0
	v_fmac_f32_e32 v2, v3, v2
	v_mul_f32_e32 v3, v4, v2
	v_fma_f32 v5, -v1, v3, v4
	v_fmac_f32_e32 v3, v5, v2
	v_fma_f32 v1, -v1, v3, v4
	v_div_fmas_f32 v1, v1, v2, v3
	v_div_fixup_f32 v1, v1, v7, 1.0
	v_add_f32_e32 v7, 1.0, v7
	v_sub_f32_e32 v0, v0, v1
	v_cmp_ngt_f32_e32 vcc_lo, 0x41200000, v7
	s_or_b32 s1, vcc_lo, s1
	s_andn2_b32 exec_lo, exec_lo, s1
	s_cbranch_execnz .LBB28_23
; %bb.24:
	s_or_b32 exec_lo, exec_lo, s1
.LBB28_25:
	s_or_b32 exec_lo, exec_lo, s0
                                        ; implicit-def: $vgpr2
	s_mov_b32 s0, exec_lo
	v_cmpx_neq_f32_e32 0x41200000, v7
	s_xor_b32 s18, exec_lo, s0
	s_cbranch_execz .LBB28_29
; %bb.26:
	v_cvt_f64_f32_e32 v[1:2], v7
	s_mov_b32 s0, 0x85d8a000
	s_mov_b32 s1, 0x43763457
	v_cmp_gt_f64_e32 vcc_lo, s[0:1], v[1:2]
	v_mov_b32_e32 v1, 0
	s_and_saveexec_b32 s0, vcc_lo
	s_cbranch_execz .LBB28_28
; %bb.27:
	v_mul_f32_e32 v1, v7, v7
	v_div_scale_f32 v2, null, v1, v1, 1.0
	v_rcp_f32_e32 v3, v2
	v_fma_f32 v4, -v2, v3, 1.0
	v_fmac_f32_e32 v3, v4, v3
	v_div_scale_f32 v4, vcc_lo, 1.0, v1, 1.0
	v_mul_f32_e32 v5, v4, v3
	v_fma_f32 v8, -v2, v5, v4
	v_fmac_f32_e32 v5, v8, v3
	v_fma_f32 v2, -v2, v5, v4
	v_div_fmas_f32 v2, v2, v3, v5
	v_div_fixup_f32 v1, v2, v1, 1.0
	v_fmaak_f32 v2, 0, v1, 0x3daaaaab
	v_fmaak_f32 v2, v1, v2, 0xbcaccacd
	;; [unrolled: 1-line block ×7, first 2 shown]
	v_mul_f32_e32 v1, v1, v2
.LBB28_28:
	s_or_b32 exec_lo, exec_lo, s0
	v_cmp_gt_f32_e32 vcc_lo, 0x800000, v7
	v_div_scale_f32 v2, null, v7, v7, -0.5
	v_div_scale_f32 v8, s0, -0.5, v7, -0.5
	v_cndmask_b32_e64 v3, 0, 32, vcc_lo
	v_rcp_f32_e32 v4, v2
	v_ldexp_f32 v3, v7, v3
	v_log_f32_e32 v3, v3
	v_fma_f32 v5, -v2, v4, 1.0
	v_fmac_f32_e32 v4, v5, v4
	v_mul_f32_e32 v5, 0x3f317217, v3
	v_mul_f32_e32 v9, v8, v4
	v_cmp_gt_f32_e64 s1, 0x7f800000, |v3|
	v_fma_f32 v5, 0x3f317217, v3, -v5
	v_fma_f32 v10, -v2, v9, v8
	v_fmamk_f32 v5, v3, 0x3377d1cf, v5
	v_fmac_f32_e32 v9, v10, v4
	v_fmac_f32_e32 v5, 0x3f317217, v3
	v_fma_f32 v2, -v2, v9, v8
	v_cndmask_b32_e64 v3, v3, v5, s1
	v_cndmask_b32_e64 v5, 0, 0x41b17218, vcc_lo
	s_mov_b32 vcc_lo, s0
	v_div_fmas_f32 v2, v2, v4, v9
	v_sub_f32_e32 v3, v3, v5
	v_div_fixup_f32 v2, v2, v7, -0.5
	v_add_f32_e32 v2, v3, v2
	v_sub_f32_e32 v1, v2, v1
	v_add_f32_e32 v0, v0, v1
	v_cvt_f16_f32_e32 v2, v0
                                        ; implicit-def: $vgpr0
.LBB28_29:
	s_andn2_saveexec_b32 s0, s18
; %bb.30:
	v_add_f32_e32 v0, 0x40101cb7, v0
	v_cvt_f16_f32_e32 v2, v0
; %bb.31:
	s_or_b32 exec_lo, exec_lo, s0
.LBB28_32:
	s_or_b32 exec_lo, exec_lo, s17
                                        ; implicit-def: $vgpr7
.LBB28_33:
	s_andn2_saveexec_b32 s0, s12
; %bb.34:
	v_xor_b32_e32 v0, 0x80000000, v7
	v_mov_b32_e32 v1, 0xffff8000
	v_and_b32_sdwa v0, v0, v1 dst_sel:DWORD dst_unused:UNUSED_PAD src0_sel:WORD_1 src1_sel:DWORD
	v_or_b32_e32 v2, 0x7c00, v0
; %bb.35:
	s_or_b32 exec_lo, exec_lo, s0
	v_mul_lo_u32 v0, v6, s2
	s_and_b32 s1, s4, 0xff
	s_cmp_lt_i32 s1, 11
	v_ashrrev_i32_e32 v1, 31, v0
	v_add_co_u32 v0, vcc_lo, s8, v0
	v_add_co_ci_u32_e64 v1, null, s9, v1, vcc_lo
	s_cbranch_scc1 .LBB28_43
; %bb.36:
	s_and_b32 s12, 0xffff, s1
	s_cmp_gt_i32 s12, 25
	s_cbranch_scc0 .LBB28_46
; %bb.37:
	s_cmp_gt_i32 s12, 28
	s_cbranch_scc0 .LBB28_48
; %bb.38:
	;; [unrolled: 3-line block ×4, first 2 shown]
	s_mov_b32 s18, 0
	s_mov_b32 s0, -1
	s_cmp_eq_u32 s12, 46
	s_mov_b32 s17, 0
	s_cbranch_scc0 .LBB28_57
; %bb.41:
	v_cvt_f32_f16_e32 v3, v2
	v_cmp_o_f16_e32 vcc_lo, v2, v2
	s_mov_b32 s17, -1
	s_mov_b32 s0, 0
	v_bfe_u32 v4, v3, 16, 1
	v_add3_u32 v3, v3, v4, 0x7fff
	v_mov_b32_e32 v4, 0x7fc0
	v_cndmask_b32_sdwa v3, v4, v3, vcc_lo dst_sel:DWORD dst_unused:UNUSED_PAD src0_sel:DWORD src1_sel:WORD_1
	global_store_dword v[0:1], v3, off
	s_branch .LBB28_57
.LBB28_42:
	s_mov_b32 s1, 0
                                        ; implicit-def: $vgpr3
	s_cbranch_execnz .LBB28_191
	s_branch .LBB28_225
.LBB28_43:
	s_mov_b32 s0, 0
	s_mov_b32 s17, 0
	s_cbranch_execnz .LBB28_126
.LBB28_44:
	s_andn2_b32 vcc_lo, exec_lo, s17
	s_cbranch_vccnz .LBB28_274
	s_branch .LBB28_164
.LBB28_45:
	s_mov_b32 s12, -1
	s_mov_b32 s1, 0
                                        ; implicit-def: $vgpr3
	s_branch .LBB28_172
.LBB28_46:
	s_mov_b32 s18, -1
	s_mov_b32 s0, 0
	s_mov_b32 s17, 0
	s_branch .LBB28_84
.LBB28_47:
	s_mov_b32 s12, -1
	s_mov_b32 s1, 0
                                        ; implicit-def: $vgpr3
	s_branch .LBB28_167
.LBB28_48:
	s_mov_b32 s18, -1
	s_mov_b32 s0, 0
	s_mov_b32 s17, 0
	s_branch .LBB28_67
.LBB28_49:
	s_mov_b32 s12, -1
	s_branch .LBB28_52
.LBB28_50:
	s_mov_b32 s18, -1
	s_mov_b32 s0, 0
	s_mov_b32 s17, 0
	s_branch .LBB28_63
.LBB28_51:
	s_mov_b32 s14, -1
.LBB28_52:
	s_mov_b32 s1, 0
                                        ; implicit-def: $vgpr3
.LBB28_53:
	s_and_b32 vcc_lo, exec_lo, s12
	s_cbranch_vccz .LBB28_166
; %bb.54:
	s_cmp_eq_u32 s0, 44
	s_cbranch_scc0 .LBB28_165
; %bb.55:
	global_load_ubyte v2, v[0:1], off
	s_mov_b32 s14, 0
	s_mov_b32 s1, -1
	s_waitcnt vmcnt(0)
	v_lshlrev_b32_e32 v3, 23, v2
	v_cmp_ne_u32_e32 vcc_lo, 0xff, v2
	v_cvt_f16_f32_e32 v3, v3
	v_cndmask_b32_e32 v3, 0x7e00, v3, vcc_lo
	v_cmp_ne_u32_e32 vcc_lo, 0, v2
	v_cndmask_b32_e32 v3, 0, v3, vcc_lo
	s_branch .LBB28_166
.LBB28_56:
	s_mov_b32 s18, -1
	s_mov_b32 s0, 0
	s_mov_b32 s17, 0
.LBB28_57:
	s_and_b32 vcc_lo, exec_lo, s18
	s_cbranch_vccz .LBB28_62
; %bb.58:
	s_cmp_eq_u32 s12, 44
	s_mov_b32 s0, -1
	s_cbranch_scc0 .LBB28_62
; %bb.59:
	v_cvt_f32_f16_e32 v3, v2
	v_mov_b32_e32 v4, 0xff
	s_mov_b32 s17, exec_lo
	v_bfe_u32 v5, v3, 23, 8
	v_cmpx_ne_u32_e32 0xff, v5
	s_cbranch_execz .LBB28_61
; %bb.60:
	v_and_b32_e32 v4, 0x400000, v3
	v_and_or_b32 v5, 0x3fffff, v3, v5
	v_lshrrev_b32_e32 v3, 23, v3
	v_cmp_ne_u32_e32 vcc_lo, 0, v4
	v_cmp_ne_u32_e64 s0, 0, v5
	s_and_b32 s0, vcc_lo, s0
	v_cndmask_b32_e64 v4, 0, 1, s0
	v_add_nc_u32_e32 v4, v3, v4
.LBB28_61:
	s_or_b32 exec_lo, exec_lo, s17
	s_mov_b32 s17, -1
	s_mov_b32 s0, 0
	global_store_byte v[0:1], v4, off
.LBB28_62:
	s_mov_b32 s18, 0
.LBB28_63:
	s_and_b32 vcc_lo, exec_lo, s18
	s_cbranch_vccz .LBB28_66
; %bb.64:
	s_cmp_eq_u32 s12, 29
	s_mov_b32 s0, -1
	s_cbranch_scc0 .LBB28_66
; %bb.65:
	v_cvt_f32_f16_e32 v3, v2
	v_mov_b32_e32 v4, 0
	s_mov_b32 s17, -1
	s_mov_b32 s0, 0
	s_mov_b32 s18, 0
	v_cvt_u32_f32_e32 v3, v3
	global_store_dwordx2 v[0:1], v[3:4], off
	s_branch .LBB28_67
.LBB28_66:
	s_mov_b32 s18, 0
.LBB28_67:
	s_and_b32 vcc_lo, exec_lo, s18
	s_cbranch_vccz .LBB28_83
; %bb.68:
	s_cmp_lt_i32 s12, 27
	s_mov_b32 s17, -1
	s_cbranch_scc1 .LBB28_74
; %bb.69:
	s_cmp_gt_i32 s12, 27
	s_cbranch_scc0 .LBB28_71
; %bb.70:
	v_cvt_f32_f16_e32 v3, v2
	s_mov_b32 s17, 0
	v_cvt_u32_f32_e32 v3, v3
	global_store_dword v[0:1], v3, off
.LBB28_71:
	s_andn2_b32 vcc_lo, exec_lo, s17
	s_cbranch_vccnz .LBB28_73
; %bb.72:
	v_cvt_u16_f16_e32 v3, v2
	global_store_short v[0:1], v3, off
.LBB28_73:
	s_mov_b32 s17, 0
.LBB28_74:
	s_andn2_b32 vcc_lo, exec_lo, s17
	s_cbranch_vccnz .LBB28_82
; %bb.75:
	v_cvt_f32_f16_e32 v3, v2
	v_mov_b32_e32 v5, 0x80
	s_mov_b32 s17, exec_lo
	v_and_b32_e32 v4, 0x7fffffff, v3
	v_cmpx_gt_u32_e32 0x43800000, v4
	s_cbranch_execz .LBB28_81
; %bb.76:
	v_cmp_lt_u32_e32 vcc_lo, 0x3bffffff, v4
	s_mov_b32 s18, 0
                                        ; implicit-def: $vgpr4
	s_and_saveexec_b32 s19, vcc_lo
	s_xor_b32 s19, exec_lo, s19
	s_cbranch_execz .LBB28_327
; %bb.77:
	v_bfe_u32 v4, v3, 20, 1
	s_mov_b32 s18, exec_lo
	v_add3_u32 v4, v3, v4, 0x487ffff
	v_lshrrev_b32_e32 v4, 20, v4
	s_andn2_saveexec_b32 s19, s19
	s_cbranch_execnz .LBB28_328
.LBB28_78:
	s_or_b32 exec_lo, exec_lo, s19
	v_mov_b32_e32 v5, 0
	s_and_saveexec_b32 s19, s18
.LBB28_79:
	v_lshrrev_b32_e32 v3, 24, v3
	v_and_or_b32 v5, 0x80, v3, v4
.LBB28_80:
	s_or_b32 exec_lo, exec_lo, s19
.LBB28_81:
	s_or_b32 exec_lo, exec_lo, s17
	global_store_byte v[0:1], v5, off
.LBB28_82:
	s_mov_b32 s17, -1
.LBB28_83:
	s_mov_b32 s18, 0
.LBB28_84:
	s_and_b32 vcc_lo, exec_lo, s18
	s_cbranch_vccz .LBB28_125
; %bb.85:
	s_cmp_gt_i32 s12, 22
	s_mov_b32 s18, -1
	s_cbranch_scc0 .LBB28_117
; %bb.86:
	s_cmp_lt_i32 s12, 24
	s_mov_b32 s17, -1
	s_cbranch_scc1 .LBB28_106
; %bb.87:
	s_cmp_gt_i32 s12, 24
	s_cbranch_scc0 .LBB28_95
; %bb.88:
	v_cvt_f32_f16_e32 v3, v2
	v_mov_b32_e32 v5, 0x80
	s_mov_b32 s17, exec_lo
	v_and_b32_e32 v4, 0x7fffffff, v3
	v_cmpx_gt_u32_e32 0x47800000, v4
	s_cbranch_execz .LBB28_94
; %bb.89:
	v_cmp_lt_u32_e32 vcc_lo, 0x37ffffff, v4
	s_mov_b32 s18, 0
                                        ; implicit-def: $vgpr4
	s_and_saveexec_b32 s19, vcc_lo
	s_xor_b32 s19, exec_lo, s19
	s_cbranch_execz .LBB28_331
; %bb.90:
	v_bfe_u32 v4, v3, 21, 1
	s_mov_b32 s18, exec_lo
	v_add3_u32 v4, v3, v4, 0x88fffff
	v_lshrrev_b32_e32 v4, 21, v4
	s_andn2_saveexec_b32 s19, s19
	s_cbranch_execnz .LBB28_332
.LBB28_91:
	s_or_b32 exec_lo, exec_lo, s19
	v_mov_b32_e32 v5, 0
	s_and_saveexec_b32 s19, s18
.LBB28_92:
	v_lshrrev_b32_e32 v3, 24, v3
	v_and_or_b32 v5, 0x80, v3, v4
.LBB28_93:
	s_or_b32 exec_lo, exec_lo, s19
.LBB28_94:
	s_or_b32 exec_lo, exec_lo, s17
	s_mov_b32 s17, 0
	global_store_byte v[0:1], v5, off
.LBB28_95:
	s_and_b32 vcc_lo, exec_lo, s17
	s_cbranch_vccz .LBB28_105
; %bb.96:
	v_cvt_f32_f16_e32 v3, v2
	s_mov_b32 s17, exec_lo
                                        ; implicit-def: $vgpr4
	v_and_b32_e32 v5, 0x7fffffff, v3
	v_cmpx_gt_u32_e32 0x43f00000, v5
	s_xor_b32 s17, exec_lo, s17
	s_cbranch_execz .LBB28_102
; %bb.97:
	s_mov_b32 s18, exec_lo
                                        ; implicit-def: $vgpr4
	v_cmpx_lt_u32_e32 0x3c7fffff, v5
	s_xor_b32 s18, exec_lo, s18
; %bb.98:
	v_bfe_u32 v4, v3, 20, 1
	v_add3_u32 v4, v3, v4, 0x407ffff
	v_and_b32_e32 v5, 0xff00000, v4
	v_lshrrev_b32_e32 v4, 20, v4
	v_cmp_ne_u32_e32 vcc_lo, 0x7f00000, v5
	v_cndmask_b32_e32 v4, 0x7e, v4, vcc_lo
; %bb.99:
	s_andn2_saveexec_b32 s18, s18
; %bb.100:
	v_add_f32_e64 v4, 0x46800000, |v3|
; %bb.101:
	s_or_b32 exec_lo, exec_lo, s18
                                        ; implicit-def: $vgpr5
.LBB28_102:
	s_andn2_saveexec_b32 s17, s17
; %bb.103:
	v_mov_b32_e32 v4, 0x7f
	v_cmp_lt_u32_e32 vcc_lo, 0x7f800000, v5
	v_cndmask_b32_e32 v4, 0x7e, v4, vcc_lo
; %bb.104:
	s_or_b32 exec_lo, exec_lo, s17
	v_lshrrev_b32_e32 v3, 24, v3
	v_and_or_b32 v3, 0x80, v3, v4
	global_store_byte v[0:1], v3, off
.LBB28_105:
	s_mov_b32 s17, 0
.LBB28_106:
	s_andn2_b32 vcc_lo, exec_lo, s17
	s_cbranch_vccnz .LBB28_116
; %bb.107:
	v_cvt_f32_f16_e32 v3, v2
	s_mov_b32 s17, exec_lo
                                        ; implicit-def: $vgpr4
	v_and_b32_e32 v5, 0x7fffffff, v3
	v_cmpx_gt_u32_e32 0x47800000, v5
	s_xor_b32 s17, exec_lo, s17
	s_cbranch_execz .LBB28_113
; %bb.108:
	s_mov_b32 s18, exec_lo
                                        ; implicit-def: $vgpr4
	v_cmpx_lt_u32_e32 0x387fffff, v5
	s_xor_b32 s18, exec_lo, s18
; %bb.109:
	v_bfe_u32 v4, v3, 21, 1
	v_add3_u32 v4, v3, v4, 0x80fffff
	v_lshrrev_b32_e32 v4, 21, v4
; %bb.110:
	s_andn2_saveexec_b32 s18, s18
; %bb.111:
	v_add_f32_e64 v4, 0x43000000, |v3|
; %bb.112:
	s_or_b32 exec_lo, exec_lo, s18
                                        ; implicit-def: $vgpr5
.LBB28_113:
	s_andn2_saveexec_b32 s17, s17
; %bb.114:
	v_mov_b32_e32 v4, 0x7f
	v_cmp_lt_u32_e32 vcc_lo, 0x7f800000, v5
	v_cndmask_b32_e32 v4, 0x7c, v4, vcc_lo
; %bb.115:
	s_or_b32 exec_lo, exec_lo, s17
	v_lshrrev_b32_e32 v3, 24, v3
	v_and_or_b32 v3, 0x80, v3, v4
	global_store_byte v[0:1], v3, off
.LBB28_116:
	s_mov_b32 s18, 0
	s_mov_b32 s17, -1
.LBB28_117:
	s_andn2_b32 vcc_lo, exec_lo, s18
	s_cbranch_vccnz .LBB28_125
; %bb.118:
	s_cmp_gt_i32 s12, 14
	s_mov_b32 s18, -1
	s_cbranch_scc0 .LBB28_122
; %bb.119:
	s_cmp_eq_u32 s12, 15
	s_mov_b32 s0, -1
	s_cbranch_scc0 .LBB28_121
; %bb.120:
	v_cvt_f32_f16_e32 v3, v2
	v_cmp_o_f16_e32 vcc_lo, v2, v2
	s_mov_b32 s17, -1
	s_mov_b32 s0, 0
	v_bfe_u32 v4, v3, 16, 1
	v_add3_u32 v3, v3, v4, 0x7fff
	v_mov_b32_e32 v4, 0x7fc0
	v_cndmask_b32_sdwa v3, v4, v3, vcc_lo dst_sel:DWORD dst_unused:UNUSED_PAD src0_sel:DWORD src1_sel:WORD_1
	global_store_short v[0:1], v3, off
.LBB28_121:
	s_mov_b32 s18, 0
.LBB28_122:
	s_and_b32 vcc_lo, exec_lo, s18
	s_cbranch_vccz .LBB28_125
; %bb.123:
	s_cmp_eq_u32 s12, 11
	s_mov_b32 s0, -1
	s_cbranch_scc0 .LBB28_125
; %bb.124:
	v_and_b32_e32 v3, 0x7fff, v2
	s_mov_b32 s0, 0
	s_mov_b32 s17, -1
	v_cmp_ne_u16_e32 vcc_lo, 0, v3
	v_cndmask_b32_e64 v3, 0, 1, vcc_lo
	global_store_byte v[0:1], v3, off
.LBB28_125:
	s_branch .LBB28_44
.LBB28_126:
	s_and_b32 s1, 0xffff, s1
	s_mov_b32 s12, -1
	s_cmp_lt_i32 s1, 5
	s_cbranch_scc1 .LBB28_147
; %bb.127:
	s_cmp_lt_i32 s1, 8
	s_cbranch_scc1 .LBB28_137
; %bb.128:
	;; [unrolled: 3-line block ×3, first 2 shown]
	s_cmp_gt_i32 s1, 9
	s_cbranch_scc0 .LBB28_131
; %bb.130:
	v_cvt_f32_f16_e32 v3, v2
	v_mov_b32_e32 v9, 0
	s_mov_b32 s12, 0
	v_cvt_f64_f32_e32 v[7:8], v3
	v_mov_b32_e32 v10, v9
	global_store_dwordx4 v[0:1], v[7:10], off
.LBB28_131:
	s_andn2_b32 vcc_lo, exec_lo, s12
	s_cbranch_vccnz .LBB28_133
; %bb.132:
	v_cvt_f32_f16_e32 v3, v2
	v_mov_b32_e32 v4, 0
	global_store_dwordx2 v[0:1], v[3:4], off
.LBB28_133:
	s_mov_b32 s12, 0
.LBB28_134:
	s_andn2_b32 vcc_lo, exec_lo, s12
	s_cbranch_vccnz .LBB28_136
; %bb.135:
	v_and_b32_e32 v3, 0xffff, v2
	global_store_dword v[0:1], v3, off
.LBB28_136:
	s_mov_b32 s12, 0
.LBB28_137:
	s_andn2_b32 vcc_lo, exec_lo, s12
	s_cbranch_vccnz .LBB28_146
; %bb.138:
	s_cmp_lt_i32 s1, 6
	s_mov_b32 s12, -1
	s_cbranch_scc1 .LBB28_144
; %bb.139:
	s_cmp_gt_i32 s1, 6
	s_cbranch_scc0 .LBB28_141
; %bb.140:
	v_cvt_f32_f16_e32 v3, v2
	s_mov_b32 s12, 0
	v_cvt_f64_f32_e32 v[3:4], v3
	global_store_dwordx2 v[0:1], v[3:4], off
.LBB28_141:
	s_andn2_b32 vcc_lo, exec_lo, s12
	s_cbranch_vccnz .LBB28_143
; %bb.142:
	v_cvt_f32_f16_e32 v3, v2
	global_store_dword v[0:1], v3, off
.LBB28_143:
	s_mov_b32 s12, 0
.LBB28_144:
	s_andn2_b32 vcc_lo, exec_lo, s12
	s_cbranch_vccnz .LBB28_146
; %bb.145:
	global_store_short v[0:1], v2, off
.LBB28_146:
	s_mov_b32 s12, 0
.LBB28_147:
	s_andn2_b32 vcc_lo, exec_lo, s12
	s_cbranch_vccnz .LBB28_163
; %bb.148:
	s_cmp_lt_i32 s1, 2
	s_mov_b32 s12, -1
	s_cbranch_scc1 .LBB28_158
; %bb.149:
	s_cmp_lt_i32 s1, 3
	s_cbranch_scc1 .LBB28_155
; %bb.150:
	s_cmp_gt_i32 s1, 3
	s_cbranch_scc0 .LBB28_152
; %bb.151:
	v_cvt_f32_f16_e32 v3, v2
	s_mov_b32 s12, 0
	v_cvt_i32_f32_e32 v3, v3
	v_ashrrev_i32_e32 v4, 31, v3
	global_store_dwordx2 v[0:1], v[3:4], off
.LBB28_152:
	s_andn2_b32 vcc_lo, exec_lo, s12
	s_cbranch_vccnz .LBB28_154
; %bb.153:
	v_cvt_f32_f16_e32 v3, v2
	v_cvt_i32_f32_e32 v3, v3
	global_store_dword v[0:1], v3, off
.LBB28_154:
	s_mov_b32 s12, 0
.LBB28_155:
	s_andn2_b32 vcc_lo, exec_lo, s12
	s_cbranch_vccnz .LBB28_157
; %bb.156:
	v_cvt_i16_f16_e32 v3, v2
	global_store_short v[0:1], v3, off
.LBB28_157:
	s_mov_b32 s12, 0
.LBB28_158:
	s_andn2_b32 vcc_lo, exec_lo, s12
	s_cbranch_vccnz .LBB28_163
; %bb.159:
	s_cmp_gt_i32 s1, 0
	s_mov_b32 s1, -1
	s_cbranch_scc0 .LBB28_161
; %bb.160:
	v_cvt_i16_f16_e32 v3, v2
	s_mov_b32 s1, 0
	global_store_byte v[0:1], v3, off
.LBB28_161:
	s_andn2_b32 vcc_lo, exec_lo, s1
	s_cbranch_vccnz .LBB28_163
; %bb.162:
	v_cvt_f32_f16_e32 v2, v2
	v_cvt_i32_f32_e32 v2, v2
	global_store_byte v[0:1], v2, off
.LBB28_163:
.LBB28_164:
	v_add_nc_u32_e32 v6, 0x80, v6
	s_mov_b32 s1, -1
	s_branch .LBB28_275
.LBB28_165:
	s_mov_b32 s14, -1
                                        ; implicit-def: $vgpr3
.LBB28_166:
	s_mov_b32 s12, 0
.LBB28_167:
	s_and_b32 vcc_lo, exec_lo, s12
	s_cbranch_vccz .LBB28_171
; %bb.168:
	s_cmp_eq_u32 s0, 29
	s_cbranch_scc0 .LBB28_170
; %bb.169:
	global_load_dwordx2 v[2:3], v[0:1], off
	s_mov_b32 s1, -1
	s_mov_b32 s14, 0
	s_mov_b32 s12, 0
	s_waitcnt vmcnt(0)
	v_ffbh_u32_e32 v4, v3
	v_min_u32_e32 v4, 32, v4
	v_lshlrev_b64 v[2:3], v4, v[2:3]
	v_min_u32_e32 v2, 1, v2
	v_or_b32_e32 v2, v3, v2
	v_sub_nc_u32_e32 v3, 32, v4
	v_cvt_f32_u32_e32 v2, v2
	v_ldexp_f32 v2, v2, v3
	v_cvt_f16_f32_e32 v3, v2
	s_branch .LBB28_172
.LBB28_170:
	s_mov_b32 s14, -1
                                        ; implicit-def: $vgpr3
.LBB28_171:
	s_mov_b32 s12, 0
.LBB28_172:
	s_and_b32 vcc_lo, exec_lo, s12
	s_cbranch_vccz .LBB28_190
; %bb.173:
	s_cmp_lt_i32 s0, 27
	s_cbranch_scc1 .LBB28_176
; %bb.174:
	s_cmp_gt_i32 s0, 27
	s_cbranch_scc0 .LBB28_177
; %bb.175:
	global_load_dword v2, v[0:1], off
	s_mov_b32 s1, 0
	s_waitcnt vmcnt(0)
	v_cvt_f32_u32_e32 v2, v2
	v_cvt_f16_f32_e32 v3, v2
	s_branch .LBB28_178
.LBB28_176:
	s_mov_b32 s1, -1
                                        ; implicit-def: $vgpr3
	s_branch .LBB28_181
.LBB28_177:
	s_mov_b32 s1, -1
                                        ; implicit-def: $vgpr3
.LBB28_178:
	s_andn2_b32 vcc_lo, exec_lo, s1
	s_cbranch_vccnz .LBB28_180
; %bb.179:
	global_load_ushort v2, v[0:1], off
	s_waitcnt vmcnt(0)
	v_cvt_f16_u16_e32 v3, v2
.LBB28_180:
	s_mov_b32 s1, 0
.LBB28_181:
	s_andn2_b32 vcc_lo, exec_lo, s1
	s_cbranch_vccnz .LBB28_189
; %bb.182:
	global_load_ubyte v2, v[0:1], off
	s_mov_b32 s1, 0
	s_mov_b32 s12, exec_lo
	s_waitcnt vmcnt(0)
	v_cmpx_lt_i16_e32 0x7f, v2
	s_xor_b32 s12, exec_lo, s12
	s_cbranch_execz .LBB28_202
; %bb.183:
	s_mov_b32 s1, -1
	s_mov_b32 s17, exec_lo
	v_cmpx_eq_u16_e32 0x80, v2
; %bb.184:
	s_xor_b32 s1, exec_lo, -1
; %bb.185:
	s_or_b32 exec_lo, exec_lo, s17
	s_and_b32 s1, s1, exec_lo
	s_or_saveexec_b32 s12, s12
	v_mov_b32_e32 v3, 0x7e00
	s_xor_b32 exec_lo, exec_lo, s12
	s_cbranch_execnz .LBB28_203
.LBB28_186:
	s_or_b32 exec_lo, exec_lo, s12
	s_and_saveexec_b32 s12, s1
	s_cbranch_execz .LBB28_188
.LBB28_187:
	v_and_b32_e32 v3, 0xffff, v2
	v_lshlrev_b32_e32 v2, 24, v2
	v_and_b32_e32 v4, 7, v3
	v_bfe_u32 v8, v3, 3, 4
	v_and_b32_e32 v2, 0x80000000, v2
	v_ffbh_u32_e32 v5, v4
	v_cmp_eq_u32_e32 vcc_lo, 0, v8
	v_min_u32_e32 v5, 32, v5
	v_subrev_nc_u32_e32 v7, 28, v5
	v_sub_nc_u32_e32 v5, 29, v5
	v_lshlrev_b32_e32 v3, v7, v3
	v_cndmask_b32_e32 v5, v8, v5, vcc_lo
	v_and_b32_e32 v3, 7, v3
	v_cndmask_b32_e32 v3, v4, v3, vcc_lo
	v_lshl_add_u32 v4, v5, 23, 0x3b800000
	v_lshlrev_b32_e32 v3, 20, v3
	v_or3_b32 v2, v2, v4, v3
	v_cvt_f16_f32_e32 v3, v2
.LBB28_188:
	s_or_b32 exec_lo, exec_lo, s12
.LBB28_189:
	s_mov_b32 s1, -1
.LBB28_190:
	s_branch .LBB28_225
.LBB28_191:
	s_cmp_gt_i32 s0, 22
	s_cbranch_scc0 .LBB28_201
; %bb.192:
	s_cmp_lt_i32 s0, 24
	s_cbranch_scc1 .LBB28_204
; %bb.193:
	s_cmp_gt_i32 s0, 24
	s_cbranch_scc0 .LBB28_205
; %bb.194:
	global_load_ubyte v2, v[0:1], off
	s_mov_b32 s1, 0
	s_mov_b32 s12, exec_lo
	s_waitcnt vmcnt(0)
	v_cmpx_lt_i16_e32 0x7f, v2
	s_xor_b32 s12, exec_lo, s12
	s_cbranch_execz .LBB28_217
; %bb.195:
	s_mov_b32 s1, -1
	s_mov_b32 s17, exec_lo
	v_cmpx_eq_u16_e32 0x80, v2
; %bb.196:
	s_xor_b32 s1, exec_lo, -1
; %bb.197:
	s_or_b32 exec_lo, exec_lo, s17
	s_and_b32 s1, s1, exec_lo
	s_or_saveexec_b32 s12, s12
	v_mov_b32_e32 v3, 0x7e00
	s_xor_b32 exec_lo, exec_lo, s12
	s_cbranch_execnz .LBB28_218
.LBB28_198:
	s_or_b32 exec_lo, exec_lo, s12
	s_and_saveexec_b32 s12, s1
	s_cbranch_execz .LBB28_200
.LBB28_199:
	v_and_b32_e32 v3, 0xffff, v2
	v_lshlrev_b32_e32 v2, 24, v2
	v_and_b32_e32 v4, 3, v3
	v_bfe_u32 v8, v3, 2, 5
	v_and_b32_e32 v2, 0x80000000, v2
	v_ffbh_u32_e32 v5, v4
	v_cmp_eq_u32_e32 vcc_lo, 0, v8
	v_min_u32_e32 v5, 32, v5
	v_subrev_nc_u32_e32 v7, 29, v5
	v_sub_nc_u32_e32 v5, 30, v5
	v_lshlrev_b32_e32 v3, v7, v3
	v_cndmask_b32_e32 v5, v8, v5, vcc_lo
	v_and_b32_e32 v3, 3, v3
	v_cndmask_b32_e32 v3, v4, v3, vcc_lo
	v_lshl_add_u32 v4, v5, 23, 0x37800000
	v_lshlrev_b32_e32 v3, 21, v3
	v_or3_b32 v2, v2, v4, v3
	v_cvt_f16_f32_e32 v3, v2
.LBB28_200:
	s_or_b32 exec_lo, exec_lo, s12
	s_mov_b32 s1, 0
	s_branch .LBB28_206
.LBB28_201:
	s_mov_b32 s12, -1
                                        ; implicit-def: $vgpr3
	s_branch .LBB28_212
.LBB28_202:
	s_or_saveexec_b32 s12, s12
	v_mov_b32_e32 v3, 0x7e00
	s_xor_b32 exec_lo, exec_lo, s12
	s_cbranch_execz .LBB28_186
.LBB28_203:
	v_cmp_ne_u16_e32 vcc_lo, 0, v2
	v_mov_b32_e32 v3, v2
	s_andn2_b32 s1, s1, exec_lo
	s_and_b32 s17, vcc_lo, exec_lo
	s_or_b32 s1, s1, s17
	s_or_b32 exec_lo, exec_lo, s12
	s_and_saveexec_b32 s12, s1
	s_cbranch_execnz .LBB28_187
	s_branch .LBB28_188
.LBB28_204:
	s_mov_b32 s1, -1
                                        ; implicit-def: $vgpr3
	s_branch .LBB28_209
.LBB28_205:
	s_mov_b32 s1, -1
                                        ; implicit-def: $vgpr3
.LBB28_206:
	s_and_b32 vcc_lo, exec_lo, s1
	s_cbranch_vccz .LBB28_208
; %bb.207:
	global_load_ubyte v2, v[0:1], off
	s_waitcnt vmcnt(0)
	v_lshlrev_b32_e32 v2, 24, v2
	v_and_b32_e32 v3, 0x7f000000, v2
	v_ffbh_u32_e32 v4, v3
	v_add_nc_u32_e32 v7, 0x1000000, v3
	v_cmp_ne_u32_e32 vcc_lo, 0, v3
	v_min_u32_e32 v4, 32, v4
	v_sub_nc_u32_e64 v4, v4, 4 clamp
	v_lshlrev_b32_e32 v5, v4, v3
	v_lshlrev_b32_e32 v4, 23, v4
	v_lshrrev_b32_e32 v5, 4, v5
	v_sub_nc_u32_e32 v4, v5, v4
	v_ashrrev_i32_e32 v5, 8, v7
	v_add_nc_u32_e32 v4, 0x3c000000, v4
	v_and_or_b32 v4, 0x7f800000, v5, v4
	v_cndmask_b32_e32 v3, 0, v4, vcc_lo
	v_and_or_b32 v2, 0x80000000, v2, v3
	v_cvt_f16_f32_e32 v3, v2
.LBB28_208:
	s_mov_b32 s1, 0
.LBB28_209:
	s_andn2_b32 vcc_lo, exec_lo, s1
	s_cbranch_vccnz .LBB28_211
; %bb.210:
	global_load_ubyte v2, v[0:1], off
	s_waitcnt vmcnt(0)
	v_lshlrev_b32_e32 v3, 25, v2
	v_lshlrev_b16 v2, 8, v2
	v_lshrrev_b32_e32 v4, 4, v3
	v_and_or_b32 v5, 0x7f00, v2, 0.5
	v_cmp_gt_u32_e32 vcc_lo, 0x8000000, v3
	v_bfe_i32 v2, v2, 0, 16
	v_or_b32_e32 v4, 0x70000000, v4
	v_add_f32_e32 v5, -0.5, v5
	v_mul_f32_e32 v4, 0x7800000, v4
	v_cndmask_b32_e32 v3, v4, v5, vcc_lo
	v_and_or_b32 v2, 0x80000000, v2, v3
	v_cvt_f16_f32_e32 v3, v2
.LBB28_211:
	s_mov_b32 s12, 0
	s_mov_b32 s1, -1
.LBB28_212:
	s_andn2_b32 vcc_lo, exec_lo, s12
	s_cbranch_vccnz .LBB28_225
; %bb.213:
	s_cmp_gt_i32 s0, 14
	s_cbranch_scc0 .LBB28_216
; %bb.214:
	s_cmp_eq_u32 s0, 15
	s_cbranch_scc0 .LBB28_219
; %bb.215:
	global_load_ushort v2, v[0:1], off
	s_mov_b32 s1, -1
	s_mov_b32 s14, 0
	s_waitcnt vmcnt(0)
	v_lshlrev_b32_e32 v2, 16, v2
	v_cvt_f16_f32_e32 v3, v2
	s_branch .LBB28_220
.LBB28_216:
	s_mov_b32 s12, -1
                                        ; implicit-def: $vgpr3
	s_branch .LBB28_221
.LBB28_217:
	s_or_saveexec_b32 s12, s12
	v_mov_b32_e32 v3, 0x7e00
	s_xor_b32 exec_lo, exec_lo, s12
	s_cbranch_execz .LBB28_198
.LBB28_218:
	v_cmp_ne_u16_e32 vcc_lo, 0, v2
	v_mov_b32_e32 v3, v2
	s_andn2_b32 s1, s1, exec_lo
	s_and_b32 s17, vcc_lo, exec_lo
	s_or_b32 s1, s1, s17
	s_or_b32 exec_lo, exec_lo, s12
	s_and_saveexec_b32 s12, s1
	s_cbranch_execnz .LBB28_199
	s_branch .LBB28_200
.LBB28_219:
	s_mov_b32 s14, -1
                                        ; implicit-def: $vgpr3
.LBB28_220:
	s_mov_b32 s12, 0
.LBB28_221:
	s_and_b32 vcc_lo, exec_lo, s12
	s_cbranch_vccz .LBB28_225
; %bb.222:
	s_cmp_eq_u32 s0, 11
	s_cbranch_scc0 .LBB28_224
; %bb.223:
	global_load_ubyte v2, v[0:1], off
	s_mov_b32 s14, 0
	s_mov_b32 s1, -1
	s_waitcnt vmcnt(0)
	v_cmp_ne_u16_e32 vcc_lo, 0, v2
	v_cndmask_b32_e64 v3, 0, 0x3c00, vcc_lo
	s_branch .LBB28_225
.LBB28_224:
	s_mov_b32 s14, -1
                                        ; implicit-def: $vgpr3
.LBB28_225:
	s_branch .LBB28_10
.LBB28_226:
	s_cmp_lt_i32 s0, 5
	s_cbranch_scc1 .LBB28_231
; %bb.227:
	s_cmp_lt_i32 s0, 8
	s_cbranch_scc1 .LBB28_232
; %bb.228:
	;; [unrolled: 3-line block ×3, first 2 shown]
	s_cmp_gt_i32 s0, 9
	s_cbranch_scc0 .LBB28_234
; %bb.230:
	global_load_dwordx2 v[2:3], v[0:1], off
	s_mov_b32 s1, 0
	s_waitcnt vmcnt(0)
	v_and_or_b32 v2, 0x1ff, v3, v2
	v_lshrrev_b32_e32 v4, 8, v3
	v_bfe_u32 v5, v3, 20, 11
	v_lshrrev_b32_e32 v3, 16, v3
	v_cmp_ne_u32_e32 vcc_lo, 0, v2
	v_sub_nc_u32_e32 v7, 0x3f1, v5
	v_add_nc_u32_e32 v5, 0xfffffc10, v5
	v_cndmask_b32_e64 v2, 0, 1, vcc_lo
	v_and_or_b32 v2, 0xffe, v4, v2
	v_med3_i32 v4, v7, 0, 13
	v_or_b32_e32 v7, 0x1000, v2
	v_lshrrev_b32_e32 v8, v4, v7
	v_lshlrev_b32_e32 v4, v4, v8
	v_cmp_ne_u32_e32 vcc_lo, v4, v7
	v_lshl_or_b32 v7, v5, 12, v2
	v_cndmask_b32_e64 v4, 0, 1, vcc_lo
	v_cmp_gt_i32_e32 vcc_lo, 1, v5
	v_or_b32_e32 v4, v8, v4
	v_cndmask_b32_e32 v4, v7, v4, vcc_lo
	v_and_b32_e32 v7, 7, v4
	v_lshrrev_b32_e32 v4, 2, v4
	v_cmp_lt_i32_e32 vcc_lo, 5, v7
	v_cndmask_b32_e64 v8, 0, 1, vcc_lo
	v_cmp_eq_u32_e32 vcc_lo, 3, v7
	v_cndmask_b32_e64 v7, 0, 1, vcc_lo
	v_cmp_ne_u32_e32 vcc_lo, 0, v2
	v_or_b32_e32 v7, v7, v8
	v_mov_b32_e32 v8, 0x7e00
	v_add_nc_u32_e32 v4, v4, v7
	v_cndmask_b32_e32 v2, 0x7c00, v8, vcc_lo
	v_cmp_gt_i32_e32 vcc_lo, 31, v5
	v_cndmask_b32_e32 v4, 0x7c00, v4, vcc_lo
	v_cmp_eq_u32_e32 vcc_lo, 0x40f, v5
	v_cndmask_b32_e32 v2, v4, v2, vcc_lo
	v_and_or_b32 v3, 0x8000, v3, v2
	s_branch .LBB28_235
.LBB28_231:
                                        ; implicit-def: $vgpr3
	s_branch .LBB28_253
.LBB28_232:
	s_mov_b32 s1, -1
                                        ; implicit-def: $vgpr3
	s_branch .LBB28_241
.LBB28_233:
	s_mov_b32 s1, -1
                                        ; implicit-def: $vgpr3
	s_branch .LBB28_238
.LBB28_234:
	s_mov_b32 s1, -1
                                        ; implicit-def: $vgpr3
.LBB28_235:
	s_andn2_b32 vcc_lo, exec_lo, s1
	s_cbranch_vccnz .LBB28_237
; %bb.236:
	global_load_dword v2, v[0:1], off
	s_waitcnt vmcnt(0)
	v_cvt_f16_f32_e32 v3, v2
.LBB28_237:
	s_mov_b32 s1, 0
.LBB28_238:
	s_andn2_b32 vcc_lo, exec_lo, s1
	s_cbranch_vccnz .LBB28_240
; %bb.239:
	global_load_dword v3, v[0:1], off
.LBB28_240:
	s_mov_b32 s1, 0
.LBB28_241:
	s_andn2_b32 vcc_lo, exec_lo, s1
	s_cbranch_vccnz .LBB28_252
; %bb.242:
	s_cmp_lt_i32 s0, 6
	s_cbranch_scc1 .LBB28_245
; %bb.243:
	s_cmp_gt_i32 s0, 6
	s_cbranch_scc0 .LBB28_246
; %bb.244:
	global_load_dwordx2 v[2:3], v[0:1], off
	s_mov_b32 s1, 0
	s_waitcnt vmcnt(0)
	v_and_or_b32 v2, 0x1ff, v3, v2
	v_lshrrev_b32_e32 v4, 8, v3
	v_bfe_u32 v5, v3, 20, 11
	v_lshrrev_b32_e32 v3, 16, v3
	v_cmp_ne_u32_e32 vcc_lo, 0, v2
	v_sub_nc_u32_e32 v7, 0x3f1, v5
	v_add_nc_u32_e32 v5, 0xfffffc10, v5
	v_cndmask_b32_e64 v2, 0, 1, vcc_lo
	v_and_or_b32 v2, 0xffe, v4, v2
	v_med3_i32 v4, v7, 0, 13
	v_or_b32_e32 v7, 0x1000, v2
	v_lshrrev_b32_e32 v8, v4, v7
	v_lshlrev_b32_e32 v4, v4, v8
	v_cmp_ne_u32_e32 vcc_lo, v4, v7
	v_lshl_or_b32 v7, v5, 12, v2
	v_cndmask_b32_e64 v4, 0, 1, vcc_lo
	v_cmp_gt_i32_e32 vcc_lo, 1, v5
	v_or_b32_e32 v4, v8, v4
	v_cndmask_b32_e32 v4, v7, v4, vcc_lo
	v_and_b32_e32 v7, 7, v4
	v_lshrrev_b32_e32 v4, 2, v4
	v_cmp_lt_i32_e32 vcc_lo, 5, v7
	v_cndmask_b32_e64 v8, 0, 1, vcc_lo
	v_cmp_eq_u32_e32 vcc_lo, 3, v7
	v_cndmask_b32_e64 v7, 0, 1, vcc_lo
	v_cmp_ne_u32_e32 vcc_lo, 0, v2
	v_or_b32_e32 v7, v7, v8
	v_mov_b32_e32 v8, 0x7e00
	v_add_nc_u32_e32 v4, v4, v7
	v_cndmask_b32_e32 v2, 0x7c00, v8, vcc_lo
	v_cmp_gt_i32_e32 vcc_lo, 31, v5
	v_cndmask_b32_e32 v4, 0x7c00, v4, vcc_lo
	v_cmp_eq_u32_e32 vcc_lo, 0x40f, v5
	v_cndmask_b32_e32 v2, v4, v2, vcc_lo
	v_and_or_b32 v3, 0x8000, v3, v2
	s_branch .LBB28_247
.LBB28_245:
	s_mov_b32 s1, -1
                                        ; implicit-def: $vgpr3
	s_branch .LBB28_250
.LBB28_246:
	s_mov_b32 s1, -1
                                        ; implicit-def: $vgpr3
.LBB28_247:
	s_andn2_b32 vcc_lo, exec_lo, s1
	s_cbranch_vccnz .LBB28_249
; %bb.248:
	global_load_dword v2, v[0:1], off
	s_waitcnt vmcnt(0)
	v_cvt_f16_f32_e32 v3, v2
.LBB28_249:
	s_mov_b32 s1, 0
.LBB28_250:
	s_andn2_b32 vcc_lo, exec_lo, s1
	s_cbranch_vccnz .LBB28_252
; %bb.251:
	global_load_ushort v3, v[0:1], off
.LBB28_252:
	s_cbranch_execnz .LBB28_272
.LBB28_253:
	s_cmp_lt_i32 s0, 2
	s_cbranch_scc1 .LBB28_257
; %bb.254:
	s_cmp_lt_i32 s0, 3
	s_cbranch_scc1 .LBB28_258
; %bb.255:
	s_cmp_gt_i32 s0, 3
	s_cbranch_scc0 .LBB28_259
; %bb.256:
	global_load_dwordx2 v[2:3], v[0:1], off
	s_mov_b32 s1, 0
	s_waitcnt vmcnt(0)
	v_xor_b32_e32 v4, v2, v3
	v_ffbh_i32_e32 v5, v3
	v_ashrrev_i32_e32 v4, 31, v4
	v_add_nc_u32_e32 v5, -1, v5
	v_add_nc_u32_e32 v4, 32, v4
	v_min_u32_e32 v4, v5, v4
	v_lshlrev_b64 v[2:3], v4, v[2:3]
	v_min_u32_e32 v2, 1, v2
	v_or_b32_e32 v2, v3, v2
	v_sub_nc_u32_e32 v3, 32, v4
	v_cvt_f32_i32_e32 v2, v2
	v_ldexp_f32 v2, v2, v3
	v_cvt_f16_f32_e32 v3, v2
	s_branch .LBB28_260
.LBB28_257:
	s_mov_b32 s1, -1
                                        ; implicit-def: $vgpr3
	s_branch .LBB28_266
.LBB28_258:
	s_mov_b32 s1, -1
                                        ; implicit-def: $vgpr3
	s_branch .LBB28_263
.LBB28_259:
	s_mov_b32 s1, -1
                                        ; implicit-def: $vgpr3
.LBB28_260:
	s_andn2_b32 vcc_lo, exec_lo, s1
	s_cbranch_vccnz .LBB28_262
; %bb.261:
	global_load_dword v2, v[0:1], off
	s_waitcnt vmcnt(0)
	v_cvt_f32_i32_e32 v2, v2
	v_cvt_f16_f32_e32 v3, v2
.LBB28_262:
	s_mov_b32 s1, 0
.LBB28_263:
	s_andn2_b32 vcc_lo, exec_lo, s1
	s_cbranch_vccnz .LBB28_265
; %bb.264:
	global_load_ushort v2, v[0:1], off
	s_waitcnt vmcnt(0)
	v_cvt_f16_i16_e32 v3, v2
.LBB28_265:
	s_mov_b32 s1, 0
.LBB28_266:
	s_andn2_b32 vcc_lo, exec_lo, s1
	s_cbranch_vccnz .LBB28_272
; %bb.267:
	s_cmp_gt_i32 s0, 0
	s_mov_b32 s0, 0
	s_cbranch_scc0 .LBB28_269
; %bb.268:
	global_load_sbyte v2, v[0:1], off
	s_waitcnt vmcnt(0)
	v_cvt_f16_i16_e32 v3, v2
	s_branch .LBB28_270
.LBB28_269:
	s_mov_b32 s0, -1
                                        ; implicit-def: $vgpr3
.LBB28_270:
	s_andn2_b32 vcc_lo, exec_lo, s0
	s_cbranch_vccnz .LBB28_272
; %bb.271:
	global_load_ubyte v0, v[0:1], off
	s_waitcnt vmcnt(0)
	v_cvt_f16_u16_e32 v3, v0
.LBB28_272:
	s_branch .LBB28_11
.LBB28_273:
	s_mov_b32 s0, 0
.LBB28_274:
	s_mov_b32 s1, 0
                                        ; implicit-def: $vgpr6
.LBB28_275:
	s_and_b32 s12, s0, exec_lo
	s_and_b32 s14, s14, exec_lo
	s_orn2_b32 s1, s1, exec_lo
.LBB28_276:
	s_or_b32 exec_lo, exec_lo, s15
	s_mov_b32 s17, 0
	s_mov_b32 s0, 0
                                        ; implicit-def: $vgpr0_vgpr1
                                        ; implicit-def: $vgpr3
	s_and_saveexec_b32 s15, s1
	s_cbranch_execz .LBB28_285
; %bb.277:
	s_mov_b32 s0, -1
	s_mov_b32 s16, s14
	s_mov_b32 s17, s12
	s_mov_b32 s18, exec_lo
	v_cmpx_gt_i32_e64 s13, v6
	s_cbranch_execz .LBB28_563
; %bb.278:
	v_mul_lo_u32 v0, v6, s3
	s_and_b32 s0, 0xffff, s6
	s_cmp_lt_i32 s0, 11
	v_ashrrev_i32_e32 v1, 31, v0
	v_add_co_u32 v0, vcc_lo, s10, v0
	v_add_co_ci_u32_e64 v1, null, s11, v1, vcc_lo
	s_cbranch_scc1 .LBB28_288
; %bb.279:
	s_cmp_gt_i32 s0, 25
	s_cbranch_scc0 .LBB28_321
; %bb.280:
	s_cmp_gt_i32 s0, 28
	s_cbranch_scc0 .LBB28_323
	;; [unrolled: 3-line block ×4, first 2 shown]
; %bb.283:
	s_cmp_eq_u32 s0, 46
	s_mov_b32 s17, 0
	s_cbranch_scc0 .LBB28_333
; %bb.284:
	global_load_dword v2, v[0:1], off
	s_mov_b32 s1, -1
	s_mov_b32 s16, 0
	s_waitcnt vmcnt(0)
	v_lshlrev_b32_e32 v2, 16, v2
	v_cvt_f16_f32_e32 v3, v2
	s_branch .LBB28_335
.LBB28_285:
	s_or_b32 exec_lo, exec_lo, s15
	s_mov_b32 s13, 0
	s_and_saveexec_b32 s1, s14
	s_cbranch_execnz .LBB28_935
.LBB28_286:
	s_or_b32 exec_lo, exec_lo, s1
	s_and_saveexec_b32 s1, s16
	s_xor_b32 s1, exec_lo, s1
	s_cbranch_execz .LBB28_936
.LBB28_287:
	global_load_ubyte v2, v[0:1], off
	s_or_b32 s0, s0, exec_lo
	s_waitcnt vmcnt(0)
	v_cmp_ne_u16_e32 vcc_lo, 0, v2
	v_cndmask_b32_e64 v3, 0, 0x3c00, vcc_lo
	s_or_b32 exec_lo, exec_lo, s1
	s_and_saveexec_b32 s1, s17
	s_cbranch_execz .LBB28_982
	s_branch .LBB28_937
.LBB28_288:
	s_mov_b32 s1, 0
	s_mov_b32 s16, s14
                                        ; implicit-def: $vgpr3
	s_cbranch_execnz .LBB28_512
.LBB28_289:
	s_andn2_b32 vcc_lo, exec_lo, s1
	s_cbranch_vccnz .LBB28_560
.LBB28_290:
	s_waitcnt vmcnt(0)
	v_cvt_f32_f16_e32 v7, v3
                                        ; implicit-def: $vgpr2
	s_mov_b32 s0, exec_lo
	v_cmpx_neq_f16_e32 0, v3
	s_xor_b32 s17, exec_lo, s0
	s_cbranch_execz .LBB28_312
; %bb.291:
	v_mov_b32_e32 v0, 0
	s_mov_b32 s0, -1
	s_mov_b32 s19, exec_lo
	v_cmpx_gt_f16_e32 0, v3
	s_cbranch_execz .LBB28_299
; %bb.292:
	v_trunc_f32_e32 v0, v7
	s_mov_b32 s1, 0
	v_cmp_neq_f32_e32 vcc_lo, v0, v7
	v_mov_b32_e32 v0, 0
	s_and_saveexec_b32 s20, vcc_lo
	s_cbranch_execz .LBB28_298
; %bb.293:
	v_cvt_f32_f16_e32 v0, v3
	s_mov_b32 s1, 0xc00921fb
	s_mov_b32 s0, 0x54442d18
	s_mov_b32 s21, exec_lo
                                        ; implicit-def: $vgpr8
                                        ; implicit-def: $vgpr4_vgpr5
	v_cvt_f64_f32_e32 v[0:1], v0
	v_trunc_f64_e32 v[2:3], v[0:1]
	v_cmp_neq_f64_e64 vcc_lo, 0x7ff00000, |v[0:1]|
	v_add_f64 v[2:3], v[0:1], -v[2:3]
	v_mul_f64 v[2:3], |v[2:3]|, s[0:1]
	v_cndmask_b32_e32 v1, 0x80000000, v3, vcc_lo
	v_cndmask_b32_e32 v0, 0, v2, vcc_lo
                                        ; implicit-def: $vgpr2_vgpr3
	v_cmpx_ngt_f64_e64 0x41d00000, |v[0:1]|
	s_xor_b32 s21, exec_lo, s21
	s_cbranch_execz .LBB28_295
; %bb.294:
	v_ldexp_f64 v[2:3], |v[0:1]|, 0xffffff80
	v_cmp_le_f64_e64 vcc_lo, 0x7b000000, |v[0:1]|
	v_trig_preop_f64 v[4:5], |v[0:1]|, 0
	v_and_b32_e32 v8, 0x7fffffff, v1
	v_trig_preop_f64 v[18:19], |v[0:1]|, 2
	v_mov_b32_e32 v26, 0
	s_mov_b32 s1, 0x3ff921fb
	s_mov_b32 s22, 0x33145c07
	;; [unrolled: 1-line block ×3, first 2 shown]
	v_cndmask_b32_e32 v3, v8, v3, vcc_lo
	v_cndmask_b32_e32 v2, v0, v2, vcc_lo
	v_trig_preop_f64 v[8:9], |v[0:1]|, 1
	v_mul_f64 v[10:11], v[4:5], v[2:3]
	v_mul_f64 v[24:25], v[18:19], v[2:3]
	;; [unrolled: 1-line block ×3, first 2 shown]
	v_fma_f64 v[4:5], v[4:5], v[2:3], -v[10:11]
	v_fma_f64 v[8:9], v[8:9], v[2:3], -v[12:13]
	;; [unrolled: 1-line block ×3, first 2 shown]
	v_add_f64 v[14:15], v[12:13], v[4:5]
	v_add_f64 v[16:17], v[14:15], -v[12:13]
	v_add_f64 v[22:23], v[10:11], v[14:15]
	v_add_f64 v[20:21], v[14:15], -v[16:17]
	v_add_f64 v[4:5], v[4:5], -v[16:17]
	v_ldexp_f64 v[16:17], v[22:23], -2
	v_add_f64 v[10:11], v[22:23], -v[10:11]
	v_add_f64 v[12:13], v[12:13], -v[20:21]
	v_add_f64 v[20:21], v[24:25], v[8:9]
	v_cmp_neq_f64_e64 vcc_lo, 0x7ff00000, |v[16:17]|
	v_add_f64 v[10:11], v[14:15], -v[10:11]
	v_add_f64 v[4:5], v[4:5], v[12:13]
	v_fract_f64_e32 v[12:13], v[16:17]
	v_add_f64 v[14:15], v[20:21], v[4:5]
	v_ldexp_f64 v[12:13], v[12:13], 2
	v_add_f64 v[16:17], v[10:11], v[14:15]
	v_cndmask_b32_e32 v13, 0, v13, vcc_lo
	v_cndmask_b32_e32 v12, 0, v12, vcc_lo
	v_add_f64 v[22:23], v[16:17], v[12:13]
	v_add_f64 v[10:11], v[16:17], -v[10:11]
	v_cmp_gt_f64_e32 vcc_lo, 0, v[22:23]
	v_add_f64 v[22:23], v[20:21], -v[24:25]
	v_cndmask_b32_e64 v27, 0, 0x40100000, vcc_lo
	v_add_f64 v[31:32], v[20:21], -v[22:23]
	v_add_f64 v[8:9], v[8:9], -v[22:23]
	v_add_f64 v[12:13], v[12:13], v[26:27]
	v_add_f64 v[27:28], v[14:15], -v[20:21]
	v_add_f64 v[22:23], v[24:25], -v[31:32]
	v_add_f64 v[29:30], v[16:17], v[12:13]
	;; [unrolled: 3-line block ×3, first 2 shown]
	v_cvt_i32_f64_e32 v29, v[29:30]
	v_add_f64 v[20:21], v[20:21], -v[33:34]
	v_cvt_f64_i32_e32 v[27:28], v29
	v_add_f64 v[4:5], v[4:5], v[20:21]
	v_add_f64 v[12:13], v[12:13], -v[27:28]
	v_add_f64 v[4:5], v[8:9], v[4:5]
	v_add_f64 v[8:9], v[14:15], -v[10:11]
	v_add_f64 v[18:19], v[16:17], v[12:13]
	v_add_f64 v[2:3], v[2:3], v[4:5]
	v_add_f64 v[4:5], v[18:19], -v[12:13]
	v_cmp_le_f64_e32 vcc_lo, 0.5, v[18:19]
	v_add_f64 v[2:3], v[8:9], v[2:3]
	v_add_f64 v[4:5], v[16:17], -v[4:5]
	v_cndmask_b32_e64 v27, 0, 0x3ff00000, vcc_lo
	v_add_co_ci_u32_e64 v8, null, 0, v29, vcc_lo
	v_add_f64 v[2:3], v[2:3], v[4:5]
	v_add_f64 v[4:5], v[18:19], -v[26:27]
	v_add_f64 v[9:10], v[4:5], v[2:3]
	v_mul_f64 v[11:12], v[9:10], s[0:1]
	v_add_f64 v[4:5], v[9:10], -v[4:5]
	v_fma_f64 v[13:14], v[9:10], s[0:1], -v[11:12]
	v_add_f64 v[2:3], v[2:3], -v[4:5]
	v_fma_f64 v[4:5], v[9:10], s[22:23], v[13:14]
	v_fma_f64 v[4:5], v[2:3], s[0:1], v[4:5]
	v_add_f64 v[2:3], v[11:12], v[4:5]
	v_add_f64 v[9:10], v[2:3], -v[11:12]
	v_add_f64 v[4:5], v[4:5], -v[9:10]
.LBB28_295:
	s_andn2_saveexec_b32 s0, s21
	s_cbranch_execz .LBB28_297
; %bb.296:
	s_mov_b32 s22, 0x6dc9c883
	s_mov_b32 s23, 0x3fe45f30
	;; [unrolled: 1-line block ×3, first 2 shown]
	v_mul_f64 v[2:3], |v[0:1]|, s[22:23]
	s_mov_b32 s22, 0x54442d18
	s_mov_b32 s23, 0xbff921fb
	;; [unrolled: 1-line block ×3, first 2 shown]
	v_rndne_f64_e32 v[8:9], v[2:3]
	v_fma_f64 v[2:3], v[8:9], s[22:23], |v[0:1]|
	v_mul_f64 v[4:5], v[8:9], s[24:25]
	s_mov_b32 s22, 0x252049c0
	s_mov_b32 s23, 0xb97b839a
	v_fma_f64 v[12:13], v[8:9], s[24:25], v[2:3]
	v_add_f64 v[10:11], v[2:3], v[4:5]
	s_mov_b32 s25, 0x3c91a626
	v_add_f64 v[2:3], v[2:3], -v[10:11]
	v_add_f64 v[10:11], v[10:11], -v[12:13]
	v_add_f64 v[2:3], v[2:3], v[4:5]
	v_fma_f64 v[4:5], v[8:9], s[24:25], v[4:5]
	v_add_f64 v[2:3], v[10:11], v[2:3]
	v_add_f64 v[2:3], v[2:3], -v[4:5]
	v_fma_f64 v[4:5], v[8:9], s[22:23], v[2:3]
	v_cvt_i32_f64_e32 v8, v[8:9]
	v_add_f64 v[2:3], v[12:13], v[4:5]
	v_add_f64 v[10:11], v[2:3], -v[12:13]
	v_add_f64 v[4:5], v[4:5], -v[10:11]
.LBB28_297:
	s_or_b32 exec_lo, exec_lo, s0
	v_mul_f64 v[9:10], v[2:3], v[2:3]
	v_add_f64 v[11:12], v[4:5], v[4:5]
	s_mov_b32 s22, 0xa9a29f71
	s_mov_b32 s24, 0xc751c08c
	;; [unrolled: 1-line block ×4, first 2 shown]
	v_cmp_class_f64_e64 s0, v[0:1], 0x1f8
	v_and_b32_e32 v8, 1, v8
	v_and_b32_e32 v1, 0x80000000, v1
	v_sub_f32_e32 v7, 1.0, v7
	s_mov_b32 s1, exec_lo
	v_cmp_eq_u32_e32 vcc_lo, 0, v8
	v_fma_f64 v[13:14], v[2:3], v[2:3], -v[9:10]
	v_fma_f64 v[11:12], v[2:3], v[11:12], v[13:14]
	v_add_f64 v[9:10], v[9:10], v[11:12]
	v_fma_f64 v[11:12], v[9:10], s[24:25], s[22:23]
	s_mov_b32 s22, 0x90a8aae0
	s_mov_b32 s23, 0x3f17746f
	v_fma_f64 v[11:12], v[9:10], v[11:12], s[22:23]
	s_mov_b32 s22, 0xa6fbf144
	s_mov_b32 s23, 0xbefbb44d
	;; [unrolled: 3-line block ×13, first 2 shown]
	v_mul_f64 v[9:10], v[9:10], v[11:12]
	v_mul_f64 v[11:12], v[2:3], v[9:10]
	v_add_f64 v[13:14], v[2:3], v[11:12]
	v_fma_f64 v[9:10], v[2:3], v[9:10], -v[11:12]
	v_add_f64 v[2:3], v[13:14], -v[2:3]
	v_add_f64 v[4:5], v[4:5], v[9:10]
	v_add_f64 v[2:3], v[11:12], -v[2:3]
	v_add_f64 v[2:3], v[4:5], v[2:3]
	v_add_f64 v[4:5], v[13:14], v[2:3]
	v_rcp_f64_e32 v[9:10], v[4:5]
	v_fma_f64 v[11:12], -v[4:5], v[9:10], 1.0
	v_fma_f64 v[9:10], v[11:12], v[9:10], v[9:10]
	v_fma_f64 v[11:12], -v[4:5], v[9:10], 1.0
	v_fma_f64 v[9:10], v[11:12], v[9:10], v[9:10]
	v_add_f64 v[11:12], v[4:5], -v[13:14]
	v_mul_f64 v[13:14], v[4:5], v[9:10]
	v_add_f64 v[2:3], v[2:3], -v[11:12]
	v_fma_f64 v[11:12], v[9:10], v[4:5], -v[13:14]
	v_fma_f64 v[2:3], v[9:10], v[2:3], v[11:12]
	v_add_f64 v[11:12], v[13:14], v[2:3]
	v_add_f64 v[15:16], -v[11:12], 1.0
	v_add_f64 v[13:14], v[11:12], -v[13:14]
	v_add_f64 v[17:18], -v[15:16], 1.0
	v_add_f64 v[2:3], v[13:14], -v[2:3]
	v_add_f64 v[11:12], v[17:18], -v[11:12]
	v_add_f64 v[2:3], v[2:3], v[11:12]
	v_add_f64 v[2:3], v[15:16], v[2:3]
	v_mul_f64 v[2:3], v[9:10], v[2:3]
	v_add_f64 v[2:3], v[9:10], v[2:3]
	v_xor_b32_e32 v0, 0x80000000, v3
	v_cndmask_b32_e32 v2, v2, v4, vcc_lo
	v_cndmask_b32_e32 v0, v0, v5, vcc_lo
	v_xor_b32_e32 v1, v0, v1
	v_cndmask_b32_e64 v0, 0, v2, s0
	v_cndmask_b32_e64 v1, 0x7ff80000, v1, s0
	v_div_scale_f64 v[2:3], null, v[0:1], v[0:1], s[22:23]
	v_rcp_f64_e32 v[4:5], v[2:3]
	v_fma_f64 v[8:9], -v[2:3], v[4:5], 1.0
	v_fma_f64 v[4:5], v[4:5], v[8:9], v[4:5]
	v_fma_f64 v[8:9], -v[2:3], v[4:5], 1.0
	v_fma_f64 v[4:5], v[4:5], v[8:9], v[4:5]
	v_div_scale_f64 v[8:9], vcc_lo, s[22:23], v[0:1], s[22:23]
	v_mul_f64 v[10:11], v[8:9], v[4:5]
	v_fma_f64 v[2:3], -v[2:3], v[10:11], v[8:9]
	v_div_fmas_f64 v[2:3], v[2:3], v[4:5], v[10:11]
	v_div_fixup_f64 v[0:1], v[2:3], v[0:1], s[22:23]
	v_cvt_f32_f64_e32 v0, v[0:1]
.LBB28_298:
	s_or_b32 exec_lo, exec_lo, s20
	s_orn2_b32 s0, s1, exec_lo
.LBB28_299:
	s_or_b32 exec_lo, exec_lo, s19
	v_mov_b32_e32 v2, 0x7e00
	s_and_saveexec_b32 s19, s0
	s_cbranch_execz .LBB28_311
; %bb.300:
	s_mov_b32 s0, exec_lo
	v_cmpx_gt_f32_e32 0x41200000, v7
	s_cbranch_execz .LBB28_304
; %bb.301:
	s_mov_b32 s1, 0
	.p2align	6
.LBB28_302:                             ; =>This Inner Loop Header: Depth=1
	v_div_scale_f32 v1, null, v7, v7, 1.0
	v_div_scale_f32 v4, vcc_lo, 1.0, v7, 1.0
	v_rcp_f32_e32 v2, v1
	v_fma_f32 v3, -v1, v2, 1.0
	v_fmac_f32_e32 v2, v3, v2
	v_mul_f32_e32 v3, v4, v2
	v_fma_f32 v5, -v1, v3, v4
	v_fmac_f32_e32 v3, v5, v2
	v_fma_f32 v1, -v1, v3, v4
	v_div_fmas_f32 v1, v1, v2, v3
	v_div_fixup_f32 v1, v1, v7, 1.0
	v_add_f32_e32 v7, 1.0, v7
	v_sub_f32_e32 v0, v0, v1
	v_cmp_ngt_f32_e32 vcc_lo, 0x41200000, v7
	s_or_b32 s1, vcc_lo, s1
	s_andn2_b32 exec_lo, exec_lo, s1
	s_cbranch_execnz .LBB28_302
; %bb.303:
	s_or_b32 exec_lo, exec_lo, s1
.LBB28_304:
	s_or_b32 exec_lo, exec_lo, s0
                                        ; implicit-def: $vgpr2
	s_mov_b32 s0, exec_lo
	v_cmpx_neq_f32_e32 0x41200000, v7
	s_xor_b32 s20, exec_lo, s0
	s_cbranch_execz .LBB28_308
; %bb.305:
	v_cvt_f64_f32_e32 v[1:2], v7
	s_mov_b32 s0, 0x85d8a000
	s_mov_b32 s1, 0x43763457
	v_cmp_gt_f64_e32 vcc_lo, s[0:1], v[1:2]
	v_mov_b32_e32 v1, 0
	s_and_saveexec_b32 s0, vcc_lo
	s_cbranch_execz .LBB28_307
; %bb.306:
	v_mul_f32_e32 v1, v7, v7
	v_div_scale_f32 v2, null, v1, v1, 1.0
	v_rcp_f32_e32 v3, v2
	v_fma_f32 v4, -v2, v3, 1.0
	v_fmac_f32_e32 v3, v4, v3
	v_div_scale_f32 v4, vcc_lo, 1.0, v1, 1.0
	v_mul_f32_e32 v5, v4, v3
	v_fma_f32 v8, -v2, v5, v4
	v_fmac_f32_e32 v5, v8, v3
	v_fma_f32 v2, -v2, v5, v4
	v_div_fmas_f32 v2, v2, v3, v5
	v_div_fixup_f32 v1, v2, v1, 1.0
	v_fmaak_f32 v2, 0, v1, 0x3daaaaab
	v_fmaak_f32 v2, v1, v2, 0xbcaccacd
	;; [unrolled: 1-line block ×7, first 2 shown]
	v_mul_f32_e32 v1, v1, v2
.LBB28_307:
	s_or_b32 exec_lo, exec_lo, s0
	v_cmp_gt_f32_e32 vcc_lo, 0x800000, v7
	v_div_scale_f32 v2, null, v7, v7, -0.5
	v_div_scale_f32 v8, s0, -0.5, v7, -0.5
	v_cndmask_b32_e64 v3, 0, 32, vcc_lo
	v_rcp_f32_e32 v4, v2
	v_ldexp_f32 v3, v7, v3
	v_log_f32_e32 v3, v3
	v_fma_f32 v5, -v2, v4, 1.0
	v_fmac_f32_e32 v4, v5, v4
	v_mul_f32_e32 v5, 0x3f317217, v3
	v_mul_f32_e32 v9, v8, v4
	v_cmp_gt_f32_e64 s1, 0x7f800000, |v3|
	v_fma_f32 v5, 0x3f317217, v3, -v5
	v_fma_f32 v10, -v2, v9, v8
	v_fmamk_f32 v5, v3, 0x3377d1cf, v5
	v_fmac_f32_e32 v9, v10, v4
	v_fmac_f32_e32 v5, 0x3f317217, v3
	v_fma_f32 v2, -v2, v9, v8
	v_cndmask_b32_e64 v3, v3, v5, s1
	v_cndmask_b32_e64 v5, 0, 0x41b17218, vcc_lo
	s_mov_b32 vcc_lo, s0
	v_div_fmas_f32 v2, v2, v4, v9
	v_sub_f32_e32 v3, v3, v5
	v_div_fixup_f32 v2, v2, v7, -0.5
	v_add_f32_e32 v2, v3, v2
	v_sub_f32_e32 v1, v2, v1
	v_add_f32_e32 v0, v0, v1
	v_cvt_f16_f32_e32 v2, v0
                                        ; implicit-def: $vgpr0
.LBB28_308:
	s_andn2_saveexec_b32 s0, s20
; %bb.309:
	v_add_f32_e32 v0, 0x40101cb7, v0
	v_cvt_f16_f32_e32 v2, v0
; %bb.310:
	s_or_b32 exec_lo, exec_lo, s0
.LBB28_311:
	s_or_b32 exec_lo, exec_lo, s19
                                        ; implicit-def: $vgpr7
.LBB28_312:
	s_andn2_saveexec_b32 s0, s17
; %bb.313:
	v_xor_b32_e32 v0, 0x80000000, v7
	v_mov_b32_e32 v1, 0xffff8000
	v_and_b32_sdwa v0, v0, v1 dst_sel:DWORD dst_unused:UNUSED_PAD src0_sel:WORD_1 src1_sel:DWORD
	v_or_b32_e32 v2, 0x7c00, v0
; %bb.314:
	s_or_b32 exec_lo, exec_lo, s0
	v_mul_lo_u32 v0, v6, s2
	s_and_b32 s1, s4, 0xff
	s_cmp_lt_i32 s1, 11
	v_ashrrev_i32_e32 v1, 31, v0
	v_add_co_u32 v0, vcc_lo, s8, v0
	v_add_co_ci_u32_e64 v1, null, s9, v1, vcc_lo
	s_cbranch_scc1 .LBB28_322
; %bb.315:
	s_and_b32 s17, 0xffff, s1
	s_cmp_gt_i32 s17, 25
	s_cbranch_scc0 .LBB28_324
; %bb.316:
	s_cmp_gt_i32 s17, 28
	s_cbranch_scc0 .LBB28_326
; %bb.317:
	;; [unrolled: 3-line block ×4, first 2 shown]
	s_mov_b32 s20, 0
	s_mov_b32 s0, -1
	s_cmp_eq_u32 s17, 46
	s_mov_b32 s19, 0
	s_cbranch_scc0 .LBB28_339
; %bb.320:
	v_cvt_f32_f16_e32 v3, v2
	v_cmp_o_f16_e32 vcc_lo, v2, v2
	s_mov_b32 s19, -1
	s_mov_b32 s0, 0
	v_bfe_u32 v4, v3, 16, 1
	v_add3_u32 v3, v3, v4, 0x7fff
	v_mov_b32_e32 v4, 0x7fc0
	v_cndmask_b32_sdwa v3, v4, v3, vcc_lo dst_sel:DWORD dst_unused:UNUSED_PAD src0_sel:DWORD src1_sel:WORD_1
	global_store_dword v[0:1], v3, off
	s_branch .LBB28_339
.LBB28_321:
	s_mov_b32 s17, -1
	s_mov_b32 s1, 0
	s_mov_b32 s16, s14
                                        ; implicit-def: $vgpr3
	s_branch .LBB28_476
.LBB28_322:
	s_mov_b32 s17, -1
	s_mov_b32 s19, 0
	s_mov_b32 s0, s12
	s_branch .LBB28_408
.LBB28_323:
	s_mov_b32 s17, -1
	s_mov_b32 s1, 0
	s_mov_b32 s16, s14
                                        ; implicit-def: $vgpr3
	s_branch .LBB28_457
.LBB28_324:
	s_mov_b32 s20, -1
	s_mov_b32 s19, 0
	s_mov_b32 s0, s12
	s_branch .LBB28_366
.LBB28_325:
	s_mov_b32 s17, -1
	s_mov_b32 s1, 0
	s_mov_b32 s16, s14
                                        ; implicit-def: $vgpr3
	s_branch .LBB28_452
.LBB28_326:
	s_mov_b32 s20, -1
	s_mov_b32 s19, 0
	s_mov_b32 s0, s12
	s_branch .LBB28_349
.LBB28_327:
	s_andn2_saveexec_b32 s19, s19
	s_cbranch_execz .LBB28_78
.LBB28_328:
	v_add_f32_e64 v4, 0x46000000, |v3|
	s_andn2_b32 s18, s18, exec_lo
	v_and_b32_e32 v4, 0xff, v4
	v_cmp_ne_u32_e32 vcc_lo, 0, v4
	s_and_b32 s20, vcc_lo, exec_lo
	s_or_b32 s18, s18, s20
	s_or_b32 exec_lo, exec_lo, s19
	v_mov_b32_e32 v5, 0
	s_and_saveexec_b32 s19, s18
	s_cbranch_execnz .LBB28_79
	s_branch .LBB28_80
.LBB28_329:
	s_mov_b32 s17, -1
	s_mov_b32 s1, 0
	s_mov_b32 s16, s14
	s_branch .LBB28_334
.LBB28_330:
	s_mov_b32 s20, -1
	s_mov_b32 s19, 0
	s_mov_b32 s0, s12
	s_branch .LBB28_345
.LBB28_331:
	s_andn2_saveexec_b32 s19, s19
	s_cbranch_execz .LBB28_91
.LBB28_332:
	v_add_f32_e64 v4, 0x42800000, |v3|
	s_andn2_b32 s18, s18, exec_lo
	v_and_b32_e32 v4, 0xff, v4
	v_cmp_ne_u32_e32 vcc_lo, 0, v4
	s_and_b32 s20, vcc_lo, exec_lo
	s_or_b32 s18, s18, s20
	s_or_b32 exec_lo, exec_lo, s19
	v_mov_b32_e32 v5, 0
	s_and_saveexec_b32 s19, s18
	s_cbranch_execnz .LBB28_92
	s_branch .LBB28_93
.LBB28_333:
	s_mov_b32 s16, -1
	s_mov_b32 s1, 0
.LBB28_334:
                                        ; implicit-def: $vgpr3
.LBB28_335:
	s_and_b32 vcc_lo, exec_lo, s17
	s_cbranch_vccz .LBB28_451
; %bb.336:
	s_cmp_eq_u32 s0, 44
	s_cbranch_scc0 .LBB28_450
; %bb.337:
	global_load_ubyte v2, v[0:1], off
	s_mov_b32 s16, 0
	s_mov_b32 s1, -1
	s_waitcnt vmcnt(0)
	v_lshlrev_b32_e32 v3, 23, v2
	v_cmp_ne_u32_e32 vcc_lo, 0xff, v2
	v_cvt_f16_f32_e32 v3, v3
	v_cndmask_b32_e32 v3, 0x7e00, v3, vcc_lo
	v_cmp_ne_u32_e32 vcc_lo, 0, v2
	v_cndmask_b32_e32 v3, 0, v3, vcc_lo
	s_branch .LBB28_451
.LBB28_338:
	s_mov_b32 s20, -1
	s_mov_b32 s19, 0
	s_mov_b32 s0, s12
.LBB28_339:
	s_and_b32 vcc_lo, exec_lo, s20
	s_cbranch_vccz .LBB28_344
; %bb.340:
	s_cmp_eq_u32 s17, 44
	s_mov_b32 s0, -1
	s_cbranch_scc0 .LBB28_344
; %bb.341:
	v_cvt_f32_f16_e32 v3, v2
	v_mov_b32_e32 v4, 0xff
	s_mov_b32 s19, exec_lo
	v_bfe_u32 v5, v3, 23, 8
	v_cmpx_ne_u32_e32 0xff, v5
	s_cbranch_execz .LBB28_343
; %bb.342:
	v_and_b32_e32 v4, 0x400000, v3
	v_and_or_b32 v5, 0x3fffff, v3, v5
	v_lshrrev_b32_e32 v3, 23, v3
	v_cmp_ne_u32_e32 vcc_lo, 0, v4
	v_cmp_ne_u32_e64 s0, 0, v5
	s_and_b32 s0, vcc_lo, s0
	v_cndmask_b32_e64 v4, 0, 1, s0
	v_add_nc_u32_e32 v4, v3, v4
.LBB28_343:
	s_or_b32 exec_lo, exec_lo, s19
	s_mov_b32 s19, -1
	s_mov_b32 s0, 0
	global_store_byte v[0:1], v4, off
.LBB28_344:
	s_mov_b32 s20, 0
.LBB28_345:
	s_and_b32 vcc_lo, exec_lo, s20
	s_cbranch_vccz .LBB28_348
; %bb.346:
	s_cmp_eq_u32 s17, 29
	s_mov_b32 s0, -1
	s_cbranch_scc0 .LBB28_348
; %bb.347:
	v_cvt_f32_f16_e32 v3, v2
	v_mov_b32_e32 v4, 0
	s_mov_b32 s19, -1
	s_mov_b32 s0, 0
	s_mov_b32 s20, 0
	v_cvt_u32_f32_e32 v3, v3
	global_store_dwordx2 v[0:1], v[3:4], off
	s_branch .LBB28_349
.LBB28_348:
	s_mov_b32 s20, 0
.LBB28_349:
	s_and_b32 vcc_lo, exec_lo, s20
	s_cbranch_vccz .LBB28_365
; %bb.350:
	s_cmp_lt_i32 s17, 27
	s_mov_b32 s19, -1
	s_cbranch_scc1 .LBB28_356
; %bb.351:
	s_cmp_gt_i32 s17, 27
	s_cbranch_scc0 .LBB28_353
; %bb.352:
	v_cvt_f32_f16_e32 v3, v2
	s_mov_b32 s19, 0
	v_cvt_u32_f32_e32 v3, v3
	global_store_dword v[0:1], v3, off
.LBB28_353:
	s_andn2_b32 vcc_lo, exec_lo, s19
	s_cbranch_vccnz .LBB28_355
; %bb.354:
	v_cvt_u16_f16_e32 v3, v2
	global_store_short v[0:1], v3, off
.LBB28_355:
	s_mov_b32 s19, 0
.LBB28_356:
	s_andn2_b32 vcc_lo, exec_lo, s19
	s_cbranch_vccnz .LBB28_364
; %bb.357:
	v_cvt_f32_f16_e32 v3, v2
	v_mov_b32_e32 v5, 0x80
	s_mov_b32 s19, exec_lo
	v_and_b32_e32 v4, 0x7fffffff, v3
	v_cmpx_gt_u32_e32 0x43800000, v4
	s_cbranch_execz .LBB28_363
; %bb.358:
	v_cmp_lt_u32_e32 vcc_lo, 0x3bffffff, v4
	s_mov_b32 s20, 0
                                        ; implicit-def: $vgpr4
	s_and_saveexec_b32 s21, vcc_lo
	s_xor_b32 s21, exec_lo, s21
	s_cbranch_execz .LBB28_576
; %bb.359:
	v_bfe_u32 v4, v3, 20, 1
	s_mov_b32 s20, exec_lo
	v_add3_u32 v4, v3, v4, 0x487ffff
	v_lshrrev_b32_e32 v4, 20, v4
	s_andn2_saveexec_b32 s21, s21
	s_cbranch_execnz .LBB28_577
.LBB28_360:
	s_or_b32 exec_lo, exec_lo, s21
	v_mov_b32_e32 v5, 0
	s_and_saveexec_b32 s21, s20
.LBB28_361:
	v_lshrrev_b32_e32 v3, 24, v3
	v_and_or_b32 v5, 0x80, v3, v4
.LBB28_362:
	s_or_b32 exec_lo, exec_lo, s21
.LBB28_363:
	s_or_b32 exec_lo, exec_lo, s19
	global_store_byte v[0:1], v5, off
.LBB28_364:
	s_mov_b32 s19, -1
.LBB28_365:
	s_mov_b32 s20, 0
.LBB28_366:
	s_and_b32 vcc_lo, exec_lo, s20
	s_cbranch_vccz .LBB28_407
; %bb.367:
	s_cmp_gt_i32 s17, 22
	s_mov_b32 s20, -1
	s_cbranch_scc0 .LBB28_399
; %bb.368:
	s_cmp_lt_i32 s17, 24
	s_mov_b32 s19, -1
	s_cbranch_scc1 .LBB28_388
; %bb.369:
	s_cmp_gt_i32 s17, 24
	s_cbranch_scc0 .LBB28_377
; %bb.370:
	v_cvt_f32_f16_e32 v3, v2
	v_mov_b32_e32 v5, 0x80
	s_mov_b32 s19, exec_lo
	v_and_b32_e32 v4, 0x7fffffff, v3
	v_cmpx_gt_u32_e32 0x47800000, v4
	s_cbranch_execz .LBB28_376
; %bb.371:
	v_cmp_lt_u32_e32 vcc_lo, 0x37ffffff, v4
	s_mov_b32 s20, 0
                                        ; implicit-def: $vgpr4
	s_and_saveexec_b32 s21, vcc_lo
	s_xor_b32 s21, exec_lo, s21
	s_cbranch_execz .LBB28_579
; %bb.372:
	v_bfe_u32 v4, v3, 21, 1
	s_mov_b32 s20, exec_lo
	v_add3_u32 v4, v3, v4, 0x88fffff
	v_lshrrev_b32_e32 v4, 21, v4
	s_andn2_saveexec_b32 s21, s21
	s_cbranch_execnz .LBB28_580
.LBB28_373:
	s_or_b32 exec_lo, exec_lo, s21
	v_mov_b32_e32 v5, 0
	s_and_saveexec_b32 s21, s20
.LBB28_374:
	v_lshrrev_b32_e32 v3, 24, v3
	v_and_or_b32 v5, 0x80, v3, v4
.LBB28_375:
	s_or_b32 exec_lo, exec_lo, s21
.LBB28_376:
	s_or_b32 exec_lo, exec_lo, s19
	s_mov_b32 s19, 0
	global_store_byte v[0:1], v5, off
.LBB28_377:
	s_and_b32 vcc_lo, exec_lo, s19
	s_cbranch_vccz .LBB28_387
; %bb.378:
	v_cvt_f32_f16_e32 v3, v2
	s_mov_b32 s19, exec_lo
                                        ; implicit-def: $vgpr4
	v_and_b32_e32 v5, 0x7fffffff, v3
	v_cmpx_gt_u32_e32 0x43f00000, v5
	s_xor_b32 s19, exec_lo, s19
	s_cbranch_execz .LBB28_384
; %bb.379:
	s_mov_b32 s20, exec_lo
                                        ; implicit-def: $vgpr4
	v_cmpx_lt_u32_e32 0x3c7fffff, v5
	s_xor_b32 s20, exec_lo, s20
; %bb.380:
	v_bfe_u32 v4, v3, 20, 1
	v_add3_u32 v4, v3, v4, 0x407ffff
	v_and_b32_e32 v5, 0xff00000, v4
	v_lshrrev_b32_e32 v4, 20, v4
	v_cmp_ne_u32_e32 vcc_lo, 0x7f00000, v5
	v_cndmask_b32_e32 v4, 0x7e, v4, vcc_lo
; %bb.381:
	s_andn2_saveexec_b32 s20, s20
; %bb.382:
	v_add_f32_e64 v4, 0x46800000, |v3|
; %bb.383:
	s_or_b32 exec_lo, exec_lo, s20
                                        ; implicit-def: $vgpr5
.LBB28_384:
	s_andn2_saveexec_b32 s19, s19
; %bb.385:
	v_mov_b32_e32 v4, 0x7f
	v_cmp_lt_u32_e32 vcc_lo, 0x7f800000, v5
	v_cndmask_b32_e32 v4, 0x7e, v4, vcc_lo
; %bb.386:
	s_or_b32 exec_lo, exec_lo, s19
	v_lshrrev_b32_e32 v3, 24, v3
	v_and_or_b32 v3, 0x80, v3, v4
	global_store_byte v[0:1], v3, off
.LBB28_387:
	s_mov_b32 s19, 0
.LBB28_388:
	s_andn2_b32 vcc_lo, exec_lo, s19
	s_cbranch_vccnz .LBB28_398
; %bb.389:
	v_cvt_f32_f16_e32 v3, v2
	s_mov_b32 s19, exec_lo
                                        ; implicit-def: $vgpr4
	v_and_b32_e32 v5, 0x7fffffff, v3
	v_cmpx_gt_u32_e32 0x47800000, v5
	s_xor_b32 s19, exec_lo, s19
	s_cbranch_execz .LBB28_395
; %bb.390:
	s_mov_b32 s20, exec_lo
                                        ; implicit-def: $vgpr4
	v_cmpx_lt_u32_e32 0x387fffff, v5
	s_xor_b32 s20, exec_lo, s20
; %bb.391:
	v_bfe_u32 v4, v3, 21, 1
	v_add3_u32 v4, v3, v4, 0x80fffff
	v_lshrrev_b32_e32 v4, 21, v4
; %bb.392:
	s_andn2_saveexec_b32 s20, s20
; %bb.393:
	v_add_f32_e64 v4, 0x43000000, |v3|
; %bb.394:
	s_or_b32 exec_lo, exec_lo, s20
                                        ; implicit-def: $vgpr5
.LBB28_395:
	s_andn2_saveexec_b32 s19, s19
; %bb.396:
	v_mov_b32_e32 v4, 0x7f
	v_cmp_lt_u32_e32 vcc_lo, 0x7f800000, v5
	v_cndmask_b32_e32 v4, 0x7c, v4, vcc_lo
; %bb.397:
	s_or_b32 exec_lo, exec_lo, s19
	v_lshrrev_b32_e32 v3, 24, v3
	v_and_or_b32 v3, 0x80, v3, v4
	global_store_byte v[0:1], v3, off
.LBB28_398:
	s_mov_b32 s20, 0
	s_mov_b32 s19, -1
.LBB28_399:
	s_andn2_b32 vcc_lo, exec_lo, s20
	s_cbranch_vccnz .LBB28_407
; %bb.400:
	s_cmp_gt_i32 s17, 14
	s_mov_b32 s20, -1
	s_cbranch_scc0 .LBB28_404
; %bb.401:
	s_cmp_eq_u32 s17, 15
	s_mov_b32 s0, -1
	s_cbranch_scc0 .LBB28_403
; %bb.402:
	v_cvt_f32_f16_e32 v3, v2
	v_cmp_o_f16_e32 vcc_lo, v2, v2
	s_mov_b32 s19, -1
	s_mov_b32 s0, 0
	v_bfe_u32 v4, v3, 16, 1
	v_add3_u32 v3, v3, v4, 0x7fff
	v_mov_b32_e32 v4, 0x7fc0
	v_cndmask_b32_sdwa v3, v4, v3, vcc_lo dst_sel:DWORD dst_unused:UNUSED_PAD src0_sel:DWORD src1_sel:WORD_1
	global_store_short v[0:1], v3, off
.LBB28_403:
	s_mov_b32 s20, 0
.LBB28_404:
	s_and_b32 vcc_lo, exec_lo, s20
	s_cbranch_vccz .LBB28_407
; %bb.405:
	s_cmp_eq_u32 s17, 11
	s_mov_b32 s0, -1
	s_cbranch_scc0 .LBB28_407
; %bb.406:
	v_and_b32_e32 v3, 0x7fff, v2
	s_mov_b32 s0, 0
	s_mov_b32 s19, -1
	v_cmp_ne_u16_e32 vcc_lo, 0, v3
	v_cndmask_b32_e64 v3, 0, 1, vcc_lo
	global_store_byte v[0:1], v3, off
.LBB28_407:
	s_mov_b32 s17, 0
.LBB28_408:
	s_and_b32 vcc_lo, exec_lo, s17
	s_cbranch_vccz .LBB28_447
; %bb.409:
	s_and_b32 s1, 0xffff, s1
	s_mov_b32 s17, -1
	s_cmp_lt_i32 s1, 5
	s_cbranch_scc1 .LBB28_430
; %bb.410:
	s_cmp_lt_i32 s1, 8
	s_cbranch_scc1 .LBB28_420
; %bb.411:
	;; [unrolled: 3-line block ×3, first 2 shown]
	s_cmp_gt_i32 s1, 9
	s_cbranch_scc0 .LBB28_414
; %bb.413:
	v_cvt_f32_f16_e32 v3, v2
	v_mov_b32_e32 v9, 0
	s_mov_b32 s17, 0
	v_cvt_f64_f32_e32 v[7:8], v3
	v_mov_b32_e32 v10, v9
	global_store_dwordx4 v[0:1], v[7:10], off
.LBB28_414:
	s_andn2_b32 vcc_lo, exec_lo, s17
	s_cbranch_vccnz .LBB28_416
; %bb.415:
	v_cvt_f32_f16_e32 v3, v2
	v_mov_b32_e32 v4, 0
	global_store_dwordx2 v[0:1], v[3:4], off
.LBB28_416:
	s_mov_b32 s17, 0
.LBB28_417:
	s_andn2_b32 vcc_lo, exec_lo, s17
	s_cbranch_vccnz .LBB28_419
; %bb.418:
	v_and_b32_e32 v3, 0xffff, v2
	global_store_dword v[0:1], v3, off
.LBB28_419:
	s_mov_b32 s17, 0
.LBB28_420:
	s_andn2_b32 vcc_lo, exec_lo, s17
	s_cbranch_vccnz .LBB28_429
; %bb.421:
	s_cmp_lt_i32 s1, 6
	s_mov_b32 s17, -1
	s_cbranch_scc1 .LBB28_427
; %bb.422:
	s_cmp_gt_i32 s1, 6
	s_cbranch_scc0 .LBB28_424
; %bb.423:
	v_cvt_f32_f16_e32 v3, v2
	s_mov_b32 s17, 0
	v_cvt_f64_f32_e32 v[3:4], v3
	global_store_dwordx2 v[0:1], v[3:4], off
.LBB28_424:
	s_andn2_b32 vcc_lo, exec_lo, s17
	s_cbranch_vccnz .LBB28_426
; %bb.425:
	v_cvt_f32_f16_e32 v3, v2
	global_store_dword v[0:1], v3, off
.LBB28_426:
	s_mov_b32 s17, 0
.LBB28_427:
	s_andn2_b32 vcc_lo, exec_lo, s17
	s_cbranch_vccnz .LBB28_429
; %bb.428:
	global_store_short v[0:1], v2, off
.LBB28_429:
	s_mov_b32 s17, 0
.LBB28_430:
	s_andn2_b32 vcc_lo, exec_lo, s17
	s_cbranch_vccnz .LBB28_446
; %bb.431:
	s_cmp_lt_i32 s1, 2
	s_mov_b32 s17, -1
	s_cbranch_scc1 .LBB28_441
; %bb.432:
	s_cmp_lt_i32 s1, 3
	s_cbranch_scc1 .LBB28_438
; %bb.433:
	s_cmp_gt_i32 s1, 3
	s_cbranch_scc0 .LBB28_435
; %bb.434:
	v_cvt_f32_f16_e32 v3, v2
	s_mov_b32 s17, 0
	v_cvt_i32_f32_e32 v3, v3
	v_ashrrev_i32_e32 v4, 31, v3
	global_store_dwordx2 v[0:1], v[3:4], off
.LBB28_435:
	s_andn2_b32 vcc_lo, exec_lo, s17
	s_cbranch_vccnz .LBB28_437
; %bb.436:
	v_cvt_f32_f16_e32 v3, v2
	v_cvt_i32_f32_e32 v3, v3
	global_store_dword v[0:1], v3, off
.LBB28_437:
	s_mov_b32 s17, 0
.LBB28_438:
	s_andn2_b32 vcc_lo, exec_lo, s17
	s_cbranch_vccnz .LBB28_440
; %bb.439:
	v_cvt_i16_f16_e32 v3, v2
	global_store_short v[0:1], v3, off
.LBB28_440:
	s_mov_b32 s17, 0
.LBB28_441:
	s_andn2_b32 vcc_lo, exec_lo, s17
	s_cbranch_vccnz .LBB28_446
; %bb.442:
	s_cmp_gt_i32 s1, 0
	s_mov_b32 s1, -1
	s_cbranch_scc0 .LBB28_444
; %bb.443:
	v_cvt_i16_f16_e32 v3, v2
	s_mov_b32 s1, 0
	global_store_byte v[0:1], v3, off
.LBB28_444:
	s_andn2_b32 vcc_lo, exec_lo, s1
	s_cbranch_vccnz .LBB28_446
; %bb.445:
	v_cvt_f32_f16_e32 v2, v2
	v_cvt_i32_f32_e32 v2, v2
	global_store_byte v[0:1], v2, off
.LBB28_446:
	s_mov_b32 s19, -1
.LBB28_447:
	s_andn2_b32 vcc_lo, exec_lo, s19
	s_cbranch_vccnz .LBB28_449
; %bb.448:
	v_add_nc_u32_e32 v6, 0x80, v6
	s_mov_b32 s1, -1
	s_branch .LBB28_562
.LBB28_449:
	s_mov_b32 s1, 0
	s_branch .LBB28_561
.LBB28_450:
	s_mov_b32 s16, -1
                                        ; implicit-def: $vgpr3
.LBB28_451:
	s_mov_b32 s17, 0
.LBB28_452:
	s_and_b32 vcc_lo, exec_lo, s17
	s_cbranch_vccz .LBB28_456
; %bb.453:
	s_cmp_eq_u32 s0, 29
	s_cbranch_scc0 .LBB28_455
; %bb.454:
	global_load_dwordx2 v[2:3], v[0:1], off
	s_mov_b32 s1, -1
	s_mov_b32 s16, 0
	s_mov_b32 s17, 0
	s_waitcnt vmcnt(0)
	v_ffbh_u32_e32 v4, v3
	v_min_u32_e32 v4, 32, v4
	v_lshlrev_b64 v[2:3], v4, v[2:3]
	v_min_u32_e32 v2, 1, v2
	v_or_b32_e32 v2, v3, v2
	v_sub_nc_u32_e32 v3, 32, v4
	v_cvt_f32_u32_e32 v2, v2
	v_ldexp_f32 v2, v2, v3
	v_cvt_f16_f32_e32 v3, v2
	s_branch .LBB28_457
.LBB28_455:
	s_mov_b32 s16, -1
                                        ; implicit-def: $vgpr3
.LBB28_456:
	s_mov_b32 s17, 0
.LBB28_457:
	s_and_b32 vcc_lo, exec_lo, s17
	s_cbranch_vccz .LBB28_475
; %bb.458:
	s_cmp_lt_i32 s0, 27
	s_cbranch_scc1 .LBB28_461
; %bb.459:
	s_cmp_gt_i32 s0, 27
	s_cbranch_scc0 .LBB28_462
; %bb.460:
	global_load_dword v2, v[0:1], off
	s_mov_b32 s1, 0
	s_waitcnt vmcnt(0)
	v_cvt_f32_u32_e32 v2, v2
	v_cvt_f16_f32_e32 v3, v2
	s_branch .LBB28_463
.LBB28_461:
	s_mov_b32 s1, -1
                                        ; implicit-def: $vgpr3
	s_branch .LBB28_466
.LBB28_462:
	s_mov_b32 s1, -1
                                        ; implicit-def: $vgpr3
.LBB28_463:
	s_andn2_b32 vcc_lo, exec_lo, s1
	s_cbranch_vccnz .LBB28_465
; %bb.464:
	global_load_ushort v2, v[0:1], off
	s_waitcnt vmcnt(0)
	v_cvt_f16_u16_e32 v3, v2
.LBB28_465:
	s_mov_b32 s1, 0
.LBB28_466:
	s_andn2_b32 vcc_lo, exec_lo, s1
	s_cbranch_vccnz .LBB28_474
; %bb.467:
	global_load_ubyte v2, v[0:1], off
	s_mov_b32 s1, 0
	s_mov_b32 s17, exec_lo
	s_waitcnt vmcnt(0)
	v_cmpx_lt_i16_e32 0x7f, v2
	s_xor_b32 s17, exec_lo, s17
	s_cbranch_execz .LBB28_488
; %bb.468:
	s_mov_b32 s1, -1
	s_mov_b32 s19, exec_lo
	v_cmpx_eq_u16_e32 0x80, v2
; %bb.469:
	s_xor_b32 s1, exec_lo, -1
; %bb.470:
	s_or_b32 exec_lo, exec_lo, s19
	s_and_b32 s1, s1, exec_lo
	s_or_saveexec_b32 s17, s17
	v_mov_b32_e32 v3, 0x7e00
	s_xor_b32 exec_lo, exec_lo, s17
	s_cbranch_execnz .LBB28_489
.LBB28_471:
	s_or_b32 exec_lo, exec_lo, s17
	s_and_saveexec_b32 s17, s1
	s_cbranch_execz .LBB28_473
.LBB28_472:
	v_and_b32_e32 v3, 0xffff, v2
	v_lshlrev_b32_e32 v2, 24, v2
	v_and_b32_e32 v4, 7, v3
	v_bfe_u32 v8, v3, 3, 4
	v_and_b32_e32 v2, 0x80000000, v2
	v_ffbh_u32_e32 v5, v4
	v_cmp_eq_u32_e32 vcc_lo, 0, v8
	v_min_u32_e32 v5, 32, v5
	v_subrev_nc_u32_e32 v7, 28, v5
	v_sub_nc_u32_e32 v5, 29, v5
	v_lshlrev_b32_e32 v3, v7, v3
	v_cndmask_b32_e32 v5, v8, v5, vcc_lo
	v_and_b32_e32 v3, 7, v3
	v_cndmask_b32_e32 v3, v4, v3, vcc_lo
	v_lshl_add_u32 v4, v5, 23, 0x3b800000
	v_lshlrev_b32_e32 v3, 20, v3
	v_or3_b32 v2, v2, v4, v3
	v_cvt_f16_f32_e32 v3, v2
.LBB28_473:
	s_or_b32 exec_lo, exec_lo, s17
.LBB28_474:
	s_mov_b32 s1, -1
.LBB28_475:
	s_mov_b32 s17, 0
.LBB28_476:
	s_and_b32 vcc_lo, exec_lo, s17
	s_cbranch_vccz .LBB28_511
; %bb.477:
	s_cmp_gt_i32 s0, 22
	s_cbranch_scc0 .LBB28_487
; %bb.478:
	s_cmp_lt_i32 s0, 24
	s_cbranch_scc1 .LBB28_490
; %bb.479:
	s_cmp_gt_i32 s0, 24
	s_cbranch_scc0 .LBB28_491
; %bb.480:
	global_load_ubyte v2, v[0:1], off
	s_mov_b32 s1, 0
	s_mov_b32 s17, exec_lo
	s_waitcnt vmcnt(0)
	v_cmpx_lt_i16_e32 0x7f, v2
	s_xor_b32 s17, exec_lo, s17
	s_cbranch_execz .LBB28_503
; %bb.481:
	s_mov_b32 s1, -1
	s_mov_b32 s19, exec_lo
	v_cmpx_eq_u16_e32 0x80, v2
; %bb.482:
	s_xor_b32 s1, exec_lo, -1
; %bb.483:
	s_or_b32 exec_lo, exec_lo, s19
	s_and_b32 s1, s1, exec_lo
	s_or_saveexec_b32 s17, s17
	v_mov_b32_e32 v3, 0x7e00
	s_xor_b32 exec_lo, exec_lo, s17
	s_cbranch_execnz .LBB28_504
.LBB28_484:
	s_or_b32 exec_lo, exec_lo, s17
	s_and_saveexec_b32 s17, s1
	s_cbranch_execz .LBB28_486
.LBB28_485:
	v_and_b32_e32 v3, 0xffff, v2
	v_lshlrev_b32_e32 v2, 24, v2
	v_and_b32_e32 v4, 3, v3
	v_bfe_u32 v8, v3, 2, 5
	v_and_b32_e32 v2, 0x80000000, v2
	v_ffbh_u32_e32 v5, v4
	v_cmp_eq_u32_e32 vcc_lo, 0, v8
	v_min_u32_e32 v5, 32, v5
	v_subrev_nc_u32_e32 v7, 29, v5
	v_sub_nc_u32_e32 v5, 30, v5
	v_lshlrev_b32_e32 v3, v7, v3
	v_cndmask_b32_e32 v5, v8, v5, vcc_lo
	v_and_b32_e32 v3, 3, v3
	v_cndmask_b32_e32 v3, v4, v3, vcc_lo
	v_lshl_add_u32 v4, v5, 23, 0x37800000
	v_lshlrev_b32_e32 v3, 21, v3
	v_or3_b32 v2, v2, v4, v3
	v_cvt_f16_f32_e32 v3, v2
.LBB28_486:
	s_or_b32 exec_lo, exec_lo, s17
	s_mov_b32 s1, 0
	s_branch .LBB28_492
.LBB28_487:
	s_mov_b32 s17, -1
                                        ; implicit-def: $vgpr3
	s_branch .LBB28_498
.LBB28_488:
	s_or_saveexec_b32 s17, s17
	v_mov_b32_e32 v3, 0x7e00
	s_xor_b32 exec_lo, exec_lo, s17
	s_cbranch_execz .LBB28_471
.LBB28_489:
	v_cmp_ne_u16_e32 vcc_lo, 0, v2
	v_mov_b32_e32 v3, v2
	s_andn2_b32 s1, s1, exec_lo
	s_and_b32 s19, vcc_lo, exec_lo
	s_or_b32 s1, s1, s19
	s_or_b32 exec_lo, exec_lo, s17
	s_and_saveexec_b32 s17, s1
	s_cbranch_execnz .LBB28_472
	s_branch .LBB28_473
.LBB28_490:
	s_mov_b32 s1, -1
                                        ; implicit-def: $vgpr3
	s_branch .LBB28_495
.LBB28_491:
	s_mov_b32 s1, -1
                                        ; implicit-def: $vgpr3
.LBB28_492:
	s_and_b32 vcc_lo, exec_lo, s1
	s_cbranch_vccz .LBB28_494
; %bb.493:
	global_load_ubyte v2, v[0:1], off
	s_waitcnt vmcnt(0)
	v_lshlrev_b32_e32 v2, 24, v2
	v_and_b32_e32 v3, 0x7f000000, v2
	v_ffbh_u32_e32 v4, v3
	v_add_nc_u32_e32 v7, 0x1000000, v3
	v_cmp_ne_u32_e32 vcc_lo, 0, v3
	v_min_u32_e32 v4, 32, v4
	v_sub_nc_u32_e64 v4, v4, 4 clamp
	v_lshlrev_b32_e32 v5, v4, v3
	v_lshlrev_b32_e32 v4, 23, v4
	v_lshrrev_b32_e32 v5, 4, v5
	v_sub_nc_u32_e32 v4, v5, v4
	v_ashrrev_i32_e32 v5, 8, v7
	v_add_nc_u32_e32 v4, 0x3c000000, v4
	v_and_or_b32 v4, 0x7f800000, v5, v4
	v_cndmask_b32_e32 v3, 0, v4, vcc_lo
	v_and_or_b32 v2, 0x80000000, v2, v3
	v_cvt_f16_f32_e32 v3, v2
.LBB28_494:
	s_mov_b32 s1, 0
.LBB28_495:
	s_andn2_b32 vcc_lo, exec_lo, s1
	s_cbranch_vccnz .LBB28_497
; %bb.496:
	global_load_ubyte v2, v[0:1], off
	s_waitcnt vmcnt(0)
	v_lshlrev_b32_e32 v3, 25, v2
	v_lshlrev_b16 v2, 8, v2
	v_lshrrev_b32_e32 v4, 4, v3
	v_and_or_b32 v5, 0x7f00, v2, 0.5
	v_cmp_gt_u32_e32 vcc_lo, 0x8000000, v3
	v_bfe_i32 v2, v2, 0, 16
	v_or_b32_e32 v4, 0x70000000, v4
	v_add_f32_e32 v5, -0.5, v5
	v_mul_f32_e32 v4, 0x7800000, v4
	v_cndmask_b32_e32 v3, v4, v5, vcc_lo
	v_and_or_b32 v2, 0x80000000, v2, v3
	v_cvt_f16_f32_e32 v3, v2
.LBB28_497:
	s_mov_b32 s17, 0
	s_mov_b32 s1, -1
.LBB28_498:
	s_andn2_b32 vcc_lo, exec_lo, s17
	s_cbranch_vccnz .LBB28_511
; %bb.499:
	s_cmp_gt_i32 s0, 14
	s_cbranch_scc0 .LBB28_502
; %bb.500:
	s_cmp_eq_u32 s0, 15
	s_cbranch_scc0 .LBB28_505
; %bb.501:
	global_load_ushort v2, v[0:1], off
	s_mov_b32 s1, -1
	s_mov_b32 s16, 0
	s_waitcnt vmcnt(0)
	v_lshlrev_b32_e32 v2, 16, v2
	v_cvt_f16_f32_e32 v3, v2
	s_branch .LBB28_506
.LBB28_502:
	s_mov_b32 s17, -1
                                        ; implicit-def: $vgpr3
	s_branch .LBB28_507
.LBB28_503:
	s_or_saveexec_b32 s17, s17
	v_mov_b32_e32 v3, 0x7e00
	s_xor_b32 exec_lo, exec_lo, s17
	s_cbranch_execz .LBB28_484
.LBB28_504:
	v_cmp_ne_u16_e32 vcc_lo, 0, v2
	v_mov_b32_e32 v3, v2
	s_andn2_b32 s1, s1, exec_lo
	s_and_b32 s19, vcc_lo, exec_lo
	s_or_b32 s1, s1, s19
	s_or_b32 exec_lo, exec_lo, s17
	s_and_saveexec_b32 s17, s1
	s_cbranch_execnz .LBB28_485
	s_branch .LBB28_486
.LBB28_505:
	s_mov_b32 s16, -1
                                        ; implicit-def: $vgpr3
.LBB28_506:
	s_mov_b32 s17, 0
.LBB28_507:
	s_and_b32 vcc_lo, exec_lo, s17
	s_cbranch_vccz .LBB28_511
; %bb.508:
	s_cmp_eq_u32 s0, 11
	s_cbranch_scc0 .LBB28_510
; %bb.509:
	global_load_ubyte v2, v[0:1], off
	s_mov_b32 s16, 0
	s_mov_b32 s1, -1
	s_waitcnt vmcnt(0)
	v_cmp_ne_u16_e32 vcc_lo, 0, v2
	v_cndmask_b32_e64 v3, 0, 0x3c00, vcc_lo
	s_branch .LBB28_511
.LBB28_510:
	s_mov_b32 s16, -1
                                        ; implicit-def: $vgpr3
.LBB28_511:
	s_branch .LBB28_289
.LBB28_512:
	s_cmp_lt_i32 s0, 5
	s_cbranch_scc1 .LBB28_517
; %bb.513:
	s_cmp_lt_i32 s0, 8
	s_cbranch_scc1 .LBB28_518
; %bb.514:
	;; [unrolled: 3-line block ×3, first 2 shown]
	s_cmp_gt_i32 s0, 9
	s_cbranch_scc0 .LBB28_520
; %bb.516:
	global_load_dwordx2 v[2:3], v[0:1], off
	s_mov_b32 s1, 0
	s_waitcnt vmcnt(0)
	v_and_or_b32 v2, 0x1ff, v3, v2
	v_lshrrev_b32_e32 v4, 8, v3
	v_bfe_u32 v5, v3, 20, 11
	v_lshrrev_b32_e32 v3, 16, v3
	v_cmp_ne_u32_e32 vcc_lo, 0, v2
	v_sub_nc_u32_e32 v7, 0x3f1, v5
	v_add_nc_u32_e32 v5, 0xfffffc10, v5
	v_cndmask_b32_e64 v2, 0, 1, vcc_lo
	v_and_or_b32 v2, 0xffe, v4, v2
	v_med3_i32 v4, v7, 0, 13
	v_or_b32_e32 v7, 0x1000, v2
	v_lshrrev_b32_e32 v8, v4, v7
	v_lshlrev_b32_e32 v4, v4, v8
	v_cmp_ne_u32_e32 vcc_lo, v4, v7
	v_lshl_or_b32 v7, v5, 12, v2
	v_cndmask_b32_e64 v4, 0, 1, vcc_lo
	v_cmp_gt_i32_e32 vcc_lo, 1, v5
	v_or_b32_e32 v4, v8, v4
	v_cndmask_b32_e32 v4, v7, v4, vcc_lo
	v_and_b32_e32 v7, 7, v4
	v_lshrrev_b32_e32 v4, 2, v4
	v_cmp_lt_i32_e32 vcc_lo, 5, v7
	v_cndmask_b32_e64 v8, 0, 1, vcc_lo
	v_cmp_eq_u32_e32 vcc_lo, 3, v7
	v_cndmask_b32_e64 v7, 0, 1, vcc_lo
	v_cmp_ne_u32_e32 vcc_lo, 0, v2
	v_or_b32_e32 v7, v7, v8
	v_mov_b32_e32 v8, 0x7e00
	v_add_nc_u32_e32 v4, v4, v7
	v_cndmask_b32_e32 v2, 0x7c00, v8, vcc_lo
	v_cmp_gt_i32_e32 vcc_lo, 31, v5
	v_cndmask_b32_e32 v4, 0x7c00, v4, vcc_lo
	v_cmp_eq_u32_e32 vcc_lo, 0x40f, v5
	v_cndmask_b32_e32 v2, v4, v2, vcc_lo
	v_and_or_b32 v3, 0x8000, v3, v2
	s_branch .LBB28_521
.LBB28_517:
	s_mov_b32 s1, -1
                                        ; implicit-def: $vgpr3
	s_branch .LBB28_539
.LBB28_518:
	s_mov_b32 s1, -1
                                        ; implicit-def: $vgpr3
	s_branch .LBB28_527
.LBB28_519:
	s_mov_b32 s1, -1
                                        ; implicit-def: $vgpr3
	s_branch .LBB28_524
.LBB28_520:
	s_mov_b32 s1, -1
                                        ; implicit-def: $vgpr3
.LBB28_521:
	s_andn2_b32 vcc_lo, exec_lo, s1
	s_cbranch_vccnz .LBB28_523
; %bb.522:
	global_load_dword v2, v[0:1], off
	s_waitcnt vmcnt(0)
	v_cvt_f16_f32_e32 v3, v2
.LBB28_523:
	s_mov_b32 s1, 0
.LBB28_524:
	s_andn2_b32 vcc_lo, exec_lo, s1
	s_cbranch_vccnz .LBB28_526
; %bb.525:
	global_load_dword v3, v[0:1], off
.LBB28_526:
	s_mov_b32 s1, 0
.LBB28_527:
	s_andn2_b32 vcc_lo, exec_lo, s1
	s_cbranch_vccnz .LBB28_538
; %bb.528:
	s_cmp_lt_i32 s0, 6
	s_cbranch_scc1 .LBB28_531
; %bb.529:
	s_cmp_gt_i32 s0, 6
	s_cbranch_scc0 .LBB28_532
; %bb.530:
	global_load_dwordx2 v[2:3], v[0:1], off
	s_mov_b32 s1, 0
	s_waitcnt vmcnt(0)
	v_and_or_b32 v2, 0x1ff, v3, v2
	v_lshrrev_b32_e32 v4, 8, v3
	v_bfe_u32 v5, v3, 20, 11
	v_lshrrev_b32_e32 v3, 16, v3
	v_cmp_ne_u32_e32 vcc_lo, 0, v2
	v_sub_nc_u32_e32 v7, 0x3f1, v5
	v_add_nc_u32_e32 v5, 0xfffffc10, v5
	v_cndmask_b32_e64 v2, 0, 1, vcc_lo
	v_and_or_b32 v2, 0xffe, v4, v2
	v_med3_i32 v4, v7, 0, 13
	v_or_b32_e32 v7, 0x1000, v2
	v_lshrrev_b32_e32 v8, v4, v7
	v_lshlrev_b32_e32 v4, v4, v8
	v_cmp_ne_u32_e32 vcc_lo, v4, v7
	v_lshl_or_b32 v7, v5, 12, v2
	v_cndmask_b32_e64 v4, 0, 1, vcc_lo
	v_cmp_gt_i32_e32 vcc_lo, 1, v5
	v_or_b32_e32 v4, v8, v4
	v_cndmask_b32_e32 v4, v7, v4, vcc_lo
	v_and_b32_e32 v7, 7, v4
	v_lshrrev_b32_e32 v4, 2, v4
	v_cmp_lt_i32_e32 vcc_lo, 5, v7
	v_cndmask_b32_e64 v8, 0, 1, vcc_lo
	v_cmp_eq_u32_e32 vcc_lo, 3, v7
	v_cndmask_b32_e64 v7, 0, 1, vcc_lo
	v_cmp_ne_u32_e32 vcc_lo, 0, v2
	v_or_b32_e32 v7, v7, v8
	v_mov_b32_e32 v8, 0x7e00
	v_add_nc_u32_e32 v4, v4, v7
	v_cndmask_b32_e32 v2, 0x7c00, v8, vcc_lo
	v_cmp_gt_i32_e32 vcc_lo, 31, v5
	v_cndmask_b32_e32 v4, 0x7c00, v4, vcc_lo
	v_cmp_eq_u32_e32 vcc_lo, 0x40f, v5
	v_cndmask_b32_e32 v2, v4, v2, vcc_lo
	v_and_or_b32 v3, 0x8000, v3, v2
	s_branch .LBB28_533
.LBB28_531:
	s_mov_b32 s1, -1
                                        ; implicit-def: $vgpr3
	s_branch .LBB28_536
.LBB28_532:
	s_mov_b32 s1, -1
                                        ; implicit-def: $vgpr3
.LBB28_533:
	s_andn2_b32 vcc_lo, exec_lo, s1
	s_cbranch_vccnz .LBB28_535
; %bb.534:
	global_load_dword v2, v[0:1], off
	s_waitcnt vmcnt(0)
	v_cvt_f16_f32_e32 v3, v2
.LBB28_535:
	s_mov_b32 s1, 0
.LBB28_536:
	s_andn2_b32 vcc_lo, exec_lo, s1
	s_cbranch_vccnz .LBB28_538
; %bb.537:
	global_load_ushort v3, v[0:1], off
.LBB28_538:
	s_mov_b32 s1, 0
.LBB28_539:
	s_andn2_b32 vcc_lo, exec_lo, s1
	s_cbranch_vccnz .LBB28_559
; %bb.540:
	s_cmp_lt_i32 s0, 2
	s_cbranch_scc1 .LBB28_544
; %bb.541:
	s_cmp_lt_i32 s0, 3
	s_cbranch_scc1 .LBB28_545
; %bb.542:
	s_cmp_gt_i32 s0, 3
	s_cbranch_scc0 .LBB28_546
; %bb.543:
	global_load_dwordx2 v[2:3], v[0:1], off
	s_mov_b32 s1, 0
	s_waitcnt vmcnt(0)
	v_xor_b32_e32 v4, v2, v3
	v_ffbh_i32_e32 v5, v3
	v_ashrrev_i32_e32 v4, 31, v4
	v_add_nc_u32_e32 v5, -1, v5
	v_add_nc_u32_e32 v4, 32, v4
	v_min_u32_e32 v4, v5, v4
	v_lshlrev_b64 v[2:3], v4, v[2:3]
	v_min_u32_e32 v2, 1, v2
	v_or_b32_e32 v2, v3, v2
	v_sub_nc_u32_e32 v3, 32, v4
	v_cvt_f32_i32_e32 v2, v2
	v_ldexp_f32 v2, v2, v3
	v_cvt_f16_f32_e32 v3, v2
	s_branch .LBB28_547
.LBB28_544:
	s_mov_b32 s1, -1
                                        ; implicit-def: $vgpr3
	s_branch .LBB28_553
.LBB28_545:
	s_mov_b32 s1, -1
                                        ; implicit-def: $vgpr3
	s_branch .LBB28_550
.LBB28_546:
	s_mov_b32 s1, -1
                                        ; implicit-def: $vgpr3
.LBB28_547:
	s_andn2_b32 vcc_lo, exec_lo, s1
	s_cbranch_vccnz .LBB28_549
; %bb.548:
	global_load_dword v2, v[0:1], off
	s_waitcnt vmcnt(0)
	v_cvt_f32_i32_e32 v2, v2
	v_cvt_f16_f32_e32 v3, v2
.LBB28_549:
	s_mov_b32 s1, 0
.LBB28_550:
	s_andn2_b32 vcc_lo, exec_lo, s1
	s_cbranch_vccnz .LBB28_552
; %bb.551:
	global_load_ushort v2, v[0:1], off
	s_waitcnt vmcnt(0)
	v_cvt_f16_i16_e32 v3, v2
.LBB28_552:
	s_mov_b32 s1, 0
.LBB28_553:
	s_andn2_b32 vcc_lo, exec_lo, s1
	s_cbranch_vccnz .LBB28_559
; %bb.554:
	s_cmp_gt_i32 s0, 0
	s_mov_b32 s0, 0
	s_cbranch_scc0 .LBB28_556
; %bb.555:
	global_load_sbyte v2, v[0:1], off
	s_waitcnt vmcnt(0)
	v_cvt_f16_i16_e32 v3, v2
	s_branch .LBB28_557
.LBB28_556:
	s_mov_b32 s0, -1
                                        ; implicit-def: $vgpr3
.LBB28_557:
	s_andn2_b32 vcc_lo, exec_lo, s0
	s_cbranch_vccnz .LBB28_559
; %bb.558:
	global_load_ubyte v0, v[0:1], off
	s_waitcnt vmcnt(0)
	v_cvt_f16_u16_e32 v3, v0
.LBB28_559:
	s_branch .LBB28_290
.LBB28_560:
	s_mov_b32 s1, 0
	s_mov_b32 s0, s12
.LBB28_561:
                                        ; implicit-def: $vgpr6
.LBB28_562:
	s_andn2_b32 s17, s12, exec_lo
	s_and_b32 s0, s0, exec_lo
	s_andn2_b32 s19, s14, exec_lo
	s_and_b32 s16, s16, exec_lo
	s_or_b32 s17, s17, s0
	s_or_b32 s16, s19, s16
	s_orn2_b32 s0, s1, exec_lo
.LBB28_563:
	s_or_b32 exec_lo, exec_lo, s18
	s_mov_b32 s1, 0
	s_mov_b32 s19, 0
	;; [unrolled: 1-line block ×3, first 2 shown]
                                        ; implicit-def: $vgpr0_vgpr1
                                        ; implicit-def: $vgpr3
	s_and_saveexec_b32 s18, s0
	s_cbranch_execz .LBB28_934
; %bb.564:
	s_mov_b32 s20, -1
	s_mov_b32 s0, s16
	s_mov_b32 s1, s17
	s_mov_b32 s19, exec_lo
	v_cmpx_gt_i32_e64 s13, v6
	s_cbranch_execz .LBB28_848
; %bb.565:
	v_mul_lo_u32 v0, v6, s3
	s_and_b32 s0, 0xffff, s6
	s_cmp_lt_i32 s0, 11
	v_ashrrev_i32_e32 v1, 31, v0
	v_add_co_u32 v0, vcc_lo, s10, v0
	v_add_co_ci_u32_e64 v1, null, s11, v1, vcc_lo
	s_cbranch_scc1 .LBB28_572
; %bb.566:
	s_cmp_gt_i32 s0, 25
	s_cbranch_scc0 .LBB28_573
; %bb.567:
	s_cmp_gt_i32 s0, 28
	s_cbranch_scc0 .LBB28_574
; %bb.568:
	s_cmp_gt_i32 s0, 43
	s_cbranch_scc0 .LBB28_575
; %bb.569:
	s_cmp_gt_i32 s0, 45
	s_cbranch_scc0 .LBB28_578
; %bb.570:
	s_cmp_eq_u32 s0, 46
	s_mov_b32 s21, 0
	s_cbranch_scc0 .LBB28_581
; %bb.571:
	global_load_dword v2, v[0:1], off
	s_mov_b32 s1, -1
	s_mov_b32 s20, 0
	s_waitcnt vmcnt(0)
	v_lshlrev_b32_e32 v2, 16, v2
	v_cvt_f16_f32_e32 v3, v2
	s_branch .LBB28_583
.LBB28_572:
	s_mov_b32 s21, -1
	s_mov_b32 s1, 0
	s_mov_b32 s20, s16
                                        ; implicit-def: $vgpr3
	s_branch .LBB28_648
.LBB28_573:
	s_mov_b32 s21, -1
	s_mov_b32 s1, 0
	s_mov_b32 s20, s16
                                        ; implicit-def: $vgpr3
	s_branch .LBB28_612
.LBB28_574:
	s_mov_b32 s21, -1
	s_mov_b32 s1, 0
	s_mov_b32 s20, s16
                                        ; implicit-def: $vgpr3
	s_branch .LBB28_593
.LBB28_575:
	s_mov_b32 s21, -1
	s_mov_b32 s1, 0
	s_mov_b32 s20, s16
                                        ; implicit-def: $vgpr3
	s_branch .LBB28_588
.LBB28_576:
	s_andn2_saveexec_b32 s21, s21
	s_cbranch_execz .LBB28_360
.LBB28_577:
	v_add_f32_e64 v4, 0x46000000, |v3|
	s_andn2_b32 s20, s20, exec_lo
	v_and_b32_e32 v4, 0xff, v4
	v_cmp_ne_u32_e32 vcc_lo, 0, v4
	s_and_b32 s22, vcc_lo, exec_lo
	s_or_b32 s20, s20, s22
	s_or_b32 exec_lo, exec_lo, s21
	v_mov_b32_e32 v5, 0
	s_and_saveexec_b32 s21, s20
	s_cbranch_execnz .LBB28_361
	s_branch .LBB28_362
.LBB28_578:
	s_mov_b32 s21, -1
	s_mov_b32 s1, 0
	s_mov_b32 s20, s16
	s_branch .LBB28_582
.LBB28_579:
	s_andn2_saveexec_b32 s21, s21
	s_cbranch_execz .LBB28_373
.LBB28_580:
	v_add_f32_e64 v4, 0x42800000, |v3|
	s_andn2_b32 s20, s20, exec_lo
	v_and_b32_e32 v4, 0xff, v4
	v_cmp_ne_u32_e32 vcc_lo, 0, v4
	s_and_b32 s22, vcc_lo, exec_lo
	s_or_b32 s20, s20, s22
	s_or_b32 exec_lo, exec_lo, s21
	v_mov_b32_e32 v5, 0
	s_and_saveexec_b32 s21, s20
	s_cbranch_execnz .LBB28_374
	s_branch .LBB28_375
.LBB28_581:
	s_mov_b32 s1, 0
.LBB28_582:
                                        ; implicit-def: $vgpr3
.LBB28_583:
	s_and_b32 vcc_lo, exec_lo, s21
	s_cbranch_vccz .LBB28_587
; %bb.584:
	s_cmp_eq_u32 s0, 44
	s_cbranch_scc0 .LBB28_586
; %bb.585:
	global_load_ubyte v2, v[0:1], off
	s_mov_b32 s20, 0
	s_mov_b32 s1, -1
	s_waitcnt vmcnt(0)
	v_lshlrev_b32_e32 v3, 23, v2
	v_cmp_ne_u32_e32 vcc_lo, 0xff, v2
	v_cvt_f16_f32_e32 v3, v3
	v_cndmask_b32_e32 v3, 0x7e00, v3, vcc_lo
	v_cmp_ne_u32_e32 vcc_lo, 0, v2
	v_cndmask_b32_e32 v3, 0, v3, vcc_lo
	s_branch .LBB28_587
.LBB28_586:
	s_mov_b32 s20, -1
                                        ; implicit-def: $vgpr3
.LBB28_587:
	s_mov_b32 s21, 0
.LBB28_588:
	s_and_b32 vcc_lo, exec_lo, s21
	s_cbranch_vccz .LBB28_592
; %bb.589:
	s_cmp_eq_u32 s0, 29
	s_cbranch_scc0 .LBB28_591
; %bb.590:
	global_load_dwordx2 v[2:3], v[0:1], off
	s_mov_b32 s1, -1
	s_mov_b32 s20, 0
	s_mov_b32 s21, 0
	s_waitcnt vmcnt(0)
	v_ffbh_u32_e32 v4, v3
	v_min_u32_e32 v4, 32, v4
	v_lshlrev_b64 v[2:3], v4, v[2:3]
	v_min_u32_e32 v2, 1, v2
	v_or_b32_e32 v2, v3, v2
	v_sub_nc_u32_e32 v3, 32, v4
	v_cvt_f32_u32_e32 v2, v2
	v_ldexp_f32 v2, v2, v3
	v_cvt_f16_f32_e32 v3, v2
	s_branch .LBB28_593
.LBB28_591:
	s_mov_b32 s20, -1
                                        ; implicit-def: $vgpr3
.LBB28_592:
	s_mov_b32 s21, 0
.LBB28_593:
	s_and_b32 vcc_lo, exec_lo, s21
	s_cbranch_vccz .LBB28_611
; %bb.594:
	s_cmp_lt_i32 s0, 27
	s_cbranch_scc1 .LBB28_597
; %bb.595:
	s_cmp_gt_i32 s0, 27
	s_cbranch_scc0 .LBB28_598
; %bb.596:
	global_load_dword v2, v[0:1], off
	s_mov_b32 s1, 0
	s_waitcnt vmcnt(0)
	v_cvt_f32_u32_e32 v2, v2
	v_cvt_f16_f32_e32 v3, v2
	s_branch .LBB28_599
.LBB28_597:
	s_mov_b32 s1, -1
                                        ; implicit-def: $vgpr3
	s_branch .LBB28_602
.LBB28_598:
	s_mov_b32 s1, -1
                                        ; implicit-def: $vgpr3
.LBB28_599:
	s_andn2_b32 vcc_lo, exec_lo, s1
	s_cbranch_vccnz .LBB28_601
; %bb.600:
	global_load_ushort v2, v[0:1], off
	s_waitcnt vmcnt(0)
	v_cvt_f16_u16_e32 v3, v2
.LBB28_601:
	s_mov_b32 s1, 0
.LBB28_602:
	s_andn2_b32 vcc_lo, exec_lo, s1
	s_cbranch_vccnz .LBB28_610
; %bb.603:
	global_load_ubyte v2, v[0:1], off
	s_mov_b32 s1, 0
	s_mov_b32 s21, exec_lo
	s_waitcnt vmcnt(0)
	v_cmpx_lt_i16_e32 0x7f, v2
	s_xor_b32 s21, exec_lo, s21
	s_cbranch_execz .LBB28_624
; %bb.604:
	s_mov_b32 s1, -1
	s_mov_b32 s22, exec_lo
	v_cmpx_eq_u16_e32 0x80, v2
; %bb.605:
	s_xor_b32 s1, exec_lo, -1
; %bb.606:
	s_or_b32 exec_lo, exec_lo, s22
	s_and_b32 s1, s1, exec_lo
	s_or_saveexec_b32 s21, s21
	v_mov_b32_e32 v3, 0x7e00
	s_xor_b32 exec_lo, exec_lo, s21
	s_cbranch_execnz .LBB28_625
.LBB28_607:
	s_or_b32 exec_lo, exec_lo, s21
	s_and_saveexec_b32 s21, s1
	s_cbranch_execz .LBB28_609
.LBB28_608:
	v_and_b32_e32 v3, 0xffff, v2
	v_lshlrev_b32_e32 v2, 24, v2
	v_and_b32_e32 v4, 7, v3
	v_bfe_u32 v8, v3, 3, 4
	v_and_b32_e32 v2, 0x80000000, v2
	v_ffbh_u32_e32 v5, v4
	v_cmp_eq_u32_e32 vcc_lo, 0, v8
	v_min_u32_e32 v5, 32, v5
	v_subrev_nc_u32_e32 v7, 28, v5
	v_sub_nc_u32_e32 v5, 29, v5
	v_lshlrev_b32_e32 v3, v7, v3
	v_cndmask_b32_e32 v5, v8, v5, vcc_lo
	v_and_b32_e32 v3, 7, v3
	v_cndmask_b32_e32 v3, v4, v3, vcc_lo
	v_lshl_add_u32 v4, v5, 23, 0x3b800000
	v_lshlrev_b32_e32 v3, 20, v3
	v_or3_b32 v2, v2, v4, v3
	v_cvt_f16_f32_e32 v3, v2
.LBB28_609:
	s_or_b32 exec_lo, exec_lo, s21
.LBB28_610:
	s_mov_b32 s1, -1
.LBB28_611:
	s_mov_b32 s21, 0
.LBB28_612:
	s_and_b32 vcc_lo, exec_lo, s21
	s_cbranch_vccz .LBB28_647
; %bb.613:
	s_cmp_gt_i32 s0, 22
	s_cbranch_scc0 .LBB28_623
; %bb.614:
	s_cmp_lt_i32 s0, 24
	s_cbranch_scc1 .LBB28_626
; %bb.615:
	s_cmp_gt_i32 s0, 24
	s_cbranch_scc0 .LBB28_627
; %bb.616:
	global_load_ubyte v2, v[0:1], off
	s_mov_b32 s1, 0
	s_mov_b32 s21, exec_lo
	s_waitcnt vmcnt(0)
	v_cmpx_lt_i16_e32 0x7f, v2
	s_xor_b32 s21, exec_lo, s21
	s_cbranch_execz .LBB28_639
; %bb.617:
	s_mov_b32 s1, -1
	s_mov_b32 s22, exec_lo
	v_cmpx_eq_u16_e32 0x80, v2
; %bb.618:
	s_xor_b32 s1, exec_lo, -1
; %bb.619:
	s_or_b32 exec_lo, exec_lo, s22
	s_and_b32 s1, s1, exec_lo
	s_or_saveexec_b32 s21, s21
	v_mov_b32_e32 v3, 0x7e00
	s_xor_b32 exec_lo, exec_lo, s21
	s_cbranch_execnz .LBB28_640
.LBB28_620:
	s_or_b32 exec_lo, exec_lo, s21
	s_and_saveexec_b32 s21, s1
	s_cbranch_execz .LBB28_622
.LBB28_621:
	v_and_b32_e32 v3, 0xffff, v2
	v_lshlrev_b32_e32 v2, 24, v2
	v_and_b32_e32 v4, 3, v3
	v_bfe_u32 v8, v3, 2, 5
	v_and_b32_e32 v2, 0x80000000, v2
	v_ffbh_u32_e32 v5, v4
	v_cmp_eq_u32_e32 vcc_lo, 0, v8
	v_min_u32_e32 v5, 32, v5
	v_subrev_nc_u32_e32 v7, 29, v5
	v_sub_nc_u32_e32 v5, 30, v5
	v_lshlrev_b32_e32 v3, v7, v3
	v_cndmask_b32_e32 v5, v8, v5, vcc_lo
	v_and_b32_e32 v3, 3, v3
	v_cndmask_b32_e32 v3, v4, v3, vcc_lo
	v_lshl_add_u32 v4, v5, 23, 0x37800000
	v_lshlrev_b32_e32 v3, 21, v3
	v_or3_b32 v2, v2, v4, v3
	v_cvt_f16_f32_e32 v3, v2
.LBB28_622:
	s_or_b32 exec_lo, exec_lo, s21
	s_mov_b32 s1, 0
	s_branch .LBB28_628
.LBB28_623:
	s_mov_b32 s21, -1
                                        ; implicit-def: $vgpr3
	s_branch .LBB28_634
.LBB28_624:
	s_or_saveexec_b32 s21, s21
	v_mov_b32_e32 v3, 0x7e00
	s_xor_b32 exec_lo, exec_lo, s21
	s_cbranch_execz .LBB28_607
.LBB28_625:
	v_cmp_ne_u16_e32 vcc_lo, 0, v2
	v_mov_b32_e32 v3, v2
	s_andn2_b32 s1, s1, exec_lo
	s_and_b32 s22, vcc_lo, exec_lo
	s_or_b32 s1, s1, s22
	s_or_b32 exec_lo, exec_lo, s21
	s_and_saveexec_b32 s21, s1
	s_cbranch_execnz .LBB28_608
	s_branch .LBB28_609
.LBB28_626:
	s_mov_b32 s1, -1
                                        ; implicit-def: $vgpr3
	s_branch .LBB28_631
.LBB28_627:
	s_mov_b32 s1, -1
                                        ; implicit-def: $vgpr3
.LBB28_628:
	s_and_b32 vcc_lo, exec_lo, s1
	s_cbranch_vccz .LBB28_630
; %bb.629:
	global_load_ubyte v2, v[0:1], off
	s_waitcnt vmcnt(0)
	v_lshlrev_b32_e32 v2, 24, v2
	v_and_b32_e32 v3, 0x7f000000, v2
	v_ffbh_u32_e32 v4, v3
	v_add_nc_u32_e32 v7, 0x1000000, v3
	v_cmp_ne_u32_e32 vcc_lo, 0, v3
	v_min_u32_e32 v4, 32, v4
	v_sub_nc_u32_e64 v4, v4, 4 clamp
	v_lshlrev_b32_e32 v5, v4, v3
	v_lshlrev_b32_e32 v4, 23, v4
	v_lshrrev_b32_e32 v5, 4, v5
	v_sub_nc_u32_e32 v4, v5, v4
	v_ashrrev_i32_e32 v5, 8, v7
	v_add_nc_u32_e32 v4, 0x3c000000, v4
	v_and_or_b32 v4, 0x7f800000, v5, v4
	v_cndmask_b32_e32 v3, 0, v4, vcc_lo
	v_and_or_b32 v2, 0x80000000, v2, v3
	v_cvt_f16_f32_e32 v3, v2
.LBB28_630:
	s_mov_b32 s1, 0
.LBB28_631:
	s_andn2_b32 vcc_lo, exec_lo, s1
	s_cbranch_vccnz .LBB28_633
; %bb.632:
	global_load_ubyte v2, v[0:1], off
	s_waitcnt vmcnt(0)
	v_lshlrev_b32_e32 v3, 25, v2
	v_lshlrev_b16 v2, 8, v2
	v_lshrrev_b32_e32 v4, 4, v3
	v_and_or_b32 v5, 0x7f00, v2, 0.5
	v_cmp_gt_u32_e32 vcc_lo, 0x8000000, v3
	v_bfe_i32 v2, v2, 0, 16
	v_or_b32_e32 v4, 0x70000000, v4
	v_add_f32_e32 v5, -0.5, v5
	v_mul_f32_e32 v4, 0x7800000, v4
	v_cndmask_b32_e32 v3, v4, v5, vcc_lo
	v_and_or_b32 v2, 0x80000000, v2, v3
	v_cvt_f16_f32_e32 v3, v2
.LBB28_633:
	s_mov_b32 s21, 0
	s_mov_b32 s1, -1
.LBB28_634:
	s_andn2_b32 vcc_lo, exec_lo, s21
	s_cbranch_vccnz .LBB28_647
; %bb.635:
	s_cmp_gt_i32 s0, 14
	s_cbranch_scc0 .LBB28_638
; %bb.636:
	s_cmp_eq_u32 s0, 15
	s_cbranch_scc0 .LBB28_641
; %bb.637:
	global_load_ushort v2, v[0:1], off
	s_mov_b32 s1, -1
	s_mov_b32 s20, 0
	s_waitcnt vmcnt(0)
	v_lshlrev_b32_e32 v2, 16, v2
	v_cvt_f16_f32_e32 v3, v2
	s_branch .LBB28_642
.LBB28_638:
	s_mov_b32 s21, -1
                                        ; implicit-def: $vgpr3
	s_branch .LBB28_643
.LBB28_639:
	s_or_saveexec_b32 s21, s21
	v_mov_b32_e32 v3, 0x7e00
	s_xor_b32 exec_lo, exec_lo, s21
	s_cbranch_execz .LBB28_620
.LBB28_640:
	v_cmp_ne_u16_e32 vcc_lo, 0, v2
	v_mov_b32_e32 v3, v2
	s_andn2_b32 s1, s1, exec_lo
	s_and_b32 s22, vcc_lo, exec_lo
	s_or_b32 s1, s1, s22
	s_or_b32 exec_lo, exec_lo, s21
	s_and_saveexec_b32 s21, s1
	s_cbranch_execnz .LBB28_621
	s_branch .LBB28_622
.LBB28_641:
	s_mov_b32 s20, -1
                                        ; implicit-def: $vgpr3
.LBB28_642:
	s_mov_b32 s21, 0
.LBB28_643:
	s_and_b32 vcc_lo, exec_lo, s21
	s_cbranch_vccz .LBB28_647
; %bb.644:
	s_cmp_eq_u32 s0, 11
	s_cbranch_scc0 .LBB28_646
; %bb.645:
	global_load_ubyte v2, v[0:1], off
	s_mov_b32 s20, 0
	s_mov_b32 s1, -1
	s_waitcnt vmcnt(0)
	v_cmp_ne_u16_e32 vcc_lo, 0, v2
	v_cndmask_b32_e64 v3, 0, 0x3c00, vcc_lo
	s_branch .LBB28_647
.LBB28_646:
	s_mov_b32 s20, -1
                                        ; implicit-def: $vgpr3
.LBB28_647:
	s_mov_b32 s21, 0
.LBB28_648:
	s_and_b32 vcc_lo, exec_lo, s21
	s_cbranch_vccz .LBB28_697
; %bb.649:
	s_cmp_lt_i32 s0, 5
	s_cbranch_scc1 .LBB28_654
; %bb.650:
	s_cmp_lt_i32 s0, 8
	s_cbranch_scc1 .LBB28_655
	;; [unrolled: 3-line block ×3, first 2 shown]
; %bb.652:
	s_cmp_gt_i32 s0, 9
	s_cbranch_scc0 .LBB28_657
; %bb.653:
	global_load_dwordx2 v[2:3], v[0:1], off
	s_mov_b32 s1, 0
	s_waitcnt vmcnt(0)
	v_and_or_b32 v2, 0x1ff, v3, v2
	v_lshrrev_b32_e32 v4, 8, v3
	v_bfe_u32 v5, v3, 20, 11
	v_lshrrev_b32_e32 v3, 16, v3
	v_cmp_ne_u32_e32 vcc_lo, 0, v2
	v_sub_nc_u32_e32 v7, 0x3f1, v5
	v_add_nc_u32_e32 v5, 0xfffffc10, v5
	v_cndmask_b32_e64 v2, 0, 1, vcc_lo
	v_and_or_b32 v2, 0xffe, v4, v2
	v_med3_i32 v4, v7, 0, 13
	v_or_b32_e32 v7, 0x1000, v2
	v_lshrrev_b32_e32 v8, v4, v7
	v_lshlrev_b32_e32 v4, v4, v8
	v_cmp_ne_u32_e32 vcc_lo, v4, v7
	v_lshl_or_b32 v7, v5, 12, v2
	v_cndmask_b32_e64 v4, 0, 1, vcc_lo
	v_cmp_gt_i32_e32 vcc_lo, 1, v5
	v_or_b32_e32 v4, v8, v4
	v_cndmask_b32_e32 v4, v7, v4, vcc_lo
	v_and_b32_e32 v7, 7, v4
	v_lshrrev_b32_e32 v4, 2, v4
	v_cmp_lt_i32_e32 vcc_lo, 5, v7
	v_cndmask_b32_e64 v8, 0, 1, vcc_lo
	v_cmp_eq_u32_e32 vcc_lo, 3, v7
	v_cndmask_b32_e64 v7, 0, 1, vcc_lo
	v_cmp_ne_u32_e32 vcc_lo, 0, v2
	v_or_b32_e32 v7, v7, v8
	v_mov_b32_e32 v8, 0x7e00
	v_add_nc_u32_e32 v4, v4, v7
	v_cndmask_b32_e32 v2, 0x7c00, v8, vcc_lo
	v_cmp_gt_i32_e32 vcc_lo, 31, v5
	v_cndmask_b32_e32 v4, 0x7c00, v4, vcc_lo
	v_cmp_eq_u32_e32 vcc_lo, 0x40f, v5
	v_cndmask_b32_e32 v2, v4, v2, vcc_lo
	v_and_or_b32 v3, 0x8000, v3, v2
	s_branch .LBB28_658
.LBB28_654:
	s_mov_b32 s1, -1
                                        ; implicit-def: $vgpr3
	s_branch .LBB28_676
.LBB28_655:
	s_mov_b32 s1, -1
                                        ; implicit-def: $vgpr3
	s_branch .LBB28_664
.LBB28_656:
	s_mov_b32 s1, -1
                                        ; implicit-def: $vgpr3
	s_branch .LBB28_661
.LBB28_657:
	s_mov_b32 s1, -1
                                        ; implicit-def: $vgpr3
.LBB28_658:
	s_andn2_b32 vcc_lo, exec_lo, s1
	s_cbranch_vccnz .LBB28_660
; %bb.659:
	global_load_dword v2, v[0:1], off
	s_waitcnt vmcnt(0)
	v_cvt_f16_f32_e32 v3, v2
.LBB28_660:
	s_mov_b32 s1, 0
.LBB28_661:
	s_andn2_b32 vcc_lo, exec_lo, s1
	s_cbranch_vccnz .LBB28_663
; %bb.662:
	global_load_dword v3, v[0:1], off
.LBB28_663:
	s_mov_b32 s1, 0
.LBB28_664:
	s_andn2_b32 vcc_lo, exec_lo, s1
	s_cbranch_vccnz .LBB28_675
; %bb.665:
	s_cmp_lt_i32 s0, 6
	s_cbranch_scc1 .LBB28_668
; %bb.666:
	s_cmp_gt_i32 s0, 6
	s_cbranch_scc0 .LBB28_669
; %bb.667:
	global_load_dwordx2 v[2:3], v[0:1], off
	s_mov_b32 s1, 0
	s_waitcnt vmcnt(0)
	v_and_or_b32 v2, 0x1ff, v3, v2
	v_lshrrev_b32_e32 v4, 8, v3
	v_bfe_u32 v5, v3, 20, 11
	v_lshrrev_b32_e32 v3, 16, v3
	v_cmp_ne_u32_e32 vcc_lo, 0, v2
	v_sub_nc_u32_e32 v7, 0x3f1, v5
	v_add_nc_u32_e32 v5, 0xfffffc10, v5
	v_cndmask_b32_e64 v2, 0, 1, vcc_lo
	v_and_or_b32 v2, 0xffe, v4, v2
	v_med3_i32 v4, v7, 0, 13
	v_or_b32_e32 v7, 0x1000, v2
	v_lshrrev_b32_e32 v8, v4, v7
	v_lshlrev_b32_e32 v4, v4, v8
	v_cmp_ne_u32_e32 vcc_lo, v4, v7
	v_lshl_or_b32 v7, v5, 12, v2
	v_cndmask_b32_e64 v4, 0, 1, vcc_lo
	v_cmp_gt_i32_e32 vcc_lo, 1, v5
	v_or_b32_e32 v4, v8, v4
	v_cndmask_b32_e32 v4, v7, v4, vcc_lo
	v_and_b32_e32 v7, 7, v4
	v_lshrrev_b32_e32 v4, 2, v4
	v_cmp_lt_i32_e32 vcc_lo, 5, v7
	v_cndmask_b32_e64 v8, 0, 1, vcc_lo
	v_cmp_eq_u32_e32 vcc_lo, 3, v7
	v_cndmask_b32_e64 v7, 0, 1, vcc_lo
	v_cmp_ne_u32_e32 vcc_lo, 0, v2
	v_or_b32_e32 v7, v7, v8
	v_mov_b32_e32 v8, 0x7e00
	v_add_nc_u32_e32 v4, v4, v7
	v_cndmask_b32_e32 v2, 0x7c00, v8, vcc_lo
	v_cmp_gt_i32_e32 vcc_lo, 31, v5
	v_cndmask_b32_e32 v4, 0x7c00, v4, vcc_lo
	v_cmp_eq_u32_e32 vcc_lo, 0x40f, v5
	v_cndmask_b32_e32 v2, v4, v2, vcc_lo
	v_and_or_b32 v3, 0x8000, v3, v2
	s_branch .LBB28_670
.LBB28_668:
	s_mov_b32 s1, -1
                                        ; implicit-def: $vgpr3
	s_branch .LBB28_673
.LBB28_669:
	s_mov_b32 s1, -1
                                        ; implicit-def: $vgpr3
.LBB28_670:
	s_andn2_b32 vcc_lo, exec_lo, s1
	s_cbranch_vccnz .LBB28_672
; %bb.671:
	global_load_dword v2, v[0:1], off
	s_waitcnt vmcnt(0)
	v_cvt_f16_f32_e32 v3, v2
.LBB28_672:
	s_mov_b32 s1, 0
.LBB28_673:
	s_andn2_b32 vcc_lo, exec_lo, s1
	s_cbranch_vccnz .LBB28_675
; %bb.674:
	global_load_ushort v3, v[0:1], off
.LBB28_675:
	s_mov_b32 s1, 0
.LBB28_676:
	s_andn2_b32 vcc_lo, exec_lo, s1
	s_cbranch_vccnz .LBB28_696
; %bb.677:
	s_cmp_lt_i32 s0, 2
	s_cbranch_scc1 .LBB28_681
; %bb.678:
	s_cmp_lt_i32 s0, 3
	s_cbranch_scc1 .LBB28_682
; %bb.679:
	s_cmp_gt_i32 s0, 3
	s_cbranch_scc0 .LBB28_683
; %bb.680:
	global_load_dwordx2 v[2:3], v[0:1], off
	s_mov_b32 s1, 0
	s_waitcnt vmcnt(0)
	v_xor_b32_e32 v4, v2, v3
	v_ffbh_i32_e32 v5, v3
	v_ashrrev_i32_e32 v4, 31, v4
	v_add_nc_u32_e32 v5, -1, v5
	v_add_nc_u32_e32 v4, 32, v4
	v_min_u32_e32 v4, v5, v4
	v_lshlrev_b64 v[2:3], v4, v[2:3]
	v_min_u32_e32 v2, 1, v2
	v_or_b32_e32 v2, v3, v2
	v_sub_nc_u32_e32 v3, 32, v4
	v_cvt_f32_i32_e32 v2, v2
	v_ldexp_f32 v2, v2, v3
	v_cvt_f16_f32_e32 v3, v2
	s_branch .LBB28_684
.LBB28_681:
	s_mov_b32 s1, -1
                                        ; implicit-def: $vgpr3
	s_branch .LBB28_690
.LBB28_682:
	s_mov_b32 s1, -1
                                        ; implicit-def: $vgpr3
	s_branch .LBB28_687
.LBB28_683:
	s_mov_b32 s1, -1
                                        ; implicit-def: $vgpr3
.LBB28_684:
	s_andn2_b32 vcc_lo, exec_lo, s1
	s_cbranch_vccnz .LBB28_686
; %bb.685:
	global_load_dword v2, v[0:1], off
	s_waitcnt vmcnt(0)
	v_cvt_f32_i32_e32 v2, v2
	v_cvt_f16_f32_e32 v3, v2
.LBB28_686:
	s_mov_b32 s1, 0
.LBB28_687:
	s_andn2_b32 vcc_lo, exec_lo, s1
	s_cbranch_vccnz .LBB28_689
; %bb.688:
	global_load_ushort v2, v[0:1], off
	s_waitcnt vmcnt(0)
	v_cvt_f16_i16_e32 v3, v2
.LBB28_689:
	s_mov_b32 s1, 0
.LBB28_690:
	s_andn2_b32 vcc_lo, exec_lo, s1
	s_cbranch_vccnz .LBB28_696
; %bb.691:
	s_cmp_gt_i32 s0, 0
	s_mov_b32 s0, 0
	s_cbranch_scc0 .LBB28_693
; %bb.692:
	global_load_sbyte v2, v[0:1], off
	s_waitcnt vmcnt(0)
	v_cvt_f16_i16_e32 v3, v2
	s_branch .LBB28_694
.LBB28_693:
	s_mov_b32 s0, -1
                                        ; implicit-def: $vgpr3
.LBB28_694:
	s_andn2_b32 vcc_lo, exec_lo, s0
	s_cbranch_vccnz .LBB28_696
; %bb.695:
	global_load_ubyte v0, v[0:1], off
	s_waitcnt vmcnt(0)
	v_cvt_f16_u16_e32 v3, v0
.LBB28_696:
	s_mov_b32 s1, -1
.LBB28_697:
	s_andn2_b32 vcc_lo, exec_lo, s1
	s_cbranch_vccnz .LBB28_729
; %bb.698:
	s_waitcnt vmcnt(0)
	v_cvt_f32_f16_e32 v7, v3
                                        ; implicit-def: $vgpr2
	s_mov_b32 s0, exec_lo
	v_cmpx_neq_f16_e32 0, v3
	s_xor_b32 s21, exec_lo, s0
	s_cbranch_execz .LBB28_720
; %bb.699:
	v_mov_b32_e32 v0, 0
	s_mov_b32 s0, -1
	s_mov_b32 s22, exec_lo
	v_cmpx_gt_f16_e32 0, v3
	s_cbranch_execz .LBB28_707
; %bb.700:
	v_trunc_f32_e32 v0, v7
	s_mov_b32 s1, 0
	v_cmp_neq_f32_e32 vcc_lo, v0, v7
	v_mov_b32_e32 v0, 0
	s_and_saveexec_b32 s23, vcc_lo
	s_cbranch_execz .LBB28_706
; %bb.701:
	v_cvt_f32_f16_e32 v0, v3
	s_mov_b32 s1, 0xc00921fb
	s_mov_b32 s0, 0x54442d18
	s_mov_b32 s24, exec_lo
                                        ; implicit-def: $vgpr8
                                        ; implicit-def: $vgpr4_vgpr5
	v_cvt_f64_f32_e32 v[0:1], v0
	v_trunc_f64_e32 v[2:3], v[0:1]
	v_cmp_neq_f64_e64 vcc_lo, 0x7ff00000, |v[0:1]|
	v_add_f64 v[2:3], v[0:1], -v[2:3]
	v_mul_f64 v[2:3], |v[2:3]|, s[0:1]
	v_cndmask_b32_e32 v1, 0x80000000, v3, vcc_lo
	v_cndmask_b32_e32 v0, 0, v2, vcc_lo
                                        ; implicit-def: $vgpr2_vgpr3
	v_cmpx_ngt_f64_e64 0x41d00000, |v[0:1]|
	s_xor_b32 s24, exec_lo, s24
	s_cbranch_execz .LBB28_703
; %bb.702:
	v_ldexp_f64 v[2:3], |v[0:1]|, 0xffffff80
	v_cmp_le_f64_e64 vcc_lo, 0x7b000000, |v[0:1]|
	v_trig_preop_f64 v[4:5], |v[0:1]|, 0
	v_and_b32_e32 v8, 0x7fffffff, v1
	v_trig_preop_f64 v[18:19], |v[0:1]|, 2
	v_mov_b32_e32 v26, 0
	s_mov_b32 s1, 0x3ff921fb
	s_mov_b32 s26, 0x33145c07
	;; [unrolled: 1-line block ×3, first 2 shown]
	v_cndmask_b32_e32 v3, v8, v3, vcc_lo
	v_cndmask_b32_e32 v2, v0, v2, vcc_lo
	v_trig_preop_f64 v[8:9], |v[0:1]|, 1
	v_mul_f64 v[10:11], v[4:5], v[2:3]
	v_mul_f64 v[24:25], v[18:19], v[2:3]
	;; [unrolled: 1-line block ×3, first 2 shown]
	v_fma_f64 v[4:5], v[4:5], v[2:3], -v[10:11]
	v_fma_f64 v[8:9], v[8:9], v[2:3], -v[12:13]
	;; [unrolled: 1-line block ×3, first 2 shown]
	v_add_f64 v[14:15], v[12:13], v[4:5]
	v_add_f64 v[16:17], v[14:15], -v[12:13]
	v_add_f64 v[22:23], v[10:11], v[14:15]
	v_add_f64 v[20:21], v[14:15], -v[16:17]
	v_add_f64 v[4:5], v[4:5], -v[16:17]
	v_ldexp_f64 v[16:17], v[22:23], -2
	v_add_f64 v[10:11], v[22:23], -v[10:11]
	v_add_f64 v[12:13], v[12:13], -v[20:21]
	v_add_f64 v[20:21], v[24:25], v[8:9]
	v_cmp_neq_f64_e64 vcc_lo, 0x7ff00000, |v[16:17]|
	v_add_f64 v[10:11], v[14:15], -v[10:11]
	v_add_f64 v[4:5], v[4:5], v[12:13]
	v_fract_f64_e32 v[12:13], v[16:17]
	v_add_f64 v[14:15], v[20:21], v[4:5]
	v_ldexp_f64 v[12:13], v[12:13], 2
	v_add_f64 v[16:17], v[10:11], v[14:15]
	v_cndmask_b32_e32 v13, 0, v13, vcc_lo
	v_cndmask_b32_e32 v12, 0, v12, vcc_lo
	v_add_f64 v[22:23], v[16:17], v[12:13]
	v_add_f64 v[10:11], v[16:17], -v[10:11]
	v_cmp_gt_f64_e32 vcc_lo, 0, v[22:23]
	v_add_f64 v[22:23], v[20:21], -v[24:25]
	v_cndmask_b32_e64 v27, 0, 0x40100000, vcc_lo
	v_add_f64 v[31:32], v[20:21], -v[22:23]
	v_add_f64 v[8:9], v[8:9], -v[22:23]
	v_add_f64 v[12:13], v[12:13], v[26:27]
	v_add_f64 v[27:28], v[14:15], -v[20:21]
	v_add_f64 v[22:23], v[24:25], -v[31:32]
	v_add_f64 v[29:30], v[16:17], v[12:13]
	;; [unrolled: 3-line block ×3, first 2 shown]
	v_cvt_i32_f64_e32 v29, v[29:30]
	v_add_f64 v[20:21], v[20:21], -v[33:34]
	v_cvt_f64_i32_e32 v[27:28], v29
	v_add_f64 v[4:5], v[4:5], v[20:21]
	v_add_f64 v[12:13], v[12:13], -v[27:28]
	v_add_f64 v[4:5], v[8:9], v[4:5]
	v_add_f64 v[8:9], v[14:15], -v[10:11]
	v_add_f64 v[18:19], v[16:17], v[12:13]
	v_add_f64 v[2:3], v[2:3], v[4:5]
	v_add_f64 v[4:5], v[18:19], -v[12:13]
	v_cmp_le_f64_e32 vcc_lo, 0.5, v[18:19]
	v_add_f64 v[2:3], v[8:9], v[2:3]
	v_add_f64 v[4:5], v[16:17], -v[4:5]
	v_cndmask_b32_e64 v27, 0, 0x3ff00000, vcc_lo
	v_add_co_ci_u32_e64 v8, null, 0, v29, vcc_lo
	v_add_f64 v[2:3], v[2:3], v[4:5]
	v_add_f64 v[4:5], v[18:19], -v[26:27]
	v_add_f64 v[9:10], v[4:5], v[2:3]
	v_mul_f64 v[11:12], v[9:10], s[0:1]
	v_add_f64 v[4:5], v[9:10], -v[4:5]
	v_fma_f64 v[13:14], v[9:10], s[0:1], -v[11:12]
	v_add_f64 v[2:3], v[2:3], -v[4:5]
	v_fma_f64 v[4:5], v[9:10], s[26:27], v[13:14]
	v_fma_f64 v[4:5], v[2:3], s[0:1], v[4:5]
	v_add_f64 v[2:3], v[11:12], v[4:5]
	v_add_f64 v[9:10], v[2:3], -v[11:12]
	v_add_f64 v[4:5], v[4:5], -v[9:10]
.LBB28_703:
	s_andn2_saveexec_b32 s0, s24
	s_cbranch_execz .LBB28_705
; %bb.704:
	s_mov_b32 s24, 0x6dc9c883
	s_mov_b32 s25, 0x3fe45f30
	;; [unrolled: 1-line block ×3, first 2 shown]
	v_mul_f64 v[2:3], |v[0:1]|, s[24:25]
	s_mov_b32 s24, 0x54442d18
	s_mov_b32 s25, 0xbff921fb
	;; [unrolled: 1-line block ×3, first 2 shown]
	v_rndne_f64_e32 v[8:9], v[2:3]
	v_fma_f64 v[2:3], v[8:9], s[24:25], |v[0:1]|
	v_mul_f64 v[4:5], v[8:9], s[26:27]
	s_mov_b32 s24, 0x252049c0
	s_mov_b32 s25, 0xb97b839a
	v_fma_f64 v[12:13], v[8:9], s[26:27], v[2:3]
	v_add_f64 v[10:11], v[2:3], v[4:5]
	s_mov_b32 s27, 0x3c91a626
	v_add_f64 v[2:3], v[2:3], -v[10:11]
	v_add_f64 v[10:11], v[10:11], -v[12:13]
	v_add_f64 v[2:3], v[2:3], v[4:5]
	v_fma_f64 v[4:5], v[8:9], s[26:27], v[4:5]
	v_add_f64 v[2:3], v[10:11], v[2:3]
	v_add_f64 v[2:3], v[2:3], -v[4:5]
	v_fma_f64 v[4:5], v[8:9], s[24:25], v[2:3]
	v_cvt_i32_f64_e32 v8, v[8:9]
	v_add_f64 v[2:3], v[12:13], v[4:5]
	v_add_f64 v[10:11], v[2:3], -v[12:13]
	v_add_f64 v[4:5], v[4:5], -v[10:11]
.LBB28_705:
	s_or_b32 exec_lo, exec_lo, s0
	v_mul_f64 v[9:10], v[2:3], v[2:3]
	v_add_f64 v[11:12], v[4:5], v[4:5]
	s_mov_b32 s24, 0xa9a29f71
	s_mov_b32 s26, 0xc751c08c
	;; [unrolled: 1-line block ×4, first 2 shown]
	v_cmp_class_f64_e64 s0, v[0:1], 0x1f8
	v_and_b32_e32 v8, 1, v8
	v_and_b32_e32 v1, 0x80000000, v1
	v_sub_f32_e32 v7, 1.0, v7
	s_mov_b32 s1, exec_lo
	v_cmp_eq_u32_e32 vcc_lo, 0, v8
	v_fma_f64 v[13:14], v[2:3], v[2:3], -v[9:10]
	v_fma_f64 v[11:12], v[2:3], v[11:12], v[13:14]
	v_add_f64 v[9:10], v[9:10], v[11:12]
	v_fma_f64 v[11:12], v[9:10], s[26:27], s[24:25]
	s_mov_b32 s24, 0x90a8aae0
	s_mov_b32 s25, 0x3f17746f
	v_fma_f64 v[11:12], v[9:10], v[11:12], s[24:25]
	s_mov_b32 s24, 0xa6fbf144
	s_mov_b32 s25, 0xbefbb44d
	;; [unrolled: 3-line block ×13, first 2 shown]
	v_mul_f64 v[9:10], v[9:10], v[11:12]
	v_mul_f64 v[11:12], v[2:3], v[9:10]
	v_add_f64 v[13:14], v[2:3], v[11:12]
	v_fma_f64 v[9:10], v[2:3], v[9:10], -v[11:12]
	v_add_f64 v[2:3], v[13:14], -v[2:3]
	v_add_f64 v[4:5], v[4:5], v[9:10]
	v_add_f64 v[2:3], v[11:12], -v[2:3]
	v_add_f64 v[2:3], v[4:5], v[2:3]
	v_add_f64 v[4:5], v[13:14], v[2:3]
	v_rcp_f64_e32 v[9:10], v[4:5]
	v_fma_f64 v[11:12], -v[4:5], v[9:10], 1.0
	v_fma_f64 v[9:10], v[11:12], v[9:10], v[9:10]
	v_fma_f64 v[11:12], -v[4:5], v[9:10], 1.0
	v_fma_f64 v[9:10], v[11:12], v[9:10], v[9:10]
	v_add_f64 v[11:12], v[4:5], -v[13:14]
	v_mul_f64 v[13:14], v[4:5], v[9:10]
	v_add_f64 v[2:3], v[2:3], -v[11:12]
	v_fma_f64 v[11:12], v[9:10], v[4:5], -v[13:14]
	v_fma_f64 v[2:3], v[9:10], v[2:3], v[11:12]
	v_add_f64 v[11:12], v[13:14], v[2:3]
	v_add_f64 v[15:16], -v[11:12], 1.0
	v_add_f64 v[13:14], v[11:12], -v[13:14]
	v_add_f64 v[17:18], -v[15:16], 1.0
	v_add_f64 v[2:3], v[13:14], -v[2:3]
	v_add_f64 v[11:12], v[17:18], -v[11:12]
	v_add_f64 v[2:3], v[2:3], v[11:12]
	v_add_f64 v[2:3], v[15:16], v[2:3]
	v_mul_f64 v[2:3], v[9:10], v[2:3]
	v_add_f64 v[2:3], v[9:10], v[2:3]
	v_xor_b32_e32 v0, 0x80000000, v3
	v_cndmask_b32_e32 v2, v2, v4, vcc_lo
	v_cndmask_b32_e32 v0, v0, v5, vcc_lo
	v_xor_b32_e32 v1, v0, v1
	v_cndmask_b32_e64 v0, 0, v2, s0
	v_cndmask_b32_e64 v1, 0x7ff80000, v1, s0
	v_div_scale_f64 v[2:3], null, v[0:1], v[0:1], s[24:25]
	v_rcp_f64_e32 v[4:5], v[2:3]
	v_fma_f64 v[8:9], -v[2:3], v[4:5], 1.0
	v_fma_f64 v[4:5], v[4:5], v[8:9], v[4:5]
	v_fma_f64 v[8:9], -v[2:3], v[4:5], 1.0
	v_fma_f64 v[4:5], v[4:5], v[8:9], v[4:5]
	v_div_scale_f64 v[8:9], vcc_lo, s[24:25], v[0:1], s[24:25]
	v_mul_f64 v[10:11], v[8:9], v[4:5]
	v_fma_f64 v[2:3], -v[2:3], v[10:11], v[8:9]
	v_div_fmas_f64 v[2:3], v[2:3], v[4:5], v[10:11]
	v_div_fixup_f64 v[0:1], v[2:3], v[0:1], s[24:25]
	v_cvt_f32_f64_e32 v0, v[0:1]
.LBB28_706:
	s_or_b32 exec_lo, exec_lo, s23
	s_orn2_b32 s0, s1, exec_lo
.LBB28_707:
	s_or_b32 exec_lo, exec_lo, s22
	v_mov_b32_e32 v2, 0x7e00
	s_and_saveexec_b32 s22, s0
	s_cbranch_execz .LBB28_719
; %bb.708:
	s_mov_b32 s0, exec_lo
	v_cmpx_gt_f32_e32 0x41200000, v7
	s_cbranch_execz .LBB28_712
; %bb.709:
	s_mov_b32 s1, 0
.LBB28_710:                             ; =>This Inner Loop Header: Depth=1
	v_div_scale_f32 v1, null, v7, v7, 1.0
	v_div_scale_f32 v4, vcc_lo, 1.0, v7, 1.0
	v_rcp_f32_e32 v2, v1
	v_fma_f32 v3, -v1, v2, 1.0
	v_fmac_f32_e32 v2, v3, v2
	v_mul_f32_e32 v3, v4, v2
	v_fma_f32 v5, -v1, v3, v4
	v_fmac_f32_e32 v3, v5, v2
	v_fma_f32 v1, -v1, v3, v4
	v_div_fmas_f32 v1, v1, v2, v3
	v_div_fixup_f32 v1, v1, v7, 1.0
	v_add_f32_e32 v7, 1.0, v7
	v_sub_f32_e32 v0, v0, v1
	v_cmp_ngt_f32_e32 vcc_lo, 0x41200000, v7
	s_or_b32 s1, vcc_lo, s1
	s_andn2_b32 exec_lo, exec_lo, s1
	s_cbranch_execnz .LBB28_710
; %bb.711:
	s_or_b32 exec_lo, exec_lo, s1
.LBB28_712:
	s_or_b32 exec_lo, exec_lo, s0
                                        ; implicit-def: $vgpr2
	s_mov_b32 s0, exec_lo
	v_cmpx_neq_f32_e32 0x41200000, v7
	s_xor_b32 s23, exec_lo, s0
	s_cbranch_execz .LBB28_716
; %bb.713:
	v_cvt_f64_f32_e32 v[1:2], v7
	s_mov_b32 s0, 0x85d8a000
	s_mov_b32 s1, 0x43763457
	v_cmp_gt_f64_e32 vcc_lo, s[0:1], v[1:2]
	v_mov_b32_e32 v1, 0
	s_and_saveexec_b32 s0, vcc_lo
	s_cbranch_execz .LBB28_715
; %bb.714:
	v_mul_f32_e32 v1, v7, v7
	v_div_scale_f32 v2, null, v1, v1, 1.0
	v_rcp_f32_e32 v3, v2
	v_fma_f32 v4, -v2, v3, 1.0
	v_fmac_f32_e32 v3, v4, v3
	v_div_scale_f32 v4, vcc_lo, 1.0, v1, 1.0
	v_mul_f32_e32 v5, v4, v3
	v_fma_f32 v8, -v2, v5, v4
	v_fmac_f32_e32 v5, v8, v3
	v_fma_f32 v2, -v2, v5, v4
	v_div_fmas_f32 v2, v2, v3, v5
	v_div_fixup_f32 v1, v2, v1, 1.0
	v_fmaak_f32 v2, 0, v1, 0x3daaaaab
	v_fmaak_f32 v2, v1, v2, 0xbcaccacd
	;; [unrolled: 1-line block ×7, first 2 shown]
	v_mul_f32_e32 v1, v1, v2
.LBB28_715:
	s_or_b32 exec_lo, exec_lo, s0
	v_cmp_gt_f32_e32 vcc_lo, 0x800000, v7
	v_div_scale_f32 v2, null, v7, v7, -0.5
	v_div_scale_f32 v8, s0, -0.5, v7, -0.5
	v_cndmask_b32_e64 v3, 0, 32, vcc_lo
	v_rcp_f32_e32 v4, v2
	v_ldexp_f32 v3, v7, v3
	v_log_f32_e32 v3, v3
	v_fma_f32 v5, -v2, v4, 1.0
	v_fmac_f32_e32 v4, v5, v4
	v_mul_f32_e32 v5, 0x3f317217, v3
	v_mul_f32_e32 v9, v8, v4
	v_cmp_gt_f32_e64 s1, 0x7f800000, |v3|
	v_fma_f32 v5, 0x3f317217, v3, -v5
	v_fma_f32 v10, -v2, v9, v8
	v_fmamk_f32 v5, v3, 0x3377d1cf, v5
	v_fmac_f32_e32 v9, v10, v4
	v_fmac_f32_e32 v5, 0x3f317217, v3
	v_fma_f32 v2, -v2, v9, v8
	v_cndmask_b32_e64 v3, v3, v5, s1
	v_cndmask_b32_e64 v5, 0, 0x41b17218, vcc_lo
	s_mov_b32 vcc_lo, s0
	v_div_fmas_f32 v2, v2, v4, v9
	v_sub_f32_e32 v3, v3, v5
	v_div_fixup_f32 v2, v2, v7, -0.5
	v_add_f32_e32 v2, v3, v2
	v_sub_f32_e32 v1, v2, v1
	v_add_f32_e32 v0, v0, v1
	v_cvt_f16_f32_e32 v2, v0
                                        ; implicit-def: $vgpr0
.LBB28_716:
	s_andn2_saveexec_b32 s0, s23
; %bb.717:
	v_add_f32_e32 v0, 0x40101cb7, v0
	v_cvt_f16_f32_e32 v2, v0
; %bb.718:
	s_or_b32 exec_lo, exec_lo, s0
.LBB28_719:
	s_or_b32 exec_lo, exec_lo, s22
                                        ; implicit-def: $vgpr7
.LBB28_720:
	s_andn2_saveexec_b32 s0, s21
; %bb.721:
	v_xor_b32_e32 v0, 0x80000000, v7
	v_mov_b32_e32 v1, 0xffff8000
	v_and_b32_sdwa v0, v0, v1 dst_sel:DWORD dst_unused:UNUSED_PAD src0_sel:WORD_1 src1_sel:DWORD
	v_or_b32_e32 v2, 0x7c00, v0
; %bb.722:
	s_or_b32 exec_lo, exec_lo, s0
	v_mul_lo_u32 v0, v6, s2
	s_and_b32 s1, s4, 0xff
	s_cmp_lt_i32 s1, 11
	v_ashrrev_i32_e32 v1, 31, v0
	v_add_co_u32 v0, vcc_lo, s8, v0
	v_add_co_ci_u32_e64 v1, null, s9, v1, vcc_lo
	s_cbranch_scc1 .LBB28_730
; %bb.723:
	s_and_b32 s21, 0xffff, s1
	s_cmp_gt_i32 s21, 25
	s_cbranch_scc0 .LBB28_731
; %bb.724:
	s_cmp_gt_i32 s21, 28
	s_cbranch_scc0 .LBB28_732
; %bb.725:
	;; [unrolled: 3-line block ×4, first 2 shown]
	s_mov_b32 s23, 0
	s_mov_b32 s0, -1
	s_cmp_eq_u32 s21, 46
	s_mov_b32 s22, 0
	s_cbranch_scc0 .LBB28_735
; %bb.728:
	v_cvt_f32_f16_e32 v3, v2
	v_cmp_o_f16_e32 vcc_lo, v2, v2
	s_mov_b32 s22, -1
	s_mov_b32 s0, 0
	v_bfe_u32 v4, v3, 16, 1
	v_add3_u32 v3, v3, v4, 0x7fff
	v_mov_b32_e32 v4, 0x7fc0
	v_cndmask_b32_sdwa v3, v4, v3, vcc_lo dst_sel:DWORD dst_unused:UNUSED_PAD src0_sel:DWORD src1_sel:WORD_1
	global_store_dword v[0:1], v3, off
	s_branch .LBB28_735
.LBB28_729:
	s_mov_b32 s21, 0
	s_mov_b32 s0, s17
	s_branch .LBB28_846
.LBB28_730:
	s_mov_b32 s21, -1
	s_mov_b32 s22, 0
	s_mov_b32 s0, s17
	s_branch .LBB28_804
.LBB28_731:
	s_mov_b32 s23, -1
	s_mov_b32 s22, 0
	s_mov_b32 s0, s17
	s_branch .LBB28_762
.LBB28_732:
	s_mov_b32 s23, -1
	s_mov_b32 s22, 0
	s_mov_b32 s0, s17
	s_branch .LBB28_745
.LBB28_733:
	s_mov_b32 s23, -1
	s_mov_b32 s22, 0
	s_mov_b32 s0, s17
	s_branch .LBB28_741
.LBB28_734:
	s_mov_b32 s23, -1
	s_mov_b32 s22, 0
	s_mov_b32 s0, s17
.LBB28_735:
	s_and_b32 vcc_lo, exec_lo, s23
	s_cbranch_vccz .LBB28_740
; %bb.736:
	s_cmp_eq_u32 s21, 44
	s_mov_b32 s0, -1
	s_cbranch_scc0 .LBB28_740
; %bb.737:
	v_cvt_f32_f16_e32 v3, v2
	v_mov_b32_e32 v4, 0xff
	s_mov_b32 s22, exec_lo
	v_bfe_u32 v5, v3, 23, 8
	v_cmpx_ne_u32_e32 0xff, v5
	s_cbranch_execz .LBB28_739
; %bb.738:
	v_and_b32_e32 v4, 0x400000, v3
	v_and_or_b32 v5, 0x3fffff, v3, v5
	v_lshrrev_b32_e32 v3, 23, v3
	v_cmp_ne_u32_e32 vcc_lo, 0, v4
	v_cmp_ne_u32_e64 s0, 0, v5
	s_and_b32 s0, vcc_lo, s0
	v_cndmask_b32_e64 v4, 0, 1, s0
	v_add_nc_u32_e32 v4, v3, v4
.LBB28_739:
	s_or_b32 exec_lo, exec_lo, s22
	s_mov_b32 s22, -1
	s_mov_b32 s0, 0
	global_store_byte v[0:1], v4, off
.LBB28_740:
	s_mov_b32 s23, 0
.LBB28_741:
	s_and_b32 vcc_lo, exec_lo, s23
	s_cbranch_vccz .LBB28_744
; %bb.742:
	s_cmp_eq_u32 s21, 29
	s_mov_b32 s0, -1
	s_cbranch_scc0 .LBB28_744
; %bb.743:
	v_cvt_f32_f16_e32 v3, v2
	v_mov_b32_e32 v4, 0
	s_mov_b32 s22, -1
	s_mov_b32 s0, 0
	s_mov_b32 s23, 0
	v_cvt_u32_f32_e32 v3, v3
	global_store_dwordx2 v[0:1], v[3:4], off
	s_branch .LBB28_745
.LBB28_744:
	s_mov_b32 s23, 0
.LBB28_745:
	s_and_b32 vcc_lo, exec_lo, s23
	s_cbranch_vccz .LBB28_761
; %bb.746:
	s_cmp_lt_i32 s21, 27
	s_mov_b32 s22, -1
	s_cbranch_scc1 .LBB28_752
; %bb.747:
	s_cmp_gt_i32 s21, 27
	s_cbranch_scc0 .LBB28_749
; %bb.748:
	v_cvt_f32_f16_e32 v3, v2
	s_mov_b32 s22, 0
	v_cvt_u32_f32_e32 v3, v3
	global_store_dword v[0:1], v3, off
.LBB28_749:
	s_andn2_b32 vcc_lo, exec_lo, s22
	s_cbranch_vccnz .LBB28_751
; %bb.750:
	v_cvt_u16_f16_e32 v3, v2
	global_store_short v[0:1], v3, off
.LBB28_751:
	s_mov_b32 s22, 0
.LBB28_752:
	s_andn2_b32 vcc_lo, exec_lo, s22
	s_cbranch_vccnz .LBB28_760
; %bb.753:
	v_cvt_f32_f16_e32 v3, v2
	v_mov_b32_e32 v5, 0x80
	s_mov_b32 s22, exec_lo
	v_and_b32_e32 v4, 0x7fffffff, v3
	v_cmpx_gt_u32_e32 0x43800000, v4
	s_cbranch_execz .LBB28_759
; %bb.754:
	v_cmp_lt_u32_e32 vcc_lo, 0x3bffffff, v4
	s_mov_b32 s23, 0
                                        ; implicit-def: $vgpr4
	s_and_saveexec_b32 s24, vcc_lo
	s_xor_b32 s24, exec_lo, s24
	s_cbranch_execz .LBB28_861
; %bb.755:
	v_bfe_u32 v4, v3, 20, 1
	s_mov_b32 s23, exec_lo
	v_add3_u32 v4, v3, v4, 0x487ffff
	v_lshrrev_b32_e32 v4, 20, v4
	s_andn2_saveexec_b32 s24, s24
	s_cbranch_execnz .LBB28_862
.LBB28_756:
	s_or_b32 exec_lo, exec_lo, s24
	v_mov_b32_e32 v5, 0
	s_and_saveexec_b32 s24, s23
.LBB28_757:
	v_lshrrev_b32_e32 v3, 24, v3
	v_and_or_b32 v5, 0x80, v3, v4
.LBB28_758:
	s_or_b32 exec_lo, exec_lo, s24
.LBB28_759:
	s_or_b32 exec_lo, exec_lo, s22
	global_store_byte v[0:1], v5, off
.LBB28_760:
	s_mov_b32 s22, -1
.LBB28_761:
	s_mov_b32 s23, 0
.LBB28_762:
	s_and_b32 vcc_lo, exec_lo, s23
	s_cbranch_vccz .LBB28_803
; %bb.763:
	s_cmp_gt_i32 s21, 22
	s_mov_b32 s23, -1
	s_cbranch_scc0 .LBB28_795
; %bb.764:
	s_cmp_lt_i32 s21, 24
	s_mov_b32 s22, -1
	s_cbranch_scc1 .LBB28_784
; %bb.765:
	s_cmp_gt_i32 s21, 24
	s_cbranch_scc0 .LBB28_773
; %bb.766:
	v_cvt_f32_f16_e32 v3, v2
	v_mov_b32_e32 v5, 0x80
	s_mov_b32 s22, exec_lo
	v_and_b32_e32 v4, 0x7fffffff, v3
	v_cmpx_gt_u32_e32 0x47800000, v4
	s_cbranch_execz .LBB28_772
; %bb.767:
	v_cmp_lt_u32_e32 vcc_lo, 0x37ffffff, v4
	s_mov_b32 s23, 0
                                        ; implicit-def: $vgpr4
	s_and_saveexec_b32 s24, vcc_lo
	s_xor_b32 s24, exec_lo, s24
	s_cbranch_execz .LBB28_864
; %bb.768:
	v_bfe_u32 v4, v3, 21, 1
	s_mov_b32 s23, exec_lo
	v_add3_u32 v4, v3, v4, 0x88fffff
	v_lshrrev_b32_e32 v4, 21, v4
	s_andn2_saveexec_b32 s24, s24
	s_cbranch_execnz .LBB28_865
.LBB28_769:
	s_or_b32 exec_lo, exec_lo, s24
	v_mov_b32_e32 v5, 0
	s_and_saveexec_b32 s24, s23
.LBB28_770:
	v_lshrrev_b32_e32 v3, 24, v3
	v_and_or_b32 v5, 0x80, v3, v4
.LBB28_771:
	s_or_b32 exec_lo, exec_lo, s24
.LBB28_772:
	s_or_b32 exec_lo, exec_lo, s22
	s_mov_b32 s22, 0
	global_store_byte v[0:1], v5, off
.LBB28_773:
	s_and_b32 vcc_lo, exec_lo, s22
	s_cbranch_vccz .LBB28_783
; %bb.774:
	v_cvt_f32_f16_e32 v3, v2
	s_mov_b32 s22, exec_lo
                                        ; implicit-def: $vgpr4
	v_and_b32_e32 v5, 0x7fffffff, v3
	v_cmpx_gt_u32_e32 0x43f00000, v5
	s_xor_b32 s22, exec_lo, s22
	s_cbranch_execz .LBB28_780
; %bb.775:
	s_mov_b32 s23, exec_lo
                                        ; implicit-def: $vgpr4
	v_cmpx_lt_u32_e32 0x3c7fffff, v5
	s_xor_b32 s23, exec_lo, s23
; %bb.776:
	v_bfe_u32 v4, v3, 20, 1
	v_add3_u32 v4, v3, v4, 0x407ffff
	v_and_b32_e32 v5, 0xff00000, v4
	v_lshrrev_b32_e32 v4, 20, v4
	v_cmp_ne_u32_e32 vcc_lo, 0x7f00000, v5
	v_cndmask_b32_e32 v4, 0x7e, v4, vcc_lo
; %bb.777:
	s_andn2_saveexec_b32 s23, s23
; %bb.778:
	v_add_f32_e64 v4, 0x46800000, |v3|
; %bb.779:
	s_or_b32 exec_lo, exec_lo, s23
                                        ; implicit-def: $vgpr5
.LBB28_780:
	s_andn2_saveexec_b32 s22, s22
; %bb.781:
	v_mov_b32_e32 v4, 0x7f
	v_cmp_lt_u32_e32 vcc_lo, 0x7f800000, v5
	v_cndmask_b32_e32 v4, 0x7e, v4, vcc_lo
; %bb.782:
	s_or_b32 exec_lo, exec_lo, s22
	v_lshrrev_b32_e32 v3, 24, v3
	v_and_or_b32 v3, 0x80, v3, v4
	global_store_byte v[0:1], v3, off
.LBB28_783:
	s_mov_b32 s22, 0
.LBB28_784:
	s_andn2_b32 vcc_lo, exec_lo, s22
	s_cbranch_vccnz .LBB28_794
; %bb.785:
	v_cvt_f32_f16_e32 v3, v2
	s_mov_b32 s22, exec_lo
                                        ; implicit-def: $vgpr4
	v_and_b32_e32 v5, 0x7fffffff, v3
	v_cmpx_gt_u32_e32 0x47800000, v5
	s_xor_b32 s22, exec_lo, s22
	s_cbranch_execz .LBB28_791
; %bb.786:
	s_mov_b32 s23, exec_lo
                                        ; implicit-def: $vgpr4
	v_cmpx_lt_u32_e32 0x387fffff, v5
	s_xor_b32 s23, exec_lo, s23
; %bb.787:
	v_bfe_u32 v4, v3, 21, 1
	v_add3_u32 v4, v3, v4, 0x80fffff
	v_lshrrev_b32_e32 v4, 21, v4
; %bb.788:
	s_andn2_saveexec_b32 s23, s23
; %bb.789:
	v_add_f32_e64 v4, 0x43000000, |v3|
; %bb.790:
	s_or_b32 exec_lo, exec_lo, s23
                                        ; implicit-def: $vgpr5
.LBB28_791:
	s_andn2_saveexec_b32 s22, s22
; %bb.792:
	v_mov_b32_e32 v4, 0x7f
	v_cmp_lt_u32_e32 vcc_lo, 0x7f800000, v5
	v_cndmask_b32_e32 v4, 0x7c, v4, vcc_lo
; %bb.793:
	s_or_b32 exec_lo, exec_lo, s22
	v_lshrrev_b32_e32 v3, 24, v3
	v_and_or_b32 v3, 0x80, v3, v4
	global_store_byte v[0:1], v3, off
.LBB28_794:
	s_mov_b32 s23, 0
	s_mov_b32 s22, -1
.LBB28_795:
	s_andn2_b32 vcc_lo, exec_lo, s23
	s_cbranch_vccnz .LBB28_803
; %bb.796:
	s_cmp_gt_i32 s21, 14
	s_mov_b32 s23, -1
	s_cbranch_scc0 .LBB28_800
; %bb.797:
	s_cmp_eq_u32 s21, 15
	s_mov_b32 s0, -1
	s_cbranch_scc0 .LBB28_799
; %bb.798:
	v_cvt_f32_f16_e32 v3, v2
	v_cmp_o_f16_e32 vcc_lo, v2, v2
	s_mov_b32 s22, -1
	s_mov_b32 s0, 0
	v_bfe_u32 v4, v3, 16, 1
	v_add3_u32 v3, v3, v4, 0x7fff
	v_mov_b32_e32 v4, 0x7fc0
	v_cndmask_b32_sdwa v3, v4, v3, vcc_lo dst_sel:DWORD dst_unused:UNUSED_PAD src0_sel:DWORD src1_sel:WORD_1
	global_store_short v[0:1], v3, off
.LBB28_799:
	s_mov_b32 s23, 0
.LBB28_800:
	s_and_b32 vcc_lo, exec_lo, s23
	s_cbranch_vccz .LBB28_803
; %bb.801:
	s_cmp_eq_u32 s21, 11
	s_mov_b32 s0, -1
	s_cbranch_scc0 .LBB28_803
; %bb.802:
	v_and_b32_e32 v3, 0x7fff, v2
	s_mov_b32 s0, 0
	s_mov_b32 s22, -1
	v_cmp_ne_u16_e32 vcc_lo, 0, v3
	v_cndmask_b32_e64 v3, 0, 1, vcc_lo
	global_store_byte v[0:1], v3, off
.LBB28_803:
	s_mov_b32 s21, 0
.LBB28_804:
	s_and_b32 vcc_lo, exec_lo, s21
	s_cbranch_vccz .LBB28_843
; %bb.805:
	s_and_b32 s1, 0xffff, s1
	s_mov_b32 s21, -1
	s_cmp_lt_i32 s1, 5
	s_cbranch_scc1 .LBB28_826
; %bb.806:
	s_cmp_lt_i32 s1, 8
	s_cbranch_scc1 .LBB28_816
; %bb.807:
	;; [unrolled: 3-line block ×3, first 2 shown]
	s_cmp_gt_i32 s1, 9
	s_cbranch_scc0 .LBB28_810
; %bb.809:
	v_cvt_f32_f16_e32 v3, v2
	v_mov_b32_e32 v9, 0
	s_mov_b32 s21, 0
	v_cvt_f64_f32_e32 v[7:8], v3
	v_mov_b32_e32 v10, v9
	global_store_dwordx4 v[0:1], v[7:10], off
.LBB28_810:
	s_andn2_b32 vcc_lo, exec_lo, s21
	s_cbranch_vccnz .LBB28_812
; %bb.811:
	v_cvt_f32_f16_e32 v3, v2
	v_mov_b32_e32 v4, 0
	global_store_dwordx2 v[0:1], v[3:4], off
.LBB28_812:
	s_mov_b32 s21, 0
.LBB28_813:
	s_andn2_b32 vcc_lo, exec_lo, s21
	s_cbranch_vccnz .LBB28_815
; %bb.814:
	v_and_b32_e32 v3, 0xffff, v2
	global_store_dword v[0:1], v3, off
.LBB28_815:
	s_mov_b32 s21, 0
.LBB28_816:
	s_andn2_b32 vcc_lo, exec_lo, s21
	s_cbranch_vccnz .LBB28_825
; %bb.817:
	s_cmp_lt_i32 s1, 6
	s_mov_b32 s21, -1
	s_cbranch_scc1 .LBB28_823
; %bb.818:
	s_cmp_gt_i32 s1, 6
	s_cbranch_scc0 .LBB28_820
; %bb.819:
	v_cvt_f32_f16_e32 v3, v2
	s_mov_b32 s21, 0
	v_cvt_f64_f32_e32 v[3:4], v3
	global_store_dwordx2 v[0:1], v[3:4], off
.LBB28_820:
	s_andn2_b32 vcc_lo, exec_lo, s21
	s_cbranch_vccnz .LBB28_822
; %bb.821:
	v_cvt_f32_f16_e32 v3, v2
	global_store_dword v[0:1], v3, off
.LBB28_822:
	s_mov_b32 s21, 0
.LBB28_823:
	s_andn2_b32 vcc_lo, exec_lo, s21
	s_cbranch_vccnz .LBB28_825
; %bb.824:
	global_store_short v[0:1], v2, off
.LBB28_825:
	s_mov_b32 s21, 0
.LBB28_826:
	s_andn2_b32 vcc_lo, exec_lo, s21
	s_cbranch_vccnz .LBB28_842
; %bb.827:
	s_cmp_lt_i32 s1, 2
	s_mov_b32 s21, -1
	s_cbranch_scc1 .LBB28_837
; %bb.828:
	s_cmp_lt_i32 s1, 3
	s_cbranch_scc1 .LBB28_834
; %bb.829:
	s_cmp_gt_i32 s1, 3
	s_cbranch_scc0 .LBB28_831
; %bb.830:
	v_cvt_f32_f16_e32 v3, v2
	s_mov_b32 s21, 0
	v_cvt_i32_f32_e32 v3, v3
	v_ashrrev_i32_e32 v4, 31, v3
	global_store_dwordx2 v[0:1], v[3:4], off
.LBB28_831:
	s_andn2_b32 vcc_lo, exec_lo, s21
	s_cbranch_vccnz .LBB28_833
; %bb.832:
	v_cvt_f32_f16_e32 v3, v2
	v_cvt_i32_f32_e32 v3, v3
	global_store_dword v[0:1], v3, off
.LBB28_833:
	s_mov_b32 s21, 0
.LBB28_834:
	s_andn2_b32 vcc_lo, exec_lo, s21
	s_cbranch_vccnz .LBB28_836
; %bb.835:
	v_cvt_i16_f16_e32 v3, v2
	global_store_short v[0:1], v3, off
.LBB28_836:
	s_mov_b32 s21, 0
.LBB28_837:
	s_andn2_b32 vcc_lo, exec_lo, s21
	s_cbranch_vccnz .LBB28_842
; %bb.838:
	s_cmp_gt_i32 s1, 0
	s_mov_b32 s1, -1
	s_cbranch_scc0 .LBB28_840
; %bb.839:
	v_cvt_i16_f16_e32 v3, v2
	s_mov_b32 s1, 0
	global_store_byte v[0:1], v3, off
.LBB28_840:
	s_andn2_b32 vcc_lo, exec_lo, s1
	s_cbranch_vccnz .LBB28_842
; %bb.841:
	v_cvt_f32_f16_e32 v2, v2
	v_cvt_i32_f32_e32 v2, v2
	global_store_byte v[0:1], v2, off
.LBB28_842:
	s_mov_b32 s22, -1
.LBB28_843:
	s_andn2_b32 vcc_lo, exec_lo, s22
	s_cbranch_vccnz .LBB28_845
; %bb.844:
	v_add_nc_u32_e32 v6, 0x80, v6
	s_mov_b32 s21, -1
	s_branch .LBB28_847
.LBB28_845:
	s_mov_b32 s21, 0
.LBB28_846:
                                        ; implicit-def: $vgpr6
.LBB28_847:
	s_andn2_b32 s1, s17, exec_lo
	s_and_b32 s0, s0, exec_lo
	s_andn2_b32 s22, s16, exec_lo
	s_and_b32 s20, s20, exec_lo
	s_or_b32 s1, s1, s0
	s_or_b32 s0, s22, s20
	s_orn2_b32 s20, s21, exec_lo
.LBB28_848:
	s_or_b32 exec_lo, exec_lo, s19
	s_mov_b32 s21, 0
	s_mov_b32 s22, 0
	;; [unrolled: 1-line block ×3, first 2 shown]
                                        ; implicit-def: $vgpr0_vgpr1
                                        ; implicit-def: $vgpr3
	s_and_saveexec_b32 s19, s20
	s_cbranch_execz .LBB28_933
; %bb.849:
	v_cmp_gt_i32_e32 vcc_lo, s13, v6
	s_mov_b32 s20, 0
	s_mov_b32 s21, s0
	;; [unrolled: 1-line block ×3, first 2 shown]
                                        ; implicit-def: $vgpr0_vgpr1
                                        ; implicit-def: $vgpr3
	s_and_saveexec_b32 s13, vcc_lo
	s_cbranch_execz .LBB28_932
; %bb.850:
	v_mul_lo_u32 v0, v6, s3
	s_and_b32 s20, 0xffff, s6
	s_cmp_lt_i32 s20, 11
	v_ashrrev_i32_e32 v1, 31, v0
	v_add_co_u32 v0, vcc_lo, s10, v0
	v_add_co_ci_u32_e64 v1, null, s11, v1, vcc_lo
	s_cbranch_scc1 .LBB28_857
; %bb.851:
	s_cmp_gt_i32 s20, 25
	s_cbranch_scc0 .LBB28_858
; %bb.852:
	s_cmp_gt_i32 s20, 28
	s_cbranch_scc0 .LBB28_859
	;; [unrolled: 3-line block ×4, first 2 shown]
; %bb.855:
	s_cmp_eq_u32 s20, 46
	s_cbranch_scc0 .LBB28_866
; %bb.856:
	global_load_dword v2, v[0:1], off
	s_mov_b32 s21, 0
	s_mov_b32 s23, -1
	s_waitcnt vmcnt(0)
	v_lshlrev_b32_e32 v2, 16, v2
	v_cvt_f16_f32_e32 v3, v2
	s_branch .LBB28_868
.LBB28_857:
	s_mov_b32 s20, -1
	s_mov_b32 s21, s0
                                        ; implicit-def: $vgpr3
	s_branch .LBB28_931
.LBB28_858:
	s_mov_b32 s24, -1
	s_mov_b32 s21, s0
                                        ; implicit-def: $vgpr3
	s_branch .LBB28_897
.LBB28_859:
	s_mov_b32 s24, -1
	s_mov_b32 s21, s0
                                        ; implicit-def: $vgpr3
	s_branch .LBB28_878
.LBB28_860:
	s_mov_b32 s24, -1
	s_mov_b32 s21, s0
                                        ; implicit-def: $vgpr3
	s_branch .LBB28_873
.LBB28_861:
	s_andn2_saveexec_b32 s24, s24
	s_cbranch_execz .LBB28_756
.LBB28_862:
	v_add_f32_e64 v4, 0x46000000, |v3|
	s_andn2_b32 s23, s23, exec_lo
	v_and_b32_e32 v4, 0xff, v4
	v_cmp_ne_u32_e32 vcc_lo, 0, v4
	s_and_b32 s25, vcc_lo, exec_lo
	s_or_b32 s23, s23, s25
	s_or_b32 exec_lo, exec_lo, s24
	v_mov_b32_e32 v5, 0
	s_and_saveexec_b32 s24, s23
	s_cbranch_execnz .LBB28_757
	s_branch .LBB28_758
.LBB28_863:
	s_mov_b32 s24, -1
	s_mov_b32 s21, s0
	s_branch .LBB28_867
.LBB28_864:
	s_andn2_saveexec_b32 s24, s24
	s_cbranch_execz .LBB28_769
.LBB28_865:
	v_add_f32_e64 v4, 0x42800000, |v3|
	s_andn2_b32 s23, s23, exec_lo
	v_and_b32_e32 v4, 0xff, v4
	v_cmp_ne_u32_e32 vcc_lo, 0, v4
	s_and_b32 s25, vcc_lo, exec_lo
	s_or_b32 s23, s23, s25
	s_or_b32 exec_lo, exec_lo, s24
	v_mov_b32_e32 v5, 0
	s_and_saveexec_b32 s24, s23
	s_cbranch_execnz .LBB28_770
	s_branch .LBB28_771
.LBB28_866:
	s_mov_b32 s21, -1
.LBB28_867:
                                        ; implicit-def: $vgpr3
.LBB28_868:
	s_and_b32 vcc_lo, exec_lo, s24
	s_cbranch_vccz .LBB28_872
; %bb.869:
	s_cmp_eq_u32 s20, 44
	s_cbranch_scc0 .LBB28_871
; %bb.870:
	global_load_ubyte v2, v[0:1], off
	s_mov_b32 s21, 0
	s_mov_b32 s23, -1
	s_waitcnt vmcnt(0)
	v_lshlrev_b32_e32 v3, 23, v2
	v_cmp_ne_u32_e32 vcc_lo, 0xff, v2
	v_cvt_f16_f32_e32 v3, v3
	v_cndmask_b32_e32 v3, 0x7e00, v3, vcc_lo
	v_cmp_ne_u32_e32 vcc_lo, 0, v2
	v_cndmask_b32_e32 v3, 0, v3, vcc_lo
	s_branch .LBB28_872
.LBB28_871:
	s_mov_b32 s21, -1
                                        ; implicit-def: $vgpr3
.LBB28_872:
	s_mov_b32 s24, 0
.LBB28_873:
	s_and_b32 vcc_lo, exec_lo, s24
	s_cbranch_vccz .LBB28_877
; %bb.874:
	s_cmp_eq_u32 s20, 29
	s_cbranch_scc0 .LBB28_876
; %bb.875:
	global_load_dwordx2 v[2:3], v[0:1], off
	s_mov_b32 s21, 0
	s_mov_b32 s23, -1
	s_mov_b32 s24, 0
	s_waitcnt vmcnt(0)
	v_ffbh_u32_e32 v4, v3
	v_min_u32_e32 v4, 32, v4
	v_lshlrev_b64 v[2:3], v4, v[2:3]
	v_min_u32_e32 v2, 1, v2
	v_or_b32_e32 v2, v3, v2
	v_sub_nc_u32_e32 v3, 32, v4
	v_cvt_f32_u32_e32 v2, v2
	v_ldexp_f32 v2, v2, v3
	v_cvt_f16_f32_e32 v3, v2
	s_branch .LBB28_878
.LBB28_876:
	s_mov_b32 s21, -1
                                        ; implicit-def: $vgpr3
.LBB28_877:
	s_mov_b32 s24, 0
.LBB28_878:
	s_and_b32 vcc_lo, exec_lo, s24
	s_cbranch_vccz .LBB28_896
; %bb.879:
	s_cmp_lt_i32 s20, 27
	s_cbranch_scc1 .LBB28_882
; %bb.880:
	s_cmp_gt_i32 s20, 27
	s_cbranch_scc0 .LBB28_883
; %bb.881:
	global_load_dword v2, v[0:1], off
	s_mov_b32 s23, 0
	s_waitcnt vmcnt(0)
	v_cvt_f32_u32_e32 v2, v2
	v_cvt_f16_f32_e32 v3, v2
	s_branch .LBB28_884
.LBB28_882:
	s_mov_b32 s23, -1
                                        ; implicit-def: $vgpr3
	s_branch .LBB28_887
.LBB28_883:
	s_mov_b32 s23, -1
                                        ; implicit-def: $vgpr3
.LBB28_884:
	s_andn2_b32 vcc_lo, exec_lo, s23
	s_cbranch_vccnz .LBB28_886
; %bb.885:
	global_load_ushort v2, v[0:1], off
	s_waitcnt vmcnt(0)
	v_cvt_f16_u16_e32 v3, v2
.LBB28_886:
	s_mov_b32 s23, 0
.LBB28_887:
	s_andn2_b32 vcc_lo, exec_lo, s23
	s_cbranch_vccnz .LBB28_895
; %bb.888:
	global_load_ubyte v2, v[0:1], off
	s_mov_b32 s23, 0
	s_mov_b32 s24, exec_lo
	s_waitcnt vmcnt(0)
	v_cmpx_lt_i16_e32 0x7f, v2
	s_xor_b32 s24, exec_lo, s24
	s_cbranch_execz .LBB28_909
; %bb.889:
	s_mov_b32 s23, -1
	s_mov_b32 s25, exec_lo
	v_cmpx_eq_u16_e32 0x80, v2
; %bb.890:
	s_xor_b32 s23, exec_lo, -1
; %bb.891:
	s_or_b32 exec_lo, exec_lo, s25
	s_and_b32 s23, s23, exec_lo
	s_or_saveexec_b32 s24, s24
	v_mov_b32_e32 v3, 0x7e00
	s_xor_b32 exec_lo, exec_lo, s24
	s_cbranch_execnz .LBB28_910
.LBB28_892:
	s_or_b32 exec_lo, exec_lo, s24
	s_and_saveexec_b32 s24, s23
	s_cbranch_execz .LBB28_894
.LBB28_893:
	v_and_b32_e32 v3, 0xffff, v2
	v_lshlrev_b32_e32 v2, 24, v2
	v_and_b32_e32 v4, 7, v3
	v_bfe_u32 v8, v3, 3, 4
	v_and_b32_e32 v2, 0x80000000, v2
	v_ffbh_u32_e32 v5, v4
	v_cmp_eq_u32_e32 vcc_lo, 0, v8
	v_min_u32_e32 v5, 32, v5
	v_subrev_nc_u32_e32 v7, 28, v5
	v_sub_nc_u32_e32 v5, 29, v5
	v_lshlrev_b32_e32 v3, v7, v3
	v_cndmask_b32_e32 v5, v8, v5, vcc_lo
	v_and_b32_e32 v3, 7, v3
	v_cndmask_b32_e32 v3, v4, v3, vcc_lo
	v_lshl_add_u32 v4, v5, 23, 0x3b800000
	v_lshlrev_b32_e32 v3, 20, v3
	v_or3_b32 v2, v2, v4, v3
	v_cvt_f16_f32_e32 v3, v2
.LBB28_894:
	s_or_b32 exec_lo, exec_lo, s24
.LBB28_895:
	s_mov_b32 s23, -1
.LBB28_896:
	s_mov_b32 s24, 0
.LBB28_897:
	s_and_b32 vcc_lo, exec_lo, s24
	s_cbranch_vccz .LBB28_930
; %bb.898:
	s_cmp_gt_i32 s20, 22
	s_cbranch_scc0 .LBB28_908
; %bb.899:
	s_cmp_lt_i32 s20, 24
	s_cbranch_scc1 .LBB28_911
; %bb.900:
	s_cmp_gt_i32 s20, 24
	s_cbranch_scc0 .LBB28_912
; %bb.901:
	global_load_ubyte v2, v[0:1], off
	s_mov_b32 s23, exec_lo
	s_waitcnt vmcnt(0)
	v_cmpx_lt_i16_e32 0x7f, v2
	s_xor_b32 s23, exec_lo, s23
	s_cbranch_execz .LBB28_924
; %bb.902:
	s_mov_b32 s22, -1
	s_mov_b32 s24, exec_lo
	v_cmpx_eq_u16_e32 0x80, v2
; %bb.903:
	s_xor_b32 s22, exec_lo, -1
; %bb.904:
	s_or_b32 exec_lo, exec_lo, s24
	s_and_b32 s22, s22, exec_lo
	s_or_saveexec_b32 s23, s23
	v_mov_b32_e32 v3, 0x7e00
	s_xor_b32 exec_lo, exec_lo, s23
	s_cbranch_execnz .LBB28_925
.LBB28_905:
	s_or_b32 exec_lo, exec_lo, s23
	s_and_saveexec_b32 s23, s22
	s_cbranch_execz .LBB28_907
.LBB28_906:
	v_and_b32_e32 v3, 0xffff, v2
	v_lshlrev_b32_e32 v2, 24, v2
	v_and_b32_e32 v4, 3, v3
	v_bfe_u32 v8, v3, 2, 5
	v_and_b32_e32 v2, 0x80000000, v2
	v_ffbh_u32_e32 v5, v4
	v_cmp_eq_u32_e32 vcc_lo, 0, v8
	v_min_u32_e32 v5, 32, v5
	v_subrev_nc_u32_e32 v7, 29, v5
	v_sub_nc_u32_e32 v5, 30, v5
	v_lshlrev_b32_e32 v3, v7, v3
	v_cndmask_b32_e32 v5, v8, v5, vcc_lo
	v_and_b32_e32 v3, 3, v3
	v_cndmask_b32_e32 v3, v4, v3, vcc_lo
	v_lshl_add_u32 v4, v5, 23, 0x37800000
	v_lshlrev_b32_e32 v3, 21, v3
	v_or3_b32 v2, v2, v4, v3
	v_cvt_f16_f32_e32 v3, v2
.LBB28_907:
	s_or_b32 exec_lo, exec_lo, s23
	s_mov_b32 s22, 0
	s_branch .LBB28_913
.LBB28_908:
	s_mov_b32 s22, -1
                                        ; implicit-def: $vgpr3
	s_branch .LBB28_919
.LBB28_909:
	s_or_saveexec_b32 s24, s24
	v_mov_b32_e32 v3, 0x7e00
	s_xor_b32 exec_lo, exec_lo, s24
	s_cbranch_execz .LBB28_892
.LBB28_910:
	v_cmp_ne_u16_e32 vcc_lo, 0, v2
	v_mov_b32_e32 v3, v2
	s_andn2_b32 s23, s23, exec_lo
	s_and_b32 s25, vcc_lo, exec_lo
	s_or_b32 s23, s23, s25
	s_or_b32 exec_lo, exec_lo, s24
	s_and_saveexec_b32 s24, s23
	s_cbranch_execnz .LBB28_893
	s_branch .LBB28_894
.LBB28_911:
	s_mov_b32 s22, -1
                                        ; implicit-def: $vgpr3
	s_branch .LBB28_916
.LBB28_912:
	s_mov_b32 s22, -1
                                        ; implicit-def: $vgpr3
.LBB28_913:
	s_and_b32 vcc_lo, exec_lo, s22
	s_cbranch_vccz .LBB28_915
; %bb.914:
	global_load_ubyte v2, v[0:1], off
	s_waitcnt vmcnt(0)
	v_lshlrev_b32_e32 v2, 24, v2
	v_and_b32_e32 v3, 0x7f000000, v2
	v_ffbh_u32_e32 v4, v3
	v_add_nc_u32_e32 v7, 0x1000000, v3
	v_cmp_ne_u32_e32 vcc_lo, 0, v3
	v_min_u32_e32 v4, 32, v4
	v_sub_nc_u32_e64 v4, v4, 4 clamp
	v_lshlrev_b32_e32 v5, v4, v3
	v_lshlrev_b32_e32 v4, 23, v4
	v_lshrrev_b32_e32 v5, 4, v5
	v_sub_nc_u32_e32 v4, v5, v4
	v_ashrrev_i32_e32 v5, 8, v7
	v_add_nc_u32_e32 v4, 0x3c000000, v4
	v_and_or_b32 v4, 0x7f800000, v5, v4
	v_cndmask_b32_e32 v3, 0, v4, vcc_lo
	v_and_or_b32 v2, 0x80000000, v2, v3
	v_cvt_f16_f32_e32 v3, v2
.LBB28_915:
	s_mov_b32 s22, 0
.LBB28_916:
	s_andn2_b32 vcc_lo, exec_lo, s22
	s_cbranch_vccnz .LBB28_918
; %bb.917:
	global_load_ubyte v2, v[0:1], off
	s_waitcnt vmcnt(0)
	v_lshlrev_b32_e32 v3, 25, v2
	v_lshlrev_b16 v2, 8, v2
	v_lshrrev_b32_e32 v4, 4, v3
	v_and_or_b32 v5, 0x7f00, v2, 0.5
	v_cmp_gt_u32_e32 vcc_lo, 0x8000000, v3
	v_bfe_i32 v2, v2, 0, 16
	v_or_b32_e32 v4, 0x70000000, v4
	v_add_f32_e32 v5, -0.5, v5
	v_mul_f32_e32 v4, 0x7800000, v4
	v_cndmask_b32_e32 v3, v4, v5, vcc_lo
	v_and_or_b32 v2, 0x80000000, v2, v3
	v_cvt_f16_f32_e32 v3, v2
.LBB28_918:
	s_mov_b32 s22, 0
	s_mov_b32 s23, -1
.LBB28_919:
	s_andn2_b32 vcc_lo, exec_lo, s22
	s_mov_b32 s22, 0
	s_cbranch_vccnz .LBB28_930
; %bb.920:
	s_cmp_gt_i32 s20, 14
	s_cbranch_scc0 .LBB28_923
; %bb.921:
	s_cmp_eq_u32 s20, 15
	s_cbranch_scc0 .LBB28_926
; %bb.922:
	global_load_ushort v2, v[0:1], off
	s_mov_b32 s21, 0
	s_mov_b32 s23, -1
	s_waitcnt vmcnt(0)
	v_lshlrev_b32_e32 v2, 16, v2
	v_cvt_f16_f32_e32 v3, v2
	s_branch .LBB28_928
.LBB28_923:
	s_mov_b32 s22, -1
	s_branch .LBB28_927
.LBB28_924:
	s_or_saveexec_b32 s23, s23
	v_mov_b32_e32 v3, 0x7e00
	s_xor_b32 exec_lo, exec_lo, s23
	s_cbranch_execz .LBB28_905
.LBB28_925:
	v_cmp_ne_u16_e32 vcc_lo, 0, v2
	v_mov_b32_e32 v3, v2
	s_andn2_b32 s22, s22, exec_lo
	s_and_b32 s24, vcc_lo, exec_lo
	s_or_b32 s22, s22, s24
	s_or_b32 exec_lo, exec_lo, s23
	s_and_saveexec_b32 s23, s22
	s_cbranch_execnz .LBB28_906
	s_branch .LBB28_907
.LBB28_926:
	s_mov_b32 s21, -1
.LBB28_927:
                                        ; implicit-def: $vgpr3
.LBB28_928:
	s_and_b32 vcc_lo, exec_lo, s22
	s_mov_b32 s22, 0
	s_cbranch_vccz .LBB28_930
; %bb.929:
	s_cmp_lg_u32 s20, 11
	s_mov_b32 s22, -1
	s_cselect_b32 s20, -1, 0
	s_andn2_b32 s21, s21, exec_lo
	s_and_b32 s20, s20, exec_lo
	s_or_b32 s21, s21, s20
.LBB28_930:
	s_mov_b32 s20, 0
.LBB28_931:
	s_andn2_b32 s25, s0, exec_lo
	s_and_b32 s21, s21, exec_lo
	s_and_b32 s23, s23, exec_lo
	;; [unrolled: 1-line block ×4, first 2 shown]
	s_or_b32 s21, s25, s21
.LBB28_932:
	s_or_b32 exec_lo, exec_lo, s13
	s_andn2_b32 s0, s0, exec_lo
	s_and_b32 s13, s21, exec_lo
	s_and_b32 s23, s23, exec_lo
	s_and_b32 s22, s24, exec_lo
	s_and_b32 s21, s20, exec_lo
	s_or_b32 s0, s0, s13
.LBB28_933:
	s_or_b32 exec_lo, exec_lo, s19
	s_andn2_b32 s13, s17, exec_lo
	s_and_b32 s1, s1, exec_lo
	s_and_b32 s0, s0, exec_lo
	s_or_b32 s17, s13, s1
	s_andn2_b32 s13, s16, exec_lo
	s_and_b32 s20, s23, exec_lo
	s_and_b32 s19, s22, exec_lo
	s_and_b32 s1, s21, exec_lo
	s_or_b32 s16, s13, s0
.LBB28_934:
	s_or_b32 exec_lo, exec_lo, s18
	s_andn2_b32 s0, s12, exec_lo
	s_and_b32 s12, s17, exec_lo
	s_andn2_b32 s13, s14, exec_lo
	s_and_b32 s14, s16, exec_lo
	s_or_b32 s12, s0, s12
	s_and_b32 s0, s20, exec_lo
	s_and_b32 s17, s19, exec_lo
	;; [unrolled: 1-line block ×3, first 2 shown]
	s_or_b32 s14, s13, s14
	s_or_b32 exec_lo, exec_lo, s15
	s_mov_b32 s13, 0
	s_and_saveexec_b32 s1, s14
	s_cbranch_execz .LBB28_286
.LBB28_935:
	s_mov_b32 s13, exec_lo
	s_andn2_b32 s16, s16, exec_lo
	s_trap 2
	s_or_b32 exec_lo, exec_lo, s1
	s_and_saveexec_b32 s1, s16
	s_xor_b32 s1, exec_lo, s1
	s_cbranch_execnz .LBB28_287
.LBB28_936:
	s_or_b32 exec_lo, exec_lo, s1
	s_and_saveexec_b32 s1, s17
	s_cbranch_execz .LBB28_982
.LBB28_937:
	s_sext_i32_i16 s14, s6
	s_cmp_lt_i32 s14, 5
	s_cbranch_scc1 .LBB28_942
; %bb.938:
	s_cmp_lt_i32 s14, 8
	s_cbranch_scc1 .LBB28_943
; %bb.939:
	;; [unrolled: 3-line block ×3, first 2 shown]
	s_cmp_gt_i32 s14, 9
	s_cbranch_scc0 .LBB28_945
; %bb.941:
	global_load_dwordx2 v[2:3], v[0:1], off
	s_mov_b32 s14, 0
	s_waitcnt vmcnt(0)
	v_and_or_b32 v2, 0x1ff, v3, v2
	v_lshrrev_b32_e32 v4, 8, v3
	v_bfe_u32 v5, v3, 20, 11
	v_lshrrev_b32_e32 v3, 16, v3
	v_cmp_ne_u32_e32 vcc_lo, 0, v2
	v_sub_nc_u32_e32 v7, 0x3f1, v5
	v_add_nc_u32_e32 v5, 0xfffffc10, v5
	v_cndmask_b32_e64 v2, 0, 1, vcc_lo
	v_and_or_b32 v2, 0xffe, v4, v2
	v_med3_i32 v4, v7, 0, 13
	v_or_b32_e32 v7, 0x1000, v2
	v_lshrrev_b32_e32 v8, v4, v7
	v_lshlrev_b32_e32 v4, v4, v8
	v_cmp_ne_u32_e32 vcc_lo, v4, v7
	v_lshl_or_b32 v7, v5, 12, v2
	v_cndmask_b32_e64 v4, 0, 1, vcc_lo
	v_cmp_gt_i32_e32 vcc_lo, 1, v5
	v_or_b32_e32 v4, v8, v4
	v_cndmask_b32_e32 v4, v7, v4, vcc_lo
	v_and_b32_e32 v7, 7, v4
	v_lshrrev_b32_e32 v4, 2, v4
	v_cmp_lt_i32_e32 vcc_lo, 5, v7
	v_cndmask_b32_e64 v8, 0, 1, vcc_lo
	v_cmp_eq_u32_e32 vcc_lo, 3, v7
	v_cndmask_b32_e64 v7, 0, 1, vcc_lo
	v_cmp_ne_u32_e32 vcc_lo, 0, v2
	v_or_b32_e32 v7, v7, v8
	v_mov_b32_e32 v8, 0x7e00
	v_add_nc_u32_e32 v4, v4, v7
	v_cndmask_b32_e32 v2, 0x7c00, v8, vcc_lo
	v_cmp_gt_i32_e32 vcc_lo, 31, v5
	v_cndmask_b32_e32 v4, 0x7c00, v4, vcc_lo
	v_cmp_eq_u32_e32 vcc_lo, 0x40f, v5
	v_cndmask_b32_e32 v2, v4, v2, vcc_lo
	v_and_or_b32 v3, 0x8000, v3, v2
	s_branch .LBB28_946
.LBB28_942:
                                        ; implicit-def: $vgpr3
	s_branch .LBB28_963
.LBB28_943:
                                        ; implicit-def: $vgpr3
	s_branch .LBB28_952
.LBB28_944:
	s_mov_b32 s14, -1
                                        ; implicit-def: $vgpr3
	s_branch .LBB28_949
.LBB28_945:
	s_mov_b32 s14, -1
                                        ; implicit-def: $vgpr3
.LBB28_946:
	s_andn2_b32 vcc_lo, exec_lo, s14
	s_cbranch_vccnz .LBB28_948
; %bb.947:
	global_load_dword v2, v[0:1], off
	s_waitcnt vmcnt(0)
	v_cvt_f16_f32_e32 v3, v2
.LBB28_948:
	s_mov_b32 s14, 0
.LBB28_949:
	s_andn2_b32 vcc_lo, exec_lo, s14
	s_cbranch_vccnz .LBB28_951
; %bb.950:
	global_load_dword v3, v[0:1], off
.LBB28_951:
	s_cbranch_execnz .LBB28_962
.LBB28_952:
	s_sext_i32_i16 s14, s6
	s_cmp_lt_i32 s14, 6
	s_cbranch_scc1 .LBB28_955
; %bb.953:
	s_cmp_gt_i32 s14, 6
	s_cbranch_scc0 .LBB28_956
; %bb.954:
	global_load_dwordx2 v[2:3], v[0:1], off
	s_mov_b32 s14, 0
	s_waitcnt vmcnt(0)
	v_and_or_b32 v2, 0x1ff, v3, v2
	v_lshrrev_b32_e32 v4, 8, v3
	v_bfe_u32 v5, v3, 20, 11
	v_lshrrev_b32_e32 v3, 16, v3
	v_cmp_ne_u32_e32 vcc_lo, 0, v2
	v_sub_nc_u32_e32 v7, 0x3f1, v5
	v_add_nc_u32_e32 v5, 0xfffffc10, v5
	v_cndmask_b32_e64 v2, 0, 1, vcc_lo
	v_and_or_b32 v2, 0xffe, v4, v2
	v_med3_i32 v4, v7, 0, 13
	v_or_b32_e32 v7, 0x1000, v2
	v_lshrrev_b32_e32 v8, v4, v7
	v_lshlrev_b32_e32 v4, v4, v8
	v_cmp_ne_u32_e32 vcc_lo, v4, v7
	v_lshl_or_b32 v7, v5, 12, v2
	v_cndmask_b32_e64 v4, 0, 1, vcc_lo
	v_cmp_gt_i32_e32 vcc_lo, 1, v5
	v_or_b32_e32 v4, v8, v4
	v_cndmask_b32_e32 v4, v7, v4, vcc_lo
	v_and_b32_e32 v7, 7, v4
	v_lshrrev_b32_e32 v4, 2, v4
	v_cmp_lt_i32_e32 vcc_lo, 5, v7
	v_cndmask_b32_e64 v8, 0, 1, vcc_lo
	v_cmp_eq_u32_e32 vcc_lo, 3, v7
	v_cndmask_b32_e64 v7, 0, 1, vcc_lo
	v_cmp_ne_u32_e32 vcc_lo, 0, v2
	v_or_b32_e32 v7, v7, v8
	v_mov_b32_e32 v8, 0x7e00
	v_add_nc_u32_e32 v4, v4, v7
	v_cndmask_b32_e32 v2, 0x7c00, v8, vcc_lo
	v_cmp_gt_i32_e32 vcc_lo, 31, v5
	v_cndmask_b32_e32 v4, 0x7c00, v4, vcc_lo
	v_cmp_eq_u32_e32 vcc_lo, 0x40f, v5
	v_cndmask_b32_e32 v2, v4, v2, vcc_lo
	v_and_or_b32 v3, 0x8000, v3, v2
	s_branch .LBB28_957
.LBB28_955:
	s_mov_b32 s14, -1
                                        ; implicit-def: $vgpr3
	s_branch .LBB28_960
.LBB28_956:
	s_mov_b32 s14, -1
                                        ; implicit-def: $vgpr3
.LBB28_957:
	s_andn2_b32 vcc_lo, exec_lo, s14
	s_cbranch_vccnz .LBB28_959
; %bb.958:
	global_load_dword v2, v[0:1], off
	s_waitcnt vmcnt(0)
	v_cvt_f16_f32_e32 v3, v2
.LBB28_959:
	s_mov_b32 s14, 0
.LBB28_960:
	s_andn2_b32 vcc_lo, exec_lo, s14
	s_cbranch_vccnz .LBB28_962
; %bb.961:
	global_load_ushort v3, v[0:1], off
.LBB28_962:
	s_cbranch_execnz .LBB28_981
.LBB28_963:
	s_sext_i32_i16 s14, s6
	s_cmp_lt_i32 s14, 2
	s_cbranch_scc1 .LBB28_967
; %bb.964:
	s_cmp_lt_i32 s14, 3
	s_cbranch_scc1 .LBB28_968
; %bb.965:
	s_cmp_gt_i32 s14, 3
	s_cbranch_scc0 .LBB28_969
; %bb.966:
	global_load_dwordx2 v[2:3], v[0:1], off
	s_mov_b32 s14, 0
	s_waitcnt vmcnt(0)
	v_xor_b32_e32 v4, v2, v3
	v_ffbh_i32_e32 v5, v3
	v_ashrrev_i32_e32 v4, 31, v4
	v_add_nc_u32_e32 v5, -1, v5
	v_add_nc_u32_e32 v4, 32, v4
	v_min_u32_e32 v4, v5, v4
	v_lshlrev_b64 v[2:3], v4, v[2:3]
	v_min_u32_e32 v2, 1, v2
	v_or_b32_e32 v2, v3, v2
	v_sub_nc_u32_e32 v3, 32, v4
	v_cvt_f32_i32_e32 v2, v2
	v_ldexp_f32 v2, v2, v3
	v_cvt_f16_f32_e32 v3, v2
	s_branch .LBB28_970
.LBB28_967:
                                        ; implicit-def: $vgpr3
	s_branch .LBB28_976
.LBB28_968:
	s_mov_b32 s14, -1
                                        ; implicit-def: $vgpr3
	s_branch .LBB28_973
.LBB28_969:
	s_mov_b32 s14, -1
                                        ; implicit-def: $vgpr3
.LBB28_970:
	s_andn2_b32 vcc_lo, exec_lo, s14
	s_cbranch_vccnz .LBB28_972
; %bb.971:
	global_load_dword v2, v[0:1], off
	s_waitcnt vmcnt(0)
	v_cvt_f32_i32_e32 v2, v2
	v_cvt_f16_f32_e32 v3, v2
.LBB28_972:
	s_mov_b32 s14, 0
.LBB28_973:
	s_andn2_b32 vcc_lo, exec_lo, s14
	s_cbranch_vccnz .LBB28_975
; %bb.974:
	global_load_ushort v2, v[0:1], off
	s_waitcnt vmcnt(0)
	v_cvt_f16_i16_e32 v3, v2
.LBB28_975:
	s_cbranch_execnz .LBB28_981
.LBB28_976:
	s_sext_i32_i16 s14, s6
	s_cmp_gt_i32 s14, 0
	s_mov_b32 s14, 0
	s_cbranch_scc0 .LBB28_978
; %bb.977:
	global_load_sbyte v2, v[0:1], off
	s_waitcnt vmcnt(0)
	v_cvt_f16_i16_e32 v3, v2
	s_branch .LBB28_979
.LBB28_978:
	s_mov_b32 s14, -1
                                        ; implicit-def: $vgpr3
.LBB28_979:
	s_andn2_b32 vcc_lo, exec_lo, s14
	s_cbranch_vccnz .LBB28_981
; %bb.980:
	global_load_ubyte v0, v[0:1], off
	s_waitcnt vmcnt(0)
	v_cvt_f16_u16_e32 v3, v0
.LBB28_981:
	s_or_b32 s0, s0, exec_lo
.LBB28_982:
	s_or_b32 exec_lo, exec_lo, s1
	s_mov_b32 s16, 0
	s_mov_b32 s15, 0
                                        ; implicit-def: $sgpr1
                                        ; implicit-def: $vgpr0_vgpr1
                                        ; implicit-def: $vgpr2
	s_and_saveexec_b32 s14, s0
	s_cbranch_execz .LBB28_1014
; %bb.983:
	s_waitcnt vmcnt(0)
	v_cvt_f32_f16_e32 v7, v3
                                        ; implicit-def: $vgpr2
	s_mov_b32 s0, exec_lo
	v_cmpx_neq_f16_e32 0, v3
	s_xor_b32 s15, exec_lo, s0
	s_cbranch_execz .LBB28_1005
; %bb.984:
	v_mov_b32_e32 v0, 0
	s_mov_b32 s0, -1
	s_mov_b32 s16, exec_lo
	v_cmpx_gt_f16_e32 0, v3
	s_cbranch_execz .LBB28_992
; %bb.985:
	v_trunc_f32_e32 v0, v7
	s_mov_b32 s1, 0
	v_cmp_neq_f32_e32 vcc_lo, v0, v7
	v_mov_b32_e32 v0, 0
	s_and_saveexec_b32 s17, vcc_lo
	s_cbranch_execz .LBB28_991
; %bb.986:
	v_cvt_f32_f16_e32 v0, v3
	s_mov_b32 s1, 0xc00921fb
	s_mov_b32 s0, 0x54442d18
	s_mov_b32 s18, exec_lo
                                        ; implicit-def: $vgpr8
                                        ; implicit-def: $vgpr4_vgpr5
	v_cvt_f64_f32_e32 v[0:1], v0
	v_trunc_f64_e32 v[2:3], v[0:1]
	v_cmp_neq_f64_e64 vcc_lo, 0x7ff00000, |v[0:1]|
	v_add_f64 v[2:3], v[0:1], -v[2:3]
	v_mul_f64 v[2:3], |v[2:3]|, s[0:1]
	v_cndmask_b32_e32 v1, 0x80000000, v3, vcc_lo
	v_cndmask_b32_e32 v0, 0, v2, vcc_lo
                                        ; implicit-def: $vgpr2_vgpr3
	v_cmpx_ngt_f64_e64 0x41d00000, |v[0:1]|
	s_xor_b32 s18, exec_lo, s18
	s_cbranch_execz .LBB28_988
; %bb.987:
	v_ldexp_f64 v[2:3], |v[0:1]|, 0xffffff80
	v_cmp_le_f64_e64 vcc_lo, 0x7b000000, |v[0:1]|
	v_trig_preop_f64 v[4:5], |v[0:1]|, 0
	v_and_b32_e32 v8, 0x7fffffff, v1
	v_trig_preop_f64 v[18:19], |v[0:1]|, 2
	v_mov_b32_e32 v26, 0
	s_mov_b32 s1, 0x3ff921fb
	s_mov_b32 s20, 0x33145c07
	;; [unrolled: 1-line block ×3, first 2 shown]
	v_cndmask_b32_e32 v3, v8, v3, vcc_lo
	v_cndmask_b32_e32 v2, v0, v2, vcc_lo
	v_trig_preop_f64 v[8:9], |v[0:1]|, 1
	v_mul_f64 v[10:11], v[4:5], v[2:3]
	v_mul_f64 v[24:25], v[18:19], v[2:3]
	;; [unrolled: 1-line block ×3, first 2 shown]
	v_fma_f64 v[4:5], v[4:5], v[2:3], -v[10:11]
	v_fma_f64 v[8:9], v[8:9], v[2:3], -v[12:13]
	;; [unrolled: 1-line block ×3, first 2 shown]
	v_add_f64 v[14:15], v[12:13], v[4:5]
	v_add_f64 v[16:17], v[14:15], -v[12:13]
	v_add_f64 v[22:23], v[10:11], v[14:15]
	v_add_f64 v[20:21], v[14:15], -v[16:17]
	v_add_f64 v[4:5], v[4:5], -v[16:17]
	v_ldexp_f64 v[16:17], v[22:23], -2
	v_add_f64 v[10:11], v[22:23], -v[10:11]
	v_add_f64 v[12:13], v[12:13], -v[20:21]
	v_add_f64 v[20:21], v[24:25], v[8:9]
	v_cmp_neq_f64_e64 vcc_lo, 0x7ff00000, |v[16:17]|
	v_add_f64 v[10:11], v[14:15], -v[10:11]
	v_add_f64 v[4:5], v[4:5], v[12:13]
	v_fract_f64_e32 v[12:13], v[16:17]
	v_add_f64 v[14:15], v[20:21], v[4:5]
	v_ldexp_f64 v[12:13], v[12:13], 2
	v_add_f64 v[16:17], v[10:11], v[14:15]
	v_cndmask_b32_e32 v13, 0, v13, vcc_lo
	v_cndmask_b32_e32 v12, 0, v12, vcc_lo
	v_add_f64 v[22:23], v[16:17], v[12:13]
	v_add_f64 v[10:11], v[16:17], -v[10:11]
	v_cmp_gt_f64_e32 vcc_lo, 0, v[22:23]
	v_add_f64 v[22:23], v[20:21], -v[24:25]
	v_cndmask_b32_e64 v27, 0, 0x40100000, vcc_lo
	v_add_f64 v[31:32], v[20:21], -v[22:23]
	v_add_f64 v[8:9], v[8:9], -v[22:23]
	v_add_f64 v[12:13], v[12:13], v[26:27]
	v_add_f64 v[27:28], v[14:15], -v[20:21]
	v_add_f64 v[22:23], v[24:25], -v[31:32]
	v_add_f64 v[29:30], v[16:17], v[12:13]
	v_add_f64 v[33:34], v[14:15], -v[27:28]
	v_add_f64 v[4:5], v[4:5], -v[27:28]
	v_add_f64 v[8:9], v[8:9], v[22:23]
	v_cvt_i32_f64_e32 v29, v[29:30]
	v_add_f64 v[20:21], v[20:21], -v[33:34]
	v_cvt_f64_i32_e32 v[27:28], v29
	v_add_f64 v[4:5], v[4:5], v[20:21]
	v_add_f64 v[12:13], v[12:13], -v[27:28]
	v_add_f64 v[4:5], v[8:9], v[4:5]
	v_add_f64 v[8:9], v[14:15], -v[10:11]
	v_add_f64 v[18:19], v[16:17], v[12:13]
	v_add_f64 v[2:3], v[2:3], v[4:5]
	v_add_f64 v[4:5], v[18:19], -v[12:13]
	v_cmp_le_f64_e32 vcc_lo, 0.5, v[18:19]
	v_add_f64 v[2:3], v[8:9], v[2:3]
	v_add_f64 v[4:5], v[16:17], -v[4:5]
	v_cndmask_b32_e64 v27, 0, 0x3ff00000, vcc_lo
	v_add_co_ci_u32_e64 v8, null, 0, v29, vcc_lo
	v_add_f64 v[2:3], v[2:3], v[4:5]
	v_add_f64 v[4:5], v[18:19], -v[26:27]
	v_add_f64 v[9:10], v[4:5], v[2:3]
	v_mul_f64 v[11:12], v[9:10], s[0:1]
	v_add_f64 v[4:5], v[9:10], -v[4:5]
	v_fma_f64 v[13:14], v[9:10], s[0:1], -v[11:12]
	v_add_f64 v[2:3], v[2:3], -v[4:5]
	v_fma_f64 v[4:5], v[9:10], s[20:21], v[13:14]
	v_fma_f64 v[4:5], v[2:3], s[0:1], v[4:5]
	v_add_f64 v[2:3], v[11:12], v[4:5]
	v_add_f64 v[9:10], v[2:3], -v[11:12]
	v_add_f64 v[4:5], v[4:5], -v[9:10]
.LBB28_988:
	s_andn2_saveexec_b32 s0, s18
	s_cbranch_execz .LBB28_990
; %bb.989:
	s_mov_b32 s18, 0x6dc9c883
	s_mov_b32 s19, 0x3fe45f30
	;; [unrolled: 1-line block ×3, first 2 shown]
	v_mul_f64 v[2:3], |v[0:1]|, s[18:19]
	s_mov_b32 s18, 0x54442d18
	s_mov_b32 s19, 0xbff921fb
	s_mov_b32 s20, 0x33145c00
	v_rndne_f64_e32 v[8:9], v[2:3]
	v_fma_f64 v[2:3], v[8:9], s[18:19], |v[0:1]|
	v_mul_f64 v[4:5], v[8:9], s[20:21]
	s_mov_b32 s18, 0x252049c0
	s_mov_b32 s19, 0xb97b839a
	v_fma_f64 v[12:13], v[8:9], s[20:21], v[2:3]
	v_add_f64 v[10:11], v[2:3], v[4:5]
	s_mov_b32 s21, 0x3c91a626
	v_add_f64 v[2:3], v[2:3], -v[10:11]
	v_add_f64 v[10:11], v[10:11], -v[12:13]
	v_add_f64 v[2:3], v[2:3], v[4:5]
	v_fma_f64 v[4:5], v[8:9], s[20:21], v[4:5]
	v_add_f64 v[2:3], v[10:11], v[2:3]
	v_add_f64 v[2:3], v[2:3], -v[4:5]
	v_fma_f64 v[4:5], v[8:9], s[18:19], v[2:3]
	v_cvt_i32_f64_e32 v8, v[8:9]
	v_add_f64 v[2:3], v[12:13], v[4:5]
	v_add_f64 v[10:11], v[2:3], -v[12:13]
	v_add_f64 v[4:5], v[4:5], -v[10:11]
.LBB28_990:
	s_or_b32 exec_lo, exec_lo, s0
	v_mul_f64 v[9:10], v[2:3], v[2:3]
	v_add_f64 v[11:12], v[4:5], v[4:5]
	s_mov_b32 s18, 0xa9a29f71
	s_mov_b32 s20, 0xc751c08c
	;; [unrolled: 1-line block ×4, first 2 shown]
	v_cmp_class_f64_e64 s0, v[0:1], 0x1f8
	v_and_b32_e32 v8, 1, v8
	v_and_b32_e32 v1, 0x80000000, v1
	v_sub_f32_e32 v7, 1.0, v7
	s_mov_b32 s1, exec_lo
	v_cmp_eq_u32_e32 vcc_lo, 0, v8
	v_fma_f64 v[13:14], v[2:3], v[2:3], -v[9:10]
	v_fma_f64 v[11:12], v[2:3], v[11:12], v[13:14]
	v_add_f64 v[9:10], v[9:10], v[11:12]
	v_fma_f64 v[11:12], v[9:10], s[20:21], s[18:19]
	s_mov_b32 s18, 0x90a8aae0
	s_mov_b32 s19, 0x3f17746f
	v_fma_f64 v[11:12], v[9:10], v[11:12], s[18:19]
	s_mov_b32 s18, 0xa6fbf144
	s_mov_b32 s19, 0xbefbb44d
	;; [unrolled: 3-line block ×13, first 2 shown]
	v_mul_f64 v[9:10], v[9:10], v[11:12]
	v_mul_f64 v[11:12], v[2:3], v[9:10]
	v_add_f64 v[13:14], v[2:3], v[11:12]
	v_fma_f64 v[9:10], v[2:3], v[9:10], -v[11:12]
	v_add_f64 v[2:3], v[13:14], -v[2:3]
	v_add_f64 v[4:5], v[4:5], v[9:10]
	v_add_f64 v[2:3], v[11:12], -v[2:3]
	v_add_f64 v[2:3], v[4:5], v[2:3]
	v_add_f64 v[4:5], v[13:14], v[2:3]
	v_rcp_f64_e32 v[9:10], v[4:5]
	v_fma_f64 v[11:12], -v[4:5], v[9:10], 1.0
	v_fma_f64 v[9:10], v[11:12], v[9:10], v[9:10]
	v_fma_f64 v[11:12], -v[4:5], v[9:10], 1.0
	v_fma_f64 v[9:10], v[11:12], v[9:10], v[9:10]
	v_add_f64 v[11:12], v[4:5], -v[13:14]
	v_mul_f64 v[13:14], v[4:5], v[9:10]
	v_add_f64 v[2:3], v[2:3], -v[11:12]
	v_fma_f64 v[11:12], v[9:10], v[4:5], -v[13:14]
	v_fma_f64 v[2:3], v[9:10], v[2:3], v[11:12]
	v_add_f64 v[11:12], v[13:14], v[2:3]
	v_add_f64 v[15:16], -v[11:12], 1.0
	v_add_f64 v[13:14], v[11:12], -v[13:14]
	v_add_f64 v[17:18], -v[15:16], 1.0
	v_add_f64 v[2:3], v[13:14], -v[2:3]
	v_add_f64 v[11:12], v[17:18], -v[11:12]
	v_add_f64 v[2:3], v[2:3], v[11:12]
	v_add_f64 v[2:3], v[15:16], v[2:3]
	v_mul_f64 v[2:3], v[9:10], v[2:3]
	v_add_f64 v[2:3], v[9:10], v[2:3]
	v_xor_b32_e32 v0, 0x80000000, v3
	v_cndmask_b32_e32 v2, v2, v4, vcc_lo
	v_cndmask_b32_e32 v0, v0, v5, vcc_lo
	v_xor_b32_e32 v1, v0, v1
	v_cndmask_b32_e64 v0, 0, v2, s0
	v_cndmask_b32_e64 v1, 0x7ff80000, v1, s0
	v_div_scale_f64 v[2:3], null, v[0:1], v[0:1], s[18:19]
	v_rcp_f64_e32 v[4:5], v[2:3]
	v_fma_f64 v[8:9], -v[2:3], v[4:5], 1.0
	v_fma_f64 v[4:5], v[4:5], v[8:9], v[4:5]
	v_fma_f64 v[8:9], -v[2:3], v[4:5], 1.0
	v_fma_f64 v[4:5], v[4:5], v[8:9], v[4:5]
	v_div_scale_f64 v[8:9], vcc_lo, s[18:19], v[0:1], s[18:19]
	v_mul_f64 v[10:11], v[8:9], v[4:5]
	v_fma_f64 v[2:3], -v[2:3], v[10:11], v[8:9]
	v_div_fmas_f64 v[2:3], v[2:3], v[4:5], v[10:11]
	v_div_fixup_f64 v[0:1], v[2:3], v[0:1], s[18:19]
	v_cvt_f32_f64_e32 v0, v[0:1]
.LBB28_991:
	s_or_b32 exec_lo, exec_lo, s17
	s_orn2_b32 s0, s1, exec_lo
.LBB28_992:
	s_or_b32 exec_lo, exec_lo, s16
	v_mov_b32_e32 v2, 0x7e00
	s_and_saveexec_b32 s16, s0
	s_cbranch_execz .LBB28_1004
; %bb.993:
	s_mov_b32 s0, exec_lo
	v_cmpx_gt_f32_e32 0x41200000, v7
	s_cbranch_execz .LBB28_997
; %bb.994:
	s_mov_b32 s1, 0
	.p2align	6
.LBB28_995:                             ; =>This Inner Loop Header: Depth=1
	v_div_scale_f32 v1, null, v7, v7, 1.0
	v_div_scale_f32 v4, vcc_lo, 1.0, v7, 1.0
	v_rcp_f32_e32 v2, v1
	v_fma_f32 v3, -v1, v2, 1.0
	v_fmac_f32_e32 v2, v3, v2
	v_mul_f32_e32 v3, v4, v2
	v_fma_f32 v5, -v1, v3, v4
	v_fmac_f32_e32 v3, v5, v2
	v_fma_f32 v1, -v1, v3, v4
	v_div_fmas_f32 v1, v1, v2, v3
	v_div_fixup_f32 v1, v1, v7, 1.0
	v_add_f32_e32 v7, 1.0, v7
	v_sub_f32_e32 v0, v0, v1
	v_cmp_ngt_f32_e32 vcc_lo, 0x41200000, v7
	s_or_b32 s1, vcc_lo, s1
	s_andn2_b32 exec_lo, exec_lo, s1
	s_cbranch_execnz .LBB28_995
; %bb.996:
	s_or_b32 exec_lo, exec_lo, s1
.LBB28_997:
	s_or_b32 exec_lo, exec_lo, s0
                                        ; implicit-def: $vgpr2
	s_mov_b32 s0, exec_lo
	v_cmpx_neq_f32_e32 0x41200000, v7
	s_xor_b32 s17, exec_lo, s0
	s_cbranch_execz .LBB28_1001
; %bb.998:
	v_cvt_f64_f32_e32 v[1:2], v7
	s_mov_b32 s0, 0x85d8a000
	s_mov_b32 s1, 0x43763457
	v_cmp_gt_f64_e32 vcc_lo, s[0:1], v[1:2]
	v_mov_b32_e32 v1, 0
	s_and_saveexec_b32 s0, vcc_lo
	s_cbranch_execz .LBB28_1000
; %bb.999:
	v_mul_f32_e32 v1, v7, v7
	v_div_scale_f32 v2, null, v1, v1, 1.0
	v_rcp_f32_e32 v3, v2
	v_fma_f32 v4, -v2, v3, 1.0
	v_fmac_f32_e32 v3, v4, v3
	v_div_scale_f32 v4, vcc_lo, 1.0, v1, 1.0
	v_mul_f32_e32 v5, v4, v3
	v_fma_f32 v8, -v2, v5, v4
	v_fmac_f32_e32 v5, v8, v3
	v_fma_f32 v2, -v2, v5, v4
	v_div_fmas_f32 v2, v2, v3, v5
	v_div_fixup_f32 v1, v2, v1, 1.0
	v_fmaak_f32 v2, 0, v1, 0x3daaaaab
	v_fmaak_f32 v2, v1, v2, 0xbcaccacd
	v_fmaak_f32 v2, v1, v2, 0x3bf83e10
	v_fmaak_f32 v2, v1, v2, 0xbb888889
	v_fmaak_f32 v2, v1, v2, 0x3b820821
	v_fmaak_f32 v2, v1, v2, 0xbc088889
	v_fmaak_f32 v2, v1, v2, 0x3daaaaab
	v_mul_f32_e32 v1, v1, v2
.LBB28_1000:
	s_or_b32 exec_lo, exec_lo, s0
	v_cmp_gt_f32_e32 vcc_lo, 0x800000, v7
	v_div_scale_f32 v2, null, v7, v7, -0.5
	v_div_scale_f32 v8, s0, -0.5, v7, -0.5
	v_cndmask_b32_e64 v3, 0, 32, vcc_lo
	v_rcp_f32_e32 v4, v2
	v_ldexp_f32 v3, v7, v3
	v_log_f32_e32 v3, v3
	v_fma_f32 v5, -v2, v4, 1.0
	v_fmac_f32_e32 v4, v5, v4
	v_mul_f32_e32 v5, 0x3f317217, v3
	v_mul_f32_e32 v9, v8, v4
	v_cmp_gt_f32_e64 s1, 0x7f800000, |v3|
	v_fma_f32 v5, 0x3f317217, v3, -v5
	v_fma_f32 v10, -v2, v9, v8
	v_fmamk_f32 v5, v3, 0x3377d1cf, v5
	v_fmac_f32_e32 v9, v10, v4
	v_fmac_f32_e32 v5, 0x3f317217, v3
	v_fma_f32 v2, -v2, v9, v8
	v_cndmask_b32_e64 v3, v3, v5, s1
	v_cndmask_b32_e64 v5, 0, 0x41b17218, vcc_lo
	s_mov_b32 vcc_lo, s0
	v_div_fmas_f32 v2, v2, v4, v9
	v_sub_f32_e32 v3, v3, v5
	v_div_fixup_f32 v2, v2, v7, -0.5
	v_add_f32_e32 v2, v3, v2
	v_sub_f32_e32 v1, v2, v1
	v_add_f32_e32 v0, v0, v1
	v_cvt_f16_f32_e32 v2, v0
                                        ; implicit-def: $vgpr0
.LBB28_1001:
	s_andn2_saveexec_b32 s0, s17
; %bb.1002:
	v_add_f32_e32 v0, 0x40101cb7, v0
	v_cvt_f16_f32_e32 v2, v0
; %bb.1003:
	s_or_b32 exec_lo, exec_lo, s0
.LBB28_1004:
	s_or_b32 exec_lo, exec_lo, s16
                                        ; implicit-def: $vgpr7
.LBB28_1005:
	s_andn2_saveexec_b32 s0, s15
; %bb.1006:
	v_xor_b32_e32 v0, 0x80000000, v7
	v_mov_b32_e32 v1, 0xffff8000
	v_and_b32_sdwa v0, v0, v1 dst_sel:DWORD dst_unused:UNUSED_PAD src0_sel:WORD_1 src1_sel:DWORD
	v_or_b32_e32 v2, 0x7c00, v0
; %bb.1007:
	s_or_b32 exec_lo, exec_lo, s0
	v_mul_lo_u32 v0, v6, s2
	s_and_b32 s1, s4, 0xff
	s_cmp_lt_i32 s1, 11
	v_ashrrev_i32_e32 v1, 31, v0
	v_add_co_u32 v0, vcc_lo, s8, v0
	v_add_co_ci_u32_e64 v1, null, s9, v1, vcc_lo
	s_cbranch_scc1 .LBB28_1017
; %bb.1008:
	s_and_b32 s15, 0xffff, s1
	s_mov_b32 s16, -1
	s_cmp_gt_i32 s15, 25
	s_mov_b32 s0, s12
	s_cbranch_scc0 .LBB28_1045
; %bb.1009:
	s_cmp_gt_i32 s15, 28
	s_mov_b32 s0, s12
	s_cbranch_scc0 .LBB28_1029
; %bb.1010:
	;; [unrolled: 4-line block ×4, first 2 shown]
	s_cmp_eq_u32 s15, 46
	s_mov_b32 s0, -1
	s_cbranch_scc0 .LBB28_1018
; %bb.1013:
	v_cvt_f32_f16_e32 v3, v2
	v_cmp_o_f16_e32 vcc_lo, v2, v2
	s_mov_b32 s0, 0
	s_mov_b32 s16, 0
	v_bfe_u32 v4, v3, 16, 1
	v_add3_u32 v3, v3, v4, 0x7fff
	v_mov_b32_e32 v4, 0x7fc0
	v_cndmask_b32_sdwa v3, v4, v3, vcc_lo dst_sel:DWORD dst_unused:UNUSED_PAD src0_sel:DWORD src1_sel:WORD_1
	global_store_dword v[0:1], v3, off
	s_branch .LBB28_1019
.LBB28_1014:
	s_or_b32 exec_lo, exec_lo, s14
	s_and_saveexec_b32 s0, s12
	s_cbranch_execnz .LBB28_1087
.LBB28_1015:
	s_or_b32 exec_lo, exec_lo, s0
	s_and_saveexec_b32 s0, s16
	s_xor_b32 s0, exec_lo, s0
	s_cbranch_execz .LBB28_1088
.LBB28_1016:
	s_waitcnt vmcnt(0)
	v_and_b32_e32 v3, 0x7fff, v2
	v_cmp_ne_u16_e32 vcc_lo, 0, v3
	v_cndmask_b32_e64 v3, 0, 1, vcc_lo
	global_store_byte v[0:1], v3, off
	s_or_b32 exec_lo, exec_lo, s0
	s_and_saveexec_b32 s0, s15
	s_xor_b32 s0, exec_lo, s0
	s_cbranch_execz .LBB28_1126
	s_branch .LBB28_1089
.LBB28_1017:
	s_mov_b32 s17, 0
	s_mov_b32 s16, -1
	s_mov_b32 s0, s12
	s_branch .LBB28_1086
.LBB28_1018:
	s_mov_b32 s16, 0
.LBB28_1019:
	s_and_b32 vcc_lo, exec_lo, s16
	s_cbranch_vccz .LBB28_1024
; %bb.1020:
	s_cmp_eq_u32 s15, 44
	s_mov_b32 s0, -1
	s_cbranch_scc0 .LBB28_1024
; %bb.1021:
	v_cvt_f32_f16_e32 v3, v2
	v_mov_b32_e32 v4, 0xff
	s_mov_b32 s16, exec_lo
	v_bfe_u32 v5, v3, 23, 8
	v_cmpx_ne_u32_e32 0xff, v5
	s_cbranch_execz .LBB28_1023
; %bb.1022:
	v_and_b32_e32 v4, 0x400000, v3
	v_and_or_b32 v5, 0x3fffff, v3, v5
	v_lshrrev_b32_e32 v3, 23, v3
	v_cmp_ne_u32_e32 vcc_lo, 0, v4
	v_cmp_ne_u32_e64 s0, 0, v5
	s_and_b32 s0, vcc_lo, s0
	v_cndmask_b32_e64 v4, 0, 1, s0
	v_add_nc_u32_e32 v4, v3, v4
.LBB28_1023:
	s_or_b32 exec_lo, exec_lo, s16
	s_mov_b32 s0, 0
	global_store_byte v[0:1], v4, off
.LBB28_1024:
	s_mov_b32 s16, 0
.LBB28_1025:
	s_and_b32 vcc_lo, exec_lo, s16
	s_cbranch_vccz .LBB28_1028
; %bb.1026:
	s_cmp_eq_u32 s15, 29
	s_mov_b32 s0, -1
	s_cbranch_scc0 .LBB28_1028
; %bb.1027:
	v_cvt_f32_f16_e32 v3, v2
	v_mov_b32_e32 v4, 0
	s_mov_b32 s0, 0
	s_mov_b32 s16, 0
	v_cvt_u32_f32_e32 v3, v3
	global_store_dwordx2 v[0:1], v[3:4], off
	s_branch .LBB28_1029
.LBB28_1028:
	s_mov_b32 s16, 0
.LBB28_1029:
	s_and_b32 vcc_lo, exec_lo, s16
	s_cbranch_vccz .LBB28_1044
; %bb.1030:
	s_cmp_lt_i32 s15, 27
	s_mov_b32 s16, -1
	s_cbranch_scc1 .LBB28_1036
; %bb.1031:
	s_cmp_gt_i32 s15, 27
	s_cbranch_scc0 .LBB28_1033
; %bb.1032:
	v_cvt_f32_f16_e32 v3, v2
	s_mov_b32 s16, 0
	v_cvt_u32_f32_e32 v3, v3
	global_store_dword v[0:1], v3, off
.LBB28_1033:
	s_andn2_b32 vcc_lo, exec_lo, s16
	s_cbranch_vccnz .LBB28_1035
; %bb.1034:
	v_cvt_u16_f16_e32 v3, v2
	global_store_short v[0:1], v3, off
.LBB28_1035:
	s_mov_b32 s16, 0
.LBB28_1036:
	s_andn2_b32 vcc_lo, exec_lo, s16
	s_cbranch_vccnz .LBB28_1044
; %bb.1037:
	v_cvt_f32_f16_e32 v3, v2
	v_mov_b32_e32 v5, 0x80
	s_mov_b32 s16, exec_lo
	v_and_b32_e32 v4, 0x7fffffff, v3
	v_cmpx_gt_u32_e32 0x43800000, v4
	s_cbranch_execz .LBB28_1043
; %bb.1038:
	v_cmp_lt_u32_e32 vcc_lo, 0x3bffffff, v4
	s_mov_b32 s17, 0
                                        ; implicit-def: $vgpr4
	s_and_saveexec_b32 s18, vcc_lo
	s_xor_b32 s18, exec_lo, s18
	s_cbranch_execz .LBB28_1141
; %bb.1039:
	v_bfe_u32 v4, v3, 20, 1
	s_mov_b32 s17, exec_lo
	v_add3_u32 v4, v3, v4, 0x487ffff
	v_lshrrev_b32_e32 v4, 20, v4
	s_andn2_saveexec_b32 s18, s18
	s_cbranch_execnz .LBB28_1142
.LBB28_1040:
	s_or_b32 exec_lo, exec_lo, s18
	v_mov_b32_e32 v5, 0
	s_and_saveexec_b32 s18, s17
.LBB28_1041:
	v_lshrrev_b32_e32 v3, 24, v3
	v_and_or_b32 v5, 0x80, v3, v4
.LBB28_1042:
	s_or_b32 exec_lo, exec_lo, s18
.LBB28_1043:
	s_or_b32 exec_lo, exec_lo, s16
	global_store_byte v[0:1], v5, off
.LBB28_1044:
	s_mov_b32 s16, 0
.LBB28_1045:
	s_and_b32 vcc_lo, exec_lo, s16
	s_mov_b32 s16, 0
	s_cbranch_vccz .LBB28_1085
; %bb.1046:
	s_cmp_gt_i32 s15, 22
	s_mov_b32 s17, -1
	s_cbranch_scc0 .LBB28_1078
; %bb.1047:
	s_cmp_lt_i32 s15, 24
	s_cbranch_scc1 .LBB28_1067
; %bb.1048:
	s_cmp_gt_i32 s15, 24
	s_cbranch_scc0 .LBB28_1056
; %bb.1049:
	v_cvt_f32_f16_e32 v3, v2
	v_mov_b32_e32 v5, 0x80
	s_mov_b32 s17, exec_lo
	v_and_b32_e32 v4, 0x7fffffff, v3
	v_cmpx_gt_u32_e32 0x47800000, v4
	s_cbranch_execz .LBB28_1055
; %bb.1050:
	v_cmp_lt_u32_e32 vcc_lo, 0x37ffffff, v4
	s_mov_b32 s18, 0
                                        ; implicit-def: $vgpr4
	s_and_saveexec_b32 s19, vcc_lo
	s_xor_b32 s19, exec_lo, s19
	s_cbranch_execz .LBB28_1291
; %bb.1051:
	v_bfe_u32 v4, v3, 21, 1
	s_mov_b32 s18, exec_lo
	v_add3_u32 v4, v3, v4, 0x88fffff
	v_lshrrev_b32_e32 v4, 21, v4
	s_andn2_saveexec_b32 s19, s19
	s_cbranch_execnz .LBB28_1292
.LBB28_1052:
	s_or_b32 exec_lo, exec_lo, s19
	v_mov_b32_e32 v5, 0
	s_and_saveexec_b32 s19, s18
.LBB28_1053:
	v_lshrrev_b32_e32 v3, 24, v3
	v_and_or_b32 v5, 0x80, v3, v4
.LBB28_1054:
	s_or_b32 exec_lo, exec_lo, s19
.LBB28_1055:
	s_or_b32 exec_lo, exec_lo, s17
	s_mov_b32 s17, 0
	global_store_byte v[0:1], v5, off
.LBB28_1056:
	s_and_b32 vcc_lo, exec_lo, s17
	s_cbranch_vccz .LBB28_1066
; %bb.1057:
	v_cvt_f32_f16_e32 v3, v2
	s_mov_b32 s17, exec_lo
                                        ; implicit-def: $vgpr4
	v_and_b32_e32 v5, 0x7fffffff, v3
	v_cmpx_gt_u32_e32 0x43f00000, v5
	s_xor_b32 s17, exec_lo, s17
	s_cbranch_execz .LBB28_1063
; %bb.1058:
	s_mov_b32 s18, exec_lo
                                        ; implicit-def: $vgpr4
	v_cmpx_lt_u32_e32 0x3c7fffff, v5
	s_xor_b32 s18, exec_lo, s18
; %bb.1059:
	v_bfe_u32 v4, v3, 20, 1
	v_add3_u32 v4, v3, v4, 0x407ffff
	v_and_b32_e32 v5, 0xff00000, v4
	v_lshrrev_b32_e32 v4, 20, v4
	v_cmp_ne_u32_e32 vcc_lo, 0x7f00000, v5
	v_cndmask_b32_e32 v4, 0x7e, v4, vcc_lo
; %bb.1060:
	s_andn2_saveexec_b32 s18, s18
; %bb.1061:
	v_add_f32_e64 v4, 0x46800000, |v3|
; %bb.1062:
	s_or_b32 exec_lo, exec_lo, s18
                                        ; implicit-def: $vgpr5
.LBB28_1063:
	s_andn2_saveexec_b32 s17, s17
; %bb.1064:
	v_mov_b32_e32 v4, 0x7f
	v_cmp_lt_u32_e32 vcc_lo, 0x7f800000, v5
	v_cndmask_b32_e32 v4, 0x7e, v4, vcc_lo
; %bb.1065:
	s_or_b32 exec_lo, exec_lo, s17
	v_lshrrev_b32_e32 v3, 24, v3
	v_and_or_b32 v3, 0x80, v3, v4
	global_store_byte v[0:1], v3, off
.LBB28_1066:
	s_mov_b32 s17, 0
.LBB28_1067:
	s_andn2_b32 vcc_lo, exec_lo, s17
	s_cbranch_vccnz .LBB28_1077
; %bb.1068:
	v_cvt_f32_f16_e32 v3, v2
	s_mov_b32 s17, exec_lo
                                        ; implicit-def: $vgpr4
	v_and_b32_e32 v5, 0x7fffffff, v3
	v_cmpx_gt_u32_e32 0x47800000, v5
	s_xor_b32 s17, exec_lo, s17
	s_cbranch_execz .LBB28_1074
; %bb.1069:
	s_mov_b32 s18, exec_lo
                                        ; implicit-def: $vgpr4
	v_cmpx_lt_u32_e32 0x387fffff, v5
	s_xor_b32 s18, exec_lo, s18
; %bb.1070:
	v_bfe_u32 v4, v3, 21, 1
	v_add3_u32 v4, v3, v4, 0x80fffff
	v_lshrrev_b32_e32 v4, 21, v4
; %bb.1071:
	s_andn2_saveexec_b32 s18, s18
; %bb.1072:
	v_add_f32_e64 v4, 0x43000000, |v3|
; %bb.1073:
	s_or_b32 exec_lo, exec_lo, s18
                                        ; implicit-def: $vgpr5
.LBB28_1074:
	s_andn2_saveexec_b32 s17, s17
; %bb.1075:
	v_mov_b32_e32 v4, 0x7f
	v_cmp_lt_u32_e32 vcc_lo, 0x7f800000, v5
	v_cndmask_b32_e32 v4, 0x7c, v4, vcc_lo
; %bb.1076:
	s_or_b32 exec_lo, exec_lo, s17
	v_lshrrev_b32_e32 v3, 24, v3
	v_and_or_b32 v3, 0x80, v3, v4
	global_store_byte v[0:1], v3, off
.LBB28_1077:
	s_mov_b32 s17, 0
.LBB28_1078:
	s_andn2_b32 vcc_lo, exec_lo, s17
	s_mov_b32 s17, 0
	s_cbranch_vccnz .LBB28_1086
; %bb.1079:
	s_cmp_gt_i32 s15, 14
	s_mov_b32 s17, -1
	s_cbranch_scc0 .LBB28_1083
; %bb.1080:
	s_cmp_eq_u32 s15, 15
	s_mov_b32 s0, -1
	s_cbranch_scc0 .LBB28_1082
; %bb.1081:
	v_cvt_f32_f16_e32 v3, v2
	v_cmp_o_f16_e32 vcc_lo, v2, v2
	s_mov_b32 s0, 0
	v_bfe_u32 v4, v3, 16, 1
	v_add3_u32 v3, v3, v4, 0x7fff
	v_mov_b32_e32 v4, 0x7fc0
	v_cndmask_b32_sdwa v3, v4, v3, vcc_lo dst_sel:DWORD dst_unused:UNUSED_PAD src0_sel:DWORD src1_sel:WORD_1
	global_store_short v[0:1], v3, off
.LBB28_1082:
	s_mov_b32 s17, 0
.LBB28_1083:
	s_and_b32 vcc_lo, exec_lo, s17
	s_mov_b32 s17, 0
	s_cbranch_vccz .LBB28_1086
; %bb.1084:
	s_cmp_lg_u32 s15, 11
	s_mov_b32 s17, -1
	s_cselect_b32 s15, -1, 0
	s_andn2_b32 s0, s0, exec_lo
	s_and_b32 s15, s15, exec_lo
	s_or_b32 s0, s0, s15
	s_branch .LBB28_1086
.LBB28_1085:
	s_mov_b32 s17, 0
.LBB28_1086:
	s_andn2_b32 s12, s12, exec_lo
	s_and_b32 s0, s0, exec_lo
	s_and_b32 s15, s16, exec_lo
	;; [unrolled: 1-line block ×3, first 2 shown]
	s_or_b32 s12, s12, s0
	s_or_b32 exec_lo, exec_lo, s14
	s_and_saveexec_b32 s0, s12
	s_cbranch_execz .LBB28_1015
.LBB28_1087:
	s_or_b32 s13, s13, exec_lo
	s_andn2_b32 s16, s16, exec_lo
	s_trap 2
	s_or_b32 exec_lo, exec_lo, s0
	s_and_saveexec_b32 s0, s16
	s_xor_b32 s0, exec_lo, s0
	s_cbranch_execnz .LBB28_1016
.LBB28_1088:
	s_or_b32 exec_lo, exec_lo, s0
	s_and_saveexec_b32 s0, s15
	s_xor_b32 s0, exec_lo, s0
	s_cbranch_execz .LBB28_1126
.LBB28_1089:
	s_sext_i32_i16 s14, s1
	s_mov_b32 s12, -1
	s_cmp_lt_i32 s14, 5
	s_cbranch_scc1 .LBB28_1110
; %bb.1090:
	s_cmp_lt_i32 s14, 8
	s_cbranch_scc1 .LBB28_1100
; %bb.1091:
	;; [unrolled: 3-line block ×3, first 2 shown]
	s_cmp_gt_i32 s14, 9
	s_cbranch_scc0 .LBB28_1094
; %bb.1093:
	s_waitcnt vmcnt(0)
	v_cvt_f32_f16_e32 v3, v2
	v_mov_b32_e32 v5, 0
	s_mov_b32 s12, 0
	v_cvt_f64_f32_e32 v[3:4], v3
	v_mov_b32_e32 v6, v5
	global_store_dwordx4 v[0:1], v[3:6], off
.LBB28_1094:
	s_andn2_b32 vcc_lo, exec_lo, s12
	s_cbranch_vccnz .LBB28_1096
; %bb.1095:
	s_waitcnt vmcnt(0)
	v_cvt_f32_f16_e32 v3, v2
	v_mov_b32_e32 v4, 0
	global_store_dwordx2 v[0:1], v[3:4], off
.LBB28_1096:
	s_mov_b32 s12, 0
.LBB28_1097:
	s_andn2_b32 vcc_lo, exec_lo, s12
	s_cbranch_vccnz .LBB28_1099
; %bb.1098:
	s_waitcnt vmcnt(0)
	v_and_b32_e32 v3, 0xffff, v2
	global_store_dword v[0:1], v3, off
.LBB28_1099:
	s_mov_b32 s12, 0
.LBB28_1100:
	s_andn2_b32 vcc_lo, exec_lo, s12
	s_cbranch_vccnz .LBB28_1109
; %bb.1101:
	s_sext_i32_i16 s14, s1
	s_mov_b32 s12, -1
	s_cmp_lt_i32 s14, 6
	s_cbranch_scc1 .LBB28_1107
; %bb.1102:
	s_cmp_gt_i32 s14, 6
	s_cbranch_scc0 .LBB28_1104
; %bb.1103:
	s_waitcnt vmcnt(0)
	v_cvt_f32_f16_e32 v3, v2
	s_mov_b32 s12, 0
	v_cvt_f64_f32_e32 v[3:4], v3
	global_store_dwordx2 v[0:1], v[3:4], off
.LBB28_1104:
	s_andn2_b32 vcc_lo, exec_lo, s12
	s_cbranch_vccnz .LBB28_1106
; %bb.1105:
	s_waitcnt vmcnt(0)
	v_cvt_f32_f16_e32 v3, v2
	global_store_dword v[0:1], v3, off
.LBB28_1106:
	s_mov_b32 s12, 0
.LBB28_1107:
	s_andn2_b32 vcc_lo, exec_lo, s12
	s_cbranch_vccnz .LBB28_1109
; %bb.1108:
	global_store_short v[0:1], v2, off
.LBB28_1109:
	s_mov_b32 s12, 0
.LBB28_1110:
	s_andn2_b32 vcc_lo, exec_lo, s12
	s_cbranch_vccnz .LBB28_1126
; %bb.1111:
	s_sext_i32_i16 s14, s1
	s_mov_b32 s12, -1
	s_cmp_lt_i32 s14, 2
	s_cbranch_scc1 .LBB28_1121
; %bb.1112:
	s_cmp_lt_i32 s14, 3
	s_cbranch_scc1 .LBB28_1118
; %bb.1113:
	s_cmp_gt_i32 s14, 3
	s_cbranch_scc0 .LBB28_1115
; %bb.1114:
	s_waitcnt vmcnt(0)
	v_cvt_f32_f16_e32 v3, v2
	s_mov_b32 s12, 0
	v_cvt_i32_f32_e32 v3, v3
	v_ashrrev_i32_e32 v4, 31, v3
	global_store_dwordx2 v[0:1], v[3:4], off
.LBB28_1115:
	s_andn2_b32 vcc_lo, exec_lo, s12
	s_cbranch_vccnz .LBB28_1117
; %bb.1116:
	s_waitcnt vmcnt(0)
	v_cvt_f32_f16_e32 v3, v2
	v_cvt_i32_f32_e32 v3, v3
	global_store_dword v[0:1], v3, off
.LBB28_1117:
	s_mov_b32 s12, 0
.LBB28_1118:
	s_andn2_b32 vcc_lo, exec_lo, s12
	s_cbranch_vccnz .LBB28_1120
; %bb.1119:
	s_waitcnt vmcnt(0)
	v_cvt_i16_f16_e32 v3, v2
	global_store_short v[0:1], v3, off
.LBB28_1120:
	s_mov_b32 s12, 0
.LBB28_1121:
	s_andn2_b32 vcc_lo, exec_lo, s12
	s_cbranch_vccnz .LBB28_1126
; %bb.1122:
	s_sext_i32_i16 s1, s1
	s_cmp_gt_i32 s1, 0
	s_mov_b32 s1, -1
	s_cbranch_scc0 .LBB28_1124
; %bb.1123:
	s_waitcnt vmcnt(0)
	v_cvt_i16_f16_e32 v3, v2
	s_mov_b32 s1, 0
	global_store_byte v[0:1], v3, off
.LBB28_1124:
	s_andn2_b32 vcc_lo, exec_lo, s1
	s_cbranch_vccnz .LBB28_1126
; %bb.1125:
	v_cvt_f32_f16_e32 v2, v2
	v_cvt_i32_f32_e32 v2, v2
	global_store_byte v[0:1], v2, off
.LBB28_1126:
	s_or_b32 exec_lo, exec_lo, s0
	s_and_b32 s12, s13, exec_lo
                                        ; implicit-def: $vgpr6
.LBB28_1127:
	s_or_saveexec_b32 s7, s7
	s_mov_b32 s0, 0
                                        ; implicit-def: $sgpr1
                                        ; implicit-def: $vgpr0_vgpr1
                                        ; implicit-def: $vgpr2
	s_xor_b32 exec_lo, exec_lo, s7
	s_cbranch_execz .LBB28_1820
; %bb.1128:
	v_mul_lo_u32 v8, s3, v6
	s_and_b32 s6, 0xffff, s6
	s_cmp_lt_i32 s6, 11
	v_ashrrev_i32_e32 v1, 31, v8
	v_add_co_u32 v0, vcc_lo, s10, v8
	v_add_co_ci_u32_e64 v1, null, s11, v1, vcc_lo
	s_cbranch_scc1 .LBB28_1135
; %bb.1129:
	s_cmp_gt_i32 s6, 25
	s_mov_b32 s1, 0
	s_cbranch_scc0 .LBB28_1137
; %bb.1130:
	s_cmp_gt_i32 s6, 28
	s_cbranch_scc0 .LBB28_1138
; %bb.1131:
	s_cmp_gt_i32 s6, 43
	;; [unrolled: 3-line block ×3, first 2 shown]
	s_cbranch_scc0 .LBB28_1140
; %bb.1133:
	s_cmp_eq_u32 s6, 46
	s_mov_b32 s5, 0
	s_cbranch_scc0 .LBB28_1143
; %bb.1134:
	global_load_dword v2, v[0:1], off
	s_mov_b32 s13, -1
	s_waitcnt vmcnt(0)
	v_lshlrev_b32_e32 v2, 16, v2
	v_cvt_f16_f32_e32 v2, v2
	s_branch .LBB28_1145
.LBB28_1135:
	s_mov_b32 s13, 0
	s_mov_b32 s5, s12
                                        ; implicit-def: $vgpr2
	s_cbranch_execnz .LBB28_1208
.LBB28_1136:
	s_andn2_b32 vcc_lo, exec_lo, s13
	s_cbranch_vccz .LBB28_1253
	s_branch .LBB28_1818
.LBB28_1137:
	s_mov_b32 s13, 0
                                        ; implicit-def: $vgpr2
	s_cbranch_execnz .LBB28_1173
	s_branch .LBB28_1204
.LBB28_1138:
	s_mov_b32 s5, -1
	s_mov_b32 s13, 0
                                        ; implicit-def: $vgpr2
	s_branch .LBB28_1154
.LBB28_1139:
	s_mov_b32 s13, 0
                                        ; implicit-def: $vgpr2
	s_cbranch_execnz .LBB28_1150
	s_branch .LBB28_1153
.LBB28_1140:
	s_mov_b32 s5, -1
	s_branch .LBB28_1144
.LBB28_1141:
	s_andn2_saveexec_b32 s18, s18
	s_cbranch_execz .LBB28_1040
.LBB28_1142:
	v_add_f32_e64 v4, 0x46000000, |v3|
	s_andn2_b32 s17, s17, exec_lo
	v_and_b32_e32 v4, 0xff, v4
	v_cmp_ne_u32_e32 vcc_lo, 0, v4
	s_and_b32 s19, vcc_lo, exec_lo
	s_or_b32 s17, s17, s19
	s_or_b32 exec_lo, exec_lo, s18
	v_mov_b32_e32 v5, 0
	s_and_saveexec_b32 s18, s17
	s_cbranch_execnz .LBB28_1041
	s_branch .LBB28_1042
.LBB28_1143:
	s_mov_b32 s0, -1
.LBB28_1144:
	s_mov_b32 s13, 0
                                        ; implicit-def: $vgpr2
.LBB28_1145:
	s_and_b32 vcc_lo, exec_lo, s5
	s_cbranch_vccz .LBB28_1148
; %bb.1146:
	s_cmp_eq_u32 s6, 44
	s_cbranch_scc0 .LBB28_1149
; %bb.1147:
	global_load_ubyte v2, v[0:1], off
	s_mov_b32 s0, 0
	s_mov_b32 s13, -1
	s_waitcnt vmcnt(0)
	v_lshlrev_b32_e32 v3, 23, v2
	v_cmp_ne_u32_e32 vcc_lo, 0xff, v2
	v_cvt_f16_f32_e32 v3, v3
	v_cndmask_b32_e32 v3, 0x7e00, v3, vcc_lo
	v_cmp_ne_u32_e32 vcc_lo, 0, v2
	v_cndmask_b32_e32 v2, 0, v3, vcc_lo
.LBB28_1148:
	s_branch .LBB28_1153
.LBB28_1149:
	s_mov_b32 s0, -1
                                        ; implicit-def: $vgpr2
	s_branch .LBB28_1153
.LBB28_1150:
	s_cmp_eq_u32 s6, 29
	s_cbranch_scc0 .LBB28_1152
; %bb.1151:
	global_load_dwordx2 v[2:3], v[0:1], off
	s_mov_b32 s0, 0
	s_mov_b32 s13, -1
	s_mov_b32 s5, 0
	s_waitcnt vmcnt(0)
	v_ffbh_u32_e32 v4, v3
	v_min_u32_e32 v4, 32, v4
	v_lshlrev_b64 v[2:3], v4, v[2:3]
	v_min_u32_e32 v2, 1, v2
	v_or_b32_e32 v2, v3, v2
	v_sub_nc_u32_e32 v3, 32, v4
	v_cvt_f32_u32_e32 v2, v2
	v_ldexp_f32 v2, v2, v3
	v_cvt_f16_f32_e32 v2, v2
	s_branch .LBB28_1154
.LBB28_1152:
	s_mov_b32 s0, -1
                                        ; implicit-def: $vgpr2
.LBB28_1153:
	s_mov_b32 s5, 0
.LBB28_1154:
	s_and_b32 vcc_lo, exec_lo, s5
	s_cbranch_vccz .LBB28_1172
; %bb.1155:
	s_cmp_lt_i32 s6, 27
	s_cbranch_scc1 .LBB28_1158
; %bb.1156:
	s_cmp_gt_i32 s6, 27
	s_cbranch_scc0 .LBB28_1159
; %bb.1157:
	global_load_dword v2, v[0:1], off
	s_mov_b32 s5, 0
	s_waitcnt vmcnt(0)
	v_cvt_f32_u32_e32 v2, v2
	v_cvt_f16_f32_e32 v2, v2
	s_branch .LBB28_1160
.LBB28_1158:
	s_mov_b32 s5, -1
                                        ; implicit-def: $vgpr2
	s_branch .LBB28_1163
.LBB28_1159:
	s_mov_b32 s5, -1
                                        ; implicit-def: $vgpr2
.LBB28_1160:
	s_andn2_b32 vcc_lo, exec_lo, s5
	s_cbranch_vccnz .LBB28_1162
; %bb.1161:
	global_load_ushort v2, v[0:1], off
	s_waitcnt vmcnt(0)
	v_cvt_f16_u16_e32 v2, v2
.LBB28_1162:
	s_mov_b32 s5, 0
.LBB28_1163:
	s_andn2_b32 vcc_lo, exec_lo, s5
	s_cbranch_vccnz .LBB28_1171
; %bb.1164:
	global_load_ubyte v3, v[0:1], off
	s_mov_b32 s5, 0
	s_mov_b32 s13, exec_lo
	s_waitcnt vmcnt(0)
	v_cmpx_lt_i16_e32 0x7f, v3
	s_xor_b32 s13, exec_lo, s13
	s_cbranch_execz .LBB28_1184
; %bb.1165:
	s_mov_b32 s5, -1
	s_mov_b32 s14, exec_lo
	v_cmpx_eq_u16_e32 0x80, v3
; %bb.1166:
	s_xor_b32 s5, exec_lo, -1
; %bb.1167:
	s_or_b32 exec_lo, exec_lo, s14
	s_and_b32 s5, s5, exec_lo
	s_or_saveexec_b32 s13, s13
	v_mov_b32_e32 v2, 0x7e00
	s_xor_b32 exec_lo, exec_lo, s13
	s_cbranch_execnz .LBB28_1185
.LBB28_1168:
	s_or_b32 exec_lo, exec_lo, s13
	s_and_saveexec_b32 s13, s5
	s_cbranch_execz .LBB28_1170
.LBB28_1169:
	v_and_b32_e32 v2, 0xffff, v3
	v_lshlrev_b32_e32 v3, 24, v3
	v_and_b32_e32 v4, 7, v2
	v_bfe_u32 v9, v2, 3, 4
	v_and_b32_e32 v3, 0x80000000, v3
	v_ffbh_u32_e32 v5, v4
	v_cmp_eq_u32_e32 vcc_lo, 0, v9
	v_min_u32_e32 v5, 32, v5
	v_subrev_nc_u32_e32 v7, 28, v5
	v_sub_nc_u32_e32 v5, 29, v5
	v_lshlrev_b32_e32 v2, v7, v2
	v_cndmask_b32_e32 v5, v9, v5, vcc_lo
	v_and_b32_e32 v2, 7, v2
	v_cndmask_b32_e32 v2, v4, v2, vcc_lo
	v_lshl_add_u32 v4, v5, 23, 0x3b800000
	v_lshlrev_b32_e32 v2, 20, v2
	v_or3_b32 v2, v3, v4, v2
	v_cvt_f16_f32_e32 v2, v2
.LBB28_1170:
	s_or_b32 exec_lo, exec_lo, s13
.LBB28_1171:
	s_mov_b32 s13, -1
.LBB28_1172:
	s_branch .LBB28_1204
.LBB28_1173:
	s_cmp_gt_i32 s6, 22
	s_cbranch_scc0 .LBB28_1183
; %bb.1174:
	s_cmp_lt_i32 s6, 24
	s_cbranch_scc1 .LBB28_1186
; %bb.1175:
	s_cmp_gt_i32 s6, 24
	s_cbranch_scc0 .LBB28_1187
; %bb.1176:
	global_load_ubyte v3, v[0:1], off
	s_mov_b32 s5, exec_lo
	s_waitcnt vmcnt(0)
	v_cmpx_lt_i16_e32 0x7f, v3
	s_xor_b32 s5, exec_lo, s5
	s_cbranch_execz .LBB28_1198
; %bb.1177:
	s_mov_b32 s1, -1
	s_mov_b32 s13, exec_lo
	v_cmpx_eq_u16_e32 0x80, v3
; %bb.1178:
	s_xor_b32 s1, exec_lo, -1
; %bb.1179:
	s_or_b32 exec_lo, exec_lo, s13
	s_and_b32 s1, s1, exec_lo
	s_or_saveexec_b32 s5, s5
	v_mov_b32_e32 v2, 0x7e00
	s_xor_b32 exec_lo, exec_lo, s5
	s_cbranch_execnz .LBB28_1199
.LBB28_1180:
	s_or_b32 exec_lo, exec_lo, s5
	s_and_saveexec_b32 s5, s1
	s_cbranch_execz .LBB28_1182
.LBB28_1181:
	v_and_b32_e32 v2, 0xffff, v3
	v_lshlrev_b32_e32 v3, 24, v3
	v_and_b32_e32 v4, 3, v2
	v_bfe_u32 v9, v2, 2, 5
	v_and_b32_e32 v3, 0x80000000, v3
	v_ffbh_u32_e32 v5, v4
	v_cmp_eq_u32_e32 vcc_lo, 0, v9
	v_min_u32_e32 v5, 32, v5
	v_subrev_nc_u32_e32 v7, 29, v5
	v_sub_nc_u32_e32 v5, 30, v5
	v_lshlrev_b32_e32 v2, v7, v2
	v_cndmask_b32_e32 v5, v9, v5, vcc_lo
	v_and_b32_e32 v2, 3, v2
	v_cndmask_b32_e32 v2, v4, v2, vcc_lo
	v_lshl_add_u32 v4, v5, 23, 0x37800000
	v_lshlrev_b32_e32 v2, 21, v2
	v_or3_b32 v2, v3, v4, v2
	v_cvt_f16_f32_e32 v2, v2
.LBB28_1182:
	s_or_b32 exec_lo, exec_lo, s5
	s_mov_b32 s1, 0
	s_branch .LBB28_1188
.LBB28_1183:
                                        ; implicit-def: $vgpr2
	s_mov_b32 s1, 0
	s_branch .LBB28_1194
.LBB28_1184:
	s_or_saveexec_b32 s13, s13
	v_mov_b32_e32 v2, 0x7e00
	s_xor_b32 exec_lo, exec_lo, s13
	s_cbranch_execz .LBB28_1168
.LBB28_1185:
	v_cmp_ne_u16_e32 vcc_lo, 0, v3
	v_mov_b32_e32 v2, v3
	s_andn2_b32 s5, s5, exec_lo
	s_and_b32 s14, vcc_lo, exec_lo
	s_or_b32 s5, s5, s14
	s_or_b32 exec_lo, exec_lo, s13
	s_and_saveexec_b32 s13, s5
	s_cbranch_execnz .LBB28_1169
	s_branch .LBB28_1170
.LBB28_1186:
	s_mov_b32 s1, -1
                                        ; implicit-def: $vgpr2
	s_branch .LBB28_1191
.LBB28_1187:
	s_mov_b32 s1, -1
                                        ; implicit-def: $vgpr2
.LBB28_1188:
	s_and_b32 vcc_lo, exec_lo, s1
	s_cbranch_vccz .LBB28_1190
; %bb.1189:
	global_load_ubyte v2, v[0:1], off
	s_waitcnt vmcnt(0)
	v_lshlrev_b32_e32 v2, 24, v2
	v_and_b32_e32 v3, 0x7f000000, v2
	v_ffbh_u32_e32 v4, v3
	v_add_nc_u32_e32 v7, 0x1000000, v3
	v_cmp_ne_u32_e32 vcc_lo, 0, v3
	v_min_u32_e32 v4, 32, v4
	v_sub_nc_u32_e64 v4, v4, 4 clamp
	v_lshlrev_b32_e32 v5, v4, v3
	v_lshlrev_b32_e32 v4, 23, v4
	v_lshrrev_b32_e32 v5, 4, v5
	v_sub_nc_u32_e32 v4, v5, v4
	v_ashrrev_i32_e32 v5, 8, v7
	v_add_nc_u32_e32 v4, 0x3c000000, v4
	v_and_or_b32 v4, 0x7f800000, v5, v4
	v_cndmask_b32_e32 v3, 0, v4, vcc_lo
	v_and_or_b32 v2, 0x80000000, v2, v3
	v_cvt_f16_f32_e32 v2, v2
.LBB28_1190:
	s_mov_b32 s1, 0
.LBB28_1191:
	s_andn2_b32 vcc_lo, exec_lo, s1
	s_cbranch_vccnz .LBB28_1193
; %bb.1192:
	global_load_ubyte v2, v[0:1], off
	s_waitcnt vmcnt(0)
	v_lshlrev_b32_e32 v3, 25, v2
	v_lshlrev_b16 v2, 8, v2
	v_lshrrev_b32_e32 v4, 4, v3
	v_and_or_b32 v5, 0x7f00, v2, 0.5
	v_cmp_gt_u32_e32 vcc_lo, 0x8000000, v3
	v_bfe_i32 v2, v2, 0, 16
	v_or_b32_e32 v4, 0x70000000, v4
	v_add_f32_e32 v5, -0.5, v5
	v_mul_f32_e32 v4, 0x7800000, v4
	v_cndmask_b32_e32 v3, v4, v5, vcc_lo
	v_and_or_b32 v2, 0x80000000, v2, v3
	v_cvt_f16_f32_e32 v2, v2
.LBB28_1193:
	s_mov_b32 s13, -1
	s_mov_b32 s1, 0
	s_cbranch_execnz .LBB28_1204
.LBB28_1194:
	s_cmp_gt_i32 s6, 14
	s_cbranch_scc0 .LBB28_1197
; %bb.1195:
	s_cmp_eq_u32 s6, 15
	s_cbranch_scc0 .LBB28_1200
; %bb.1196:
	global_load_ushort v2, v[0:1], off
	s_mov_b32 s0, 0
	s_mov_b32 s13, -1
	s_waitcnt vmcnt(0)
	v_lshlrev_b32_e32 v2, 16, v2
	v_cvt_f16_f32_e32 v2, v2
	s_branch .LBB28_1202
.LBB28_1197:
	s_mov_b32 s1, -1
	s_branch .LBB28_1201
.LBB28_1198:
	s_or_saveexec_b32 s5, s5
	v_mov_b32_e32 v2, 0x7e00
	s_xor_b32 exec_lo, exec_lo, s5
	s_cbranch_execz .LBB28_1180
.LBB28_1199:
	v_cmp_ne_u16_e32 vcc_lo, 0, v3
	v_mov_b32_e32 v2, v3
	s_andn2_b32 s1, s1, exec_lo
	s_and_b32 s13, vcc_lo, exec_lo
	s_or_b32 s1, s1, s13
	s_or_b32 exec_lo, exec_lo, s5
	s_and_saveexec_b32 s5, s1
	s_cbranch_execnz .LBB28_1181
	s_branch .LBB28_1182
.LBB28_1200:
	s_mov_b32 s0, -1
.LBB28_1201:
                                        ; implicit-def: $vgpr2
.LBB28_1202:
	s_and_b32 vcc_lo, exec_lo, s1
	s_mov_b32 s1, 0
	s_cbranch_vccz .LBB28_1204
; %bb.1203:
	s_cmp_lg_u32 s6, 11
	s_mov_b32 s1, -1
	s_cselect_b32 s0, -1, 0
.LBB28_1204:
	s_and_b32 vcc_lo, exec_lo, s0
	s_mov_b32 s5, s12
	s_cbranch_vccnz .LBB28_1289
; %bb.1205:
	s_andn2_b32 vcc_lo, exec_lo, s1
	s_cbranch_vccnz .LBB28_1207
.LBB28_1206:
	global_load_ubyte v2, v[0:1], off
	s_mov_b32 s13, -1
	s_waitcnt vmcnt(0)
	v_cmp_ne_u16_e32 vcc_lo, 0, v2
	v_cndmask_b32_e64 v2, 0, 0x3c00, vcc_lo
.LBB28_1207:
	s_branch .LBB28_1136
.LBB28_1208:
	s_cmp_lt_i32 s6, 5
	s_cbranch_scc1 .LBB28_1213
; %bb.1209:
	s_cmp_lt_i32 s6, 8
	s_cbranch_scc1 .LBB28_1214
; %bb.1210:
	;; [unrolled: 3-line block ×3, first 2 shown]
	s_cmp_gt_i32 s6, 9
	s_cbranch_scc0 .LBB28_1216
; %bb.1212:
	global_load_dwordx2 v[2:3], v[0:1], off
	s_mov_b32 s0, 0
	s_waitcnt vmcnt(0)
	v_and_or_b32 v2, 0x1ff, v3, v2
	v_lshrrev_b32_e32 v4, 8, v3
	v_bfe_u32 v5, v3, 20, 11
	v_lshrrev_b32_e32 v3, 16, v3
	v_cmp_ne_u32_e32 vcc_lo, 0, v2
	v_sub_nc_u32_e32 v7, 0x3f1, v5
	v_add_nc_u32_e32 v5, 0xfffffc10, v5
	v_cndmask_b32_e64 v2, 0, 1, vcc_lo
	v_and_or_b32 v2, 0xffe, v4, v2
	v_med3_i32 v4, v7, 0, 13
	v_or_b32_e32 v7, 0x1000, v2
	v_lshrrev_b32_e32 v9, v4, v7
	v_lshlrev_b32_e32 v4, v4, v9
	v_cmp_ne_u32_e32 vcc_lo, v4, v7
	v_lshl_or_b32 v7, v5, 12, v2
	v_cndmask_b32_e64 v4, 0, 1, vcc_lo
	v_cmp_gt_i32_e32 vcc_lo, 1, v5
	v_or_b32_e32 v4, v9, v4
	v_cndmask_b32_e32 v4, v7, v4, vcc_lo
	v_and_b32_e32 v7, 7, v4
	v_lshrrev_b32_e32 v4, 2, v4
	v_cmp_lt_i32_e32 vcc_lo, 5, v7
	v_cndmask_b32_e64 v9, 0, 1, vcc_lo
	v_cmp_eq_u32_e32 vcc_lo, 3, v7
	v_cndmask_b32_e64 v7, 0, 1, vcc_lo
	v_cmp_ne_u32_e32 vcc_lo, 0, v2
	v_or_b32_e32 v7, v7, v9
	v_mov_b32_e32 v9, 0x7e00
	v_add_nc_u32_e32 v4, v4, v7
	v_cndmask_b32_e32 v2, 0x7c00, v9, vcc_lo
	v_cmp_gt_i32_e32 vcc_lo, 31, v5
	v_cndmask_b32_e32 v4, 0x7c00, v4, vcc_lo
	v_cmp_eq_u32_e32 vcc_lo, 0x40f, v5
	v_cndmask_b32_e32 v2, v4, v2, vcc_lo
	v_and_or_b32 v2, 0x8000, v3, v2
	s_branch .LBB28_1217
.LBB28_1213:
                                        ; implicit-def: $vgpr2
	s_branch .LBB28_1234
.LBB28_1214:
                                        ; implicit-def: $vgpr2
	s_branch .LBB28_1223
.LBB28_1215:
	s_mov_b32 s0, -1
                                        ; implicit-def: $vgpr2
	s_branch .LBB28_1220
.LBB28_1216:
	s_mov_b32 s0, -1
                                        ; implicit-def: $vgpr2
.LBB28_1217:
	s_andn2_b32 vcc_lo, exec_lo, s0
	s_cbranch_vccnz .LBB28_1219
; %bb.1218:
	global_load_dword v2, v[0:1], off
	s_waitcnt vmcnt(0)
	v_cvt_f16_f32_e32 v2, v2
.LBB28_1219:
	s_mov_b32 s0, 0
.LBB28_1220:
	s_andn2_b32 vcc_lo, exec_lo, s0
	s_cbranch_vccnz .LBB28_1222
; %bb.1221:
	global_load_dword v2, v[0:1], off
.LBB28_1222:
	s_cbranch_execnz .LBB28_1233
.LBB28_1223:
	s_cmp_lt_i32 s6, 6
	s_cbranch_scc1 .LBB28_1226
; %bb.1224:
	s_cmp_gt_i32 s6, 6
	s_cbranch_scc0 .LBB28_1227
; %bb.1225:
	global_load_dwordx2 v[2:3], v[0:1], off
	s_mov_b32 s0, 0
	s_waitcnt vmcnt(0)
	v_and_or_b32 v2, 0x1ff, v3, v2
	v_lshrrev_b32_e32 v4, 8, v3
	v_bfe_u32 v5, v3, 20, 11
	v_lshrrev_b32_e32 v3, 16, v3
	v_cmp_ne_u32_e32 vcc_lo, 0, v2
	v_sub_nc_u32_e32 v7, 0x3f1, v5
	v_add_nc_u32_e32 v5, 0xfffffc10, v5
	v_cndmask_b32_e64 v2, 0, 1, vcc_lo
	v_and_or_b32 v2, 0xffe, v4, v2
	v_med3_i32 v4, v7, 0, 13
	v_or_b32_e32 v7, 0x1000, v2
	v_lshrrev_b32_e32 v9, v4, v7
	v_lshlrev_b32_e32 v4, v4, v9
	v_cmp_ne_u32_e32 vcc_lo, v4, v7
	v_lshl_or_b32 v7, v5, 12, v2
	v_cndmask_b32_e64 v4, 0, 1, vcc_lo
	v_cmp_gt_i32_e32 vcc_lo, 1, v5
	v_or_b32_e32 v4, v9, v4
	v_cndmask_b32_e32 v4, v7, v4, vcc_lo
	v_and_b32_e32 v7, 7, v4
	v_lshrrev_b32_e32 v4, 2, v4
	v_cmp_lt_i32_e32 vcc_lo, 5, v7
	v_cndmask_b32_e64 v9, 0, 1, vcc_lo
	v_cmp_eq_u32_e32 vcc_lo, 3, v7
	v_cndmask_b32_e64 v7, 0, 1, vcc_lo
	v_cmp_ne_u32_e32 vcc_lo, 0, v2
	v_or_b32_e32 v7, v7, v9
	v_mov_b32_e32 v9, 0x7e00
	v_add_nc_u32_e32 v4, v4, v7
	v_cndmask_b32_e32 v2, 0x7c00, v9, vcc_lo
	v_cmp_gt_i32_e32 vcc_lo, 31, v5
	v_cndmask_b32_e32 v4, 0x7c00, v4, vcc_lo
	v_cmp_eq_u32_e32 vcc_lo, 0x40f, v5
	v_cndmask_b32_e32 v2, v4, v2, vcc_lo
	v_and_or_b32 v2, 0x8000, v3, v2
	s_branch .LBB28_1228
.LBB28_1226:
	s_mov_b32 s0, -1
                                        ; implicit-def: $vgpr2
	s_branch .LBB28_1231
.LBB28_1227:
	s_mov_b32 s0, -1
                                        ; implicit-def: $vgpr2
.LBB28_1228:
	s_andn2_b32 vcc_lo, exec_lo, s0
	s_cbranch_vccnz .LBB28_1230
; %bb.1229:
	global_load_dword v2, v[0:1], off
	s_waitcnt vmcnt(0)
	v_cvt_f16_f32_e32 v2, v2
.LBB28_1230:
	s_mov_b32 s0, 0
.LBB28_1231:
	s_andn2_b32 vcc_lo, exec_lo, s0
	s_cbranch_vccnz .LBB28_1233
; %bb.1232:
	global_load_ushort v2, v[0:1], off
.LBB28_1233:
	s_cbranch_execnz .LBB28_1252
.LBB28_1234:
	s_cmp_lt_i32 s6, 2
	s_cbranch_scc1 .LBB28_1238
; %bb.1235:
	s_cmp_lt_i32 s6, 3
	s_cbranch_scc1 .LBB28_1239
; %bb.1236:
	s_cmp_gt_i32 s6, 3
	s_cbranch_scc0 .LBB28_1240
; %bb.1237:
	global_load_dwordx2 v[2:3], v[0:1], off
	s_mov_b32 s0, 0
	s_waitcnt vmcnt(0)
	v_xor_b32_e32 v4, v2, v3
	v_ffbh_i32_e32 v5, v3
	v_ashrrev_i32_e32 v4, 31, v4
	v_add_nc_u32_e32 v5, -1, v5
	v_add_nc_u32_e32 v4, 32, v4
	v_min_u32_e32 v4, v5, v4
	v_lshlrev_b64 v[2:3], v4, v[2:3]
	v_min_u32_e32 v2, 1, v2
	v_or_b32_e32 v2, v3, v2
	v_sub_nc_u32_e32 v3, 32, v4
	v_cvt_f32_i32_e32 v2, v2
	v_ldexp_f32 v2, v2, v3
	v_cvt_f16_f32_e32 v2, v2
	s_branch .LBB28_1241
.LBB28_1238:
                                        ; implicit-def: $vgpr2
	s_branch .LBB28_1247
.LBB28_1239:
	s_mov_b32 s0, -1
                                        ; implicit-def: $vgpr2
	s_branch .LBB28_1244
.LBB28_1240:
	s_mov_b32 s0, -1
                                        ; implicit-def: $vgpr2
.LBB28_1241:
	s_andn2_b32 vcc_lo, exec_lo, s0
	s_cbranch_vccnz .LBB28_1243
; %bb.1242:
	global_load_dword v2, v[0:1], off
	s_waitcnt vmcnt(0)
	v_cvt_f32_i32_e32 v2, v2
	v_cvt_f16_f32_e32 v2, v2
.LBB28_1243:
	s_mov_b32 s0, 0
.LBB28_1244:
	s_andn2_b32 vcc_lo, exec_lo, s0
	s_cbranch_vccnz .LBB28_1246
; %bb.1245:
	global_load_ushort v2, v[0:1], off
	s_waitcnt vmcnt(0)
	v_cvt_f16_i16_e32 v2, v2
.LBB28_1246:
	s_cbranch_execnz .LBB28_1252
.LBB28_1247:
	s_cmp_gt_i32 s6, 0
	s_mov_b32 s0, 0
	s_cbranch_scc0 .LBB28_1249
; %bb.1248:
	global_load_sbyte v2, v[0:1], off
	s_waitcnt vmcnt(0)
	v_cvt_f16_i16_e32 v2, v2
	s_branch .LBB28_1250
.LBB28_1249:
	s_mov_b32 s0, -1
                                        ; implicit-def: $vgpr2
.LBB28_1250:
	s_andn2_b32 vcc_lo, exec_lo, s0
	s_cbranch_vccnz .LBB28_1252
; %bb.1251:
	global_load_ubyte v0, v[0:1], off
	s_waitcnt vmcnt(0)
	v_cvt_f16_u16_e32 v2, v0
.LBB28_1252:
.LBB28_1253:
	s_waitcnt vmcnt(0)
	v_cvt_f32_f16_e32 v9, v2
                                        ; implicit-def: $vgpr7
	s_mov_b32 s0, exec_lo
	v_cmpx_neq_f16_e32 0, v2
	s_xor_b32 s13, exec_lo, s0
	s_cbranch_execz .LBB28_1275
; %bb.1254:
	v_mov_b32_e32 v0, 0
	s_mov_b32 s0, -1
	s_mov_b32 s14, exec_lo
	v_cmpx_gt_f16_e32 0, v2
	s_cbranch_execz .LBB28_1262
; %bb.1255:
	v_trunc_f32_e32 v0, v9
	s_mov_b32 s1, 0
	v_cmp_neq_f32_e32 vcc_lo, v0, v9
	v_mov_b32_e32 v0, 0
	s_and_saveexec_b32 s15, vcc_lo
	s_cbranch_execz .LBB28_1261
; %bb.1256:
	v_cvt_f32_f16_e32 v0, v2
	s_mov_b32 s1, 0xc00921fb
	s_mov_b32 s0, 0x54442d18
	s_mov_b32 s16, exec_lo
                                        ; implicit-def: $vgpr7
                                        ; implicit-def: $vgpr4_vgpr5
	v_cvt_f64_f32_e32 v[0:1], v0
	v_trunc_f64_e32 v[2:3], v[0:1]
	v_cmp_neq_f64_e64 vcc_lo, 0x7ff00000, |v[0:1]|
	v_add_f64 v[2:3], v[0:1], -v[2:3]
	v_mul_f64 v[2:3], |v[2:3]|, s[0:1]
	v_cndmask_b32_e32 v1, 0x80000000, v3, vcc_lo
	v_cndmask_b32_e32 v0, 0, v2, vcc_lo
                                        ; implicit-def: $vgpr2_vgpr3
	v_cmpx_ngt_f64_e64 0x41d00000, |v[0:1]|
	s_xor_b32 s16, exec_lo, s16
	s_cbranch_execz .LBB28_1258
; %bb.1257:
	v_ldexp_f64 v[2:3], |v[0:1]|, 0xffffff80
	v_cmp_le_f64_e64 vcc_lo, 0x7b000000, |v[0:1]|
	v_trig_preop_f64 v[4:5], |v[0:1]|, 0
	v_and_b32_e32 v7, 0x7fffffff, v1
	v_trig_preop_f64 v[10:11], |v[0:1]|, 1
	v_trig_preop_f64 v[20:21], |v[0:1]|, 2
	v_mov_b32_e32 v28, 0
	s_mov_b32 s1, 0x3ff921fb
	s_mov_b32 s18, 0x33145c07
	;; [unrolled: 1-line block ×3, first 2 shown]
	v_cndmask_b32_e32 v3, v7, v3, vcc_lo
	v_cndmask_b32_e32 v2, v0, v2, vcc_lo
	v_mul_f64 v[12:13], v[4:5], v[2:3]
	v_mul_f64 v[14:15], v[10:11], v[2:3]
	;; [unrolled: 1-line block ×3, first 2 shown]
	v_fma_f64 v[4:5], v[4:5], v[2:3], -v[12:13]
	v_fma_f64 v[10:11], v[10:11], v[2:3], -v[14:15]
	;; [unrolled: 1-line block ×3, first 2 shown]
	v_add_f64 v[16:17], v[14:15], v[4:5]
	v_add_f64 v[18:19], v[16:17], -v[14:15]
	v_add_f64 v[24:25], v[12:13], v[16:17]
	v_add_f64 v[22:23], v[16:17], -v[18:19]
	v_add_f64 v[4:5], v[4:5], -v[18:19]
	v_ldexp_f64 v[18:19], v[24:25], -2
	v_add_f64 v[12:13], v[24:25], -v[12:13]
	v_add_f64 v[14:15], v[14:15], -v[22:23]
	v_add_f64 v[22:23], v[26:27], v[10:11]
	v_cmp_neq_f64_e64 vcc_lo, 0x7ff00000, |v[18:19]|
	v_add_f64 v[12:13], v[16:17], -v[12:13]
	v_add_f64 v[4:5], v[4:5], v[14:15]
	v_fract_f64_e32 v[14:15], v[18:19]
	v_add_f64 v[16:17], v[22:23], v[4:5]
	v_ldexp_f64 v[14:15], v[14:15], 2
	v_add_f64 v[18:19], v[12:13], v[16:17]
	v_cndmask_b32_e32 v15, 0, v15, vcc_lo
	v_cndmask_b32_e32 v14, 0, v14, vcc_lo
	v_add_f64 v[24:25], v[18:19], v[14:15]
	v_add_f64 v[12:13], v[18:19], -v[12:13]
	v_cmp_gt_f64_e32 vcc_lo, 0, v[24:25]
	v_add_f64 v[24:25], v[22:23], -v[26:27]
	v_add_f64 v[12:13], v[16:17], -v[12:13]
	v_cndmask_b32_e64 v29, 0, 0x40100000, vcc_lo
	v_add_f64 v[33:34], v[22:23], -v[24:25]
	v_add_f64 v[10:11], v[10:11], -v[24:25]
	v_add_f64 v[14:15], v[14:15], v[28:29]
	v_add_f64 v[29:30], v[16:17], -v[22:23]
	v_add_f64 v[24:25], v[26:27], -v[33:34]
	v_add_f64 v[31:32], v[18:19], v[14:15]
	;; [unrolled: 3-line block ×3, first 2 shown]
	v_cvt_i32_f64_e32 v7, v[31:32]
	v_add_f64 v[22:23], v[22:23], -v[35:36]
	v_cvt_f64_i32_e32 v[29:30], v7
	v_add_f64 v[4:5], v[4:5], v[22:23]
	v_add_f64 v[14:15], v[14:15], -v[29:30]
	v_add_f64 v[4:5], v[10:11], v[4:5]
	v_add_f64 v[10:11], v[18:19], v[14:15]
	;; [unrolled: 1-line block ×3, first 2 shown]
	v_add_f64 v[4:5], v[10:11], -v[14:15]
	v_cmp_le_f64_e32 vcc_lo, 0.5, v[10:11]
	v_add_f64 v[2:3], v[12:13], v[2:3]
	v_add_f64 v[4:5], v[18:19], -v[4:5]
	v_cndmask_b32_e64 v29, 0, 0x3ff00000, vcc_lo
	v_add_co_ci_u32_e64 v7, null, 0, v7, vcc_lo
	v_add_f64 v[2:3], v[2:3], v[4:5]
	v_add_f64 v[4:5], v[10:11], -v[28:29]
	v_add_f64 v[10:11], v[4:5], v[2:3]
	v_mul_f64 v[12:13], v[10:11], s[0:1]
	v_add_f64 v[4:5], v[10:11], -v[4:5]
	v_fma_f64 v[14:15], v[10:11], s[0:1], -v[12:13]
	v_add_f64 v[2:3], v[2:3], -v[4:5]
	v_fma_f64 v[4:5], v[10:11], s[18:19], v[14:15]
	v_fma_f64 v[4:5], v[2:3], s[0:1], v[4:5]
	v_add_f64 v[2:3], v[12:13], v[4:5]
	v_add_f64 v[10:11], v[2:3], -v[12:13]
	v_add_f64 v[4:5], v[4:5], -v[10:11]
.LBB28_1258:
	s_andn2_saveexec_b32 s0, s16
	s_cbranch_execz .LBB28_1260
; %bb.1259:
	s_mov_b32 s16, 0x6dc9c883
	s_mov_b32 s17, 0x3fe45f30
	;; [unrolled: 1-line block ×3, first 2 shown]
	v_mul_f64 v[2:3], |v[0:1]|, s[16:17]
	s_mov_b32 s16, 0x54442d18
	s_mov_b32 s17, 0xbff921fb
	;; [unrolled: 1-line block ×3, first 2 shown]
	v_rndne_f64_e32 v[10:11], v[2:3]
	v_fma_f64 v[2:3], v[10:11], s[16:17], |v[0:1]|
	v_mul_f64 v[4:5], v[10:11], s[18:19]
	s_mov_b32 s16, 0x252049c0
	s_mov_b32 s17, 0xb97b839a
	v_cvt_i32_f64_e32 v7, v[10:11]
	v_fma_f64 v[14:15], v[10:11], s[18:19], v[2:3]
	v_add_f64 v[12:13], v[2:3], v[4:5]
	s_mov_b32 s19, 0x3c91a626
	v_add_f64 v[2:3], v[2:3], -v[12:13]
	v_add_f64 v[12:13], v[12:13], -v[14:15]
	v_add_f64 v[2:3], v[2:3], v[4:5]
	v_fma_f64 v[4:5], v[10:11], s[18:19], v[4:5]
	v_add_f64 v[2:3], v[12:13], v[2:3]
	v_add_f64 v[2:3], v[2:3], -v[4:5]
	v_fma_f64 v[4:5], v[10:11], s[16:17], v[2:3]
	v_add_f64 v[2:3], v[14:15], v[4:5]
	v_add_f64 v[12:13], v[2:3], -v[14:15]
	v_add_f64 v[4:5], v[4:5], -v[12:13]
.LBB28_1260:
	s_or_b32 exec_lo, exec_lo, s0
	v_mul_f64 v[10:11], v[2:3], v[2:3]
	v_add_f64 v[12:13], v[4:5], v[4:5]
	s_mov_b32 s16, 0xa9a29f71
	s_mov_b32 s18, 0xc751c08c
	s_mov_b32 s17, 0xbf078809
	s_mov_b32 s19, 0x3ef5e089
	v_cmp_class_f64_e64 s0, v[0:1], 0x1f8
	v_and_b32_e32 v7, 1, v7
	v_and_b32_e32 v1, 0x80000000, v1
	v_sub_f32_e32 v9, 1.0, v9
	s_mov_b32 s1, exec_lo
	v_cmp_eq_u32_e32 vcc_lo, 0, v7
	v_fma_f64 v[14:15], v[2:3], v[2:3], -v[10:11]
	v_fma_f64 v[12:13], v[2:3], v[12:13], v[14:15]
	v_add_f64 v[10:11], v[10:11], v[12:13]
	v_fma_f64 v[12:13], v[10:11], s[18:19], s[16:17]
	s_mov_b32 s16, 0x90a8aae0
	s_mov_b32 s17, 0x3f17746f
	v_fma_f64 v[12:13], v[10:11], v[12:13], s[16:17]
	s_mov_b32 s16, 0xa6fbf144
	s_mov_b32 s17, 0xbefbb44d
	;; [unrolled: 3-line block ×13, first 2 shown]
	v_mul_f64 v[10:11], v[10:11], v[12:13]
	v_mul_f64 v[12:13], v[2:3], v[10:11]
	v_add_f64 v[14:15], v[2:3], v[12:13]
	v_fma_f64 v[10:11], v[2:3], v[10:11], -v[12:13]
	v_add_f64 v[2:3], v[14:15], -v[2:3]
	v_add_f64 v[4:5], v[4:5], v[10:11]
	v_add_f64 v[2:3], v[12:13], -v[2:3]
	v_add_f64 v[2:3], v[4:5], v[2:3]
	v_add_f64 v[4:5], v[14:15], v[2:3]
	v_rcp_f64_e32 v[10:11], v[4:5]
	v_fma_f64 v[12:13], -v[4:5], v[10:11], 1.0
	v_fma_f64 v[10:11], v[12:13], v[10:11], v[10:11]
	v_fma_f64 v[12:13], -v[4:5], v[10:11], 1.0
	v_fma_f64 v[10:11], v[12:13], v[10:11], v[10:11]
	v_add_f64 v[12:13], v[4:5], -v[14:15]
	v_mul_f64 v[14:15], v[4:5], v[10:11]
	v_add_f64 v[2:3], v[2:3], -v[12:13]
	v_fma_f64 v[12:13], v[10:11], v[4:5], -v[14:15]
	v_fma_f64 v[2:3], v[10:11], v[2:3], v[12:13]
	v_add_f64 v[12:13], v[14:15], v[2:3]
	v_add_f64 v[16:17], -v[12:13], 1.0
	v_add_f64 v[14:15], v[12:13], -v[14:15]
	v_add_f64 v[18:19], -v[16:17], 1.0
	v_add_f64 v[2:3], v[14:15], -v[2:3]
	v_add_f64 v[12:13], v[18:19], -v[12:13]
	v_add_f64 v[2:3], v[2:3], v[12:13]
	v_add_f64 v[2:3], v[16:17], v[2:3]
	v_mul_f64 v[2:3], v[10:11], v[2:3]
	v_add_f64 v[2:3], v[10:11], v[2:3]
	v_xor_b32_e32 v0, 0x80000000, v3
	v_cndmask_b32_e32 v2, v2, v4, vcc_lo
	v_cndmask_b32_e32 v0, v0, v5, vcc_lo
	v_xor_b32_e32 v1, v0, v1
	v_cndmask_b32_e64 v0, 0, v2, s0
	v_cndmask_b32_e64 v1, 0x7ff80000, v1, s0
	v_div_scale_f64 v[2:3], null, v[0:1], v[0:1], s[16:17]
	v_rcp_f64_e32 v[4:5], v[2:3]
	v_fma_f64 v[10:11], -v[2:3], v[4:5], 1.0
	v_fma_f64 v[4:5], v[4:5], v[10:11], v[4:5]
	v_fma_f64 v[10:11], -v[2:3], v[4:5], 1.0
	v_fma_f64 v[4:5], v[4:5], v[10:11], v[4:5]
	v_div_scale_f64 v[10:11], vcc_lo, s[16:17], v[0:1], s[16:17]
	v_mul_f64 v[12:13], v[10:11], v[4:5]
	v_fma_f64 v[2:3], -v[2:3], v[12:13], v[10:11]
	v_div_fmas_f64 v[2:3], v[2:3], v[4:5], v[12:13]
	v_div_fixup_f64 v[0:1], v[2:3], v[0:1], s[16:17]
	v_cvt_f32_f64_e32 v0, v[0:1]
.LBB28_1261:
	s_or_b32 exec_lo, exec_lo, s15
	s_orn2_b32 s0, s1, exec_lo
.LBB28_1262:
	s_or_b32 exec_lo, exec_lo, s14
	v_mov_b32_e32 v7, 0x7e00
	s_and_saveexec_b32 s14, s0
	s_cbranch_execz .LBB28_1274
; %bb.1263:
	s_mov_b32 s0, exec_lo
	v_cmpx_gt_f32_e32 0x41200000, v9
	s_cbranch_execz .LBB28_1267
; %bb.1264:
	s_mov_b32 s1, 0
	.p2align	6
.LBB28_1265:                            ; =>This Inner Loop Header: Depth=1
	v_div_scale_f32 v1, null, v9, v9, 1.0
	v_div_scale_f32 v4, vcc_lo, 1.0, v9, 1.0
	v_rcp_f32_e32 v2, v1
	v_fma_f32 v3, -v1, v2, 1.0
	v_fmac_f32_e32 v2, v3, v2
	v_mul_f32_e32 v3, v4, v2
	v_fma_f32 v5, -v1, v3, v4
	v_fmac_f32_e32 v3, v5, v2
	v_fma_f32 v1, -v1, v3, v4
	v_div_fmas_f32 v1, v1, v2, v3
	v_div_fixup_f32 v1, v1, v9, 1.0
	v_add_f32_e32 v9, 1.0, v9
	v_sub_f32_e32 v0, v0, v1
	v_cmp_ngt_f32_e32 vcc_lo, 0x41200000, v9
	s_or_b32 s1, vcc_lo, s1
	s_andn2_b32 exec_lo, exec_lo, s1
	s_cbranch_execnz .LBB28_1265
; %bb.1266:
	s_or_b32 exec_lo, exec_lo, s1
.LBB28_1267:
	s_or_b32 exec_lo, exec_lo, s0
                                        ; implicit-def: $vgpr7
	s_mov_b32 s0, exec_lo
	v_cmpx_neq_f32_e32 0x41200000, v9
	s_xor_b32 s15, exec_lo, s0
	s_cbranch_execz .LBB28_1271
; %bb.1268:
	v_cvt_f64_f32_e32 v[1:2], v9
	s_mov_b32 s0, 0x85d8a000
	s_mov_b32 s1, 0x43763457
	v_cmp_gt_f64_e32 vcc_lo, s[0:1], v[1:2]
	v_mov_b32_e32 v1, 0
	s_and_saveexec_b32 s0, vcc_lo
	s_cbranch_execz .LBB28_1270
; %bb.1269:
	v_mul_f32_e32 v1, v9, v9
	v_div_scale_f32 v2, null, v1, v1, 1.0
	v_rcp_f32_e32 v3, v2
	v_fma_f32 v4, -v2, v3, 1.0
	v_fmac_f32_e32 v3, v4, v3
	v_div_scale_f32 v4, vcc_lo, 1.0, v1, 1.0
	v_mul_f32_e32 v5, v4, v3
	v_fma_f32 v7, -v2, v5, v4
	v_fmac_f32_e32 v5, v7, v3
	v_fma_f32 v2, -v2, v5, v4
	v_div_fmas_f32 v2, v2, v3, v5
	v_div_fixup_f32 v1, v2, v1, 1.0
	v_fmaak_f32 v2, 0, v1, 0x3daaaaab
	v_fmaak_f32 v2, v1, v2, 0xbcaccacd
	;; [unrolled: 1-line block ×7, first 2 shown]
	v_mul_f32_e32 v1, v1, v2
.LBB28_1270:
	s_or_b32 exec_lo, exec_lo, s0
	v_cmp_gt_f32_e32 vcc_lo, 0x800000, v9
	v_div_scale_f32 v2, null, v9, v9, -0.5
	v_div_scale_f32 v7, s0, -0.5, v9, -0.5
	v_cndmask_b32_e64 v3, 0, 32, vcc_lo
	v_rcp_f32_e32 v4, v2
	v_ldexp_f32 v3, v9, v3
	v_log_f32_e32 v3, v3
	v_fma_f32 v5, -v2, v4, 1.0
	v_fmac_f32_e32 v4, v5, v4
	v_mul_f32_e32 v5, 0x3f317217, v3
	v_mul_f32_e32 v10, v7, v4
	v_cmp_gt_f32_e64 s1, 0x7f800000, |v3|
	v_fma_f32 v5, 0x3f317217, v3, -v5
	v_fma_f32 v11, -v2, v10, v7
	v_fmamk_f32 v5, v3, 0x3377d1cf, v5
	v_fmac_f32_e32 v10, v11, v4
	v_fmac_f32_e32 v5, 0x3f317217, v3
	v_fma_f32 v2, -v2, v10, v7
	v_cndmask_b32_e64 v3, v3, v5, s1
	v_cndmask_b32_e64 v5, 0, 0x41b17218, vcc_lo
	s_mov_b32 vcc_lo, s0
	v_div_fmas_f32 v2, v2, v4, v10
	v_sub_f32_e32 v3, v3, v5
	v_div_fixup_f32 v2, v2, v9, -0.5
	v_add_f32_e32 v2, v3, v2
	v_sub_f32_e32 v1, v2, v1
	v_add_f32_e32 v0, v0, v1
	v_cvt_f16_f32_e32 v7, v0
                                        ; implicit-def: $vgpr0
.LBB28_1271:
	s_andn2_saveexec_b32 s0, s15
; %bb.1272:
	v_add_f32_e32 v0, 0x40101cb7, v0
	v_cvt_f16_f32_e32 v7, v0
; %bb.1273:
	s_or_b32 exec_lo, exec_lo, s0
.LBB28_1274:
	s_or_b32 exec_lo, exec_lo, s14
                                        ; implicit-def: $vgpr9
.LBB28_1275:
	s_andn2_saveexec_b32 s0, s13
; %bb.1276:
	v_xor_b32_e32 v0, 0x80000000, v9
	v_mov_b32_e32 v1, 0xffff8000
	v_and_b32_sdwa v0, v0, v1 dst_sel:DWORD dst_unused:UNUSED_PAD src0_sel:WORD_1 src1_sel:DWORD
	v_or_b32_e32 v7, 0x7c00, v0
; %bb.1277:
	s_or_b32 exec_lo, exec_lo, s0
	s_lshl_b32 s3, s3, 7
	s_cmp_lt_i32 s6, 11
	v_add_nc_u32_e32 v9, s3, v8
	v_ashrrev_i32_e32 v1, 31, v9
	v_add_co_u32 v0, vcc_lo, s10, v9
	v_add_co_ci_u32_e64 v1, null, s11, v1, vcc_lo
	s_cbranch_scc1 .LBB28_1284
; %bb.1278:
	s_cmp_gt_i32 s6, 25
	s_mov_b32 s1, 0
	s_cbranch_scc0 .LBB28_1286
; %bb.1279:
	s_cmp_gt_i32 s6, 28
	s_cbranch_scc0 .LBB28_1287
; %bb.1280:
	s_cmp_gt_i32 s6, 43
	;; [unrolled: 3-line block ×3, first 2 shown]
	s_cbranch_scc0 .LBB28_1290
; %bb.1282:
	s_cmp_eq_u32 s6, 46
	s_mov_b32 s14, 0
	s_cbranch_scc0 .LBB28_1293
; %bb.1283:
	global_load_dword v2, v[0:1], off
	s_mov_b32 s0, 0
	s_mov_b32 s13, -1
	s_waitcnt vmcnt(0)
	v_lshlrev_b32_e32 v2, 16, v2
	v_cvt_f16_f32_e32 v2, v2
	s_branch .LBB28_1295
.LBB28_1284:
	s_mov_b32 s13, 0
                                        ; implicit-def: $vgpr2
	s_cbranch_execnz .LBB28_1360
.LBB28_1285:
	s_andn2_b32 vcc_lo, exec_lo, s13
	s_cbranch_vccnz .LBB28_1818
	s_branch .LBB28_1407
.LBB28_1286:
	s_mov_b32 s13, 0
	s_mov_b32 s0, 0
                                        ; implicit-def: $vgpr2
	s_cbranch_execnz .LBB28_1324
	s_branch .LBB28_1356
.LBB28_1287:
	s_mov_b32 s14, -1
	s_mov_b32 s13, 0
	s_mov_b32 s0, 0
                                        ; implicit-def: $vgpr2
	s_branch .LBB28_1305
.LBB28_1288:
	s_mov_b32 s14, -1
	s_mov_b32 s13, 0
	s_mov_b32 s0, 0
                                        ; implicit-def: $vgpr2
	s_branch .LBB28_1300
.LBB28_1289:
	s_or_b32 s5, s12, exec_lo
	s_trap 2
	s_cbranch_execz .LBB28_1206
	s_branch .LBB28_1207
.LBB28_1290:
	s_mov_b32 s14, -1
	s_mov_b32 s13, 0
	s_mov_b32 s0, 0
	s_branch .LBB28_1294
.LBB28_1291:
	s_andn2_saveexec_b32 s19, s19
	s_cbranch_execz .LBB28_1052
.LBB28_1292:
	v_add_f32_e64 v4, 0x42800000, |v3|
	s_andn2_b32 s18, s18, exec_lo
	v_and_b32_e32 v4, 0xff, v4
	v_cmp_ne_u32_e32 vcc_lo, 0, v4
	s_and_b32 s20, vcc_lo, exec_lo
	s_or_b32 s18, s18, s20
	s_or_b32 exec_lo, exec_lo, s19
	v_mov_b32_e32 v5, 0
	s_and_saveexec_b32 s19, s18
	s_cbranch_execnz .LBB28_1053
	s_branch .LBB28_1054
.LBB28_1293:
	s_mov_b32 s0, -1
	s_mov_b32 s13, 0
.LBB28_1294:
                                        ; implicit-def: $vgpr2
.LBB28_1295:
	s_and_b32 vcc_lo, exec_lo, s14
	s_cbranch_vccz .LBB28_1299
; %bb.1296:
	s_cmp_eq_u32 s6, 44
	s_cbranch_scc0 .LBB28_1298
; %bb.1297:
	global_load_ubyte v2, v[0:1], off
	s_mov_b32 s0, 0
	s_mov_b32 s13, -1
	s_waitcnt vmcnt(0)
	v_lshlrev_b32_e32 v3, 23, v2
	v_cmp_ne_u32_e32 vcc_lo, 0xff, v2
	v_cvt_f16_f32_e32 v3, v3
	v_cndmask_b32_e32 v3, 0x7e00, v3, vcc_lo
	v_cmp_ne_u32_e32 vcc_lo, 0, v2
	v_cndmask_b32_e32 v2, 0, v3, vcc_lo
	s_branch .LBB28_1299
.LBB28_1298:
	s_mov_b32 s0, -1
                                        ; implicit-def: $vgpr2
.LBB28_1299:
	s_mov_b32 s14, 0
.LBB28_1300:
	s_and_b32 vcc_lo, exec_lo, s14
	s_cbranch_vccz .LBB28_1304
; %bb.1301:
	s_cmp_eq_u32 s6, 29
	s_cbranch_scc0 .LBB28_1303
; %bb.1302:
	global_load_dwordx2 v[2:3], v[0:1], off
	s_mov_b32 s0, 0
	s_mov_b32 s13, -1
	s_mov_b32 s14, 0
	s_waitcnt vmcnt(0)
	v_ffbh_u32_e32 v4, v3
	v_min_u32_e32 v4, 32, v4
	v_lshlrev_b64 v[2:3], v4, v[2:3]
	v_min_u32_e32 v2, 1, v2
	v_or_b32_e32 v2, v3, v2
	v_sub_nc_u32_e32 v3, 32, v4
	v_cvt_f32_u32_e32 v2, v2
	v_ldexp_f32 v2, v2, v3
	v_cvt_f16_f32_e32 v2, v2
	s_branch .LBB28_1305
.LBB28_1303:
	s_mov_b32 s0, -1
                                        ; implicit-def: $vgpr2
.LBB28_1304:
	s_mov_b32 s14, 0
.LBB28_1305:
	s_and_b32 vcc_lo, exec_lo, s14
	s_cbranch_vccz .LBB28_1323
; %bb.1306:
	s_cmp_lt_i32 s6, 27
	s_cbranch_scc1 .LBB28_1309
; %bb.1307:
	s_cmp_gt_i32 s6, 27
	s_cbranch_scc0 .LBB28_1310
; %bb.1308:
	global_load_dword v2, v[0:1], off
	s_mov_b32 s13, 0
	s_waitcnt vmcnt(0)
	v_cvt_f32_u32_e32 v2, v2
	v_cvt_f16_f32_e32 v2, v2
	s_branch .LBB28_1311
.LBB28_1309:
	s_mov_b32 s13, -1
                                        ; implicit-def: $vgpr2
	s_branch .LBB28_1314
.LBB28_1310:
	s_mov_b32 s13, -1
                                        ; implicit-def: $vgpr2
.LBB28_1311:
	s_andn2_b32 vcc_lo, exec_lo, s13
	s_cbranch_vccnz .LBB28_1313
; %bb.1312:
	global_load_ushort v2, v[0:1], off
	s_waitcnt vmcnt(0)
	v_cvt_f16_u16_e32 v2, v2
.LBB28_1313:
	s_mov_b32 s13, 0
.LBB28_1314:
	s_andn2_b32 vcc_lo, exec_lo, s13
	s_cbranch_vccnz .LBB28_1322
; %bb.1315:
	global_load_ubyte v3, v[0:1], off
	s_mov_b32 s13, 0
	s_mov_b32 s14, exec_lo
	s_waitcnt vmcnt(0)
	v_cmpx_lt_i16_e32 0x7f, v3
	s_xor_b32 s14, exec_lo, s14
	s_cbranch_execz .LBB28_1335
; %bb.1316:
	s_mov_b32 s13, -1
	s_mov_b32 s15, exec_lo
	v_cmpx_eq_u16_e32 0x80, v3
; %bb.1317:
	s_xor_b32 s13, exec_lo, -1
; %bb.1318:
	s_or_b32 exec_lo, exec_lo, s15
	s_and_b32 s13, s13, exec_lo
	s_or_saveexec_b32 s14, s14
	v_mov_b32_e32 v2, 0x7e00
	s_xor_b32 exec_lo, exec_lo, s14
	s_cbranch_execnz .LBB28_1336
.LBB28_1319:
	s_or_b32 exec_lo, exec_lo, s14
	s_and_saveexec_b32 s14, s13
	s_cbranch_execz .LBB28_1321
.LBB28_1320:
	v_and_b32_e32 v2, 0xffff, v3
	v_lshlrev_b32_e32 v3, 24, v3
	v_and_b32_e32 v4, 7, v2
	v_bfe_u32 v10, v2, 3, 4
	v_and_b32_e32 v3, 0x80000000, v3
	v_ffbh_u32_e32 v5, v4
	v_cmp_eq_u32_e32 vcc_lo, 0, v10
	v_min_u32_e32 v5, 32, v5
	v_subrev_nc_u32_e32 v8, 28, v5
	v_sub_nc_u32_e32 v5, 29, v5
	v_lshlrev_b32_e32 v2, v8, v2
	v_cndmask_b32_e32 v5, v10, v5, vcc_lo
	v_and_b32_e32 v2, 7, v2
	v_cndmask_b32_e32 v2, v4, v2, vcc_lo
	v_lshl_add_u32 v4, v5, 23, 0x3b800000
	v_lshlrev_b32_e32 v2, 20, v2
	v_or3_b32 v2, v3, v4, v2
	v_cvt_f16_f32_e32 v2, v2
.LBB28_1321:
	s_or_b32 exec_lo, exec_lo, s14
.LBB28_1322:
	s_mov_b32 s13, -1
.LBB28_1323:
	s_branch .LBB28_1356
.LBB28_1324:
	s_cmp_gt_i32 s6, 22
	s_cbranch_scc0 .LBB28_1334
; %bb.1325:
	s_cmp_lt_i32 s6, 24
	s_cbranch_scc1 .LBB28_1337
; %bb.1326:
	s_cmp_gt_i32 s6, 24
	s_cbranch_scc0 .LBB28_1338
; %bb.1327:
	global_load_ubyte v3, v[0:1], off
	s_mov_b32 s13, exec_lo
	s_waitcnt vmcnt(0)
	v_cmpx_lt_i16_e32 0x7f, v3
	s_xor_b32 s13, exec_lo, s13
	s_cbranch_execz .LBB28_1350
; %bb.1328:
	s_mov_b32 s1, -1
	s_mov_b32 s14, exec_lo
	v_cmpx_eq_u16_e32 0x80, v3
; %bb.1329:
	s_xor_b32 s1, exec_lo, -1
; %bb.1330:
	s_or_b32 exec_lo, exec_lo, s14
	s_and_b32 s1, s1, exec_lo
	s_or_saveexec_b32 s13, s13
	v_mov_b32_e32 v2, 0x7e00
	s_xor_b32 exec_lo, exec_lo, s13
	s_cbranch_execnz .LBB28_1351
.LBB28_1331:
	s_or_b32 exec_lo, exec_lo, s13
	s_and_saveexec_b32 s13, s1
	s_cbranch_execz .LBB28_1333
.LBB28_1332:
	v_and_b32_e32 v2, 0xffff, v3
	v_lshlrev_b32_e32 v3, 24, v3
	v_and_b32_e32 v4, 3, v2
	v_bfe_u32 v10, v2, 2, 5
	v_and_b32_e32 v3, 0x80000000, v3
	v_ffbh_u32_e32 v5, v4
	v_cmp_eq_u32_e32 vcc_lo, 0, v10
	v_min_u32_e32 v5, 32, v5
	v_subrev_nc_u32_e32 v8, 29, v5
	v_sub_nc_u32_e32 v5, 30, v5
	v_lshlrev_b32_e32 v2, v8, v2
	v_cndmask_b32_e32 v5, v10, v5, vcc_lo
	v_and_b32_e32 v2, 3, v2
	v_cndmask_b32_e32 v2, v4, v2, vcc_lo
	v_lshl_add_u32 v4, v5, 23, 0x37800000
	v_lshlrev_b32_e32 v2, 21, v2
	v_or3_b32 v2, v3, v4, v2
	v_cvt_f16_f32_e32 v2, v2
.LBB28_1333:
	s_or_b32 exec_lo, exec_lo, s13
	s_mov_b32 s1, 0
	s_branch .LBB28_1339
.LBB28_1334:
	s_mov_b32 s1, -1
                                        ; implicit-def: $vgpr2
	s_branch .LBB28_1345
.LBB28_1335:
	s_or_saveexec_b32 s14, s14
	v_mov_b32_e32 v2, 0x7e00
	s_xor_b32 exec_lo, exec_lo, s14
	s_cbranch_execz .LBB28_1319
.LBB28_1336:
	v_cmp_ne_u16_e32 vcc_lo, 0, v3
	v_mov_b32_e32 v2, v3
	s_andn2_b32 s13, s13, exec_lo
	s_and_b32 s15, vcc_lo, exec_lo
	s_or_b32 s13, s13, s15
	s_or_b32 exec_lo, exec_lo, s14
	s_and_saveexec_b32 s14, s13
	s_cbranch_execnz .LBB28_1320
	s_branch .LBB28_1321
.LBB28_1337:
	s_mov_b32 s1, -1
                                        ; implicit-def: $vgpr2
	s_branch .LBB28_1342
.LBB28_1338:
	s_mov_b32 s1, -1
                                        ; implicit-def: $vgpr2
.LBB28_1339:
	s_and_b32 vcc_lo, exec_lo, s1
	s_cbranch_vccz .LBB28_1341
; %bb.1340:
	global_load_ubyte v2, v[0:1], off
	s_waitcnt vmcnt(0)
	v_lshlrev_b32_e32 v2, 24, v2
	v_and_b32_e32 v3, 0x7f000000, v2
	v_ffbh_u32_e32 v4, v3
	v_add_nc_u32_e32 v8, 0x1000000, v3
	v_cmp_ne_u32_e32 vcc_lo, 0, v3
	v_min_u32_e32 v4, 32, v4
	v_sub_nc_u32_e64 v4, v4, 4 clamp
	v_lshlrev_b32_e32 v5, v4, v3
	v_lshlrev_b32_e32 v4, 23, v4
	v_lshrrev_b32_e32 v5, 4, v5
	v_sub_nc_u32_e32 v4, v5, v4
	v_ashrrev_i32_e32 v5, 8, v8
	v_add_nc_u32_e32 v4, 0x3c000000, v4
	v_and_or_b32 v4, 0x7f800000, v5, v4
	v_cndmask_b32_e32 v3, 0, v4, vcc_lo
	v_and_or_b32 v2, 0x80000000, v2, v3
	v_cvt_f16_f32_e32 v2, v2
.LBB28_1341:
	s_mov_b32 s1, 0
.LBB28_1342:
	s_andn2_b32 vcc_lo, exec_lo, s1
	s_cbranch_vccnz .LBB28_1344
; %bb.1343:
	global_load_ubyte v2, v[0:1], off
	s_waitcnt vmcnt(0)
	v_lshlrev_b32_e32 v3, 25, v2
	v_lshlrev_b16 v2, 8, v2
	v_lshrrev_b32_e32 v4, 4, v3
	v_and_or_b32 v5, 0x7f00, v2, 0.5
	v_cmp_gt_u32_e32 vcc_lo, 0x8000000, v3
	v_bfe_i32 v2, v2, 0, 16
	v_or_b32_e32 v4, 0x70000000, v4
	v_add_f32_e32 v5, -0.5, v5
	v_mul_f32_e32 v4, 0x7800000, v4
	v_cndmask_b32_e32 v3, v4, v5, vcc_lo
	v_and_or_b32 v2, 0x80000000, v2, v3
	v_cvt_f16_f32_e32 v2, v2
.LBB28_1344:
	s_mov_b32 s1, 0
	s_mov_b32 s13, -1
.LBB28_1345:
	s_andn2_b32 vcc_lo, exec_lo, s1
	s_mov_b32 s1, 0
	s_cbranch_vccnz .LBB28_1356
; %bb.1346:
	s_cmp_gt_i32 s6, 14
	s_cbranch_scc0 .LBB28_1349
; %bb.1347:
	s_cmp_eq_u32 s6, 15
	s_cbranch_scc0 .LBB28_1352
; %bb.1348:
	global_load_ushort v2, v[0:1], off
	s_mov_b32 s0, 0
	s_mov_b32 s13, -1
	s_waitcnt vmcnt(0)
	v_lshlrev_b32_e32 v2, 16, v2
	v_cvt_f16_f32_e32 v2, v2
	s_branch .LBB28_1354
.LBB28_1349:
	s_mov_b32 s1, -1
	s_branch .LBB28_1353
.LBB28_1350:
	s_or_saveexec_b32 s13, s13
	v_mov_b32_e32 v2, 0x7e00
	s_xor_b32 exec_lo, exec_lo, s13
	s_cbranch_execz .LBB28_1331
.LBB28_1351:
	v_cmp_ne_u16_e32 vcc_lo, 0, v3
	v_mov_b32_e32 v2, v3
	s_andn2_b32 s1, s1, exec_lo
	s_and_b32 s14, vcc_lo, exec_lo
	s_or_b32 s1, s1, s14
	s_or_b32 exec_lo, exec_lo, s13
	s_and_saveexec_b32 s13, s1
	s_cbranch_execnz .LBB28_1332
	s_branch .LBB28_1333
.LBB28_1352:
	s_mov_b32 s0, -1
.LBB28_1353:
                                        ; implicit-def: $vgpr2
.LBB28_1354:
	s_and_b32 vcc_lo, exec_lo, s1
	s_mov_b32 s1, 0
	s_cbranch_vccz .LBB28_1356
; %bb.1355:
	s_cmp_lg_u32 s6, 11
	s_mov_b32 s1, -1
	s_cselect_b32 s0, -1, 0
.LBB28_1356:
	s_and_b32 vcc_lo, exec_lo, s0
	s_cbranch_vccnz .LBB28_1443
; %bb.1357:
	s_andn2_b32 vcc_lo, exec_lo, s1
	s_cbranch_vccnz .LBB28_1359
.LBB28_1358:
	global_load_ubyte v2, v[0:1], off
	s_mov_b32 s13, -1
	s_waitcnt vmcnt(0)
	v_cmp_ne_u16_e32 vcc_lo, 0, v2
	v_cndmask_b32_e64 v2, 0, 0x3c00, vcc_lo
.LBB28_1359:
	s_branch .LBB28_1285
.LBB28_1360:
	s_cmp_lt_i32 s6, 5
	s_cbranch_scc1 .LBB28_1365
; %bb.1361:
	s_cmp_lt_i32 s6, 8
	s_cbranch_scc1 .LBB28_1366
; %bb.1362:
	;; [unrolled: 3-line block ×3, first 2 shown]
	s_cmp_gt_i32 s6, 9
	s_cbranch_scc0 .LBB28_1368
; %bb.1364:
	global_load_dwordx2 v[2:3], v[0:1], off
	s_mov_b32 s0, 0
	s_waitcnt vmcnt(0)
	v_and_or_b32 v2, 0x1ff, v3, v2
	v_lshrrev_b32_e32 v4, 8, v3
	v_bfe_u32 v5, v3, 20, 11
	v_lshrrev_b32_e32 v3, 16, v3
	v_cmp_ne_u32_e32 vcc_lo, 0, v2
	v_sub_nc_u32_e32 v8, 0x3f1, v5
	v_add_nc_u32_e32 v5, 0xfffffc10, v5
	v_cndmask_b32_e64 v2, 0, 1, vcc_lo
	v_and_or_b32 v2, 0xffe, v4, v2
	v_med3_i32 v4, v8, 0, 13
	v_or_b32_e32 v8, 0x1000, v2
	v_lshrrev_b32_e32 v10, v4, v8
	v_lshlrev_b32_e32 v4, v4, v10
	v_cmp_ne_u32_e32 vcc_lo, v4, v8
	v_lshl_or_b32 v8, v5, 12, v2
	v_cndmask_b32_e64 v4, 0, 1, vcc_lo
	v_cmp_gt_i32_e32 vcc_lo, 1, v5
	v_or_b32_e32 v4, v10, v4
	v_cndmask_b32_e32 v4, v8, v4, vcc_lo
	v_and_b32_e32 v8, 7, v4
	v_lshrrev_b32_e32 v4, 2, v4
	v_cmp_lt_i32_e32 vcc_lo, 5, v8
	v_cndmask_b32_e64 v10, 0, 1, vcc_lo
	v_cmp_eq_u32_e32 vcc_lo, 3, v8
	v_cndmask_b32_e64 v8, 0, 1, vcc_lo
	v_cmp_ne_u32_e32 vcc_lo, 0, v2
	v_or_b32_e32 v8, v8, v10
	v_mov_b32_e32 v10, 0x7e00
	v_add_nc_u32_e32 v4, v4, v8
	v_cndmask_b32_e32 v2, 0x7c00, v10, vcc_lo
	v_cmp_gt_i32_e32 vcc_lo, 31, v5
	v_cndmask_b32_e32 v4, 0x7c00, v4, vcc_lo
	v_cmp_eq_u32_e32 vcc_lo, 0x40f, v5
	v_cndmask_b32_e32 v2, v4, v2, vcc_lo
	v_and_or_b32 v2, 0x8000, v3, v2
	s_branch .LBB28_1369
.LBB28_1365:
                                        ; implicit-def: $vgpr2
	s_branch .LBB28_1387
.LBB28_1366:
	s_mov_b32 s0, -1
                                        ; implicit-def: $vgpr2
	s_branch .LBB28_1375
.LBB28_1367:
	s_mov_b32 s0, -1
                                        ; implicit-def: $vgpr2
	s_branch .LBB28_1372
.LBB28_1368:
	s_mov_b32 s0, -1
                                        ; implicit-def: $vgpr2
.LBB28_1369:
	s_andn2_b32 vcc_lo, exec_lo, s0
	s_cbranch_vccnz .LBB28_1371
; %bb.1370:
	global_load_dword v2, v[0:1], off
	s_waitcnt vmcnt(0)
	v_cvt_f16_f32_e32 v2, v2
.LBB28_1371:
	s_mov_b32 s0, 0
.LBB28_1372:
	s_andn2_b32 vcc_lo, exec_lo, s0
	s_cbranch_vccnz .LBB28_1374
; %bb.1373:
	global_load_dword v2, v[0:1], off
.LBB28_1374:
	s_mov_b32 s0, 0
.LBB28_1375:
	s_andn2_b32 vcc_lo, exec_lo, s0
	s_cbranch_vccnz .LBB28_1386
; %bb.1376:
	s_cmp_lt_i32 s6, 6
	s_cbranch_scc1 .LBB28_1379
; %bb.1377:
	s_cmp_gt_i32 s6, 6
	s_cbranch_scc0 .LBB28_1380
; %bb.1378:
	global_load_dwordx2 v[2:3], v[0:1], off
	s_mov_b32 s0, 0
	s_waitcnt vmcnt(0)
	v_and_or_b32 v2, 0x1ff, v3, v2
	v_lshrrev_b32_e32 v4, 8, v3
	v_bfe_u32 v5, v3, 20, 11
	v_lshrrev_b32_e32 v3, 16, v3
	v_cmp_ne_u32_e32 vcc_lo, 0, v2
	v_sub_nc_u32_e32 v8, 0x3f1, v5
	v_add_nc_u32_e32 v5, 0xfffffc10, v5
	v_cndmask_b32_e64 v2, 0, 1, vcc_lo
	v_and_or_b32 v2, 0xffe, v4, v2
	v_med3_i32 v4, v8, 0, 13
	v_or_b32_e32 v8, 0x1000, v2
	v_lshrrev_b32_e32 v10, v4, v8
	v_lshlrev_b32_e32 v4, v4, v10
	v_cmp_ne_u32_e32 vcc_lo, v4, v8
	v_lshl_or_b32 v8, v5, 12, v2
	v_cndmask_b32_e64 v4, 0, 1, vcc_lo
	v_cmp_gt_i32_e32 vcc_lo, 1, v5
	v_or_b32_e32 v4, v10, v4
	v_cndmask_b32_e32 v4, v8, v4, vcc_lo
	v_and_b32_e32 v8, 7, v4
	v_lshrrev_b32_e32 v4, 2, v4
	v_cmp_lt_i32_e32 vcc_lo, 5, v8
	v_cndmask_b32_e64 v10, 0, 1, vcc_lo
	v_cmp_eq_u32_e32 vcc_lo, 3, v8
	v_cndmask_b32_e64 v8, 0, 1, vcc_lo
	v_cmp_ne_u32_e32 vcc_lo, 0, v2
	v_or_b32_e32 v8, v8, v10
	v_mov_b32_e32 v10, 0x7e00
	v_add_nc_u32_e32 v4, v4, v8
	v_cndmask_b32_e32 v2, 0x7c00, v10, vcc_lo
	v_cmp_gt_i32_e32 vcc_lo, 31, v5
	v_cndmask_b32_e32 v4, 0x7c00, v4, vcc_lo
	v_cmp_eq_u32_e32 vcc_lo, 0x40f, v5
	v_cndmask_b32_e32 v2, v4, v2, vcc_lo
	v_and_or_b32 v2, 0x8000, v3, v2
	s_branch .LBB28_1381
.LBB28_1379:
	s_mov_b32 s0, -1
                                        ; implicit-def: $vgpr2
	s_branch .LBB28_1384
.LBB28_1380:
	s_mov_b32 s0, -1
                                        ; implicit-def: $vgpr2
.LBB28_1381:
	s_andn2_b32 vcc_lo, exec_lo, s0
	s_cbranch_vccnz .LBB28_1383
; %bb.1382:
	global_load_dword v2, v[0:1], off
	s_waitcnt vmcnt(0)
	v_cvt_f16_f32_e32 v2, v2
.LBB28_1383:
	s_mov_b32 s0, 0
.LBB28_1384:
	s_andn2_b32 vcc_lo, exec_lo, s0
	s_cbranch_vccnz .LBB28_1386
; %bb.1385:
	global_load_ushort v2, v[0:1], off
.LBB28_1386:
	s_cbranch_execnz .LBB28_1406
.LBB28_1387:
	s_cmp_lt_i32 s6, 2
	s_cbranch_scc1 .LBB28_1391
; %bb.1388:
	s_cmp_lt_i32 s6, 3
	s_cbranch_scc1 .LBB28_1392
; %bb.1389:
	s_cmp_gt_i32 s6, 3
	s_cbranch_scc0 .LBB28_1393
; %bb.1390:
	global_load_dwordx2 v[2:3], v[0:1], off
	s_mov_b32 s0, 0
	s_waitcnt vmcnt(0)
	v_xor_b32_e32 v4, v2, v3
	v_ffbh_i32_e32 v5, v3
	v_ashrrev_i32_e32 v4, 31, v4
	v_add_nc_u32_e32 v5, -1, v5
	v_add_nc_u32_e32 v4, 32, v4
	v_min_u32_e32 v4, v5, v4
	v_lshlrev_b64 v[2:3], v4, v[2:3]
	v_min_u32_e32 v2, 1, v2
	v_or_b32_e32 v2, v3, v2
	v_sub_nc_u32_e32 v3, 32, v4
	v_cvt_f32_i32_e32 v2, v2
	v_ldexp_f32 v2, v2, v3
	v_cvt_f16_f32_e32 v2, v2
	s_branch .LBB28_1394
.LBB28_1391:
	s_mov_b32 s0, -1
                                        ; implicit-def: $vgpr2
	s_branch .LBB28_1400
.LBB28_1392:
	s_mov_b32 s0, -1
                                        ; implicit-def: $vgpr2
	s_branch .LBB28_1397
.LBB28_1393:
	s_mov_b32 s0, -1
                                        ; implicit-def: $vgpr2
.LBB28_1394:
	s_andn2_b32 vcc_lo, exec_lo, s0
	s_cbranch_vccnz .LBB28_1396
; %bb.1395:
	global_load_dword v2, v[0:1], off
	s_waitcnt vmcnt(0)
	v_cvt_f32_i32_e32 v2, v2
	v_cvt_f16_f32_e32 v2, v2
.LBB28_1396:
	s_mov_b32 s0, 0
.LBB28_1397:
	s_andn2_b32 vcc_lo, exec_lo, s0
	s_cbranch_vccnz .LBB28_1399
; %bb.1398:
	global_load_ushort v2, v[0:1], off
	s_waitcnt vmcnt(0)
	v_cvt_f16_i16_e32 v2, v2
.LBB28_1399:
	s_mov_b32 s0, 0
.LBB28_1400:
	s_andn2_b32 vcc_lo, exec_lo, s0
	s_cbranch_vccnz .LBB28_1406
; %bb.1401:
	s_cmp_gt_i32 s6, 0
	s_mov_b32 s0, 0
	s_cbranch_scc0 .LBB28_1403
; %bb.1402:
	global_load_sbyte v2, v[0:1], off
	s_waitcnt vmcnt(0)
	v_cvt_f16_i16_e32 v2, v2
	s_branch .LBB28_1404
.LBB28_1403:
	s_mov_b32 s0, -1
                                        ; implicit-def: $vgpr2
.LBB28_1404:
	s_andn2_b32 vcc_lo, exec_lo, s0
	s_cbranch_vccnz .LBB28_1406
; %bb.1405:
	global_load_ubyte v0, v[0:1], off
	s_waitcnt vmcnt(0)
	v_cvt_f16_u16_e32 v2, v0
.LBB28_1406:
.LBB28_1407:
	s_waitcnt vmcnt(0)
	v_cvt_f32_f16_e32 v10, v2
                                        ; implicit-def: $vgpr8
	s_mov_b32 s0, exec_lo
	v_cmpx_neq_f16_e32 0, v2
	s_xor_b32 s13, exec_lo, s0
	s_cbranch_execz .LBB28_1429
; %bb.1408:
	v_mov_b32_e32 v0, 0
	s_mov_b32 s0, -1
	s_mov_b32 s14, exec_lo
	v_cmpx_gt_f16_e32 0, v2
	s_cbranch_execz .LBB28_1416
; %bb.1409:
	v_trunc_f32_e32 v0, v10
	s_mov_b32 s1, 0
	v_cmp_neq_f32_e32 vcc_lo, v0, v10
	v_mov_b32_e32 v0, 0
	s_and_saveexec_b32 s15, vcc_lo
	s_cbranch_execz .LBB28_1415
; %bb.1410:
	v_cvt_f32_f16_e32 v0, v2
	s_mov_b32 s1, 0xc00921fb
	s_mov_b32 s0, 0x54442d18
	s_mov_b32 s16, exec_lo
                                        ; implicit-def: $vgpr8
                                        ; implicit-def: $vgpr4_vgpr5
	v_cvt_f64_f32_e32 v[0:1], v0
	v_trunc_f64_e32 v[2:3], v[0:1]
	v_cmp_neq_f64_e64 vcc_lo, 0x7ff00000, |v[0:1]|
	v_add_f64 v[2:3], v[0:1], -v[2:3]
	v_mul_f64 v[2:3], |v[2:3]|, s[0:1]
	v_cndmask_b32_e32 v1, 0x80000000, v3, vcc_lo
	v_cndmask_b32_e32 v0, 0, v2, vcc_lo
                                        ; implicit-def: $vgpr2_vgpr3
	v_cmpx_ngt_f64_e64 0x41d00000, |v[0:1]|
	s_xor_b32 s16, exec_lo, s16
	s_cbranch_execz .LBB28_1412
; %bb.1411:
	v_ldexp_f64 v[2:3], |v[0:1]|, 0xffffff80
	v_cmp_le_f64_e64 vcc_lo, 0x7b000000, |v[0:1]|
	v_trig_preop_f64 v[4:5], |v[0:1]|, 0
	v_and_b32_e32 v8, 0x7fffffff, v1
	v_trig_preop_f64 v[11:12], |v[0:1]|, 1
	v_trig_preop_f64 v[21:22], |v[0:1]|, 2
	v_mov_b32_e32 v29, 0
	s_mov_b32 s1, 0x3ff921fb
	s_mov_b32 s18, 0x33145c07
	s_mov_b32 s19, 0x3c91a626
	v_cndmask_b32_e32 v3, v8, v3, vcc_lo
	v_cndmask_b32_e32 v2, v0, v2, vcc_lo
	v_mul_f64 v[13:14], v[4:5], v[2:3]
	v_mul_f64 v[15:16], v[11:12], v[2:3]
	;; [unrolled: 1-line block ×3, first 2 shown]
	v_fma_f64 v[4:5], v[4:5], v[2:3], -v[13:14]
	v_fma_f64 v[11:12], v[11:12], v[2:3], -v[15:16]
	;; [unrolled: 1-line block ×3, first 2 shown]
	v_add_f64 v[17:18], v[15:16], v[4:5]
	v_add_f64 v[19:20], v[17:18], -v[15:16]
	v_add_f64 v[25:26], v[13:14], v[17:18]
	v_add_f64 v[23:24], v[17:18], -v[19:20]
	v_add_f64 v[4:5], v[4:5], -v[19:20]
	v_ldexp_f64 v[19:20], v[25:26], -2
	v_add_f64 v[13:14], v[25:26], -v[13:14]
	v_add_f64 v[15:16], v[15:16], -v[23:24]
	v_add_f64 v[23:24], v[27:28], v[11:12]
	v_cmp_neq_f64_e64 vcc_lo, 0x7ff00000, |v[19:20]|
	v_add_f64 v[13:14], v[17:18], -v[13:14]
	v_add_f64 v[4:5], v[4:5], v[15:16]
	v_fract_f64_e32 v[15:16], v[19:20]
	v_add_f64 v[17:18], v[23:24], v[4:5]
	v_ldexp_f64 v[15:16], v[15:16], 2
	v_add_f64 v[19:20], v[13:14], v[17:18]
	v_cndmask_b32_e32 v16, 0, v16, vcc_lo
	v_cndmask_b32_e32 v15, 0, v15, vcc_lo
	v_add_f64 v[25:26], v[19:20], v[15:16]
	v_add_f64 v[13:14], v[19:20], -v[13:14]
	v_cmp_gt_f64_e32 vcc_lo, 0, v[25:26]
	v_add_f64 v[25:26], v[23:24], -v[27:28]
	v_add_f64 v[13:14], v[17:18], -v[13:14]
	v_cndmask_b32_e64 v30, 0, 0x40100000, vcc_lo
	v_add_f64 v[34:35], v[23:24], -v[25:26]
	v_add_f64 v[11:12], v[11:12], -v[25:26]
	v_add_f64 v[15:16], v[15:16], v[29:30]
	v_add_f64 v[30:31], v[17:18], -v[23:24]
	v_add_f64 v[25:26], v[27:28], -v[34:35]
	v_add_f64 v[32:33], v[19:20], v[15:16]
	;; [unrolled: 3-line block ×3, first 2 shown]
	v_cvt_i32_f64_e32 v8, v[32:33]
	v_add_f64 v[23:24], v[23:24], -v[36:37]
	v_cvt_f64_i32_e32 v[30:31], v8
	v_add_f64 v[4:5], v[4:5], v[23:24]
	v_add_f64 v[15:16], v[15:16], -v[30:31]
	v_add_f64 v[4:5], v[11:12], v[4:5]
	v_add_f64 v[11:12], v[19:20], v[15:16]
	;; [unrolled: 1-line block ×3, first 2 shown]
	v_add_f64 v[4:5], v[11:12], -v[15:16]
	v_cmp_le_f64_e32 vcc_lo, 0.5, v[11:12]
	v_add_f64 v[2:3], v[13:14], v[2:3]
	v_add_f64 v[4:5], v[19:20], -v[4:5]
	v_cndmask_b32_e64 v30, 0, 0x3ff00000, vcc_lo
	v_add_co_ci_u32_e64 v8, null, 0, v8, vcc_lo
	v_add_f64 v[2:3], v[2:3], v[4:5]
	v_add_f64 v[4:5], v[11:12], -v[29:30]
	v_add_f64 v[11:12], v[4:5], v[2:3]
	v_mul_f64 v[13:14], v[11:12], s[0:1]
	v_add_f64 v[4:5], v[11:12], -v[4:5]
	v_fma_f64 v[15:16], v[11:12], s[0:1], -v[13:14]
	v_add_f64 v[2:3], v[2:3], -v[4:5]
	v_fma_f64 v[4:5], v[11:12], s[18:19], v[15:16]
	v_fma_f64 v[4:5], v[2:3], s[0:1], v[4:5]
	v_add_f64 v[2:3], v[13:14], v[4:5]
	v_add_f64 v[11:12], v[2:3], -v[13:14]
	v_add_f64 v[4:5], v[4:5], -v[11:12]
.LBB28_1412:
	s_andn2_saveexec_b32 s0, s16
	s_cbranch_execz .LBB28_1414
; %bb.1413:
	s_mov_b32 s16, 0x6dc9c883
	s_mov_b32 s17, 0x3fe45f30
	s_mov_b32 s19, 0xbc91a626
	v_mul_f64 v[2:3], |v[0:1]|, s[16:17]
	s_mov_b32 s16, 0x54442d18
	s_mov_b32 s17, 0xbff921fb
	;; [unrolled: 1-line block ×3, first 2 shown]
	v_rndne_f64_e32 v[11:12], v[2:3]
	v_fma_f64 v[2:3], v[11:12], s[16:17], |v[0:1]|
	v_mul_f64 v[4:5], v[11:12], s[18:19]
	s_mov_b32 s16, 0x252049c0
	s_mov_b32 s17, 0xb97b839a
	v_cvt_i32_f64_e32 v8, v[11:12]
	v_fma_f64 v[15:16], v[11:12], s[18:19], v[2:3]
	v_add_f64 v[13:14], v[2:3], v[4:5]
	s_mov_b32 s19, 0x3c91a626
	v_add_f64 v[2:3], v[2:3], -v[13:14]
	v_add_f64 v[13:14], v[13:14], -v[15:16]
	v_add_f64 v[2:3], v[2:3], v[4:5]
	v_fma_f64 v[4:5], v[11:12], s[18:19], v[4:5]
	v_add_f64 v[2:3], v[13:14], v[2:3]
	v_add_f64 v[2:3], v[2:3], -v[4:5]
	v_fma_f64 v[4:5], v[11:12], s[16:17], v[2:3]
	v_add_f64 v[2:3], v[15:16], v[4:5]
	v_add_f64 v[13:14], v[2:3], -v[15:16]
	v_add_f64 v[4:5], v[4:5], -v[13:14]
.LBB28_1414:
	s_or_b32 exec_lo, exec_lo, s0
	v_mul_f64 v[11:12], v[2:3], v[2:3]
	v_add_f64 v[13:14], v[4:5], v[4:5]
	s_mov_b32 s16, 0xa9a29f71
	s_mov_b32 s18, 0xc751c08c
	;; [unrolled: 1-line block ×4, first 2 shown]
	v_cmp_class_f64_e64 s0, v[0:1], 0x1f8
	v_and_b32_e32 v8, 1, v8
	v_and_b32_e32 v1, 0x80000000, v1
	v_sub_f32_e32 v10, 1.0, v10
	s_mov_b32 s1, exec_lo
	v_cmp_eq_u32_e32 vcc_lo, 0, v8
	v_fma_f64 v[15:16], v[2:3], v[2:3], -v[11:12]
	v_fma_f64 v[13:14], v[2:3], v[13:14], v[15:16]
	v_add_f64 v[11:12], v[11:12], v[13:14]
	v_fma_f64 v[13:14], v[11:12], s[18:19], s[16:17]
	s_mov_b32 s16, 0x90a8aae0
	s_mov_b32 s17, 0x3f17746f
	v_fma_f64 v[13:14], v[11:12], v[13:14], s[16:17]
	s_mov_b32 s16, 0xa6fbf144
	s_mov_b32 s17, 0xbefbb44d
	;; [unrolled: 3-line block ×13, first 2 shown]
	v_mul_f64 v[11:12], v[11:12], v[13:14]
	v_mul_f64 v[13:14], v[2:3], v[11:12]
	v_add_f64 v[15:16], v[2:3], v[13:14]
	v_fma_f64 v[11:12], v[2:3], v[11:12], -v[13:14]
	v_add_f64 v[2:3], v[15:16], -v[2:3]
	v_add_f64 v[4:5], v[4:5], v[11:12]
	v_add_f64 v[2:3], v[13:14], -v[2:3]
	v_add_f64 v[2:3], v[4:5], v[2:3]
	v_add_f64 v[4:5], v[15:16], v[2:3]
	v_rcp_f64_e32 v[11:12], v[4:5]
	v_fma_f64 v[13:14], -v[4:5], v[11:12], 1.0
	v_fma_f64 v[11:12], v[13:14], v[11:12], v[11:12]
	v_fma_f64 v[13:14], -v[4:5], v[11:12], 1.0
	v_fma_f64 v[11:12], v[13:14], v[11:12], v[11:12]
	v_add_f64 v[13:14], v[4:5], -v[15:16]
	v_mul_f64 v[15:16], v[4:5], v[11:12]
	v_add_f64 v[2:3], v[2:3], -v[13:14]
	v_fma_f64 v[13:14], v[11:12], v[4:5], -v[15:16]
	v_fma_f64 v[2:3], v[11:12], v[2:3], v[13:14]
	v_add_f64 v[13:14], v[15:16], v[2:3]
	v_add_f64 v[17:18], -v[13:14], 1.0
	v_add_f64 v[15:16], v[13:14], -v[15:16]
	v_add_f64 v[19:20], -v[17:18], 1.0
	v_add_f64 v[2:3], v[15:16], -v[2:3]
	v_add_f64 v[13:14], v[19:20], -v[13:14]
	v_add_f64 v[2:3], v[2:3], v[13:14]
	v_add_f64 v[2:3], v[17:18], v[2:3]
	v_mul_f64 v[2:3], v[11:12], v[2:3]
	v_add_f64 v[2:3], v[11:12], v[2:3]
	v_xor_b32_e32 v0, 0x80000000, v3
	v_cndmask_b32_e32 v2, v2, v4, vcc_lo
	v_cndmask_b32_e32 v0, v0, v5, vcc_lo
	v_xor_b32_e32 v1, v0, v1
	v_cndmask_b32_e64 v0, 0, v2, s0
	v_cndmask_b32_e64 v1, 0x7ff80000, v1, s0
	v_div_scale_f64 v[2:3], null, v[0:1], v[0:1], s[16:17]
	v_rcp_f64_e32 v[4:5], v[2:3]
	v_fma_f64 v[11:12], -v[2:3], v[4:5], 1.0
	v_fma_f64 v[4:5], v[4:5], v[11:12], v[4:5]
	v_fma_f64 v[11:12], -v[2:3], v[4:5], 1.0
	v_fma_f64 v[4:5], v[4:5], v[11:12], v[4:5]
	v_div_scale_f64 v[11:12], vcc_lo, s[16:17], v[0:1], s[16:17]
	v_mul_f64 v[13:14], v[11:12], v[4:5]
	v_fma_f64 v[2:3], -v[2:3], v[13:14], v[11:12]
	v_div_fmas_f64 v[2:3], v[2:3], v[4:5], v[13:14]
	v_div_fixup_f64 v[0:1], v[2:3], v[0:1], s[16:17]
	v_cvt_f32_f64_e32 v0, v[0:1]
.LBB28_1415:
	s_or_b32 exec_lo, exec_lo, s15
	s_orn2_b32 s0, s1, exec_lo
.LBB28_1416:
	s_or_b32 exec_lo, exec_lo, s14
	v_mov_b32_e32 v8, 0x7e00
	s_and_saveexec_b32 s14, s0
	s_cbranch_execz .LBB28_1428
; %bb.1417:
	s_mov_b32 s0, exec_lo
	v_cmpx_gt_f32_e32 0x41200000, v10
	s_cbranch_execz .LBB28_1421
; %bb.1418:
	s_mov_b32 s1, 0
	.p2align	6
.LBB28_1419:                            ; =>This Inner Loop Header: Depth=1
	v_div_scale_f32 v1, null, v10, v10, 1.0
	v_div_scale_f32 v4, vcc_lo, 1.0, v10, 1.0
	v_rcp_f32_e32 v2, v1
	v_fma_f32 v3, -v1, v2, 1.0
	v_fmac_f32_e32 v2, v3, v2
	v_mul_f32_e32 v3, v4, v2
	v_fma_f32 v5, -v1, v3, v4
	v_fmac_f32_e32 v3, v5, v2
	v_fma_f32 v1, -v1, v3, v4
	v_div_fmas_f32 v1, v1, v2, v3
	v_div_fixup_f32 v1, v1, v10, 1.0
	v_add_f32_e32 v10, 1.0, v10
	v_sub_f32_e32 v0, v0, v1
	v_cmp_ngt_f32_e32 vcc_lo, 0x41200000, v10
	s_or_b32 s1, vcc_lo, s1
	s_andn2_b32 exec_lo, exec_lo, s1
	s_cbranch_execnz .LBB28_1419
; %bb.1420:
	s_or_b32 exec_lo, exec_lo, s1
.LBB28_1421:
	s_or_b32 exec_lo, exec_lo, s0
                                        ; implicit-def: $vgpr8
	s_mov_b32 s0, exec_lo
	v_cmpx_neq_f32_e32 0x41200000, v10
	s_xor_b32 s15, exec_lo, s0
	s_cbranch_execz .LBB28_1425
; %bb.1422:
	v_cvt_f64_f32_e32 v[1:2], v10
	s_mov_b32 s0, 0x85d8a000
	s_mov_b32 s1, 0x43763457
	v_cmp_gt_f64_e32 vcc_lo, s[0:1], v[1:2]
	v_mov_b32_e32 v1, 0
	s_and_saveexec_b32 s0, vcc_lo
	s_cbranch_execz .LBB28_1424
; %bb.1423:
	v_mul_f32_e32 v1, v10, v10
	v_div_scale_f32 v2, null, v1, v1, 1.0
	v_rcp_f32_e32 v3, v2
	v_fma_f32 v4, -v2, v3, 1.0
	v_fmac_f32_e32 v3, v4, v3
	v_div_scale_f32 v4, vcc_lo, 1.0, v1, 1.0
	v_mul_f32_e32 v5, v4, v3
	v_fma_f32 v8, -v2, v5, v4
	v_fmac_f32_e32 v5, v8, v3
	v_fma_f32 v2, -v2, v5, v4
	v_div_fmas_f32 v2, v2, v3, v5
	v_div_fixup_f32 v1, v2, v1, 1.0
	v_fmaak_f32 v2, 0, v1, 0x3daaaaab
	v_fmaak_f32 v2, v1, v2, 0xbcaccacd
	;; [unrolled: 1-line block ×7, first 2 shown]
	v_mul_f32_e32 v1, v1, v2
.LBB28_1424:
	s_or_b32 exec_lo, exec_lo, s0
	v_cmp_gt_f32_e32 vcc_lo, 0x800000, v10
	v_div_scale_f32 v2, null, v10, v10, -0.5
	v_div_scale_f32 v8, s0, -0.5, v10, -0.5
	v_cndmask_b32_e64 v3, 0, 32, vcc_lo
	v_rcp_f32_e32 v4, v2
	v_ldexp_f32 v3, v10, v3
	v_log_f32_e32 v3, v3
	v_fma_f32 v5, -v2, v4, 1.0
	v_fmac_f32_e32 v4, v5, v4
	v_mul_f32_e32 v5, 0x3f317217, v3
	v_mul_f32_e32 v11, v8, v4
	v_cmp_gt_f32_e64 s1, 0x7f800000, |v3|
	v_fma_f32 v5, 0x3f317217, v3, -v5
	v_fma_f32 v12, -v2, v11, v8
	v_fmamk_f32 v5, v3, 0x3377d1cf, v5
	v_fmac_f32_e32 v11, v12, v4
	v_fmac_f32_e32 v5, 0x3f317217, v3
	v_fma_f32 v2, -v2, v11, v8
	v_cndmask_b32_e64 v3, v3, v5, s1
	v_cndmask_b32_e64 v5, 0, 0x41b17218, vcc_lo
	s_mov_b32 vcc_lo, s0
	v_div_fmas_f32 v2, v2, v4, v11
	v_sub_f32_e32 v3, v3, v5
	v_div_fixup_f32 v2, v2, v10, -0.5
	v_add_f32_e32 v2, v3, v2
	v_sub_f32_e32 v1, v2, v1
	v_add_f32_e32 v0, v0, v1
	v_cvt_f16_f32_e32 v8, v0
                                        ; implicit-def: $vgpr0
.LBB28_1425:
	s_andn2_saveexec_b32 s0, s15
; %bb.1426:
	v_add_f32_e32 v0, 0x40101cb7, v0
	v_cvt_f16_f32_e32 v8, v0
; %bb.1427:
	s_or_b32 exec_lo, exec_lo, s0
.LBB28_1428:
	s_or_b32 exec_lo, exec_lo, s14
                                        ; implicit-def: $vgpr10
.LBB28_1429:
	s_andn2_saveexec_b32 s0, s13
; %bb.1430:
	v_xor_b32_e32 v0, 0x80000000, v10
	v_mov_b32_e32 v1, 0xffff8000
	v_and_b32_sdwa v0, v0, v1 dst_sel:DWORD dst_unused:UNUSED_PAD src0_sel:WORD_1 src1_sel:DWORD
	v_or_b32_e32 v8, 0x7c00, v0
; %bb.1431:
	s_or_b32 exec_lo, exec_lo, s0
	v_add_nc_u32_e32 v10, s3, v9
	s_cmp_lt_i32 s6, 11
	v_ashrrev_i32_e32 v1, 31, v10
	v_add_co_u32 v0, vcc_lo, s10, v10
	v_add_co_ci_u32_e64 v1, null, s11, v1, vcc_lo
	s_cbranch_scc1 .LBB28_1438
; %bb.1432:
	s_cmp_gt_i32 s6, 25
	s_mov_b32 s1, 0
	s_cbranch_scc0 .LBB28_1440
; %bb.1433:
	s_cmp_gt_i32 s6, 28
	s_cbranch_scc0 .LBB28_1441
; %bb.1434:
	s_cmp_gt_i32 s6, 43
	;; [unrolled: 3-line block ×3, first 2 shown]
	s_cbranch_scc0 .LBB28_1444
; %bb.1436:
	s_cmp_eq_u32 s6, 46
	s_mov_b32 s14, 0
	s_cbranch_scc0 .LBB28_1445
; %bb.1437:
	global_load_dword v2, v[0:1], off
	s_mov_b32 s0, 0
	s_mov_b32 s13, -1
	s_waitcnt vmcnt(0)
	v_lshlrev_b32_e32 v2, 16, v2
	v_cvt_f16_f32_e32 v2, v2
	s_branch .LBB28_1447
.LBB28_1438:
	s_mov_b32 s13, 0
                                        ; implicit-def: $vgpr2
	s_cbranch_execnz .LBB28_1513
.LBB28_1439:
	s_andn2_b32 vcc_lo, exec_lo, s13
	s_cbranch_vccnz .LBB28_1818
	s_branch .LBB28_1561
.LBB28_1440:
	s_mov_b32 s14, -1
	s_mov_b32 s13, 0
	s_mov_b32 s0, 0
                                        ; implicit-def: $vgpr2
	s_branch .LBB28_1476
.LBB28_1441:
	s_mov_b32 s14, -1
	s_mov_b32 s13, 0
	s_mov_b32 s0, 0
                                        ; implicit-def: $vgpr2
	s_branch .LBB28_1457
.LBB28_1442:
	s_mov_b32 s14, -1
	s_mov_b32 s13, 0
	s_mov_b32 s0, 0
                                        ; implicit-def: $vgpr2
	s_branch .LBB28_1452
.LBB28_1443:
	s_or_b32 s5, s5, exec_lo
	s_trap 2
	s_cbranch_execz .LBB28_1358
	s_branch .LBB28_1359
.LBB28_1444:
	s_mov_b32 s14, -1
	s_mov_b32 s13, 0
	s_mov_b32 s0, 0
	s_branch .LBB28_1446
.LBB28_1445:
	s_mov_b32 s0, -1
	s_mov_b32 s13, 0
.LBB28_1446:
                                        ; implicit-def: $vgpr2
.LBB28_1447:
	s_and_b32 vcc_lo, exec_lo, s14
	s_cbranch_vccz .LBB28_1451
; %bb.1448:
	s_cmp_eq_u32 s6, 44
	s_cbranch_scc0 .LBB28_1450
; %bb.1449:
	global_load_ubyte v2, v[0:1], off
	s_mov_b32 s0, 0
	s_mov_b32 s13, -1
	s_waitcnt vmcnt(0)
	v_lshlrev_b32_e32 v3, 23, v2
	v_cmp_ne_u32_e32 vcc_lo, 0xff, v2
	v_cvt_f16_f32_e32 v3, v3
	v_cndmask_b32_e32 v3, 0x7e00, v3, vcc_lo
	v_cmp_ne_u32_e32 vcc_lo, 0, v2
	v_cndmask_b32_e32 v2, 0, v3, vcc_lo
	s_branch .LBB28_1451
.LBB28_1450:
	s_mov_b32 s0, -1
                                        ; implicit-def: $vgpr2
.LBB28_1451:
	s_mov_b32 s14, 0
.LBB28_1452:
	s_and_b32 vcc_lo, exec_lo, s14
	s_cbranch_vccz .LBB28_1456
; %bb.1453:
	s_cmp_eq_u32 s6, 29
	s_cbranch_scc0 .LBB28_1455
; %bb.1454:
	global_load_dwordx2 v[2:3], v[0:1], off
	s_mov_b32 s0, 0
	s_mov_b32 s13, -1
	s_mov_b32 s14, 0
	s_waitcnt vmcnt(0)
	v_ffbh_u32_e32 v4, v3
	v_min_u32_e32 v4, 32, v4
	v_lshlrev_b64 v[2:3], v4, v[2:3]
	v_min_u32_e32 v2, 1, v2
	v_or_b32_e32 v2, v3, v2
	v_sub_nc_u32_e32 v3, 32, v4
	v_cvt_f32_u32_e32 v2, v2
	v_ldexp_f32 v2, v2, v3
	v_cvt_f16_f32_e32 v2, v2
	s_branch .LBB28_1457
.LBB28_1455:
	s_mov_b32 s0, -1
                                        ; implicit-def: $vgpr2
.LBB28_1456:
	s_mov_b32 s14, 0
.LBB28_1457:
	s_and_b32 vcc_lo, exec_lo, s14
	s_cbranch_vccz .LBB28_1475
; %bb.1458:
	s_cmp_lt_i32 s6, 27
	s_cbranch_scc1 .LBB28_1461
; %bb.1459:
	s_cmp_gt_i32 s6, 27
	s_cbranch_scc0 .LBB28_1462
; %bb.1460:
	global_load_dword v2, v[0:1], off
	s_mov_b32 s13, 0
	s_waitcnt vmcnt(0)
	v_cvt_f32_u32_e32 v2, v2
	v_cvt_f16_f32_e32 v2, v2
	s_branch .LBB28_1463
.LBB28_1461:
	s_mov_b32 s13, -1
                                        ; implicit-def: $vgpr2
	s_branch .LBB28_1466
.LBB28_1462:
	s_mov_b32 s13, -1
                                        ; implicit-def: $vgpr2
.LBB28_1463:
	s_andn2_b32 vcc_lo, exec_lo, s13
	s_cbranch_vccnz .LBB28_1465
; %bb.1464:
	global_load_ushort v2, v[0:1], off
	s_waitcnt vmcnt(0)
	v_cvt_f16_u16_e32 v2, v2
.LBB28_1465:
	s_mov_b32 s13, 0
.LBB28_1466:
	s_andn2_b32 vcc_lo, exec_lo, s13
	s_cbranch_vccnz .LBB28_1474
; %bb.1467:
	global_load_ubyte v3, v[0:1], off
	s_mov_b32 s13, 0
	s_mov_b32 s14, exec_lo
	s_waitcnt vmcnt(0)
	v_cmpx_lt_i16_e32 0x7f, v3
	s_xor_b32 s14, exec_lo, s14
	s_cbranch_execz .LBB28_1488
; %bb.1468:
	s_mov_b32 s13, -1
	s_mov_b32 s15, exec_lo
	v_cmpx_eq_u16_e32 0x80, v3
; %bb.1469:
	s_xor_b32 s13, exec_lo, -1
; %bb.1470:
	s_or_b32 exec_lo, exec_lo, s15
	s_and_b32 s13, s13, exec_lo
	s_or_saveexec_b32 s14, s14
	v_mov_b32_e32 v2, 0x7e00
	s_xor_b32 exec_lo, exec_lo, s14
	s_cbranch_execnz .LBB28_1489
.LBB28_1471:
	s_or_b32 exec_lo, exec_lo, s14
	s_and_saveexec_b32 s14, s13
	s_cbranch_execz .LBB28_1473
.LBB28_1472:
	v_and_b32_e32 v2, 0xffff, v3
	v_lshlrev_b32_e32 v3, 24, v3
	v_and_b32_e32 v4, 7, v2
	v_bfe_u32 v11, v2, 3, 4
	v_and_b32_e32 v3, 0x80000000, v3
	v_ffbh_u32_e32 v5, v4
	v_cmp_eq_u32_e32 vcc_lo, 0, v11
	v_min_u32_e32 v5, 32, v5
	v_subrev_nc_u32_e32 v9, 28, v5
	v_sub_nc_u32_e32 v5, 29, v5
	v_lshlrev_b32_e32 v2, v9, v2
	v_cndmask_b32_e32 v5, v11, v5, vcc_lo
	v_and_b32_e32 v2, 7, v2
	v_cndmask_b32_e32 v2, v4, v2, vcc_lo
	v_lshl_add_u32 v4, v5, 23, 0x3b800000
	v_lshlrev_b32_e32 v2, 20, v2
	v_or3_b32 v2, v3, v4, v2
	v_cvt_f16_f32_e32 v2, v2
.LBB28_1473:
	s_or_b32 exec_lo, exec_lo, s14
.LBB28_1474:
	s_mov_b32 s13, -1
.LBB28_1475:
	s_mov_b32 s14, 0
.LBB28_1476:
	s_and_b32 vcc_lo, exec_lo, s14
	s_cbranch_vccz .LBB28_1509
; %bb.1477:
	s_cmp_gt_i32 s6, 22
	s_cbranch_scc0 .LBB28_1487
; %bb.1478:
	s_cmp_lt_i32 s6, 24
	s_cbranch_scc1 .LBB28_1490
; %bb.1479:
	s_cmp_gt_i32 s6, 24
	s_cbranch_scc0 .LBB28_1491
; %bb.1480:
	global_load_ubyte v3, v[0:1], off
	s_mov_b32 s13, exec_lo
	s_waitcnt vmcnt(0)
	v_cmpx_lt_i16_e32 0x7f, v3
	s_xor_b32 s13, exec_lo, s13
	s_cbranch_execz .LBB28_1503
; %bb.1481:
	s_mov_b32 s1, -1
	s_mov_b32 s14, exec_lo
	v_cmpx_eq_u16_e32 0x80, v3
; %bb.1482:
	s_xor_b32 s1, exec_lo, -1
; %bb.1483:
	s_or_b32 exec_lo, exec_lo, s14
	s_and_b32 s1, s1, exec_lo
	s_or_saveexec_b32 s13, s13
	v_mov_b32_e32 v2, 0x7e00
	s_xor_b32 exec_lo, exec_lo, s13
	s_cbranch_execnz .LBB28_1504
.LBB28_1484:
	s_or_b32 exec_lo, exec_lo, s13
	s_and_saveexec_b32 s13, s1
	s_cbranch_execz .LBB28_1486
.LBB28_1485:
	v_and_b32_e32 v2, 0xffff, v3
	v_lshlrev_b32_e32 v3, 24, v3
	v_and_b32_e32 v4, 3, v2
	v_bfe_u32 v11, v2, 2, 5
	v_and_b32_e32 v3, 0x80000000, v3
	v_ffbh_u32_e32 v5, v4
	v_cmp_eq_u32_e32 vcc_lo, 0, v11
	v_min_u32_e32 v5, 32, v5
	v_subrev_nc_u32_e32 v9, 29, v5
	v_sub_nc_u32_e32 v5, 30, v5
	v_lshlrev_b32_e32 v2, v9, v2
	v_cndmask_b32_e32 v5, v11, v5, vcc_lo
	v_and_b32_e32 v2, 3, v2
	v_cndmask_b32_e32 v2, v4, v2, vcc_lo
	v_lshl_add_u32 v4, v5, 23, 0x37800000
	v_lshlrev_b32_e32 v2, 21, v2
	v_or3_b32 v2, v3, v4, v2
	v_cvt_f16_f32_e32 v2, v2
.LBB28_1486:
	s_or_b32 exec_lo, exec_lo, s13
	s_mov_b32 s1, 0
	s_branch .LBB28_1492
.LBB28_1487:
	s_mov_b32 s1, -1
                                        ; implicit-def: $vgpr2
	s_branch .LBB28_1498
.LBB28_1488:
	s_or_saveexec_b32 s14, s14
	v_mov_b32_e32 v2, 0x7e00
	s_xor_b32 exec_lo, exec_lo, s14
	s_cbranch_execz .LBB28_1471
.LBB28_1489:
	v_cmp_ne_u16_e32 vcc_lo, 0, v3
	v_mov_b32_e32 v2, v3
	s_andn2_b32 s13, s13, exec_lo
	s_and_b32 s15, vcc_lo, exec_lo
	s_or_b32 s13, s13, s15
	s_or_b32 exec_lo, exec_lo, s14
	s_and_saveexec_b32 s14, s13
	s_cbranch_execnz .LBB28_1472
	s_branch .LBB28_1473
.LBB28_1490:
	s_mov_b32 s1, -1
                                        ; implicit-def: $vgpr2
	s_branch .LBB28_1495
.LBB28_1491:
	s_mov_b32 s1, -1
                                        ; implicit-def: $vgpr2
.LBB28_1492:
	s_and_b32 vcc_lo, exec_lo, s1
	s_cbranch_vccz .LBB28_1494
; %bb.1493:
	global_load_ubyte v2, v[0:1], off
	s_waitcnt vmcnt(0)
	v_lshlrev_b32_e32 v2, 24, v2
	v_and_b32_e32 v3, 0x7f000000, v2
	v_ffbh_u32_e32 v4, v3
	v_add_nc_u32_e32 v9, 0x1000000, v3
	v_cmp_ne_u32_e32 vcc_lo, 0, v3
	v_min_u32_e32 v4, 32, v4
	v_sub_nc_u32_e64 v4, v4, 4 clamp
	v_lshlrev_b32_e32 v5, v4, v3
	v_lshlrev_b32_e32 v4, 23, v4
	v_lshrrev_b32_e32 v5, 4, v5
	v_sub_nc_u32_e32 v4, v5, v4
	v_ashrrev_i32_e32 v5, 8, v9
	v_add_nc_u32_e32 v4, 0x3c000000, v4
	v_and_or_b32 v4, 0x7f800000, v5, v4
	v_cndmask_b32_e32 v3, 0, v4, vcc_lo
	v_and_or_b32 v2, 0x80000000, v2, v3
	v_cvt_f16_f32_e32 v2, v2
.LBB28_1494:
	s_mov_b32 s1, 0
.LBB28_1495:
	s_andn2_b32 vcc_lo, exec_lo, s1
	s_cbranch_vccnz .LBB28_1497
; %bb.1496:
	global_load_ubyte v2, v[0:1], off
	s_waitcnt vmcnt(0)
	v_lshlrev_b32_e32 v3, 25, v2
	v_lshlrev_b16 v2, 8, v2
	v_lshrrev_b32_e32 v4, 4, v3
	v_and_or_b32 v5, 0x7f00, v2, 0.5
	v_cmp_gt_u32_e32 vcc_lo, 0x8000000, v3
	v_bfe_i32 v2, v2, 0, 16
	v_or_b32_e32 v4, 0x70000000, v4
	v_add_f32_e32 v5, -0.5, v5
	v_mul_f32_e32 v4, 0x7800000, v4
	v_cndmask_b32_e32 v3, v4, v5, vcc_lo
	v_and_or_b32 v2, 0x80000000, v2, v3
	v_cvt_f16_f32_e32 v2, v2
.LBB28_1497:
	s_mov_b32 s1, 0
	s_mov_b32 s13, -1
.LBB28_1498:
	s_andn2_b32 vcc_lo, exec_lo, s1
	s_mov_b32 s1, 0
	s_cbranch_vccnz .LBB28_1509
; %bb.1499:
	s_cmp_gt_i32 s6, 14
	s_cbranch_scc0 .LBB28_1502
; %bb.1500:
	s_cmp_eq_u32 s6, 15
	s_cbranch_scc0 .LBB28_1505
; %bb.1501:
	global_load_ushort v2, v[0:1], off
	s_mov_b32 s0, 0
	s_mov_b32 s13, -1
	s_waitcnt vmcnt(0)
	v_lshlrev_b32_e32 v2, 16, v2
	v_cvt_f16_f32_e32 v2, v2
	s_branch .LBB28_1507
.LBB28_1502:
	s_mov_b32 s1, -1
	s_branch .LBB28_1506
.LBB28_1503:
	s_or_saveexec_b32 s13, s13
	v_mov_b32_e32 v2, 0x7e00
	s_xor_b32 exec_lo, exec_lo, s13
	s_cbranch_execz .LBB28_1484
.LBB28_1504:
	v_cmp_ne_u16_e32 vcc_lo, 0, v3
	v_mov_b32_e32 v2, v3
	s_andn2_b32 s1, s1, exec_lo
	s_and_b32 s14, vcc_lo, exec_lo
	s_or_b32 s1, s1, s14
	s_or_b32 exec_lo, exec_lo, s13
	s_and_saveexec_b32 s13, s1
	s_cbranch_execnz .LBB28_1485
	s_branch .LBB28_1486
.LBB28_1505:
	s_mov_b32 s0, -1
.LBB28_1506:
                                        ; implicit-def: $vgpr2
.LBB28_1507:
	s_and_b32 vcc_lo, exec_lo, s1
	s_mov_b32 s1, 0
	s_cbranch_vccz .LBB28_1509
; %bb.1508:
	s_cmp_lg_u32 s6, 11
	s_mov_b32 s1, -1
	s_cselect_b32 s0, -1, 0
.LBB28_1509:
	s_and_b32 vcc_lo, exec_lo, s0
	s_cbranch_vccnz .LBB28_1596
; %bb.1510:
	s_andn2_b32 vcc_lo, exec_lo, s1
	s_cbranch_vccnz .LBB28_1512
.LBB28_1511:
	global_load_ubyte v2, v[0:1], off
	s_mov_b32 s13, -1
	s_waitcnt vmcnt(0)
	v_cmp_ne_u16_e32 vcc_lo, 0, v2
	v_cndmask_b32_e64 v2, 0, 0x3c00, vcc_lo
.LBB28_1512:
	s_branch .LBB28_1439
.LBB28_1513:
	s_cmp_lt_i32 s6, 5
	s_cbranch_scc1 .LBB28_1518
; %bb.1514:
	s_cmp_lt_i32 s6, 8
	s_cbranch_scc1 .LBB28_1519
; %bb.1515:
	;; [unrolled: 3-line block ×3, first 2 shown]
	s_cmp_gt_i32 s6, 9
	s_cbranch_scc0 .LBB28_1521
; %bb.1517:
	global_load_dwordx2 v[2:3], v[0:1], off
	s_mov_b32 s0, 0
	s_waitcnt vmcnt(0)
	v_and_or_b32 v2, 0x1ff, v3, v2
	v_lshrrev_b32_e32 v4, 8, v3
	v_bfe_u32 v5, v3, 20, 11
	v_lshrrev_b32_e32 v3, 16, v3
	v_cmp_ne_u32_e32 vcc_lo, 0, v2
	v_sub_nc_u32_e32 v9, 0x3f1, v5
	v_add_nc_u32_e32 v5, 0xfffffc10, v5
	v_cndmask_b32_e64 v2, 0, 1, vcc_lo
	v_and_or_b32 v2, 0xffe, v4, v2
	v_med3_i32 v4, v9, 0, 13
	v_or_b32_e32 v9, 0x1000, v2
	v_lshrrev_b32_e32 v11, v4, v9
	v_lshlrev_b32_e32 v4, v4, v11
	v_cmp_ne_u32_e32 vcc_lo, v4, v9
	v_lshl_or_b32 v9, v5, 12, v2
	v_cndmask_b32_e64 v4, 0, 1, vcc_lo
	v_cmp_gt_i32_e32 vcc_lo, 1, v5
	v_or_b32_e32 v4, v11, v4
	v_cndmask_b32_e32 v4, v9, v4, vcc_lo
	v_and_b32_e32 v9, 7, v4
	v_lshrrev_b32_e32 v4, 2, v4
	v_cmp_lt_i32_e32 vcc_lo, 5, v9
	v_cndmask_b32_e64 v11, 0, 1, vcc_lo
	v_cmp_eq_u32_e32 vcc_lo, 3, v9
	v_cndmask_b32_e64 v9, 0, 1, vcc_lo
	v_cmp_ne_u32_e32 vcc_lo, 0, v2
	v_or_b32_e32 v9, v9, v11
	v_mov_b32_e32 v11, 0x7e00
	v_add_nc_u32_e32 v4, v4, v9
	v_cndmask_b32_e32 v2, 0x7c00, v11, vcc_lo
	v_cmp_gt_i32_e32 vcc_lo, 31, v5
	v_cndmask_b32_e32 v4, 0x7c00, v4, vcc_lo
	v_cmp_eq_u32_e32 vcc_lo, 0x40f, v5
	v_cndmask_b32_e32 v2, v4, v2, vcc_lo
	v_and_or_b32 v2, 0x8000, v3, v2
	s_branch .LBB28_1522
.LBB28_1518:
	s_mov_b32 s0, -1
                                        ; implicit-def: $vgpr2
	s_branch .LBB28_1540
.LBB28_1519:
	s_mov_b32 s0, -1
                                        ; implicit-def: $vgpr2
	s_branch .LBB28_1528
.LBB28_1520:
	s_mov_b32 s0, -1
                                        ; implicit-def: $vgpr2
	s_branch .LBB28_1525
.LBB28_1521:
	s_mov_b32 s0, -1
                                        ; implicit-def: $vgpr2
.LBB28_1522:
	s_andn2_b32 vcc_lo, exec_lo, s0
	s_cbranch_vccnz .LBB28_1524
; %bb.1523:
	global_load_dword v2, v[0:1], off
	s_waitcnt vmcnt(0)
	v_cvt_f16_f32_e32 v2, v2
.LBB28_1524:
	s_mov_b32 s0, 0
.LBB28_1525:
	s_andn2_b32 vcc_lo, exec_lo, s0
	s_cbranch_vccnz .LBB28_1527
; %bb.1526:
	global_load_dword v2, v[0:1], off
.LBB28_1527:
	s_mov_b32 s0, 0
.LBB28_1528:
	s_andn2_b32 vcc_lo, exec_lo, s0
	s_cbranch_vccnz .LBB28_1539
; %bb.1529:
	s_cmp_lt_i32 s6, 6
	s_cbranch_scc1 .LBB28_1532
; %bb.1530:
	s_cmp_gt_i32 s6, 6
	s_cbranch_scc0 .LBB28_1533
; %bb.1531:
	global_load_dwordx2 v[2:3], v[0:1], off
	s_mov_b32 s0, 0
	s_waitcnt vmcnt(0)
	v_and_or_b32 v2, 0x1ff, v3, v2
	v_lshrrev_b32_e32 v4, 8, v3
	v_bfe_u32 v5, v3, 20, 11
	v_lshrrev_b32_e32 v3, 16, v3
	v_cmp_ne_u32_e32 vcc_lo, 0, v2
	v_sub_nc_u32_e32 v9, 0x3f1, v5
	v_add_nc_u32_e32 v5, 0xfffffc10, v5
	v_cndmask_b32_e64 v2, 0, 1, vcc_lo
	v_and_or_b32 v2, 0xffe, v4, v2
	v_med3_i32 v4, v9, 0, 13
	v_or_b32_e32 v9, 0x1000, v2
	v_lshrrev_b32_e32 v11, v4, v9
	v_lshlrev_b32_e32 v4, v4, v11
	v_cmp_ne_u32_e32 vcc_lo, v4, v9
	v_lshl_or_b32 v9, v5, 12, v2
	v_cndmask_b32_e64 v4, 0, 1, vcc_lo
	v_cmp_gt_i32_e32 vcc_lo, 1, v5
	v_or_b32_e32 v4, v11, v4
	v_cndmask_b32_e32 v4, v9, v4, vcc_lo
	v_and_b32_e32 v9, 7, v4
	v_lshrrev_b32_e32 v4, 2, v4
	v_cmp_lt_i32_e32 vcc_lo, 5, v9
	v_cndmask_b32_e64 v11, 0, 1, vcc_lo
	v_cmp_eq_u32_e32 vcc_lo, 3, v9
	v_cndmask_b32_e64 v9, 0, 1, vcc_lo
	v_cmp_ne_u32_e32 vcc_lo, 0, v2
	v_or_b32_e32 v9, v9, v11
	v_mov_b32_e32 v11, 0x7e00
	v_add_nc_u32_e32 v4, v4, v9
	v_cndmask_b32_e32 v2, 0x7c00, v11, vcc_lo
	v_cmp_gt_i32_e32 vcc_lo, 31, v5
	v_cndmask_b32_e32 v4, 0x7c00, v4, vcc_lo
	v_cmp_eq_u32_e32 vcc_lo, 0x40f, v5
	v_cndmask_b32_e32 v2, v4, v2, vcc_lo
	v_and_or_b32 v2, 0x8000, v3, v2
	s_branch .LBB28_1534
.LBB28_1532:
	s_mov_b32 s0, -1
                                        ; implicit-def: $vgpr2
	s_branch .LBB28_1537
.LBB28_1533:
	s_mov_b32 s0, -1
                                        ; implicit-def: $vgpr2
.LBB28_1534:
	s_andn2_b32 vcc_lo, exec_lo, s0
	s_cbranch_vccnz .LBB28_1536
; %bb.1535:
	global_load_dword v2, v[0:1], off
	s_waitcnt vmcnt(0)
	v_cvt_f16_f32_e32 v2, v2
.LBB28_1536:
	s_mov_b32 s0, 0
.LBB28_1537:
	s_andn2_b32 vcc_lo, exec_lo, s0
	s_cbranch_vccnz .LBB28_1539
; %bb.1538:
	global_load_ushort v2, v[0:1], off
.LBB28_1539:
	s_mov_b32 s0, 0
.LBB28_1540:
	s_andn2_b32 vcc_lo, exec_lo, s0
	s_cbranch_vccnz .LBB28_1560
; %bb.1541:
	s_cmp_lt_i32 s6, 2
	s_cbranch_scc1 .LBB28_1545
; %bb.1542:
	s_cmp_lt_i32 s6, 3
	s_cbranch_scc1 .LBB28_1546
; %bb.1543:
	s_cmp_gt_i32 s6, 3
	s_cbranch_scc0 .LBB28_1547
; %bb.1544:
	global_load_dwordx2 v[2:3], v[0:1], off
	s_mov_b32 s0, 0
	s_waitcnt vmcnt(0)
	v_xor_b32_e32 v4, v2, v3
	v_ffbh_i32_e32 v5, v3
	v_ashrrev_i32_e32 v4, 31, v4
	v_add_nc_u32_e32 v5, -1, v5
	v_add_nc_u32_e32 v4, 32, v4
	v_min_u32_e32 v4, v5, v4
	v_lshlrev_b64 v[2:3], v4, v[2:3]
	v_min_u32_e32 v2, 1, v2
	v_or_b32_e32 v2, v3, v2
	v_sub_nc_u32_e32 v3, 32, v4
	v_cvt_f32_i32_e32 v2, v2
	v_ldexp_f32 v2, v2, v3
	v_cvt_f16_f32_e32 v2, v2
	s_branch .LBB28_1548
.LBB28_1545:
	s_mov_b32 s0, -1
                                        ; implicit-def: $vgpr2
	s_branch .LBB28_1554
.LBB28_1546:
	s_mov_b32 s0, -1
                                        ; implicit-def: $vgpr2
	s_branch .LBB28_1551
.LBB28_1547:
	s_mov_b32 s0, -1
                                        ; implicit-def: $vgpr2
.LBB28_1548:
	s_andn2_b32 vcc_lo, exec_lo, s0
	s_cbranch_vccnz .LBB28_1550
; %bb.1549:
	global_load_dword v2, v[0:1], off
	s_waitcnt vmcnt(0)
	v_cvt_f32_i32_e32 v2, v2
	v_cvt_f16_f32_e32 v2, v2
.LBB28_1550:
	s_mov_b32 s0, 0
.LBB28_1551:
	s_andn2_b32 vcc_lo, exec_lo, s0
	s_cbranch_vccnz .LBB28_1553
; %bb.1552:
	global_load_ushort v2, v[0:1], off
	s_waitcnt vmcnt(0)
	v_cvt_f16_i16_e32 v2, v2
.LBB28_1553:
	s_mov_b32 s0, 0
.LBB28_1554:
	s_andn2_b32 vcc_lo, exec_lo, s0
	s_cbranch_vccnz .LBB28_1560
; %bb.1555:
	s_cmp_gt_i32 s6, 0
	s_mov_b32 s0, 0
	s_cbranch_scc0 .LBB28_1557
; %bb.1556:
	global_load_sbyte v2, v[0:1], off
	s_waitcnt vmcnt(0)
	v_cvt_f16_i16_e32 v2, v2
	s_branch .LBB28_1558
.LBB28_1557:
	s_mov_b32 s0, -1
                                        ; implicit-def: $vgpr2
.LBB28_1558:
	s_andn2_b32 vcc_lo, exec_lo, s0
	s_cbranch_vccnz .LBB28_1560
; %bb.1559:
	global_load_ubyte v0, v[0:1], off
	s_waitcnt vmcnt(0)
	v_cvt_f16_u16_e32 v2, v0
.LBB28_1560:
.LBB28_1561:
	s_waitcnt vmcnt(0)
	v_cvt_f32_f16_e32 v11, v2
                                        ; implicit-def: $vgpr9
	s_mov_b32 s0, exec_lo
	v_cmpx_neq_f16_e32 0, v2
	s_xor_b32 s13, exec_lo, s0
	s_cbranch_execz .LBB28_1583
; %bb.1562:
	v_mov_b32_e32 v0, 0
	s_mov_b32 s0, -1
	s_mov_b32 s14, exec_lo
	v_cmpx_gt_f16_e32 0, v2
	s_cbranch_execz .LBB28_1570
; %bb.1563:
	v_trunc_f32_e32 v0, v11
	s_mov_b32 s1, 0
	v_cmp_neq_f32_e32 vcc_lo, v0, v11
	v_mov_b32_e32 v0, 0
	s_and_saveexec_b32 s15, vcc_lo
	s_cbranch_execz .LBB28_1569
; %bb.1564:
	v_cvt_f32_f16_e32 v0, v2
	s_mov_b32 s1, 0xc00921fb
	s_mov_b32 s0, 0x54442d18
	s_mov_b32 s16, exec_lo
                                        ; implicit-def: $vgpr9
                                        ; implicit-def: $vgpr4_vgpr5
	v_cvt_f64_f32_e32 v[0:1], v0
	v_trunc_f64_e32 v[2:3], v[0:1]
	v_cmp_neq_f64_e64 vcc_lo, 0x7ff00000, |v[0:1]|
	v_add_f64 v[2:3], v[0:1], -v[2:3]
	v_mul_f64 v[2:3], |v[2:3]|, s[0:1]
	v_cndmask_b32_e32 v1, 0x80000000, v3, vcc_lo
	v_cndmask_b32_e32 v0, 0, v2, vcc_lo
                                        ; implicit-def: $vgpr2_vgpr3
	v_cmpx_ngt_f64_e64 0x41d00000, |v[0:1]|
	s_xor_b32 s16, exec_lo, s16
	s_cbranch_execz .LBB28_1566
; %bb.1565:
	v_ldexp_f64 v[2:3], |v[0:1]|, 0xffffff80
	v_cmp_le_f64_e64 vcc_lo, 0x7b000000, |v[0:1]|
	v_trig_preop_f64 v[4:5], |v[0:1]|, 0
	v_and_b32_e32 v9, 0x7fffffff, v1
	v_trig_preop_f64 v[12:13], |v[0:1]|, 1
	v_trig_preop_f64 v[22:23], |v[0:1]|, 2
	v_mov_b32_e32 v30, 0
	s_mov_b32 s1, 0x3ff921fb
	s_mov_b32 s18, 0x33145c07
	;; [unrolled: 1-line block ×3, first 2 shown]
	v_cndmask_b32_e32 v3, v9, v3, vcc_lo
	v_cndmask_b32_e32 v2, v0, v2, vcc_lo
	v_mul_f64 v[14:15], v[4:5], v[2:3]
	v_mul_f64 v[16:17], v[12:13], v[2:3]
	v_mul_f64 v[28:29], v[22:23], v[2:3]
	v_fma_f64 v[4:5], v[4:5], v[2:3], -v[14:15]
	v_fma_f64 v[12:13], v[12:13], v[2:3], -v[16:17]
	;; [unrolled: 1-line block ×3, first 2 shown]
	v_add_f64 v[18:19], v[16:17], v[4:5]
	v_add_f64 v[20:21], v[18:19], -v[16:17]
	v_add_f64 v[26:27], v[14:15], v[18:19]
	v_add_f64 v[24:25], v[18:19], -v[20:21]
	v_add_f64 v[4:5], v[4:5], -v[20:21]
	v_ldexp_f64 v[20:21], v[26:27], -2
	v_add_f64 v[14:15], v[26:27], -v[14:15]
	v_add_f64 v[16:17], v[16:17], -v[24:25]
	v_add_f64 v[24:25], v[28:29], v[12:13]
	v_cmp_neq_f64_e64 vcc_lo, 0x7ff00000, |v[20:21]|
	v_add_f64 v[14:15], v[18:19], -v[14:15]
	v_add_f64 v[4:5], v[4:5], v[16:17]
	v_fract_f64_e32 v[16:17], v[20:21]
	v_add_f64 v[18:19], v[24:25], v[4:5]
	v_ldexp_f64 v[16:17], v[16:17], 2
	v_add_f64 v[20:21], v[14:15], v[18:19]
	v_cndmask_b32_e32 v17, 0, v17, vcc_lo
	v_cndmask_b32_e32 v16, 0, v16, vcc_lo
	v_add_f64 v[26:27], v[20:21], v[16:17]
	v_add_f64 v[14:15], v[20:21], -v[14:15]
	v_cmp_gt_f64_e32 vcc_lo, 0, v[26:27]
	v_add_f64 v[26:27], v[24:25], -v[28:29]
	v_add_f64 v[14:15], v[18:19], -v[14:15]
	v_cndmask_b32_e64 v31, 0, 0x40100000, vcc_lo
	v_add_f64 v[35:36], v[24:25], -v[26:27]
	v_add_f64 v[12:13], v[12:13], -v[26:27]
	v_add_f64 v[16:17], v[16:17], v[30:31]
	v_add_f64 v[31:32], v[18:19], -v[24:25]
	v_add_f64 v[26:27], v[28:29], -v[35:36]
	v_add_f64 v[33:34], v[20:21], v[16:17]
	;; [unrolled: 3-line block ×3, first 2 shown]
	v_cvt_i32_f64_e32 v9, v[33:34]
	v_add_f64 v[24:25], v[24:25], -v[37:38]
	v_cvt_f64_i32_e32 v[31:32], v9
	v_add_f64 v[4:5], v[4:5], v[24:25]
	v_add_f64 v[16:17], v[16:17], -v[31:32]
	v_add_f64 v[4:5], v[12:13], v[4:5]
	v_add_f64 v[12:13], v[20:21], v[16:17]
	;; [unrolled: 1-line block ×3, first 2 shown]
	v_add_f64 v[4:5], v[12:13], -v[16:17]
	v_cmp_le_f64_e32 vcc_lo, 0.5, v[12:13]
	v_add_f64 v[2:3], v[14:15], v[2:3]
	v_add_f64 v[4:5], v[20:21], -v[4:5]
	v_cndmask_b32_e64 v31, 0, 0x3ff00000, vcc_lo
	v_add_co_ci_u32_e64 v9, null, 0, v9, vcc_lo
	v_add_f64 v[2:3], v[2:3], v[4:5]
	v_add_f64 v[4:5], v[12:13], -v[30:31]
	v_add_f64 v[12:13], v[4:5], v[2:3]
	v_mul_f64 v[14:15], v[12:13], s[0:1]
	v_add_f64 v[4:5], v[12:13], -v[4:5]
	v_fma_f64 v[16:17], v[12:13], s[0:1], -v[14:15]
	v_add_f64 v[2:3], v[2:3], -v[4:5]
	v_fma_f64 v[4:5], v[12:13], s[18:19], v[16:17]
	v_fma_f64 v[4:5], v[2:3], s[0:1], v[4:5]
	v_add_f64 v[2:3], v[14:15], v[4:5]
	v_add_f64 v[12:13], v[2:3], -v[14:15]
	v_add_f64 v[4:5], v[4:5], -v[12:13]
.LBB28_1566:
	s_andn2_saveexec_b32 s0, s16
	s_cbranch_execz .LBB28_1568
; %bb.1567:
	s_mov_b32 s16, 0x6dc9c883
	s_mov_b32 s17, 0x3fe45f30
	;; [unrolled: 1-line block ×3, first 2 shown]
	v_mul_f64 v[2:3], |v[0:1]|, s[16:17]
	s_mov_b32 s16, 0x54442d18
	s_mov_b32 s17, 0xbff921fb
	;; [unrolled: 1-line block ×3, first 2 shown]
	v_rndne_f64_e32 v[12:13], v[2:3]
	v_fma_f64 v[2:3], v[12:13], s[16:17], |v[0:1]|
	v_mul_f64 v[4:5], v[12:13], s[18:19]
	s_mov_b32 s16, 0x252049c0
	s_mov_b32 s17, 0xb97b839a
	v_cvt_i32_f64_e32 v9, v[12:13]
	v_fma_f64 v[16:17], v[12:13], s[18:19], v[2:3]
	v_add_f64 v[14:15], v[2:3], v[4:5]
	s_mov_b32 s19, 0x3c91a626
	v_add_f64 v[2:3], v[2:3], -v[14:15]
	v_add_f64 v[14:15], v[14:15], -v[16:17]
	v_add_f64 v[2:3], v[2:3], v[4:5]
	v_fma_f64 v[4:5], v[12:13], s[18:19], v[4:5]
	v_add_f64 v[2:3], v[14:15], v[2:3]
	v_add_f64 v[2:3], v[2:3], -v[4:5]
	v_fma_f64 v[4:5], v[12:13], s[16:17], v[2:3]
	v_add_f64 v[2:3], v[16:17], v[4:5]
	v_add_f64 v[14:15], v[2:3], -v[16:17]
	v_add_f64 v[4:5], v[4:5], -v[14:15]
.LBB28_1568:
	s_or_b32 exec_lo, exec_lo, s0
	v_mul_f64 v[12:13], v[2:3], v[2:3]
	v_add_f64 v[14:15], v[4:5], v[4:5]
	s_mov_b32 s16, 0xa9a29f71
	s_mov_b32 s18, 0xc751c08c
	;; [unrolled: 1-line block ×4, first 2 shown]
	v_cmp_class_f64_e64 s0, v[0:1], 0x1f8
	v_and_b32_e32 v9, 1, v9
	v_and_b32_e32 v1, 0x80000000, v1
	v_sub_f32_e32 v11, 1.0, v11
	s_mov_b32 s1, exec_lo
	v_cmp_eq_u32_e32 vcc_lo, 0, v9
	v_fma_f64 v[16:17], v[2:3], v[2:3], -v[12:13]
	v_fma_f64 v[14:15], v[2:3], v[14:15], v[16:17]
	v_add_f64 v[12:13], v[12:13], v[14:15]
	v_fma_f64 v[14:15], v[12:13], s[18:19], s[16:17]
	s_mov_b32 s16, 0x90a8aae0
	s_mov_b32 s17, 0x3f17746f
	v_fma_f64 v[14:15], v[12:13], v[14:15], s[16:17]
	s_mov_b32 s16, 0xa6fbf144
	s_mov_b32 s17, 0xbefbb44d
	;; [unrolled: 3-line block ×13, first 2 shown]
	v_mul_f64 v[12:13], v[12:13], v[14:15]
	v_mul_f64 v[14:15], v[2:3], v[12:13]
	v_add_f64 v[16:17], v[2:3], v[14:15]
	v_fma_f64 v[12:13], v[2:3], v[12:13], -v[14:15]
	v_add_f64 v[2:3], v[16:17], -v[2:3]
	v_add_f64 v[4:5], v[4:5], v[12:13]
	v_add_f64 v[2:3], v[14:15], -v[2:3]
	v_add_f64 v[2:3], v[4:5], v[2:3]
	v_add_f64 v[4:5], v[16:17], v[2:3]
	v_rcp_f64_e32 v[12:13], v[4:5]
	v_fma_f64 v[14:15], -v[4:5], v[12:13], 1.0
	v_fma_f64 v[12:13], v[14:15], v[12:13], v[12:13]
	v_fma_f64 v[14:15], -v[4:5], v[12:13], 1.0
	v_fma_f64 v[12:13], v[14:15], v[12:13], v[12:13]
	v_add_f64 v[14:15], v[4:5], -v[16:17]
	v_mul_f64 v[16:17], v[4:5], v[12:13]
	v_add_f64 v[2:3], v[2:3], -v[14:15]
	v_fma_f64 v[14:15], v[12:13], v[4:5], -v[16:17]
	v_fma_f64 v[2:3], v[12:13], v[2:3], v[14:15]
	v_add_f64 v[14:15], v[16:17], v[2:3]
	v_add_f64 v[18:19], -v[14:15], 1.0
	v_add_f64 v[16:17], v[14:15], -v[16:17]
	v_add_f64 v[20:21], -v[18:19], 1.0
	v_add_f64 v[2:3], v[16:17], -v[2:3]
	v_add_f64 v[14:15], v[20:21], -v[14:15]
	v_add_f64 v[2:3], v[2:3], v[14:15]
	v_add_f64 v[2:3], v[18:19], v[2:3]
	v_mul_f64 v[2:3], v[12:13], v[2:3]
	v_add_f64 v[2:3], v[12:13], v[2:3]
	v_xor_b32_e32 v0, 0x80000000, v3
	v_cndmask_b32_e32 v2, v2, v4, vcc_lo
	v_cndmask_b32_e32 v0, v0, v5, vcc_lo
	v_xor_b32_e32 v1, v0, v1
	v_cndmask_b32_e64 v0, 0, v2, s0
	v_cndmask_b32_e64 v1, 0x7ff80000, v1, s0
	v_div_scale_f64 v[2:3], null, v[0:1], v[0:1], s[16:17]
	v_rcp_f64_e32 v[4:5], v[2:3]
	v_fma_f64 v[12:13], -v[2:3], v[4:5], 1.0
	v_fma_f64 v[4:5], v[4:5], v[12:13], v[4:5]
	v_fma_f64 v[12:13], -v[2:3], v[4:5], 1.0
	v_fma_f64 v[4:5], v[4:5], v[12:13], v[4:5]
	v_div_scale_f64 v[12:13], vcc_lo, s[16:17], v[0:1], s[16:17]
	v_mul_f64 v[14:15], v[12:13], v[4:5]
	v_fma_f64 v[2:3], -v[2:3], v[14:15], v[12:13]
	v_div_fmas_f64 v[2:3], v[2:3], v[4:5], v[14:15]
	v_div_fixup_f64 v[0:1], v[2:3], v[0:1], s[16:17]
	v_cvt_f32_f64_e32 v0, v[0:1]
.LBB28_1569:
	s_or_b32 exec_lo, exec_lo, s15
	s_orn2_b32 s0, s1, exec_lo
.LBB28_1570:
	s_or_b32 exec_lo, exec_lo, s14
	v_mov_b32_e32 v9, 0x7e00
	s_and_saveexec_b32 s14, s0
	s_cbranch_execz .LBB28_1582
; %bb.1571:
	s_mov_b32 s0, exec_lo
	v_cmpx_gt_f32_e32 0x41200000, v11
	s_cbranch_execz .LBB28_1575
; %bb.1572:
	s_mov_b32 s1, 0
	.p2align	6
.LBB28_1573:                            ; =>This Inner Loop Header: Depth=1
	v_div_scale_f32 v1, null, v11, v11, 1.0
	v_div_scale_f32 v4, vcc_lo, 1.0, v11, 1.0
	v_rcp_f32_e32 v2, v1
	v_fma_f32 v3, -v1, v2, 1.0
	v_fmac_f32_e32 v2, v3, v2
	v_mul_f32_e32 v3, v4, v2
	v_fma_f32 v5, -v1, v3, v4
	v_fmac_f32_e32 v3, v5, v2
	v_fma_f32 v1, -v1, v3, v4
	v_div_fmas_f32 v1, v1, v2, v3
	v_div_fixup_f32 v1, v1, v11, 1.0
	v_add_f32_e32 v11, 1.0, v11
	v_sub_f32_e32 v0, v0, v1
	v_cmp_ngt_f32_e32 vcc_lo, 0x41200000, v11
	s_or_b32 s1, vcc_lo, s1
	s_andn2_b32 exec_lo, exec_lo, s1
	s_cbranch_execnz .LBB28_1573
; %bb.1574:
	s_or_b32 exec_lo, exec_lo, s1
.LBB28_1575:
	s_or_b32 exec_lo, exec_lo, s0
                                        ; implicit-def: $vgpr9
	s_mov_b32 s0, exec_lo
	v_cmpx_neq_f32_e32 0x41200000, v11
	s_xor_b32 s15, exec_lo, s0
	s_cbranch_execz .LBB28_1579
; %bb.1576:
	v_cvt_f64_f32_e32 v[1:2], v11
	s_mov_b32 s0, 0x85d8a000
	s_mov_b32 s1, 0x43763457
	v_cmp_gt_f64_e32 vcc_lo, s[0:1], v[1:2]
	v_mov_b32_e32 v1, 0
	s_and_saveexec_b32 s0, vcc_lo
	s_cbranch_execz .LBB28_1578
; %bb.1577:
	v_mul_f32_e32 v1, v11, v11
	v_div_scale_f32 v2, null, v1, v1, 1.0
	v_rcp_f32_e32 v3, v2
	v_fma_f32 v4, -v2, v3, 1.0
	v_fmac_f32_e32 v3, v4, v3
	v_div_scale_f32 v4, vcc_lo, 1.0, v1, 1.0
	v_mul_f32_e32 v5, v4, v3
	v_fma_f32 v9, -v2, v5, v4
	v_fmac_f32_e32 v5, v9, v3
	v_fma_f32 v2, -v2, v5, v4
	v_div_fmas_f32 v2, v2, v3, v5
	v_div_fixup_f32 v1, v2, v1, 1.0
	v_fmaak_f32 v2, 0, v1, 0x3daaaaab
	v_fmaak_f32 v2, v1, v2, 0xbcaccacd
	v_fmaak_f32 v2, v1, v2, 0x3bf83e10
	v_fmaak_f32 v2, v1, v2, 0xbb888889
	v_fmaak_f32 v2, v1, v2, 0x3b820821
	v_fmaak_f32 v2, v1, v2, 0xbc088889
	v_fmaak_f32 v2, v1, v2, 0x3daaaaab
	v_mul_f32_e32 v1, v1, v2
.LBB28_1578:
	s_or_b32 exec_lo, exec_lo, s0
	v_cmp_gt_f32_e32 vcc_lo, 0x800000, v11
	v_div_scale_f32 v2, null, v11, v11, -0.5
	v_div_scale_f32 v9, s0, -0.5, v11, -0.5
	v_cndmask_b32_e64 v3, 0, 32, vcc_lo
	v_rcp_f32_e32 v4, v2
	v_ldexp_f32 v3, v11, v3
	v_log_f32_e32 v3, v3
	v_fma_f32 v5, -v2, v4, 1.0
	v_fmac_f32_e32 v4, v5, v4
	v_mul_f32_e32 v5, 0x3f317217, v3
	v_mul_f32_e32 v12, v9, v4
	v_cmp_gt_f32_e64 s1, 0x7f800000, |v3|
	v_fma_f32 v5, 0x3f317217, v3, -v5
	v_fma_f32 v13, -v2, v12, v9
	v_fmamk_f32 v5, v3, 0x3377d1cf, v5
	v_fmac_f32_e32 v12, v13, v4
	v_fmac_f32_e32 v5, 0x3f317217, v3
	v_fma_f32 v2, -v2, v12, v9
	v_cndmask_b32_e64 v3, v3, v5, s1
	v_cndmask_b32_e64 v5, 0, 0x41b17218, vcc_lo
	s_mov_b32 vcc_lo, s0
	v_div_fmas_f32 v2, v2, v4, v12
	v_sub_f32_e32 v3, v3, v5
	v_div_fixup_f32 v2, v2, v11, -0.5
	v_add_f32_e32 v2, v3, v2
	v_sub_f32_e32 v1, v2, v1
	v_add_f32_e32 v0, v0, v1
	v_cvt_f16_f32_e32 v9, v0
                                        ; implicit-def: $vgpr0
.LBB28_1579:
	s_andn2_saveexec_b32 s0, s15
; %bb.1580:
	v_add_f32_e32 v0, 0x40101cb7, v0
	v_cvt_f16_f32_e32 v9, v0
; %bb.1581:
	s_or_b32 exec_lo, exec_lo, s0
.LBB28_1582:
	s_or_b32 exec_lo, exec_lo, s14
                                        ; implicit-def: $vgpr11
.LBB28_1583:
	s_andn2_saveexec_b32 s0, s13
; %bb.1584:
	v_xor_b32_e32 v0, 0x80000000, v11
	v_mov_b32_e32 v1, 0xffff8000
	v_and_b32_sdwa v0, v0, v1 dst_sel:DWORD dst_unused:UNUSED_PAD src0_sel:WORD_1 src1_sel:DWORD
	v_or_b32_e32 v9, 0x7c00, v0
; %bb.1585:
	s_or_b32 exec_lo, exec_lo, s0
	v_add_nc_u32_e32 v0, s3, v10
	s_cmp_lt_i32 s6, 11
	v_ashrrev_i32_e32 v1, 31, v0
	v_add_co_u32 v0, vcc_lo, s10, v0
	v_add_co_ci_u32_e64 v1, null, s11, v1, vcc_lo
	s_cbranch_scc1 .LBB28_1592
; %bb.1586:
	s_cmp_gt_i32 s6, 25
	s_mov_b32 s1, 0
	s_cbranch_scc0 .LBB28_1593
; %bb.1587:
	s_cmp_gt_i32 s6, 28
	s_cbranch_scc0 .LBB28_1594
; %bb.1588:
	s_cmp_gt_i32 s6, 43
	;; [unrolled: 3-line block ×3, first 2 shown]
	s_cbranch_scc0 .LBB28_1597
; %bb.1590:
	s_cmp_eq_u32 s6, 46
	s_mov_b32 s10, 0
	s_cbranch_scc0 .LBB28_1598
; %bb.1591:
	global_load_dword v2, v[0:1], off
	s_mov_b32 s0, 0
	s_mov_b32 s3, -1
	s_waitcnt vmcnt(0)
	v_lshlrev_b32_e32 v2, 16, v2
	v_cvt_f16_f32_e32 v3, v2
	s_branch .LBB28_1600
.LBB28_1592:
	s_mov_b32 s0, -1
	s_mov_b32 s3, 0
                                        ; implicit-def: $vgpr3
	s_branch .LBB28_1666
.LBB28_1593:
	s_mov_b32 s10, -1
	s_mov_b32 s3, 0
	s_mov_b32 s0, 0
                                        ; implicit-def: $vgpr3
	s_branch .LBB28_1629
.LBB28_1594:
	s_mov_b32 s10, -1
	s_mov_b32 s3, 0
	s_mov_b32 s0, 0
                                        ; implicit-def: $vgpr3
	s_branch .LBB28_1610
.LBB28_1595:
	s_mov_b32 s10, -1
	s_mov_b32 s3, 0
	s_mov_b32 s0, 0
                                        ; implicit-def: $vgpr3
	s_branch .LBB28_1605
.LBB28_1596:
	s_or_b32 s5, s5, exec_lo
	s_trap 2
	s_cbranch_execz .LBB28_1511
	s_branch .LBB28_1512
.LBB28_1597:
	s_mov_b32 s10, -1
	s_mov_b32 s3, 0
	s_mov_b32 s0, 0
	s_branch .LBB28_1599
.LBB28_1598:
	s_mov_b32 s0, -1
	s_mov_b32 s3, 0
.LBB28_1599:
                                        ; implicit-def: $vgpr3
.LBB28_1600:
	s_and_b32 vcc_lo, exec_lo, s10
	s_cbranch_vccz .LBB28_1604
; %bb.1601:
	s_cmp_eq_u32 s6, 44
	s_cbranch_scc0 .LBB28_1603
; %bb.1602:
	global_load_ubyte v2, v[0:1], off
	s_mov_b32 s0, 0
	s_mov_b32 s3, -1
	s_waitcnt vmcnt(0)
	v_lshlrev_b32_e32 v3, 23, v2
	v_cmp_ne_u32_e32 vcc_lo, 0xff, v2
	v_cvt_f16_f32_e32 v3, v3
	v_cndmask_b32_e32 v3, 0x7e00, v3, vcc_lo
	v_cmp_ne_u32_e32 vcc_lo, 0, v2
	v_cndmask_b32_e32 v3, 0, v3, vcc_lo
	s_branch .LBB28_1604
.LBB28_1603:
	s_mov_b32 s0, -1
                                        ; implicit-def: $vgpr3
.LBB28_1604:
	s_mov_b32 s10, 0
.LBB28_1605:
	s_and_b32 vcc_lo, exec_lo, s10
	s_cbranch_vccz .LBB28_1609
; %bb.1606:
	s_cmp_eq_u32 s6, 29
	s_cbranch_scc0 .LBB28_1608
; %bb.1607:
	global_load_dwordx2 v[2:3], v[0:1], off
	s_mov_b32 s0, 0
	s_mov_b32 s3, -1
	s_mov_b32 s10, 0
	s_waitcnt vmcnt(0)
	v_ffbh_u32_e32 v4, v3
	v_min_u32_e32 v4, 32, v4
	v_lshlrev_b64 v[2:3], v4, v[2:3]
	v_min_u32_e32 v2, 1, v2
	v_or_b32_e32 v2, v3, v2
	v_sub_nc_u32_e32 v3, 32, v4
	v_cvt_f32_u32_e32 v2, v2
	v_ldexp_f32 v2, v2, v3
	v_cvt_f16_f32_e32 v3, v2
	s_branch .LBB28_1610
.LBB28_1608:
	s_mov_b32 s0, -1
                                        ; implicit-def: $vgpr3
.LBB28_1609:
	s_mov_b32 s10, 0
.LBB28_1610:
	s_and_b32 vcc_lo, exec_lo, s10
	s_cbranch_vccz .LBB28_1628
; %bb.1611:
	s_cmp_lt_i32 s6, 27
	s_cbranch_scc1 .LBB28_1614
; %bb.1612:
	s_cmp_gt_i32 s6, 27
	s_cbranch_scc0 .LBB28_1615
; %bb.1613:
	global_load_dword v2, v[0:1], off
	s_mov_b32 s3, 0
	s_waitcnt vmcnt(0)
	v_cvt_f32_u32_e32 v2, v2
	v_cvt_f16_f32_e32 v3, v2
	s_branch .LBB28_1616
.LBB28_1614:
	s_mov_b32 s3, -1
                                        ; implicit-def: $vgpr3
	s_branch .LBB28_1619
.LBB28_1615:
	s_mov_b32 s3, -1
                                        ; implicit-def: $vgpr3
.LBB28_1616:
	s_andn2_b32 vcc_lo, exec_lo, s3
	s_cbranch_vccnz .LBB28_1618
; %bb.1617:
	global_load_ushort v2, v[0:1], off
	s_waitcnt vmcnt(0)
	v_cvt_f16_u16_e32 v3, v2
.LBB28_1618:
	s_mov_b32 s3, 0
.LBB28_1619:
	s_andn2_b32 vcc_lo, exec_lo, s3
	s_cbranch_vccnz .LBB28_1627
; %bb.1620:
	global_load_ubyte v2, v[0:1], off
	s_mov_b32 s3, 0
	s_mov_b32 s10, exec_lo
	s_waitcnt vmcnt(0)
	v_cmpx_lt_i16_e32 0x7f, v2
	s_xor_b32 s10, exec_lo, s10
	s_cbranch_execz .LBB28_1641
; %bb.1621:
	s_mov_b32 s3, -1
	s_mov_b32 s11, exec_lo
	v_cmpx_eq_u16_e32 0x80, v2
; %bb.1622:
	s_xor_b32 s3, exec_lo, -1
; %bb.1623:
	s_or_b32 exec_lo, exec_lo, s11
	s_and_b32 s3, s3, exec_lo
	s_or_saveexec_b32 s10, s10
	v_mov_b32_e32 v3, 0x7e00
	s_xor_b32 exec_lo, exec_lo, s10
	s_cbranch_execnz .LBB28_1642
.LBB28_1624:
	s_or_b32 exec_lo, exec_lo, s10
	s_and_saveexec_b32 s10, s3
	s_cbranch_execz .LBB28_1626
.LBB28_1625:
	v_and_b32_e32 v3, 0xffff, v2
	v_lshlrev_b32_e32 v2, 24, v2
	v_and_b32_e32 v4, 7, v3
	v_bfe_u32 v11, v3, 3, 4
	v_and_b32_e32 v2, 0x80000000, v2
	v_ffbh_u32_e32 v5, v4
	v_cmp_eq_u32_e32 vcc_lo, 0, v11
	v_min_u32_e32 v5, 32, v5
	v_subrev_nc_u32_e32 v10, 28, v5
	v_sub_nc_u32_e32 v5, 29, v5
	v_lshlrev_b32_e32 v3, v10, v3
	v_cndmask_b32_e32 v5, v11, v5, vcc_lo
	v_and_b32_e32 v3, 7, v3
	v_cndmask_b32_e32 v3, v4, v3, vcc_lo
	v_lshl_add_u32 v4, v5, 23, 0x3b800000
	v_lshlrev_b32_e32 v3, 20, v3
	v_or3_b32 v2, v2, v4, v3
	v_cvt_f16_f32_e32 v3, v2
.LBB28_1626:
	s_or_b32 exec_lo, exec_lo, s10
.LBB28_1627:
	s_mov_b32 s3, -1
.LBB28_1628:
	s_mov_b32 s10, 0
.LBB28_1629:
	s_and_b32 vcc_lo, exec_lo, s10
	s_cbranch_vccz .LBB28_1662
; %bb.1630:
	s_cmp_gt_i32 s6, 22
	s_cbranch_scc0 .LBB28_1640
; %bb.1631:
	s_cmp_lt_i32 s6, 24
	s_cbranch_scc1 .LBB28_1643
; %bb.1632:
	s_cmp_gt_i32 s6, 24
	s_cbranch_scc0 .LBB28_1644
; %bb.1633:
	global_load_ubyte v2, v[0:1], off
	s_mov_b32 s3, exec_lo
	s_waitcnt vmcnt(0)
	v_cmpx_lt_i16_e32 0x7f, v2
	s_xor_b32 s3, exec_lo, s3
	s_cbranch_execz .LBB28_1656
; %bb.1634:
	s_mov_b32 s1, -1
	s_mov_b32 s10, exec_lo
	v_cmpx_eq_u16_e32 0x80, v2
; %bb.1635:
	s_xor_b32 s1, exec_lo, -1
; %bb.1636:
	s_or_b32 exec_lo, exec_lo, s10
	s_and_b32 s1, s1, exec_lo
	s_or_saveexec_b32 s3, s3
	v_mov_b32_e32 v3, 0x7e00
	s_xor_b32 exec_lo, exec_lo, s3
	s_cbranch_execnz .LBB28_1657
.LBB28_1637:
	s_or_b32 exec_lo, exec_lo, s3
	s_and_saveexec_b32 s3, s1
	s_cbranch_execz .LBB28_1639
.LBB28_1638:
	v_and_b32_e32 v3, 0xffff, v2
	v_lshlrev_b32_e32 v2, 24, v2
	v_and_b32_e32 v4, 3, v3
	v_bfe_u32 v11, v3, 2, 5
	v_and_b32_e32 v2, 0x80000000, v2
	v_ffbh_u32_e32 v5, v4
	v_cmp_eq_u32_e32 vcc_lo, 0, v11
	v_min_u32_e32 v5, 32, v5
	v_subrev_nc_u32_e32 v10, 29, v5
	v_sub_nc_u32_e32 v5, 30, v5
	v_lshlrev_b32_e32 v3, v10, v3
	v_cndmask_b32_e32 v5, v11, v5, vcc_lo
	v_and_b32_e32 v3, 3, v3
	v_cndmask_b32_e32 v3, v4, v3, vcc_lo
	v_lshl_add_u32 v4, v5, 23, 0x37800000
	v_lshlrev_b32_e32 v3, 21, v3
	v_or3_b32 v2, v2, v4, v3
	v_cvt_f16_f32_e32 v3, v2
.LBB28_1639:
	s_or_b32 exec_lo, exec_lo, s3
	s_mov_b32 s1, 0
	s_branch .LBB28_1645
.LBB28_1640:
	s_mov_b32 s1, -1
                                        ; implicit-def: $vgpr3
	s_branch .LBB28_1651
.LBB28_1641:
	s_or_saveexec_b32 s10, s10
	v_mov_b32_e32 v3, 0x7e00
	s_xor_b32 exec_lo, exec_lo, s10
	s_cbranch_execz .LBB28_1624
.LBB28_1642:
	v_cmp_ne_u16_e32 vcc_lo, 0, v2
	v_mov_b32_e32 v3, v2
	s_andn2_b32 s3, s3, exec_lo
	s_and_b32 s11, vcc_lo, exec_lo
	s_or_b32 s3, s3, s11
	s_or_b32 exec_lo, exec_lo, s10
	s_and_saveexec_b32 s10, s3
	s_cbranch_execnz .LBB28_1625
	s_branch .LBB28_1626
.LBB28_1643:
	s_mov_b32 s1, -1
                                        ; implicit-def: $vgpr3
	s_branch .LBB28_1648
.LBB28_1644:
	s_mov_b32 s1, -1
                                        ; implicit-def: $vgpr3
.LBB28_1645:
	s_and_b32 vcc_lo, exec_lo, s1
	s_cbranch_vccz .LBB28_1647
; %bb.1646:
	global_load_ubyte v2, v[0:1], off
	s_waitcnt vmcnt(0)
	v_lshlrev_b32_e32 v2, 24, v2
	v_and_b32_e32 v3, 0x7f000000, v2
	v_ffbh_u32_e32 v4, v3
	v_add_nc_u32_e32 v10, 0x1000000, v3
	v_cmp_ne_u32_e32 vcc_lo, 0, v3
	v_min_u32_e32 v4, 32, v4
	v_sub_nc_u32_e64 v4, v4, 4 clamp
	v_lshlrev_b32_e32 v5, v4, v3
	v_lshlrev_b32_e32 v4, 23, v4
	v_lshrrev_b32_e32 v5, 4, v5
	v_sub_nc_u32_e32 v4, v5, v4
	v_ashrrev_i32_e32 v5, 8, v10
	v_add_nc_u32_e32 v4, 0x3c000000, v4
	v_and_or_b32 v4, 0x7f800000, v5, v4
	v_cndmask_b32_e32 v3, 0, v4, vcc_lo
	v_and_or_b32 v2, 0x80000000, v2, v3
	v_cvt_f16_f32_e32 v3, v2
.LBB28_1647:
	s_mov_b32 s1, 0
.LBB28_1648:
	s_andn2_b32 vcc_lo, exec_lo, s1
	s_cbranch_vccnz .LBB28_1650
; %bb.1649:
	global_load_ubyte v2, v[0:1], off
	s_waitcnt vmcnt(0)
	v_lshlrev_b32_e32 v3, 25, v2
	v_lshlrev_b16 v2, 8, v2
	v_lshrrev_b32_e32 v4, 4, v3
	v_and_or_b32 v5, 0x7f00, v2, 0.5
	v_cmp_gt_u32_e32 vcc_lo, 0x8000000, v3
	v_bfe_i32 v2, v2, 0, 16
	v_or_b32_e32 v4, 0x70000000, v4
	v_add_f32_e32 v5, -0.5, v5
	v_mul_f32_e32 v4, 0x7800000, v4
	v_cndmask_b32_e32 v3, v4, v5, vcc_lo
	v_and_or_b32 v2, 0x80000000, v2, v3
	v_cvt_f16_f32_e32 v3, v2
.LBB28_1650:
	s_mov_b32 s1, 0
	s_mov_b32 s3, -1
.LBB28_1651:
	s_andn2_b32 vcc_lo, exec_lo, s1
	s_mov_b32 s1, 0
	s_cbranch_vccnz .LBB28_1662
; %bb.1652:
	s_cmp_gt_i32 s6, 14
	s_cbranch_scc0 .LBB28_1655
; %bb.1653:
	s_cmp_eq_u32 s6, 15
	s_cbranch_scc0 .LBB28_1658
; %bb.1654:
	global_load_ushort v2, v[0:1], off
	s_mov_b32 s0, 0
	s_mov_b32 s3, -1
	s_waitcnt vmcnt(0)
	v_lshlrev_b32_e32 v2, 16, v2
	v_cvt_f16_f32_e32 v3, v2
	s_branch .LBB28_1660
.LBB28_1655:
	s_mov_b32 s1, -1
	s_branch .LBB28_1659
.LBB28_1656:
	s_or_saveexec_b32 s3, s3
	v_mov_b32_e32 v3, 0x7e00
	s_xor_b32 exec_lo, exec_lo, s3
	s_cbranch_execz .LBB28_1637
.LBB28_1657:
	v_cmp_ne_u16_e32 vcc_lo, 0, v2
	v_mov_b32_e32 v3, v2
	s_andn2_b32 s1, s1, exec_lo
	s_and_b32 s10, vcc_lo, exec_lo
	s_or_b32 s1, s1, s10
	s_or_b32 exec_lo, exec_lo, s3
	s_and_saveexec_b32 s3, s1
	s_cbranch_execnz .LBB28_1638
	s_branch .LBB28_1639
.LBB28_1658:
	s_mov_b32 s0, -1
.LBB28_1659:
                                        ; implicit-def: $vgpr3
.LBB28_1660:
	s_and_b32 vcc_lo, exec_lo, s1
	s_mov_b32 s1, 0
	s_cbranch_vccz .LBB28_1662
; %bb.1661:
	s_cmp_lg_u32 s6, 11
	s_mov_b32 s1, -1
	s_cselect_b32 s0, -1, 0
.LBB28_1662:
	s_and_b32 vcc_lo, exec_lo, s0
	s_cbranch_vccnz .LBB28_2220
; %bb.1663:
	s_andn2_b32 vcc_lo, exec_lo, s1
	s_cbranch_vccnz .LBB28_1665
.LBB28_1664:
	global_load_ubyte v2, v[0:1], off
	s_mov_b32 s3, -1
	s_waitcnt vmcnt(0)
	v_cmp_ne_u16_e32 vcc_lo, 0, v2
	v_cndmask_b32_e64 v3, 0, 0x3c00, vcc_lo
.LBB28_1665:
	s_mov_b32 s0, 0
.LBB28_1666:
	s_and_b32 vcc_lo, exec_lo, s0
	s_cbranch_vccz .LBB28_1715
; %bb.1667:
	s_cmp_lt_i32 s6, 5
	s_cbranch_scc1 .LBB28_1672
; %bb.1668:
	s_cmp_lt_i32 s6, 8
	s_cbranch_scc1 .LBB28_1673
; %bb.1669:
	s_cmp_lt_i32 s6, 9
	s_cbranch_scc1 .LBB28_1674
; %bb.1670:
	s_cmp_gt_i32 s6, 9
	s_cbranch_scc0 .LBB28_1675
; %bb.1671:
	global_load_dwordx2 v[2:3], v[0:1], off
	s_mov_b32 s0, 0
	s_waitcnt vmcnt(0)
	v_and_or_b32 v2, 0x1ff, v3, v2
	v_lshrrev_b32_e32 v4, 8, v3
	v_bfe_u32 v5, v3, 20, 11
	v_lshrrev_b32_e32 v3, 16, v3
	v_cmp_ne_u32_e32 vcc_lo, 0, v2
	v_sub_nc_u32_e32 v10, 0x3f1, v5
	v_add_nc_u32_e32 v5, 0xfffffc10, v5
	v_cndmask_b32_e64 v2, 0, 1, vcc_lo
	v_and_or_b32 v2, 0xffe, v4, v2
	v_med3_i32 v4, v10, 0, 13
	v_or_b32_e32 v10, 0x1000, v2
	v_lshrrev_b32_e32 v11, v4, v10
	v_lshlrev_b32_e32 v4, v4, v11
	v_cmp_ne_u32_e32 vcc_lo, v4, v10
	v_lshl_or_b32 v10, v5, 12, v2
	v_cndmask_b32_e64 v4, 0, 1, vcc_lo
	v_cmp_gt_i32_e32 vcc_lo, 1, v5
	v_or_b32_e32 v4, v11, v4
	v_cndmask_b32_e32 v4, v10, v4, vcc_lo
	v_and_b32_e32 v10, 7, v4
	v_lshrrev_b32_e32 v4, 2, v4
	v_cmp_lt_i32_e32 vcc_lo, 5, v10
	v_cndmask_b32_e64 v11, 0, 1, vcc_lo
	v_cmp_eq_u32_e32 vcc_lo, 3, v10
	v_cndmask_b32_e64 v10, 0, 1, vcc_lo
	v_cmp_ne_u32_e32 vcc_lo, 0, v2
	v_or_b32_e32 v10, v10, v11
	v_mov_b32_e32 v11, 0x7e00
	v_add_nc_u32_e32 v4, v4, v10
	v_cndmask_b32_e32 v2, 0x7c00, v11, vcc_lo
	v_cmp_gt_i32_e32 vcc_lo, 31, v5
	v_cndmask_b32_e32 v4, 0x7c00, v4, vcc_lo
	v_cmp_eq_u32_e32 vcc_lo, 0x40f, v5
	v_cndmask_b32_e32 v2, v4, v2, vcc_lo
	v_and_or_b32 v3, 0x8000, v3, v2
	s_branch .LBB28_1676
.LBB28_1672:
	s_mov_b32 s0, -1
                                        ; implicit-def: $vgpr3
	s_branch .LBB28_1694
.LBB28_1673:
	s_mov_b32 s0, -1
                                        ; implicit-def: $vgpr3
	s_branch .LBB28_1682
.LBB28_1674:
	s_mov_b32 s0, -1
                                        ; implicit-def: $vgpr3
	s_branch .LBB28_1679
.LBB28_1675:
	s_mov_b32 s0, -1
                                        ; implicit-def: $vgpr3
.LBB28_1676:
	s_andn2_b32 vcc_lo, exec_lo, s0
	s_cbranch_vccnz .LBB28_1678
; %bb.1677:
	global_load_dword v2, v[0:1], off
	s_waitcnt vmcnt(0)
	v_cvt_f16_f32_e32 v3, v2
.LBB28_1678:
	s_mov_b32 s0, 0
.LBB28_1679:
	s_andn2_b32 vcc_lo, exec_lo, s0
	s_cbranch_vccnz .LBB28_1681
; %bb.1680:
	global_load_dword v3, v[0:1], off
.LBB28_1681:
	s_mov_b32 s0, 0
.LBB28_1682:
	s_andn2_b32 vcc_lo, exec_lo, s0
	s_cbranch_vccnz .LBB28_1693
; %bb.1683:
	s_cmp_lt_i32 s6, 6
	s_cbranch_scc1 .LBB28_1686
; %bb.1684:
	s_cmp_gt_i32 s6, 6
	s_cbranch_scc0 .LBB28_1687
; %bb.1685:
	global_load_dwordx2 v[2:3], v[0:1], off
	s_mov_b32 s0, 0
	s_waitcnt vmcnt(0)
	v_and_or_b32 v2, 0x1ff, v3, v2
	v_lshrrev_b32_e32 v4, 8, v3
	v_bfe_u32 v5, v3, 20, 11
	v_lshrrev_b32_e32 v3, 16, v3
	v_cmp_ne_u32_e32 vcc_lo, 0, v2
	v_sub_nc_u32_e32 v10, 0x3f1, v5
	v_add_nc_u32_e32 v5, 0xfffffc10, v5
	v_cndmask_b32_e64 v2, 0, 1, vcc_lo
	v_and_or_b32 v2, 0xffe, v4, v2
	v_med3_i32 v4, v10, 0, 13
	v_or_b32_e32 v10, 0x1000, v2
	v_lshrrev_b32_e32 v11, v4, v10
	v_lshlrev_b32_e32 v4, v4, v11
	v_cmp_ne_u32_e32 vcc_lo, v4, v10
	v_lshl_or_b32 v10, v5, 12, v2
	v_cndmask_b32_e64 v4, 0, 1, vcc_lo
	v_cmp_gt_i32_e32 vcc_lo, 1, v5
	v_or_b32_e32 v4, v11, v4
	v_cndmask_b32_e32 v4, v10, v4, vcc_lo
	v_and_b32_e32 v10, 7, v4
	v_lshrrev_b32_e32 v4, 2, v4
	v_cmp_lt_i32_e32 vcc_lo, 5, v10
	v_cndmask_b32_e64 v11, 0, 1, vcc_lo
	v_cmp_eq_u32_e32 vcc_lo, 3, v10
	v_cndmask_b32_e64 v10, 0, 1, vcc_lo
	v_cmp_ne_u32_e32 vcc_lo, 0, v2
	v_or_b32_e32 v10, v10, v11
	v_mov_b32_e32 v11, 0x7e00
	v_add_nc_u32_e32 v4, v4, v10
	v_cndmask_b32_e32 v2, 0x7c00, v11, vcc_lo
	v_cmp_gt_i32_e32 vcc_lo, 31, v5
	v_cndmask_b32_e32 v4, 0x7c00, v4, vcc_lo
	v_cmp_eq_u32_e32 vcc_lo, 0x40f, v5
	v_cndmask_b32_e32 v2, v4, v2, vcc_lo
	v_and_or_b32 v3, 0x8000, v3, v2
	s_branch .LBB28_1688
.LBB28_1686:
	s_mov_b32 s0, -1
                                        ; implicit-def: $vgpr3
	s_branch .LBB28_1691
.LBB28_1687:
	s_mov_b32 s0, -1
                                        ; implicit-def: $vgpr3
.LBB28_1688:
	s_andn2_b32 vcc_lo, exec_lo, s0
	s_cbranch_vccnz .LBB28_1690
; %bb.1689:
	global_load_dword v2, v[0:1], off
	s_waitcnt vmcnt(0)
	v_cvt_f16_f32_e32 v3, v2
.LBB28_1690:
	s_mov_b32 s0, 0
.LBB28_1691:
	s_andn2_b32 vcc_lo, exec_lo, s0
	s_cbranch_vccnz .LBB28_1693
; %bb.1692:
	global_load_ushort v3, v[0:1], off
.LBB28_1693:
	s_mov_b32 s0, 0
.LBB28_1694:
	s_andn2_b32 vcc_lo, exec_lo, s0
	s_cbranch_vccnz .LBB28_1714
; %bb.1695:
	s_cmp_lt_i32 s6, 2
	s_cbranch_scc1 .LBB28_1699
; %bb.1696:
	s_cmp_lt_i32 s6, 3
	s_cbranch_scc1 .LBB28_1700
; %bb.1697:
	s_cmp_gt_i32 s6, 3
	s_cbranch_scc0 .LBB28_1701
; %bb.1698:
	global_load_dwordx2 v[2:3], v[0:1], off
	s_mov_b32 s0, 0
	s_waitcnt vmcnt(0)
	v_xor_b32_e32 v4, v2, v3
	v_ffbh_i32_e32 v5, v3
	v_ashrrev_i32_e32 v4, 31, v4
	v_add_nc_u32_e32 v5, -1, v5
	v_add_nc_u32_e32 v4, 32, v4
	v_min_u32_e32 v4, v5, v4
	v_lshlrev_b64 v[2:3], v4, v[2:3]
	v_min_u32_e32 v2, 1, v2
	v_or_b32_e32 v2, v3, v2
	v_sub_nc_u32_e32 v3, 32, v4
	v_cvt_f32_i32_e32 v2, v2
	v_ldexp_f32 v2, v2, v3
	v_cvt_f16_f32_e32 v3, v2
	s_branch .LBB28_1702
.LBB28_1699:
	s_mov_b32 s0, -1
                                        ; implicit-def: $vgpr3
	s_branch .LBB28_1708
.LBB28_1700:
	s_mov_b32 s0, -1
                                        ; implicit-def: $vgpr3
	s_branch .LBB28_1705
.LBB28_1701:
	s_mov_b32 s0, -1
                                        ; implicit-def: $vgpr3
.LBB28_1702:
	s_andn2_b32 vcc_lo, exec_lo, s0
	s_cbranch_vccnz .LBB28_1704
; %bb.1703:
	global_load_dword v2, v[0:1], off
	s_waitcnt vmcnt(0)
	v_cvt_f32_i32_e32 v2, v2
	v_cvt_f16_f32_e32 v3, v2
.LBB28_1704:
	s_mov_b32 s0, 0
.LBB28_1705:
	s_andn2_b32 vcc_lo, exec_lo, s0
	s_cbranch_vccnz .LBB28_1707
; %bb.1706:
	global_load_ushort v2, v[0:1], off
	s_waitcnt vmcnt(0)
	v_cvt_f16_i16_e32 v3, v2
.LBB28_1707:
	s_mov_b32 s0, 0
.LBB28_1708:
	s_andn2_b32 vcc_lo, exec_lo, s0
	s_cbranch_vccnz .LBB28_1714
; %bb.1709:
	s_cmp_gt_i32 s6, 0
	s_mov_b32 s0, 0
	s_cbranch_scc0 .LBB28_1711
; %bb.1710:
	global_load_sbyte v2, v[0:1], off
	s_waitcnt vmcnt(0)
	v_cvt_f16_i16_e32 v3, v2
	s_branch .LBB28_1712
.LBB28_1711:
	s_mov_b32 s0, -1
                                        ; implicit-def: $vgpr3
.LBB28_1712:
	s_andn2_b32 vcc_lo, exec_lo, s0
	s_cbranch_vccnz .LBB28_1714
; %bb.1713:
	global_load_ubyte v0, v[0:1], off
	s_waitcnt vmcnt(0)
	v_cvt_f16_u16_e32 v3, v0
.LBB28_1714:
	s_mov_b32 s3, -1
.LBB28_1715:
	s_andn2_b32 vcc_lo, exec_lo, s3
	s_cbranch_vccnz .LBB28_1818
; %bb.1716:
	s_waitcnt vmcnt(0)
	v_cvt_f32_f16_e32 v10, v3
                                        ; implicit-def: $vgpr2
	s_mov_b32 s0, exec_lo
	v_cmpx_neq_f16_e32 0, v3
	s_xor_b32 s3, exec_lo, s0
	s_cbranch_execz .LBB28_1738
; %bb.1717:
	v_mov_b32_e32 v0, 0
	s_mov_b32 s0, -1
	s_mov_b32 s6, exec_lo
	v_cmpx_gt_f16_e32 0, v3
	s_cbranch_execz .LBB28_1725
; %bb.1718:
	v_trunc_f32_e32 v0, v10
	s_mov_b32 s1, 0
	v_cmp_neq_f32_e32 vcc_lo, v0, v10
	v_mov_b32_e32 v0, 0
	s_and_saveexec_b32 s10, vcc_lo
	s_cbranch_execz .LBB28_1724
; %bb.1719:
	v_cvt_f32_f16_e32 v0, v3
	s_mov_b32 s1, 0xc00921fb
	s_mov_b32 s0, 0x54442d18
	s_mov_b32 s11, exec_lo
                                        ; implicit-def: $vgpr11
                                        ; implicit-def: $vgpr4_vgpr5
	v_cvt_f64_f32_e32 v[0:1], v0
	v_trunc_f64_e32 v[2:3], v[0:1]
	v_cmp_neq_f64_e64 vcc_lo, 0x7ff00000, |v[0:1]|
	v_add_f64 v[2:3], v[0:1], -v[2:3]
	v_mul_f64 v[2:3], |v[2:3]|, s[0:1]
	v_cndmask_b32_e32 v1, 0x80000000, v3, vcc_lo
	v_cndmask_b32_e32 v0, 0, v2, vcc_lo
                                        ; implicit-def: $vgpr2_vgpr3
	v_cmpx_ngt_f64_e64 0x41d00000, |v[0:1]|
	s_xor_b32 s11, exec_lo, s11
	s_cbranch_execz .LBB28_1721
; %bb.1720:
	v_ldexp_f64 v[2:3], |v[0:1]|, 0xffffff80
	v_cmp_le_f64_e64 vcc_lo, 0x7b000000, |v[0:1]|
	v_trig_preop_f64 v[4:5], |v[0:1]|, 0
	v_and_b32_e32 v11, 0x7fffffff, v1
	v_trig_preop_f64 v[21:22], |v[0:1]|, 2
	v_mov_b32_e32 v29, 0
	s_mov_b32 s1, 0x3ff921fb
	s_mov_b32 s14, 0x33145c07
	;; [unrolled: 1-line block ×3, first 2 shown]
	v_cndmask_b32_e32 v3, v11, v3, vcc_lo
	v_cndmask_b32_e32 v2, v0, v2, vcc_lo
	v_trig_preop_f64 v[11:12], |v[0:1]|, 1
	v_mul_f64 v[13:14], v[4:5], v[2:3]
	v_mul_f64 v[27:28], v[21:22], v[2:3]
	;; [unrolled: 1-line block ×3, first 2 shown]
	v_fma_f64 v[4:5], v[4:5], v[2:3], -v[13:14]
	v_fma_f64 v[11:12], v[11:12], v[2:3], -v[15:16]
	;; [unrolled: 1-line block ×3, first 2 shown]
	v_add_f64 v[17:18], v[15:16], v[4:5]
	v_add_f64 v[19:20], v[17:18], -v[15:16]
	v_add_f64 v[25:26], v[13:14], v[17:18]
	v_add_f64 v[23:24], v[17:18], -v[19:20]
	v_add_f64 v[4:5], v[4:5], -v[19:20]
	v_ldexp_f64 v[19:20], v[25:26], -2
	v_add_f64 v[13:14], v[25:26], -v[13:14]
	v_add_f64 v[15:16], v[15:16], -v[23:24]
	v_add_f64 v[23:24], v[27:28], v[11:12]
	v_cmp_neq_f64_e64 vcc_lo, 0x7ff00000, |v[19:20]|
	v_add_f64 v[13:14], v[17:18], -v[13:14]
	v_add_f64 v[4:5], v[4:5], v[15:16]
	v_fract_f64_e32 v[15:16], v[19:20]
	v_add_f64 v[17:18], v[23:24], v[4:5]
	v_ldexp_f64 v[15:16], v[15:16], 2
	v_add_f64 v[19:20], v[13:14], v[17:18]
	v_cndmask_b32_e32 v16, 0, v16, vcc_lo
	v_cndmask_b32_e32 v15, 0, v15, vcc_lo
	v_add_f64 v[25:26], v[19:20], v[15:16]
	v_add_f64 v[13:14], v[19:20], -v[13:14]
	v_cmp_gt_f64_e32 vcc_lo, 0, v[25:26]
	v_add_f64 v[25:26], v[23:24], -v[27:28]
	v_cndmask_b32_e64 v30, 0, 0x40100000, vcc_lo
	v_add_f64 v[34:35], v[23:24], -v[25:26]
	v_add_f64 v[11:12], v[11:12], -v[25:26]
	v_add_f64 v[15:16], v[15:16], v[29:30]
	v_add_f64 v[30:31], v[17:18], -v[23:24]
	v_add_f64 v[25:26], v[27:28], -v[34:35]
	v_add_f64 v[32:33], v[19:20], v[15:16]
	;; [unrolled: 3-line block ×3, first 2 shown]
	v_cvt_i32_f64_e32 v32, v[32:33]
	v_add_f64 v[23:24], v[23:24], -v[36:37]
	v_cvt_f64_i32_e32 v[30:31], v32
	v_add_f64 v[4:5], v[4:5], v[23:24]
	v_add_f64 v[15:16], v[15:16], -v[30:31]
	v_add_f64 v[4:5], v[11:12], v[4:5]
	v_add_f64 v[11:12], v[17:18], -v[13:14]
	v_add_f64 v[21:22], v[19:20], v[15:16]
	v_add_f64 v[2:3], v[2:3], v[4:5]
	v_add_f64 v[4:5], v[21:22], -v[15:16]
	v_cmp_le_f64_e32 vcc_lo, 0.5, v[21:22]
	v_add_f64 v[2:3], v[11:12], v[2:3]
	v_add_f64 v[4:5], v[19:20], -v[4:5]
	v_cndmask_b32_e64 v30, 0, 0x3ff00000, vcc_lo
	v_add_co_ci_u32_e64 v11, null, 0, v32, vcc_lo
	v_add_f64 v[2:3], v[2:3], v[4:5]
	v_add_f64 v[4:5], v[21:22], -v[29:30]
	v_add_f64 v[12:13], v[4:5], v[2:3]
	v_mul_f64 v[14:15], v[12:13], s[0:1]
	v_add_f64 v[4:5], v[12:13], -v[4:5]
	v_fma_f64 v[16:17], v[12:13], s[0:1], -v[14:15]
	v_add_f64 v[2:3], v[2:3], -v[4:5]
	v_fma_f64 v[4:5], v[12:13], s[14:15], v[16:17]
	v_fma_f64 v[4:5], v[2:3], s[0:1], v[4:5]
	v_add_f64 v[2:3], v[14:15], v[4:5]
	v_add_f64 v[12:13], v[2:3], -v[14:15]
	v_add_f64 v[4:5], v[4:5], -v[12:13]
.LBB28_1721:
	s_andn2_saveexec_b32 s0, s11
	s_cbranch_execz .LBB28_1723
; %bb.1722:
	s_mov_b32 s14, 0x6dc9c883
	s_mov_b32 s15, 0x3fe45f30
	;; [unrolled: 1-line block ×3, first 2 shown]
	v_mul_f64 v[2:3], |v[0:1]|, s[14:15]
	s_mov_b32 s14, 0x54442d18
	s_mov_b32 s15, 0xbff921fb
	;; [unrolled: 1-line block ×3, first 2 shown]
	v_rndne_f64_e32 v[11:12], v[2:3]
	v_fma_f64 v[2:3], v[11:12], s[14:15], |v[0:1]|
	v_mul_f64 v[4:5], v[11:12], s[16:17]
	s_mov_b32 s14, 0x252049c0
	s_mov_b32 s15, 0xb97b839a
	v_fma_f64 v[15:16], v[11:12], s[16:17], v[2:3]
	v_add_f64 v[13:14], v[2:3], v[4:5]
	s_mov_b32 s17, 0x3c91a626
	v_add_f64 v[2:3], v[2:3], -v[13:14]
	v_add_f64 v[13:14], v[13:14], -v[15:16]
	v_add_f64 v[2:3], v[2:3], v[4:5]
	v_fma_f64 v[4:5], v[11:12], s[16:17], v[4:5]
	v_add_f64 v[2:3], v[13:14], v[2:3]
	v_add_f64 v[2:3], v[2:3], -v[4:5]
	v_fma_f64 v[4:5], v[11:12], s[14:15], v[2:3]
	v_cvt_i32_f64_e32 v11, v[11:12]
	v_add_f64 v[2:3], v[15:16], v[4:5]
	v_add_f64 v[13:14], v[2:3], -v[15:16]
	v_add_f64 v[4:5], v[4:5], -v[13:14]
.LBB28_1723:
	s_or_b32 exec_lo, exec_lo, s0
	v_mul_f64 v[12:13], v[2:3], v[2:3]
	v_add_f64 v[14:15], v[4:5], v[4:5]
	s_mov_b32 s14, 0xa9a29f71
	s_mov_b32 s16, 0xc751c08c
	;; [unrolled: 1-line block ×4, first 2 shown]
	v_cmp_class_f64_e64 s0, v[0:1], 0x1f8
	v_and_b32_e32 v11, 1, v11
	v_and_b32_e32 v1, 0x80000000, v1
	v_sub_f32_e32 v10, 1.0, v10
	s_mov_b32 s1, exec_lo
	v_cmp_eq_u32_e32 vcc_lo, 0, v11
	v_fma_f64 v[16:17], v[2:3], v[2:3], -v[12:13]
	v_fma_f64 v[14:15], v[2:3], v[14:15], v[16:17]
	v_add_f64 v[12:13], v[12:13], v[14:15]
	v_fma_f64 v[14:15], v[12:13], s[16:17], s[14:15]
	s_mov_b32 s14, 0x90a8aae0
	s_mov_b32 s15, 0x3f17746f
	v_fma_f64 v[14:15], v[12:13], v[14:15], s[14:15]
	s_mov_b32 s14, 0xa6fbf144
	s_mov_b32 s15, 0xbefbb44d
	v_fma_f64 v[14:15], v[12:13], v[14:15], s[14:15]
	s_mov_b32 s14, 0xa7943acf
	s_mov_b32 s15, 0x3f21e634
	v_fma_f64 v[14:15], v[12:13], v[14:15], s[14:15]
	s_mov_b32 s14, 0xdeb68feb
	s_mov_b32 s15, 0x3f2d250f
	v_fma_f64 v[14:15], v[12:13], v[14:15], s[14:15]
	s_mov_b32 s14, 0xb58c4d95
	s_mov_b32 s15, 0x3f437fd9
	v_fma_f64 v[14:15], v[12:13], v[14:15], s[14:15]
	s_mov_b32 s14, 0x15120e2c
	s_mov_b32 s15, 0x3f57d5af
	v_fma_f64 v[14:15], v[12:13], v[14:15], s[14:15]
	s_mov_b32 s14, 0xe09491df
	s_mov_b32 s15, 0x3f6d6d93
	v_fma_f64 v[14:15], v[12:13], v[14:15], s[14:15]
	s_mov_b32 s14, 0x2033784d
	s_mov_b32 s15, 0x3f8226e1
	v_fma_f64 v[14:15], v[12:13], v[14:15], s[14:15]
	s_mov_b32 s14, 0x9ac36ae2
	s_mov_b32 s15, 0x3f9664f4
	v_fma_f64 v[14:15], v[12:13], v[14:15], s[14:15]
	s_mov_b32 s14, 0x1b451c21
	s_mov_b32 s15, 0x3faba1ba
	v_fma_f64 v[14:15], v[12:13], v[14:15], s[14:15]
	s_mov_b32 s14, 0x111185b7
	s_mov_b32 s15, 0x3fc11111
	v_fma_f64 v[14:15], v[12:13], v[14:15], s[14:15]
	s_mov_b32 s14, 0x555554ee
	s_mov_b32 s15, 0x3fd55555
	v_fma_f64 v[14:15], v[12:13], v[14:15], s[14:15]
	s_mov_b32 s14, 0x54442d18
	s_mov_b32 s15, 0xc00921fb
	v_mul_f64 v[12:13], v[12:13], v[14:15]
	v_mul_f64 v[14:15], v[2:3], v[12:13]
	v_add_f64 v[16:17], v[2:3], v[14:15]
	v_fma_f64 v[12:13], v[2:3], v[12:13], -v[14:15]
	v_add_f64 v[2:3], v[16:17], -v[2:3]
	v_add_f64 v[4:5], v[4:5], v[12:13]
	v_add_f64 v[2:3], v[14:15], -v[2:3]
	v_add_f64 v[2:3], v[4:5], v[2:3]
	v_add_f64 v[4:5], v[16:17], v[2:3]
	v_rcp_f64_e32 v[12:13], v[4:5]
	v_fma_f64 v[14:15], -v[4:5], v[12:13], 1.0
	v_fma_f64 v[12:13], v[14:15], v[12:13], v[12:13]
	v_fma_f64 v[14:15], -v[4:5], v[12:13], 1.0
	v_fma_f64 v[12:13], v[14:15], v[12:13], v[12:13]
	v_add_f64 v[14:15], v[4:5], -v[16:17]
	v_mul_f64 v[16:17], v[4:5], v[12:13]
	v_add_f64 v[2:3], v[2:3], -v[14:15]
	v_fma_f64 v[14:15], v[12:13], v[4:5], -v[16:17]
	v_fma_f64 v[2:3], v[12:13], v[2:3], v[14:15]
	v_add_f64 v[14:15], v[16:17], v[2:3]
	v_add_f64 v[18:19], -v[14:15], 1.0
	v_add_f64 v[16:17], v[14:15], -v[16:17]
	v_add_f64 v[20:21], -v[18:19], 1.0
	v_add_f64 v[2:3], v[16:17], -v[2:3]
	v_add_f64 v[14:15], v[20:21], -v[14:15]
	v_add_f64 v[2:3], v[2:3], v[14:15]
	v_add_f64 v[2:3], v[18:19], v[2:3]
	v_mul_f64 v[2:3], v[12:13], v[2:3]
	v_add_f64 v[2:3], v[12:13], v[2:3]
	v_xor_b32_e32 v0, 0x80000000, v3
	v_cndmask_b32_e32 v2, v2, v4, vcc_lo
	v_cndmask_b32_e32 v0, v0, v5, vcc_lo
	v_xor_b32_e32 v1, v0, v1
	v_cndmask_b32_e64 v0, 0, v2, s0
	v_cndmask_b32_e64 v1, 0x7ff80000, v1, s0
	v_div_scale_f64 v[2:3], null, v[0:1], v[0:1], s[14:15]
	v_rcp_f64_e32 v[4:5], v[2:3]
	v_fma_f64 v[11:12], -v[2:3], v[4:5], 1.0
	v_fma_f64 v[4:5], v[4:5], v[11:12], v[4:5]
	v_fma_f64 v[11:12], -v[2:3], v[4:5], 1.0
	v_fma_f64 v[4:5], v[4:5], v[11:12], v[4:5]
	v_div_scale_f64 v[11:12], vcc_lo, s[14:15], v[0:1], s[14:15]
	v_mul_f64 v[13:14], v[11:12], v[4:5]
	v_fma_f64 v[2:3], -v[2:3], v[13:14], v[11:12]
	v_div_fmas_f64 v[2:3], v[2:3], v[4:5], v[13:14]
	v_div_fixup_f64 v[0:1], v[2:3], v[0:1], s[14:15]
	v_cvt_f32_f64_e32 v0, v[0:1]
.LBB28_1724:
	s_or_b32 exec_lo, exec_lo, s10
	s_orn2_b32 s0, s1, exec_lo
.LBB28_1725:
	s_or_b32 exec_lo, exec_lo, s6
	v_mov_b32_e32 v2, 0x7e00
	s_and_saveexec_b32 s6, s0
	s_cbranch_execz .LBB28_1737
; %bb.1726:
	s_mov_b32 s0, exec_lo
	v_cmpx_gt_f32_e32 0x41200000, v10
	s_cbranch_execz .LBB28_1730
; %bb.1727:
	s_mov_b32 s1, 0
.LBB28_1728:                            ; =>This Inner Loop Header: Depth=1
	v_div_scale_f32 v1, null, v10, v10, 1.0
	v_div_scale_f32 v4, vcc_lo, 1.0, v10, 1.0
	v_rcp_f32_e32 v2, v1
	v_fma_f32 v3, -v1, v2, 1.0
	v_fmac_f32_e32 v2, v3, v2
	v_mul_f32_e32 v3, v4, v2
	v_fma_f32 v5, -v1, v3, v4
	v_fmac_f32_e32 v3, v5, v2
	v_fma_f32 v1, -v1, v3, v4
	v_div_fmas_f32 v1, v1, v2, v3
	v_div_fixup_f32 v1, v1, v10, 1.0
	v_add_f32_e32 v10, 1.0, v10
	v_sub_f32_e32 v0, v0, v1
	v_cmp_ngt_f32_e32 vcc_lo, 0x41200000, v10
	s_or_b32 s1, vcc_lo, s1
	s_andn2_b32 exec_lo, exec_lo, s1
	s_cbranch_execnz .LBB28_1728
; %bb.1729:
	s_or_b32 exec_lo, exec_lo, s1
.LBB28_1730:
	s_or_b32 exec_lo, exec_lo, s0
                                        ; implicit-def: $vgpr2
	s_mov_b32 s0, exec_lo
	v_cmpx_neq_f32_e32 0x41200000, v10
	s_xor_b32 s10, exec_lo, s0
	s_cbranch_execz .LBB28_1734
; %bb.1731:
	v_cvt_f64_f32_e32 v[1:2], v10
	s_mov_b32 s0, 0x85d8a000
	s_mov_b32 s1, 0x43763457
	v_cmp_gt_f64_e32 vcc_lo, s[0:1], v[1:2]
	v_mov_b32_e32 v1, 0
	s_and_saveexec_b32 s0, vcc_lo
	s_cbranch_execz .LBB28_1733
; %bb.1732:
	v_mul_f32_e32 v1, v10, v10
	v_div_scale_f32 v2, null, v1, v1, 1.0
	v_rcp_f32_e32 v3, v2
	v_fma_f32 v4, -v2, v3, 1.0
	v_fmac_f32_e32 v3, v4, v3
	v_div_scale_f32 v4, vcc_lo, 1.0, v1, 1.0
	v_mul_f32_e32 v5, v4, v3
	v_fma_f32 v11, -v2, v5, v4
	v_fmac_f32_e32 v5, v11, v3
	v_fma_f32 v2, -v2, v5, v4
	v_div_fmas_f32 v2, v2, v3, v5
	v_div_fixup_f32 v1, v2, v1, 1.0
	v_fmaak_f32 v2, 0, v1, 0x3daaaaab
	v_fmaak_f32 v2, v1, v2, 0xbcaccacd
	;; [unrolled: 1-line block ×7, first 2 shown]
	v_mul_f32_e32 v1, v1, v2
.LBB28_1733:
	s_or_b32 exec_lo, exec_lo, s0
	v_cmp_gt_f32_e32 vcc_lo, 0x800000, v10
	v_div_scale_f32 v2, null, v10, v10, -0.5
	v_div_scale_f32 v11, s0, -0.5, v10, -0.5
	v_cndmask_b32_e64 v3, 0, 32, vcc_lo
	v_rcp_f32_e32 v4, v2
	v_ldexp_f32 v3, v10, v3
	v_log_f32_e32 v3, v3
	v_fma_f32 v5, -v2, v4, 1.0
	v_fmac_f32_e32 v4, v5, v4
	v_mul_f32_e32 v5, 0x3f317217, v3
	v_mul_f32_e32 v12, v11, v4
	v_cmp_gt_f32_e64 s1, 0x7f800000, |v3|
	v_fma_f32 v5, 0x3f317217, v3, -v5
	v_fma_f32 v13, -v2, v12, v11
	v_fmamk_f32 v5, v3, 0x3377d1cf, v5
	v_fmac_f32_e32 v12, v13, v4
	v_fmac_f32_e32 v5, 0x3f317217, v3
	v_fma_f32 v2, -v2, v12, v11
	v_cndmask_b32_e64 v3, v3, v5, s1
	v_cndmask_b32_e64 v5, 0, 0x41b17218, vcc_lo
	s_mov_b32 vcc_lo, s0
	v_div_fmas_f32 v2, v2, v4, v12
	v_sub_f32_e32 v3, v3, v5
	v_div_fixup_f32 v2, v2, v10, -0.5
	v_add_f32_e32 v2, v3, v2
	v_sub_f32_e32 v1, v2, v1
	v_add_f32_e32 v0, v0, v1
	v_cvt_f16_f32_e32 v2, v0
                                        ; implicit-def: $vgpr0
.LBB28_1734:
	s_andn2_saveexec_b32 s0, s10
; %bb.1735:
	v_add_f32_e32 v0, 0x40101cb7, v0
	v_cvt_f16_f32_e32 v2, v0
; %bb.1736:
	s_or_b32 exec_lo, exec_lo, s0
.LBB28_1737:
	s_or_b32 exec_lo, exec_lo, s6
                                        ; implicit-def: $vgpr10
.LBB28_1738:
	s_andn2_saveexec_b32 s0, s3
; %bb.1739:
	v_xor_b32_e32 v0, 0x80000000, v10
	v_mov_b32_e32 v1, 0xffff8000
	v_and_b32_sdwa v0, v0, v1 dst_sel:DWORD dst_unused:UNUSED_PAD src0_sel:WORD_1 src1_sel:DWORD
	v_or_b32_e32 v2, 0x7c00, v0
; %bb.1740:
	s_or_b32 exec_lo, exec_lo, s0
	v_mul_lo_u32 v3, s2, v6
	s_and_b32 s1, s4, 0xff
	s_cmp_lt_i32 s1, 11
	v_ashrrev_i32_e32 v1, 31, v3
	v_add_co_u32 v0, vcc_lo, s8, v3
	v_add_co_ci_u32_e64 v1, null, s9, v1, vcc_lo
	s_cbranch_scc1 .LBB28_1863
; %bb.1741:
	s_and_b32 s3, 0xffff, s1
	s_mov_b32 s10, -1
	s_mov_b32 s4, 0
	s_cmp_gt_i32 s3, 25
	s_mov_b32 s6, 0
	s_mov_b32 s0, 0
	s_cbranch_scc0 .LBB28_1774
; %bb.1742:
	s_cmp_gt_i32 s3, 28
	s_cbranch_scc0 .LBB28_1757
; %bb.1743:
	s_cmp_gt_i32 s3, 43
	;; [unrolled: 3-line block ×3, first 2 shown]
	s_cbranch_scc0 .LBB28_1747
; %bb.1745:
	s_mov_b32 s0, -1
	s_mov_b32 s10, 0
	s_cmp_eq_u32 s3, 46
	s_cbranch_scc0 .LBB28_1747
; %bb.1746:
	v_cvt_f32_f16_e32 v4, v7
	v_cmp_o_f16_e32 vcc_lo, v7, v7
	s_mov_b32 s0, 0
	s_mov_b32 s6, -1
	v_bfe_u32 v5, v4, 16, 1
	v_add3_u32 v4, v4, v5, 0x7fff
	v_mov_b32_e32 v5, 0x7fc0
	v_cndmask_b32_sdwa v4, v5, v4, vcc_lo dst_sel:DWORD dst_unused:UNUSED_PAD src0_sel:DWORD src1_sel:WORD_1
	global_store_dword v[0:1], v4, off
.LBB28_1747:
	s_and_b32 vcc_lo, exec_lo, s10
	s_cbranch_vccz .LBB28_1752
; %bb.1748:
	s_cmp_eq_u32 s3, 44
	s_mov_b32 s0, -1
	s_cbranch_scc0 .LBB28_1752
; %bb.1749:
	v_cvt_f32_f16_e32 v4, v7
	v_mov_b32_e32 v5, 0xff
	s_mov_b32 s6, exec_lo
	v_bfe_u32 v6, v4, 23, 8
	v_cmpx_ne_u32_e32 0xff, v6
	s_cbranch_execz .LBB28_1751
; %bb.1750:
	v_and_b32_e32 v5, 0x400000, v4
	v_and_or_b32 v6, 0x3fffff, v4, v6
	v_lshrrev_b32_e32 v4, 23, v4
	v_cmp_ne_u32_e32 vcc_lo, 0, v5
	v_cmp_ne_u32_e64 s0, 0, v6
	s_and_b32 s0, vcc_lo, s0
	v_cndmask_b32_e64 v5, 0, 1, s0
	v_add_nc_u32_e32 v5, v4, v5
.LBB28_1751:
	s_or_b32 exec_lo, exec_lo, s6
	s_mov_b32 s0, 0
	s_mov_b32 s6, -1
	global_store_byte v[0:1], v5, off
.LBB28_1752:
	s_mov_b32 s10, 0
.LBB28_1753:
	s_and_b32 vcc_lo, exec_lo, s10
	s_cbranch_vccz .LBB28_1756
; %bb.1754:
	s_cmp_eq_u32 s3, 29
	s_mov_b32 s0, -1
	s_cbranch_scc0 .LBB28_1756
; %bb.1755:
	v_cvt_f32_f16_e32 v4, v7
	v_mov_b32_e32 v5, 0
	s_mov_b32 s0, 0
	s_mov_b32 s6, -1
	v_cvt_u32_f32_e32 v4, v4
	global_store_dwordx2 v[0:1], v[4:5], off
.LBB28_1756:
	s_mov_b32 s10, 0
.LBB28_1757:
	s_and_b32 vcc_lo, exec_lo, s10
	s_cbranch_vccz .LBB28_1773
; %bb.1758:
	s_cmp_lt_i32 s3, 27
	s_mov_b32 s6, -1
	s_cbranch_scc1 .LBB28_1764
; %bb.1759:
	s_cmp_gt_i32 s3, 27
	s_cbranch_scc0 .LBB28_1761
; %bb.1760:
	v_cvt_f32_f16_e32 v4, v7
	s_mov_b32 s6, 0
	v_cvt_u32_f32_e32 v4, v4
	global_store_dword v[0:1], v4, off
.LBB28_1761:
	s_andn2_b32 vcc_lo, exec_lo, s6
	s_cbranch_vccnz .LBB28_1763
; %bb.1762:
	v_cvt_u16_f16_e32 v4, v7
	global_store_short v[0:1], v4, off
.LBB28_1763:
	s_mov_b32 s6, 0
.LBB28_1764:
	s_andn2_b32 vcc_lo, exec_lo, s6
	s_cbranch_vccnz .LBB28_1772
; %bb.1765:
	v_cvt_f32_f16_e32 v4, v7
	v_mov_b32_e32 v6, 0x80
	s_mov_b32 s6, exec_lo
	v_and_b32_e32 v5, 0x7fffffff, v4
	v_cmpx_gt_u32_e32 0x43800000, v5
	s_cbranch_execz .LBB28_1771
; %bb.1766:
	v_cmp_lt_u32_e32 vcc_lo, 0x3bffffff, v5
	s_mov_b32 s10, 0
                                        ; implicit-def: $vgpr5
	s_and_saveexec_b32 s11, vcc_lo
	s_xor_b32 s11, exec_lo, s11
	s_cbranch_execz .LBB28_2221
; %bb.1767:
	v_bfe_u32 v5, v4, 20, 1
	s_mov_b32 s10, exec_lo
	v_add3_u32 v5, v4, v5, 0x487ffff
	v_lshrrev_b32_e32 v5, 20, v5
	s_andn2_saveexec_b32 s11, s11
	s_cbranch_execnz .LBB28_2222
.LBB28_1768:
	s_or_b32 exec_lo, exec_lo, s11
	v_mov_b32_e32 v6, 0
	s_and_saveexec_b32 s11, s10
.LBB28_1769:
	v_lshrrev_b32_e32 v4, 24, v4
	v_and_or_b32 v6, 0x80, v4, v5
.LBB28_1770:
	s_or_b32 exec_lo, exec_lo, s11
.LBB28_1771:
	s_or_b32 exec_lo, exec_lo, s6
	global_store_byte v[0:1], v6, off
.LBB28_1772:
	s_mov_b32 s6, -1
.LBB28_1773:
	s_mov_b32 s10, 0
.LBB28_1774:
	s_and_b32 vcc_lo, exec_lo, s10
	s_cbranch_vccz .LBB28_1814
; %bb.1775:
	s_cmp_gt_i32 s3, 22
	s_mov_b32 s4, -1
	s_cbranch_scc0 .LBB28_1807
; %bb.1776:
	s_cmp_lt_i32 s3, 24
	s_cbranch_scc1 .LBB28_1796
; %bb.1777:
	s_cmp_gt_i32 s3, 24
	s_cbranch_scc0 .LBB28_1785
; %bb.1778:
	v_cvt_f32_f16_e32 v4, v7
	v_mov_b32_e32 v6, 0x80
	s_mov_b32 s4, exec_lo
	v_and_b32_e32 v5, 0x7fffffff, v4
	v_cmpx_gt_u32_e32 0x47800000, v5
	s_cbranch_execz .LBB28_1784
; %bb.1779:
	v_cmp_lt_u32_e32 vcc_lo, 0x37ffffff, v5
	s_mov_b32 s6, 0
                                        ; implicit-def: $vgpr5
	s_and_saveexec_b32 s10, vcc_lo
	s_xor_b32 s10, exec_lo, s10
	s_cbranch_execz .LBB28_2224
; %bb.1780:
	v_bfe_u32 v5, v4, 21, 1
	s_mov_b32 s6, exec_lo
	v_add3_u32 v5, v4, v5, 0x88fffff
	v_lshrrev_b32_e32 v5, 21, v5
	s_andn2_saveexec_b32 s10, s10
	s_cbranch_execnz .LBB28_2225
.LBB28_1781:
	s_or_b32 exec_lo, exec_lo, s10
	v_mov_b32_e32 v6, 0
	s_and_saveexec_b32 s10, s6
.LBB28_1782:
	v_lshrrev_b32_e32 v4, 24, v4
	v_and_or_b32 v6, 0x80, v4, v5
.LBB28_1783:
	s_or_b32 exec_lo, exec_lo, s10
.LBB28_1784:
	s_or_b32 exec_lo, exec_lo, s4
	s_mov_b32 s4, 0
	global_store_byte v[0:1], v6, off
.LBB28_1785:
	s_and_b32 vcc_lo, exec_lo, s4
	s_cbranch_vccz .LBB28_1795
; %bb.1786:
	v_cvt_f32_f16_e32 v4, v7
	s_mov_b32 s4, exec_lo
                                        ; implicit-def: $vgpr5
	v_and_b32_e32 v6, 0x7fffffff, v4
	v_cmpx_gt_u32_e32 0x43f00000, v6
	s_xor_b32 s4, exec_lo, s4
	s_cbranch_execz .LBB28_1792
; %bb.1787:
	s_mov_b32 s6, exec_lo
                                        ; implicit-def: $vgpr5
	v_cmpx_lt_u32_e32 0x3c7fffff, v6
	s_xor_b32 s6, exec_lo, s6
; %bb.1788:
	v_bfe_u32 v5, v4, 20, 1
	v_add3_u32 v5, v4, v5, 0x407ffff
	v_and_b32_e32 v6, 0xff00000, v5
	v_lshrrev_b32_e32 v5, 20, v5
	v_cmp_ne_u32_e32 vcc_lo, 0x7f00000, v6
	v_cndmask_b32_e32 v5, 0x7e, v5, vcc_lo
; %bb.1789:
	s_andn2_saveexec_b32 s6, s6
; %bb.1790:
	v_add_f32_e64 v5, 0x46800000, |v4|
; %bb.1791:
	s_or_b32 exec_lo, exec_lo, s6
                                        ; implicit-def: $vgpr6
.LBB28_1792:
	s_andn2_saveexec_b32 s4, s4
; %bb.1793:
	v_mov_b32_e32 v5, 0x7f
	v_cmp_lt_u32_e32 vcc_lo, 0x7f800000, v6
	v_cndmask_b32_e32 v5, 0x7e, v5, vcc_lo
; %bb.1794:
	s_or_b32 exec_lo, exec_lo, s4
	v_lshrrev_b32_e32 v4, 24, v4
	v_and_or_b32 v4, 0x80, v4, v5
	global_store_byte v[0:1], v4, off
.LBB28_1795:
	s_mov_b32 s4, 0
.LBB28_1796:
	s_andn2_b32 vcc_lo, exec_lo, s4
	s_cbranch_vccnz .LBB28_1806
; %bb.1797:
	v_cvt_f32_f16_e32 v4, v7
	s_mov_b32 s4, exec_lo
                                        ; implicit-def: $vgpr5
	v_and_b32_e32 v6, 0x7fffffff, v4
	v_cmpx_gt_u32_e32 0x47800000, v6
	s_xor_b32 s4, exec_lo, s4
	s_cbranch_execz .LBB28_1803
; %bb.1798:
	s_mov_b32 s6, exec_lo
                                        ; implicit-def: $vgpr5
	v_cmpx_lt_u32_e32 0x387fffff, v6
	s_xor_b32 s6, exec_lo, s6
; %bb.1799:
	v_bfe_u32 v5, v4, 21, 1
	v_add3_u32 v5, v4, v5, 0x80fffff
	v_lshrrev_b32_e32 v5, 21, v5
; %bb.1800:
	s_andn2_saveexec_b32 s6, s6
; %bb.1801:
	v_add_f32_e64 v5, 0x43000000, |v4|
; %bb.1802:
	s_or_b32 exec_lo, exec_lo, s6
                                        ; implicit-def: $vgpr6
.LBB28_1803:
	s_andn2_saveexec_b32 s4, s4
; %bb.1804:
	v_mov_b32_e32 v5, 0x7f
	v_cmp_lt_u32_e32 vcc_lo, 0x7f800000, v6
	v_cndmask_b32_e32 v5, 0x7c, v5, vcc_lo
; %bb.1805:
	s_or_b32 exec_lo, exec_lo, s4
	v_lshrrev_b32_e32 v4, 24, v4
	v_and_or_b32 v4, 0x80, v4, v5
	global_store_byte v[0:1], v4, off
.LBB28_1806:
	s_mov_b32 s4, 0
	s_mov_b32 s6, -1
.LBB28_1807:
	s_andn2_b32 vcc_lo, exec_lo, s4
	s_mov_b32 s4, 0
	s_cbranch_vccnz .LBB28_1814
; %bb.1808:
	s_cmp_gt_i32 s3, 14
	s_mov_b32 s4, -1
	s_cbranch_scc0 .LBB28_1812
; %bb.1809:
	s_cmp_eq_u32 s3, 15
	s_mov_b32 s0, -1
	s_cbranch_scc0 .LBB28_1811
; %bb.1810:
	v_cvt_f32_f16_e32 v4, v7
	v_cmp_o_f16_e32 vcc_lo, v7, v7
	s_mov_b32 s0, 0
	s_mov_b32 s6, -1
	v_bfe_u32 v5, v4, 16, 1
	v_add3_u32 v4, v4, v5, 0x7fff
	v_mov_b32_e32 v5, 0x7fc0
	v_cndmask_b32_sdwa v4, v5, v4, vcc_lo dst_sel:DWORD dst_unused:UNUSED_PAD src0_sel:DWORD src1_sel:WORD_1
	global_store_short v[0:1], v4, off
.LBB28_1811:
	s_mov_b32 s4, 0
.LBB28_1812:
	s_and_b32 vcc_lo, exec_lo, s4
	s_mov_b32 s4, 0
	s_cbranch_vccz .LBB28_1814
; %bb.1813:
	s_cmp_lg_u32 s3, 11
	s_mov_b32 s4, -1
	s_cselect_b32 s0, -1, 0
.LBB28_1814:
	s_and_b32 vcc_lo, exec_lo, s0
	s_cbranch_vccnz .LBB28_2223
; %bb.1815:
	s_andn2_b32 vcc_lo, exec_lo, s4
	s_cbranch_vccnz .LBB28_1817
.LBB28_1816:
	v_and_b32_e32 v4, 0x7fff, v7
	s_mov_b32 s6, -1
	v_cmp_ne_u16_e32 vcc_lo, 0, v4
	v_cndmask_b32_e64 v4, 0, 1, vcc_lo
	global_store_byte v[0:1], v4, off
.LBB28_1817:
	s_mov_b32 s0, 0
	s_branch .LBB28_1864
.LBB28_1818:
	s_mov_b32 s0, 0
	s_mov_b32 s3, 0
                                        ; implicit-def: $sgpr1
                                        ; implicit-def: $vgpr0_vgpr1
                                        ; implicit-def: $vgpr2
.LBB28_1819:
	s_andn2_b32 s2, s12, exec_lo
	s_and_b32 s4, s5, exec_lo
	s_and_b32 s0, s0, exec_lo
	;; [unrolled: 1-line block ×3, first 2 shown]
	s_or_b32 s12, s2, s4
.LBB28_1820:
	s_or_b32 exec_lo, exec_lo, s7
	s_and_saveexec_b32 s2, s12
	s_cbranch_execz .LBB28_1823
; %bb.1821:
	; divergent unreachable
	s_or_b32 exec_lo, exec_lo, s2
	s_and_saveexec_b32 s2, s5
	s_xor_b32 s2, exec_lo, s2
	s_cbranch_execnz .LBB28_1824
.LBB28_1822:
	s_or_b32 exec_lo, exec_lo, s2
	s_and_saveexec_b32 s2, s0
	s_cbranch_execnz .LBB28_1825
	s_branch .LBB28_1862
.LBB28_1823:
	s_or_b32 exec_lo, exec_lo, s2
	s_and_saveexec_b32 s2, s5
	s_xor_b32 s2, exec_lo, s2
	s_cbranch_execz .LBB28_1822
.LBB28_1824:
	s_waitcnt vmcnt(0)
	v_and_b32_e32 v3, 0x7fff, v2
	v_cmp_ne_u16_e32 vcc_lo, 0, v3
	v_cndmask_b32_e64 v3, 0, 1, vcc_lo
	global_store_byte v[0:1], v3, off
	s_or_b32 exec_lo, exec_lo, s2
	s_and_saveexec_b32 s2, s0
	s_cbranch_execz .LBB28_1862
.LBB28_1825:
	s_sext_i32_i16 s2, s1
	s_mov_b32 s0, -1
	s_cmp_lt_i32 s2, 5
	s_cbranch_scc1 .LBB28_1846
; %bb.1826:
	s_cmp_lt_i32 s2, 8
	s_cbranch_scc1 .LBB28_1836
; %bb.1827:
	;; [unrolled: 3-line block ×3, first 2 shown]
	s_cmp_gt_i32 s2, 9
	s_cbranch_scc0 .LBB28_1830
; %bb.1829:
	s_waitcnt vmcnt(0)
	v_cvt_f32_f16_e32 v3, v2
	v_mov_b32_e32 v5, 0
	s_mov_b32 s0, 0
	v_cvt_f64_f32_e32 v[3:4], v3
	v_mov_b32_e32 v6, v5
	global_store_dwordx4 v[0:1], v[3:6], off
.LBB28_1830:
	s_andn2_b32 vcc_lo, exec_lo, s0
	s_cbranch_vccnz .LBB28_1832
; %bb.1831:
	s_waitcnt vmcnt(0)
	v_cvt_f32_f16_e32 v3, v2
	v_mov_b32_e32 v4, 0
	global_store_dwordx2 v[0:1], v[3:4], off
.LBB28_1832:
	s_mov_b32 s0, 0
.LBB28_1833:
	s_andn2_b32 vcc_lo, exec_lo, s0
	s_cbranch_vccnz .LBB28_1835
; %bb.1834:
	s_waitcnt vmcnt(0)
	v_and_b32_e32 v3, 0xffff, v2
	global_store_dword v[0:1], v3, off
.LBB28_1835:
	s_mov_b32 s0, 0
.LBB28_1836:
	s_andn2_b32 vcc_lo, exec_lo, s0
	s_cbranch_vccnz .LBB28_1845
; %bb.1837:
	s_sext_i32_i16 s2, s1
	s_mov_b32 s0, -1
	s_cmp_lt_i32 s2, 6
	s_cbranch_scc1 .LBB28_1843
; %bb.1838:
	s_cmp_gt_i32 s2, 6
	s_cbranch_scc0 .LBB28_1840
; %bb.1839:
	s_waitcnt vmcnt(0)
	v_cvt_f32_f16_e32 v3, v2
	s_mov_b32 s0, 0
	v_cvt_f64_f32_e32 v[3:4], v3
	global_store_dwordx2 v[0:1], v[3:4], off
.LBB28_1840:
	s_andn2_b32 vcc_lo, exec_lo, s0
	s_cbranch_vccnz .LBB28_1842
; %bb.1841:
	s_waitcnt vmcnt(0)
	v_cvt_f32_f16_e32 v3, v2
	global_store_dword v[0:1], v3, off
.LBB28_1842:
	s_mov_b32 s0, 0
.LBB28_1843:
	s_andn2_b32 vcc_lo, exec_lo, s0
	s_cbranch_vccnz .LBB28_1845
; %bb.1844:
	s_waitcnt vmcnt(0)
	global_store_short v[0:1], v2, off
.LBB28_1845:
	s_mov_b32 s0, 0
.LBB28_1846:
	s_andn2_b32 vcc_lo, exec_lo, s0
	s_cbranch_vccnz .LBB28_1862
; %bb.1847:
	s_sext_i32_i16 s2, s1
	s_mov_b32 s0, -1
	s_cmp_lt_i32 s2, 2
	s_cbranch_scc1 .LBB28_1857
; %bb.1848:
	s_cmp_lt_i32 s2, 3
	s_cbranch_scc1 .LBB28_1854
; %bb.1849:
	s_cmp_gt_i32 s2, 3
	s_cbranch_scc0 .LBB28_1851
; %bb.1850:
	s_waitcnt vmcnt(0)
	v_cvt_f32_f16_e32 v3, v2
	s_mov_b32 s0, 0
	v_cvt_i32_f32_e32 v3, v3
	v_ashrrev_i32_e32 v4, 31, v3
	global_store_dwordx2 v[0:1], v[3:4], off
.LBB28_1851:
	s_andn2_b32 vcc_lo, exec_lo, s0
	s_cbranch_vccnz .LBB28_1853
; %bb.1852:
	s_waitcnt vmcnt(0)
	v_cvt_f32_f16_e32 v3, v2
	v_cvt_i32_f32_e32 v3, v3
	global_store_dword v[0:1], v3, off
.LBB28_1853:
	s_mov_b32 s0, 0
.LBB28_1854:
	s_andn2_b32 vcc_lo, exec_lo, s0
	s_cbranch_vccnz .LBB28_1856
; %bb.1855:
	s_waitcnt vmcnt(0)
	v_cvt_i16_f16_e32 v3, v2
	global_store_short v[0:1], v3, off
.LBB28_1856:
	s_mov_b32 s0, 0
.LBB28_1857:
	s_andn2_b32 vcc_lo, exec_lo, s0
	s_cbranch_vccnz .LBB28_1862
; %bb.1858:
	s_sext_i32_i16 s0, s1
	s_cmp_gt_i32 s0, 0
	s_mov_b32 s0, -1
	s_cbranch_scc0 .LBB28_1860
; %bb.1859:
	s_waitcnt vmcnt(0)
	v_cvt_i16_f16_e32 v3, v2
	s_mov_b32 s0, 0
	global_store_byte v[0:1], v3, off
.LBB28_1860:
	s_andn2_b32 vcc_lo, exec_lo, s0
	s_cbranch_vccnz .LBB28_1862
; %bb.1861:
	s_waitcnt vmcnt(0)
	v_cvt_f32_f16_e32 v2, v2
	v_cvt_i32_f32_e32 v2, v2
	global_store_byte v[0:1], v2, off
	s_endpgm
.LBB28_1862:
	s_endpgm
.LBB28_1863:
	s_mov_b32 s0, -1
	s_mov_b32 s6, 0
.LBB28_1864:
	s_and_b32 vcc_lo, exec_lo, s0
	s_cbranch_vccz .LBB28_1903
; %bb.1865:
	s_and_b32 s0, 0xffff, s1
	s_mov_b32 s3, -1
	s_cmp_lt_i32 s0, 5
	s_cbranch_scc1 .LBB28_1886
; %bb.1866:
	s_cmp_lt_i32 s0, 8
	s_cbranch_scc1 .LBB28_1876
; %bb.1867:
	;; [unrolled: 3-line block ×3, first 2 shown]
	s_cmp_gt_i32 s0, 9
	s_cbranch_scc0 .LBB28_1870
; %bb.1869:
	v_cvt_f32_f16_e32 v4, v7
	v_mov_b32_e32 v12, 0
	s_mov_b32 s3, 0
	v_cvt_f64_f32_e32 v[10:11], v4
	v_mov_b32_e32 v13, v12
	global_store_dwordx4 v[0:1], v[10:13], off
.LBB28_1870:
	s_andn2_b32 vcc_lo, exec_lo, s3
	s_cbranch_vccnz .LBB28_1872
; %bb.1871:
	v_cvt_f32_f16_e32 v4, v7
	v_mov_b32_e32 v5, 0
	global_store_dwordx2 v[0:1], v[4:5], off
.LBB28_1872:
	s_mov_b32 s3, 0
.LBB28_1873:
	s_andn2_b32 vcc_lo, exec_lo, s3
	s_cbranch_vccnz .LBB28_1875
; %bb.1874:
	v_and_b32_e32 v4, 0xffff, v7
	global_store_dword v[0:1], v4, off
.LBB28_1875:
	s_mov_b32 s3, 0
.LBB28_1876:
	s_andn2_b32 vcc_lo, exec_lo, s3
	s_cbranch_vccnz .LBB28_1885
; %bb.1877:
	s_cmp_lt_i32 s0, 6
	s_mov_b32 s3, -1
	s_cbranch_scc1 .LBB28_1883
; %bb.1878:
	s_cmp_gt_i32 s0, 6
	s_cbranch_scc0 .LBB28_1880
; %bb.1879:
	v_cvt_f32_f16_e32 v4, v7
	s_mov_b32 s3, 0
	v_cvt_f64_f32_e32 v[4:5], v4
	global_store_dwordx2 v[0:1], v[4:5], off
.LBB28_1880:
	s_andn2_b32 vcc_lo, exec_lo, s3
	s_cbranch_vccnz .LBB28_1882
; %bb.1881:
	v_cvt_f32_f16_e32 v4, v7
	global_store_dword v[0:1], v4, off
.LBB28_1882:
	s_mov_b32 s3, 0
.LBB28_1883:
	s_andn2_b32 vcc_lo, exec_lo, s3
	s_cbranch_vccnz .LBB28_1885
; %bb.1884:
	global_store_short v[0:1], v7, off
.LBB28_1885:
	s_mov_b32 s3, 0
.LBB28_1886:
	s_andn2_b32 vcc_lo, exec_lo, s3
	s_cbranch_vccnz .LBB28_1902
; %bb.1887:
	s_cmp_lt_i32 s0, 2
	s_mov_b32 s3, -1
	s_cbranch_scc1 .LBB28_1897
; %bb.1888:
	s_cmp_lt_i32 s0, 3
	s_cbranch_scc1 .LBB28_1894
; %bb.1889:
	s_cmp_gt_i32 s0, 3
	s_cbranch_scc0 .LBB28_1891
; %bb.1890:
	v_cvt_f32_f16_e32 v4, v7
	s_mov_b32 s3, 0
	v_cvt_i32_f32_e32 v4, v4
	v_ashrrev_i32_e32 v5, 31, v4
	global_store_dwordx2 v[0:1], v[4:5], off
.LBB28_1891:
	s_andn2_b32 vcc_lo, exec_lo, s3
	s_cbranch_vccnz .LBB28_1893
; %bb.1892:
	v_cvt_f32_f16_e32 v4, v7
	v_cvt_i32_f32_e32 v4, v4
	global_store_dword v[0:1], v4, off
.LBB28_1893:
	s_mov_b32 s3, 0
.LBB28_1894:
	s_andn2_b32 vcc_lo, exec_lo, s3
	s_cbranch_vccnz .LBB28_1896
; %bb.1895:
	v_cvt_i16_f16_e32 v4, v7
	global_store_short v[0:1], v4, off
.LBB28_1896:
	s_mov_b32 s3, 0
.LBB28_1897:
	s_andn2_b32 vcc_lo, exec_lo, s3
	s_cbranch_vccnz .LBB28_1902
; %bb.1898:
	s_cmp_gt_i32 s0, 0
	s_mov_b32 s0, -1
	s_cbranch_scc0 .LBB28_1900
; %bb.1899:
	v_cvt_i16_f16_e32 v4, v7
	s_mov_b32 s0, 0
	global_store_byte v[0:1], v4, off
.LBB28_1900:
	s_andn2_b32 vcc_lo, exec_lo, s0
	s_cbranch_vccnz .LBB28_1902
; %bb.1901:
	v_cvt_f32_f16_e32 v4, v7
	v_cvt_i32_f32_e32 v4, v4
	global_store_byte v[0:1], v4, off
.LBB28_1902:
	s_mov_b32 s6, -1
.LBB28_1903:
	s_andn2_b32 vcc_lo, exec_lo, s6
	s_cbranch_vccnz .LBB28_2218
; %bb.1904:
	s_lshl_b32 s2, s2, 7
	s_cmp_lt_i32 s1, 11
	v_add_nc_u32_e32 v3, s2, v3
	v_ashrrev_i32_e32 v1, 31, v3
	v_add_co_u32 v0, vcc_lo, s8, v3
	v_add_co_ci_u32_e64 v1, null, s9, v1, vcc_lo
	s_cbranch_scc1 .LBB28_1982
; %bb.1905:
	s_and_b32 s3, 0xffff, s1
	s_mov_b32 s10, -1
	s_mov_b32 s4, 0
	s_cmp_gt_i32 s3, 25
	s_mov_b32 s6, 0
	s_mov_b32 s0, 0
	s_cbranch_scc0 .LBB28_1938
; %bb.1906:
	s_cmp_gt_i32 s3, 28
	s_cbranch_scc0 .LBB28_1921
; %bb.1907:
	s_cmp_gt_i32 s3, 43
	;; [unrolled: 3-line block ×3, first 2 shown]
	s_cbranch_scc0 .LBB28_1911
; %bb.1909:
	s_mov_b32 s0, -1
	s_mov_b32 s10, 0
	s_cmp_eq_u32 s3, 46
	s_cbranch_scc0 .LBB28_1911
; %bb.1910:
	v_cvt_f32_f16_e32 v4, v8
	v_cmp_o_f16_e32 vcc_lo, v8, v8
	s_mov_b32 s0, 0
	s_mov_b32 s6, -1
	v_bfe_u32 v5, v4, 16, 1
	v_add3_u32 v4, v4, v5, 0x7fff
	v_mov_b32_e32 v5, 0x7fc0
	v_cndmask_b32_sdwa v4, v5, v4, vcc_lo dst_sel:DWORD dst_unused:UNUSED_PAD src0_sel:DWORD src1_sel:WORD_1
	global_store_dword v[0:1], v4, off
.LBB28_1911:
	s_and_b32 vcc_lo, exec_lo, s10
	s_cbranch_vccz .LBB28_1916
; %bb.1912:
	s_cmp_eq_u32 s3, 44
	s_mov_b32 s0, -1
	s_cbranch_scc0 .LBB28_1916
; %bb.1913:
	v_cvt_f32_f16_e32 v4, v8
	v_mov_b32_e32 v5, 0xff
	s_mov_b32 s6, exec_lo
	v_bfe_u32 v6, v4, 23, 8
	v_cmpx_ne_u32_e32 0xff, v6
	s_cbranch_execz .LBB28_1915
; %bb.1914:
	v_and_b32_e32 v5, 0x400000, v4
	v_and_or_b32 v6, 0x3fffff, v4, v6
	v_lshrrev_b32_e32 v4, 23, v4
	v_cmp_ne_u32_e32 vcc_lo, 0, v5
	v_cmp_ne_u32_e64 s0, 0, v6
	s_and_b32 s0, vcc_lo, s0
	v_cndmask_b32_e64 v5, 0, 1, s0
	v_add_nc_u32_e32 v5, v4, v5
.LBB28_1915:
	s_or_b32 exec_lo, exec_lo, s6
	s_mov_b32 s0, 0
	s_mov_b32 s6, -1
	global_store_byte v[0:1], v5, off
.LBB28_1916:
	s_mov_b32 s10, 0
.LBB28_1917:
	s_and_b32 vcc_lo, exec_lo, s10
	s_cbranch_vccz .LBB28_1920
; %bb.1918:
	s_cmp_eq_u32 s3, 29
	s_mov_b32 s0, -1
	s_cbranch_scc0 .LBB28_1920
; %bb.1919:
	v_cvt_f32_f16_e32 v4, v8
	v_mov_b32_e32 v5, 0
	s_mov_b32 s0, 0
	s_mov_b32 s6, -1
	v_cvt_u32_f32_e32 v4, v4
	global_store_dwordx2 v[0:1], v[4:5], off
.LBB28_1920:
	s_mov_b32 s10, 0
.LBB28_1921:
	s_and_b32 vcc_lo, exec_lo, s10
	s_cbranch_vccz .LBB28_1937
; %bb.1922:
	s_cmp_lt_i32 s3, 27
	s_mov_b32 s6, -1
	s_cbranch_scc1 .LBB28_1928
; %bb.1923:
	s_cmp_gt_i32 s3, 27
	s_cbranch_scc0 .LBB28_1925
; %bb.1924:
	v_cvt_f32_f16_e32 v4, v8
	s_mov_b32 s6, 0
	v_cvt_u32_f32_e32 v4, v4
	global_store_dword v[0:1], v4, off
.LBB28_1925:
	s_andn2_b32 vcc_lo, exec_lo, s6
	s_cbranch_vccnz .LBB28_1927
; %bb.1926:
	v_cvt_u16_f16_e32 v4, v8
	global_store_short v[0:1], v4, off
.LBB28_1927:
	s_mov_b32 s6, 0
.LBB28_1928:
	s_andn2_b32 vcc_lo, exec_lo, s6
	s_cbranch_vccnz .LBB28_1936
; %bb.1929:
	v_cvt_f32_f16_e32 v4, v8
	v_mov_b32_e32 v6, 0x80
	s_mov_b32 s6, exec_lo
	v_and_b32_e32 v5, 0x7fffffff, v4
	v_cmpx_gt_u32_e32 0x43800000, v5
	s_cbranch_execz .LBB28_1935
; %bb.1930:
	v_cmp_lt_u32_e32 vcc_lo, 0x3bffffff, v5
	s_mov_b32 s10, 0
                                        ; implicit-def: $vgpr5
	s_and_saveexec_b32 s11, vcc_lo
	s_xor_b32 s11, exec_lo, s11
	s_cbranch_execz .LBB28_2226
; %bb.1931:
	v_bfe_u32 v5, v4, 20, 1
	s_mov_b32 s10, exec_lo
	v_add3_u32 v5, v4, v5, 0x487ffff
	v_lshrrev_b32_e32 v5, 20, v5
	s_andn2_saveexec_b32 s11, s11
	s_cbranch_execnz .LBB28_2227
.LBB28_1932:
	s_or_b32 exec_lo, exec_lo, s11
	v_mov_b32_e32 v6, 0
	s_and_saveexec_b32 s11, s10
.LBB28_1933:
	v_lshrrev_b32_e32 v4, 24, v4
	v_and_or_b32 v6, 0x80, v4, v5
.LBB28_1934:
	s_or_b32 exec_lo, exec_lo, s11
.LBB28_1935:
	s_or_b32 exec_lo, exec_lo, s6
	global_store_byte v[0:1], v6, off
.LBB28_1936:
	s_mov_b32 s6, -1
.LBB28_1937:
	s_mov_b32 s10, 0
.LBB28_1938:
	s_and_b32 vcc_lo, exec_lo, s10
	s_cbranch_vccz .LBB28_1978
; %bb.1939:
	s_cmp_gt_i32 s3, 22
	s_mov_b32 s4, -1
	s_cbranch_scc0 .LBB28_1971
; %bb.1940:
	s_cmp_lt_i32 s3, 24
	s_cbranch_scc1 .LBB28_1960
; %bb.1941:
	s_cmp_gt_i32 s3, 24
	s_cbranch_scc0 .LBB28_1949
; %bb.1942:
	v_cvt_f32_f16_e32 v4, v8
	v_mov_b32_e32 v6, 0x80
	s_mov_b32 s4, exec_lo
	v_and_b32_e32 v5, 0x7fffffff, v4
	v_cmpx_gt_u32_e32 0x47800000, v5
	s_cbranch_execz .LBB28_1948
; %bb.1943:
	v_cmp_lt_u32_e32 vcc_lo, 0x37ffffff, v5
	s_mov_b32 s6, 0
                                        ; implicit-def: $vgpr5
	s_and_saveexec_b32 s10, vcc_lo
	s_xor_b32 s10, exec_lo, s10
	s_cbranch_execz .LBB28_2229
; %bb.1944:
	v_bfe_u32 v5, v4, 21, 1
	s_mov_b32 s6, exec_lo
	v_add3_u32 v5, v4, v5, 0x88fffff
	v_lshrrev_b32_e32 v5, 21, v5
	s_andn2_saveexec_b32 s10, s10
	s_cbranch_execnz .LBB28_2230
.LBB28_1945:
	s_or_b32 exec_lo, exec_lo, s10
	v_mov_b32_e32 v6, 0
	s_and_saveexec_b32 s10, s6
.LBB28_1946:
	v_lshrrev_b32_e32 v4, 24, v4
	v_and_or_b32 v6, 0x80, v4, v5
.LBB28_1947:
	s_or_b32 exec_lo, exec_lo, s10
.LBB28_1948:
	s_or_b32 exec_lo, exec_lo, s4
	s_mov_b32 s4, 0
	global_store_byte v[0:1], v6, off
.LBB28_1949:
	s_and_b32 vcc_lo, exec_lo, s4
	s_cbranch_vccz .LBB28_1959
; %bb.1950:
	v_cvt_f32_f16_e32 v4, v8
	s_mov_b32 s4, exec_lo
                                        ; implicit-def: $vgpr5
	v_and_b32_e32 v6, 0x7fffffff, v4
	v_cmpx_gt_u32_e32 0x43f00000, v6
	s_xor_b32 s4, exec_lo, s4
	s_cbranch_execz .LBB28_1956
; %bb.1951:
	s_mov_b32 s6, exec_lo
                                        ; implicit-def: $vgpr5
	v_cmpx_lt_u32_e32 0x3c7fffff, v6
	s_xor_b32 s6, exec_lo, s6
; %bb.1952:
	v_bfe_u32 v5, v4, 20, 1
	v_add3_u32 v5, v4, v5, 0x407ffff
	v_and_b32_e32 v6, 0xff00000, v5
	v_lshrrev_b32_e32 v5, 20, v5
	v_cmp_ne_u32_e32 vcc_lo, 0x7f00000, v6
	v_cndmask_b32_e32 v5, 0x7e, v5, vcc_lo
; %bb.1953:
	s_andn2_saveexec_b32 s6, s6
; %bb.1954:
	v_add_f32_e64 v5, 0x46800000, |v4|
; %bb.1955:
	s_or_b32 exec_lo, exec_lo, s6
                                        ; implicit-def: $vgpr6
.LBB28_1956:
	s_andn2_saveexec_b32 s4, s4
; %bb.1957:
	v_mov_b32_e32 v5, 0x7f
	v_cmp_lt_u32_e32 vcc_lo, 0x7f800000, v6
	v_cndmask_b32_e32 v5, 0x7e, v5, vcc_lo
; %bb.1958:
	s_or_b32 exec_lo, exec_lo, s4
	v_lshrrev_b32_e32 v4, 24, v4
	v_and_or_b32 v4, 0x80, v4, v5
	global_store_byte v[0:1], v4, off
.LBB28_1959:
	s_mov_b32 s4, 0
.LBB28_1960:
	s_andn2_b32 vcc_lo, exec_lo, s4
	s_cbranch_vccnz .LBB28_1970
; %bb.1961:
	v_cvt_f32_f16_e32 v4, v8
	s_mov_b32 s4, exec_lo
                                        ; implicit-def: $vgpr5
	v_and_b32_e32 v6, 0x7fffffff, v4
	v_cmpx_gt_u32_e32 0x47800000, v6
	s_xor_b32 s4, exec_lo, s4
	s_cbranch_execz .LBB28_1967
; %bb.1962:
	s_mov_b32 s6, exec_lo
                                        ; implicit-def: $vgpr5
	v_cmpx_lt_u32_e32 0x387fffff, v6
	s_xor_b32 s6, exec_lo, s6
; %bb.1963:
	v_bfe_u32 v5, v4, 21, 1
	v_add3_u32 v5, v4, v5, 0x80fffff
	v_lshrrev_b32_e32 v5, 21, v5
; %bb.1964:
	s_andn2_saveexec_b32 s6, s6
; %bb.1965:
	v_add_f32_e64 v5, 0x43000000, |v4|
; %bb.1966:
	s_or_b32 exec_lo, exec_lo, s6
                                        ; implicit-def: $vgpr6
.LBB28_1967:
	s_andn2_saveexec_b32 s4, s4
; %bb.1968:
	v_mov_b32_e32 v5, 0x7f
	v_cmp_lt_u32_e32 vcc_lo, 0x7f800000, v6
	v_cndmask_b32_e32 v5, 0x7c, v5, vcc_lo
; %bb.1969:
	s_or_b32 exec_lo, exec_lo, s4
	v_lshrrev_b32_e32 v4, 24, v4
	v_and_or_b32 v4, 0x80, v4, v5
	global_store_byte v[0:1], v4, off
.LBB28_1970:
	s_mov_b32 s4, 0
	s_mov_b32 s6, -1
.LBB28_1971:
	s_andn2_b32 vcc_lo, exec_lo, s4
	s_mov_b32 s4, 0
	s_cbranch_vccnz .LBB28_1978
; %bb.1972:
	s_cmp_gt_i32 s3, 14
	s_mov_b32 s4, -1
	s_cbranch_scc0 .LBB28_1976
; %bb.1973:
	s_cmp_eq_u32 s3, 15
	s_mov_b32 s0, -1
	s_cbranch_scc0 .LBB28_1975
; %bb.1974:
	v_cvt_f32_f16_e32 v4, v8
	v_cmp_o_f16_e32 vcc_lo, v8, v8
	s_mov_b32 s0, 0
	s_mov_b32 s6, -1
	v_bfe_u32 v5, v4, 16, 1
	v_add3_u32 v4, v4, v5, 0x7fff
	v_mov_b32_e32 v5, 0x7fc0
	v_cndmask_b32_sdwa v4, v5, v4, vcc_lo dst_sel:DWORD dst_unused:UNUSED_PAD src0_sel:DWORD src1_sel:WORD_1
	global_store_short v[0:1], v4, off
.LBB28_1975:
	s_mov_b32 s4, 0
.LBB28_1976:
	s_and_b32 vcc_lo, exec_lo, s4
	s_mov_b32 s4, 0
	s_cbranch_vccz .LBB28_1978
; %bb.1977:
	s_cmp_lg_u32 s3, 11
	s_mov_b32 s4, -1
	s_cselect_b32 s0, -1, 0
.LBB28_1978:
	s_and_b32 vcc_lo, exec_lo, s0
	s_cbranch_vccnz .LBB28_2228
; %bb.1979:
	s_andn2_b32 vcc_lo, exec_lo, s4
	s_cbranch_vccnz .LBB28_1981
.LBB28_1980:
	v_and_b32_e32 v4, 0x7fff, v8
	s_mov_b32 s6, -1
	v_cmp_ne_u16_e32 vcc_lo, 0, v4
	v_cndmask_b32_e64 v4, 0, 1, vcc_lo
	global_store_byte v[0:1], v4, off
.LBB28_1981:
	s_mov_b32 s0, 0
	s_branch .LBB28_1983
.LBB28_1982:
	s_mov_b32 s0, -1
	s_mov_b32 s6, 0
.LBB28_1983:
	s_and_b32 vcc_lo, exec_lo, s0
	s_cbranch_vccz .LBB28_2022
; %bb.1984:
	s_and_b32 s0, 0xffff, s1
	s_mov_b32 s3, -1
	s_cmp_lt_i32 s0, 5
	s_cbranch_scc1 .LBB28_2005
; %bb.1985:
	s_cmp_lt_i32 s0, 8
	s_cbranch_scc1 .LBB28_1995
; %bb.1986:
	;; [unrolled: 3-line block ×3, first 2 shown]
	s_cmp_gt_i32 s0, 9
	s_cbranch_scc0 .LBB28_1989
; %bb.1988:
	v_cvt_f32_f16_e32 v4, v8
	v_mov_b32_e32 v6, 0
	s_mov_b32 s3, 0
	v_cvt_f64_f32_e32 v[4:5], v4
	v_mov_b32_e32 v7, v6
	global_store_dwordx4 v[0:1], v[4:7], off
.LBB28_1989:
	s_andn2_b32 vcc_lo, exec_lo, s3
	s_cbranch_vccnz .LBB28_1991
; %bb.1990:
	v_cvt_f32_f16_e32 v4, v8
	v_mov_b32_e32 v5, 0
	global_store_dwordx2 v[0:1], v[4:5], off
.LBB28_1991:
	s_mov_b32 s3, 0
.LBB28_1992:
	s_andn2_b32 vcc_lo, exec_lo, s3
	s_cbranch_vccnz .LBB28_1994
; %bb.1993:
	v_and_b32_e32 v4, 0xffff, v8
	global_store_dword v[0:1], v4, off
.LBB28_1994:
	s_mov_b32 s3, 0
.LBB28_1995:
	s_andn2_b32 vcc_lo, exec_lo, s3
	s_cbranch_vccnz .LBB28_2004
; %bb.1996:
	s_cmp_lt_i32 s0, 6
	s_mov_b32 s3, -1
	s_cbranch_scc1 .LBB28_2002
; %bb.1997:
	s_cmp_gt_i32 s0, 6
	s_cbranch_scc0 .LBB28_1999
; %bb.1998:
	v_cvt_f32_f16_e32 v4, v8
	s_mov_b32 s3, 0
	v_cvt_f64_f32_e32 v[4:5], v4
	global_store_dwordx2 v[0:1], v[4:5], off
.LBB28_1999:
	s_andn2_b32 vcc_lo, exec_lo, s3
	s_cbranch_vccnz .LBB28_2001
; %bb.2000:
	v_cvt_f32_f16_e32 v4, v8
	global_store_dword v[0:1], v4, off
.LBB28_2001:
	s_mov_b32 s3, 0
.LBB28_2002:
	s_andn2_b32 vcc_lo, exec_lo, s3
	s_cbranch_vccnz .LBB28_2004
; %bb.2003:
	global_store_short v[0:1], v8, off
.LBB28_2004:
	s_mov_b32 s3, 0
.LBB28_2005:
	s_andn2_b32 vcc_lo, exec_lo, s3
	s_cbranch_vccnz .LBB28_2021
; %bb.2006:
	s_cmp_lt_i32 s0, 2
	s_mov_b32 s3, -1
	s_cbranch_scc1 .LBB28_2016
; %bb.2007:
	s_cmp_lt_i32 s0, 3
	s_cbranch_scc1 .LBB28_2013
; %bb.2008:
	s_cmp_gt_i32 s0, 3
	s_cbranch_scc0 .LBB28_2010
; %bb.2009:
	v_cvt_f32_f16_e32 v4, v8
	s_mov_b32 s3, 0
	v_cvt_i32_f32_e32 v4, v4
	v_ashrrev_i32_e32 v5, 31, v4
	global_store_dwordx2 v[0:1], v[4:5], off
.LBB28_2010:
	s_andn2_b32 vcc_lo, exec_lo, s3
	s_cbranch_vccnz .LBB28_2012
; %bb.2011:
	v_cvt_f32_f16_e32 v4, v8
	v_cvt_i32_f32_e32 v4, v4
	global_store_dword v[0:1], v4, off
.LBB28_2012:
	s_mov_b32 s3, 0
.LBB28_2013:
	s_andn2_b32 vcc_lo, exec_lo, s3
	s_cbranch_vccnz .LBB28_2015
; %bb.2014:
	v_cvt_i16_f16_e32 v4, v8
	global_store_short v[0:1], v4, off
.LBB28_2015:
	s_mov_b32 s3, 0
.LBB28_2016:
	s_andn2_b32 vcc_lo, exec_lo, s3
	s_cbranch_vccnz .LBB28_2021
; %bb.2017:
	s_cmp_gt_i32 s0, 0
	s_mov_b32 s0, -1
	s_cbranch_scc0 .LBB28_2019
; %bb.2018:
	v_cvt_i16_f16_e32 v4, v8
	s_mov_b32 s0, 0
	global_store_byte v[0:1], v4, off
.LBB28_2019:
	s_andn2_b32 vcc_lo, exec_lo, s0
	s_cbranch_vccnz .LBB28_2021
; %bb.2020:
	v_cvt_f32_f16_e32 v4, v8
	v_cvt_i32_f32_e32 v4, v4
	global_store_byte v[0:1], v4, off
.LBB28_2021:
	s_mov_b32 s6, -1
.LBB28_2022:
	s_andn2_b32 vcc_lo, exec_lo, s6
	s_cbranch_vccnz .LBB28_2218
; %bb.2023:
	v_add_nc_u32_e32 v3, s2, v3
	s_cmp_lt_i32 s1, 11
	v_ashrrev_i32_e32 v1, 31, v3
	v_add_co_u32 v0, vcc_lo, s8, v3
	v_add_co_ci_u32_e64 v1, null, s9, v1, vcc_lo
	s_cbranch_scc1 .LBB28_2101
; %bb.2024:
	s_and_b32 s3, 0xffff, s1
	s_mov_b32 s10, -1
	s_mov_b32 s4, 0
	s_cmp_gt_i32 s3, 25
	s_mov_b32 s6, 0
	s_mov_b32 s0, 0
	s_cbranch_scc0 .LBB28_2057
; %bb.2025:
	s_cmp_gt_i32 s3, 28
	s_cbranch_scc0 .LBB28_2040
; %bb.2026:
	s_cmp_gt_i32 s3, 43
	s_cbranch_scc0 .LBB28_2036
; %bb.2027:
	s_cmp_gt_i32 s3, 45
	s_cbranch_scc0 .LBB28_2030
; %bb.2028:
	s_mov_b32 s0, -1
	s_mov_b32 s10, 0
	s_cmp_eq_u32 s3, 46
	s_cbranch_scc0 .LBB28_2030
; %bb.2029:
	v_cvt_f32_f16_e32 v4, v9
	v_cmp_o_f16_e32 vcc_lo, v9, v9
	s_mov_b32 s0, 0
	s_mov_b32 s6, -1
	v_bfe_u32 v5, v4, 16, 1
	v_add3_u32 v4, v4, v5, 0x7fff
	v_mov_b32_e32 v5, 0x7fc0
	v_cndmask_b32_sdwa v4, v5, v4, vcc_lo dst_sel:DWORD dst_unused:UNUSED_PAD src0_sel:DWORD src1_sel:WORD_1
	global_store_dword v[0:1], v4, off
.LBB28_2030:
	s_and_b32 vcc_lo, exec_lo, s10
	s_cbranch_vccz .LBB28_2035
; %bb.2031:
	s_cmp_eq_u32 s3, 44
	s_mov_b32 s0, -1
	s_cbranch_scc0 .LBB28_2035
; %bb.2032:
	v_cvt_f32_f16_e32 v4, v9
	v_mov_b32_e32 v5, 0xff
	s_mov_b32 s6, exec_lo
	v_bfe_u32 v6, v4, 23, 8
	v_cmpx_ne_u32_e32 0xff, v6
	s_cbranch_execz .LBB28_2034
; %bb.2033:
	v_and_b32_e32 v5, 0x400000, v4
	v_and_or_b32 v6, 0x3fffff, v4, v6
	v_lshrrev_b32_e32 v4, 23, v4
	v_cmp_ne_u32_e32 vcc_lo, 0, v5
	v_cmp_ne_u32_e64 s0, 0, v6
	s_and_b32 s0, vcc_lo, s0
	v_cndmask_b32_e64 v5, 0, 1, s0
	v_add_nc_u32_e32 v5, v4, v5
.LBB28_2034:
	s_or_b32 exec_lo, exec_lo, s6
	s_mov_b32 s0, 0
	s_mov_b32 s6, -1
	global_store_byte v[0:1], v5, off
.LBB28_2035:
	s_mov_b32 s10, 0
.LBB28_2036:
	s_and_b32 vcc_lo, exec_lo, s10
	s_cbranch_vccz .LBB28_2039
; %bb.2037:
	s_cmp_eq_u32 s3, 29
	s_mov_b32 s0, -1
	s_cbranch_scc0 .LBB28_2039
; %bb.2038:
	v_cvt_f32_f16_e32 v4, v9
	v_mov_b32_e32 v5, 0
	s_mov_b32 s0, 0
	s_mov_b32 s6, -1
	v_cvt_u32_f32_e32 v4, v4
	global_store_dwordx2 v[0:1], v[4:5], off
.LBB28_2039:
	s_mov_b32 s10, 0
.LBB28_2040:
	s_and_b32 vcc_lo, exec_lo, s10
	s_cbranch_vccz .LBB28_2056
; %bb.2041:
	s_cmp_lt_i32 s3, 27
	s_mov_b32 s6, -1
	s_cbranch_scc1 .LBB28_2047
; %bb.2042:
	s_cmp_gt_i32 s3, 27
	s_cbranch_scc0 .LBB28_2044
; %bb.2043:
	v_cvt_f32_f16_e32 v4, v9
	s_mov_b32 s6, 0
	v_cvt_u32_f32_e32 v4, v4
	global_store_dword v[0:1], v4, off
.LBB28_2044:
	s_andn2_b32 vcc_lo, exec_lo, s6
	s_cbranch_vccnz .LBB28_2046
; %bb.2045:
	v_cvt_u16_f16_e32 v4, v9
	global_store_short v[0:1], v4, off
.LBB28_2046:
	s_mov_b32 s6, 0
.LBB28_2047:
	s_andn2_b32 vcc_lo, exec_lo, s6
	s_cbranch_vccnz .LBB28_2055
; %bb.2048:
	v_cvt_f32_f16_e32 v4, v9
	v_mov_b32_e32 v6, 0x80
	s_mov_b32 s6, exec_lo
	v_and_b32_e32 v5, 0x7fffffff, v4
	v_cmpx_gt_u32_e32 0x43800000, v5
	s_cbranch_execz .LBB28_2054
; %bb.2049:
	v_cmp_lt_u32_e32 vcc_lo, 0x3bffffff, v5
	s_mov_b32 s10, 0
                                        ; implicit-def: $vgpr5
	s_and_saveexec_b32 s11, vcc_lo
	s_xor_b32 s11, exec_lo, s11
	s_cbranch_execz .LBB28_2231
; %bb.2050:
	v_bfe_u32 v5, v4, 20, 1
	s_mov_b32 s10, exec_lo
	v_add3_u32 v5, v4, v5, 0x487ffff
	v_lshrrev_b32_e32 v5, 20, v5
	s_andn2_saveexec_b32 s11, s11
	s_cbranch_execnz .LBB28_2232
.LBB28_2051:
	s_or_b32 exec_lo, exec_lo, s11
	v_mov_b32_e32 v6, 0
	s_and_saveexec_b32 s11, s10
.LBB28_2052:
	v_lshrrev_b32_e32 v4, 24, v4
	v_and_or_b32 v6, 0x80, v4, v5
.LBB28_2053:
	s_or_b32 exec_lo, exec_lo, s11
.LBB28_2054:
	s_or_b32 exec_lo, exec_lo, s6
	global_store_byte v[0:1], v6, off
.LBB28_2055:
	s_mov_b32 s6, -1
.LBB28_2056:
	s_mov_b32 s10, 0
.LBB28_2057:
	s_and_b32 vcc_lo, exec_lo, s10
	s_cbranch_vccz .LBB28_2097
; %bb.2058:
	s_cmp_gt_i32 s3, 22
	s_mov_b32 s4, -1
	s_cbranch_scc0 .LBB28_2090
; %bb.2059:
	s_cmp_lt_i32 s3, 24
	s_cbranch_scc1 .LBB28_2079
; %bb.2060:
	s_cmp_gt_i32 s3, 24
	s_cbranch_scc0 .LBB28_2068
; %bb.2061:
	v_cvt_f32_f16_e32 v4, v9
	v_mov_b32_e32 v6, 0x80
	s_mov_b32 s4, exec_lo
	v_and_b32_e32 v5, 0x7fffffff, v4
	v_cmpx_gt_u32_e32 0x47800000, v5
	s_cbranch_execz .LBB28_2067
; %bb.2062:
	v_cmp_lt_u32_e32 vcc_lo, 0x37ffffff, v5
	s_mov_b32 s6, 0
                                        ; implicit-def: $vgpr5
	s_and_saveexec_b32 s10, vcc_lo
	s_xor_b32 s10, exec_lo, s10
	s_cbranch_execz .LBB28_2234
; %bb.2063:
	v_bfe_u32 v5, v4, 21, 1
	s_mov_b32 s6, exec_lo
	v_add3_u32 v5, v4, v5, 0x88fffff
	v_lshrrev_b32_e32 v5, 21, v5
	s_andn2_saveexec_b32 s10, s10
	s_cbranch_execnz .LBB28_2235
.LBB28_2064:
	s_or_b32 exec_lo, exec_lo, s10
	v_mov_b32_e32 v6, 0
	s_and_saveexec_b32 s10, s6
.LBB28_2065:
	v_lshrrev_b32_e32 v4, 24, v4
	v_and_or_b32 v6, 0x80, v4, v5
.LBB28_2066:
	s_or_b32 exec_lo, exec_lo, s10
.LBB28_2067:
	s_or_b32 exec_lo, exec_lo, s4
	s_mov_b32 s4, 0
	global_store_byte v[0:1], v6, off
.LBB28_2068:
	s_and_b32 vcc_lo, exec_lo, s4
	s_cbranch_vccz .LBB28_2078
; %bb.2069:
	v_cvt_f32_f16_e32 v4, v9
	s_mov_b32 s4, exec_lo
                                        ; implicit-def: $vgpr5
	v_and_b32_e32 v6, 0x7fffffff, v4
	v_cmpx_gt_u32_e32 0x43f00000, v6
	s_xor_b32 s4, exec_lo, s4
	s_cbranch_execz .LBB28_2075
; %bb.2070:
	s_mov_b32 s6, exec_lo
                                        ; implicit-def: $vgpr5
	v_cmpx_lt_u32_e32 0x3c7fffff, v6
	s_xor_b32 s6, exec_lo, s6
; %bb.2071:
	v_bfe_u32 v5, v4, 20, 1
	v_add3_u32 v5, v4, v5, 0x407ffff
	v_and_b32_e32 v6, 0xff00000, v5
	v_lshrrev_b32_e32 v5, 20, v5
	v_cmp_ne_u32_e32 vcc_lo, 0x7f00000, v6
	v_cndmask_b32_e32 v5, 0x7e, v5, vcc_lo
; %bb.2072:
	s_andn2_saveexec_b32 s6, s6
; %bb.2073:
	v_add_f32_e64 v5, 0x46800000, |v4|
; %bb.2074:
	s_or_b32 exec_lo, exec_lo, s6
                                        ; implicit-def: $vgpr6
.LBB28_2075:
	s_andn2_saveexec_b32 s4, s4
; %bb.2076:
	v_mov_b32_e32 v5, 0x7f
	v_cmp_lt_u32_e32 vcc_lo, 0x7f800000, v6
	v_cndmask_b32_e32 v5, 0x7e, v5, vcc_lo
; %bb.2077:
	s_or_b32 exec_lo, exec_lo, s4
	v_lshrrev_b32_e32 v4, 24, v4
	v_and_or_b32 v4, 0x80, v4, v5
	global_store_byte v[0:1], v4, off
.LBB28_2078:
	s_mov_b32 s4, 0
.LBB28_2079:
	s_andn2_b32 vcc_lo, exec_lo, s4
	s_cbranch_vccnz .LBB28_2089
; %bb.2080:
	v_cvt_f32_f16_e32 v4, v9
	s_mov_b32 s4, exec_lo
                                        ; implicit-def: $vgpr5
	v_and_b32_e32 v6, 0x7fffffff, v4
	v_cmpx_gt_u32_e32 0x47800000, v6
	s_xor_b32 s4, exec_lo, s4
	s_cbranch_execz .LBB28_2086
; %bb.2081:
	s_mov_b32 s6, exec_lo
                                        ; implicit-def: $vgpr5
	v_cmpx_lt_u32_e32 0x387fffff, v6
	s_xor_b32 s6, exec_lo, s6
; %bb.2082:
	v_bfe_u32 v5, v4, 21, 1
	v_add3_u32 v5, v4, v5, 0x80fffff
	v_lshrrev_b32_e32 v5, 21, v5
; %bb.2083:
	s_andn2_saveexec_b32 s6, s6
; %bb.2084:
	v_add_f32_e64 v5, 0x43000000, |v4|
; %bb.2085:
	s_or_b32 exec_lo, exec_lo, s6
                                        ; implicit-def: $vgpr6
.LBB28_2086:
	s_andn2_saveexec_b32 s4, s4
; %bb.2087:
	v_mov_b32_e32 v5, 0x7f
	v_cmp_lt_u32_e32 vcc_lo, 0x7f800000, v6
	v_cndmask_b32_e32 v5, 0x7c, v5, vcc_lo
; %bb.2088:
	s_or_b32 exec_lo, exec_lo, s4
	v_lshrrev_b32_e32 v4, 24, v4
	v_and_or_b32 v4, 0x80, v4, v5
	global_store_byte v[0:1], v4, off
.LBB28_2089:
	s_mov_b32 s4, 0
	s_mov_b32 s6, -1
.LBB28_2090:
	s_andn2_b32 vcc_lo, exec_lo, s4
	s_mov_b32 s4, 0
	s_cbranch_vccnz .LBB28_2097
; %bb.2091:
	s_cmp_gt_i32 s3, 14
	s_mov_b32 s4, -1
	s_cbranch_scc0 .LBB28_2095
; %bb.2092:
	s_cmp_eq_u32 s3, 15
	s_mov_b32 s0, -1
	s_cbranch_scc0 .LBB28_2094
; %bb.2093:
	v_cvt_f32_f16_e32 v4, v9
	v_cmp_o_f16_e32 vcc_lo, v9, v9
	s_mov_b32 s0, 0
	s_mov_b32 s6, -1
	v_bfe_u32 v5, v4, 16, 1
	v_add3_u32 v4, v4, v5, 0x7fff
	v_mov_b32_e32 v5, 0x7fc0
	v_cndmask_b32_sdwa v4, v5, v4, vcc_lo dst_sel:DWORD dst_unused:UNUSED_PAD src0_sel:DWORD src1_sel:WORD_1
	global_store_short v[0:1], v4, off
.LBB28_2094:
	s_mov_b32 s4, 0
.LBB28_2095:
	s_and_b32 vcc_lo, exec_lo, s4
	s_mov_b32 s4, 0
	s_cbranch_vccz .LBB28_2097
; %bb.2096:
	s_cmp_lg_u32 s3, 11
	s_mov_b32 s4, -1
	s_cselect_b32 s0, -1, 0
.LBB28_2097:
	s_and_b32 vcc_lo, exec_lo, s0
	s_cbranch_vccnz .LBB28_2233
; %bb.2098:
	s_andn2_b32 vcc_lo, exec_lo, s4
	s_cbranch_vccnz .LBB28_2100
.LBB28_2099:
	v_and_b32_e32 v4, 0x7fff, v9
	s_mov_b32 s6, -1
	v_cmp_ne_u16_e32 vcc_lo, 0, v4
	v_cndmask_b32_e64 v4, 0, 1, vcc_lo
	global_store_byte v[0:1], v4, off
.LBB28_2100:
	s_mov_b32 s0, 0
	s_branch .LBB28_2102
.LBB28_2101:
	s_mov_b32 s0, -1
	s_mov_b32 s6, 0
.LBB28_2102:
	s_and_b32 vcc_lo, exec_lo, s0
	s_cbranch_vccz .LBB28_2141
; %bb.2103:
	s_and_b32 s0, 0xffff, s1
	s_mov_b32 s3, -1
	s_cmp_lt_i32 s0, 5
	s_cbranch_scc1 .LBB28_2124
; %bb.2104:
	s_cmp_lt_i32 s0, 8
	s_cbranch_scc1 .LBB28_2114
; %bb.2105:
	;; [unrolled: 3-line block ×3, first 2 shown]
	s_cmp_gt_i32 s0, 9
	s_cbranch_scc0 .LBB28_2108
; %bb.2107:
	v_cvt_f32_f16_e32 v4, v9
	v_mov_b32_e32 v6, 0
	s_mov_b32 s3, 0
	v_cvt_f64_f32_e32 v[4:5], v4
	v_mov_b32_e32 v7, v6
	global_store_dwordx4 v[0:1], v[4:7], off
.LBB28_2108:
	s_andn2_b32 vcc_lo, exec_lo, s3
	s_cbranch_vccnz .LBB28_2110
; %bb.2109:
	v_cvt_f32_f16_e32 v4, v9
	v_mov_b32_e32 v5, 0
	global_store_dwordx2 v[0:1], v[4:5], off
.LBB28_2110:
	s_mov_b32 s3, 0
.LBB28_2111:
	s_andn2_b32 vcc_lo, exec_lo, s3
	s_cbranch_vccnz .LBB28_2113
; %bb.2112:
	v_and_b32_e32 v4, 0xffff, v9
	global_store_dword v[0:1], v4, off
.LBB28_2113:
	s_mov_b32 s3, 0
.LBB28_2114:
	s_andn2_b32 vcc_lo, exec_lo, s3
	s_cbranch_vccnz .LBB28_2123
; %bb.2115:
	s_cmp_lt_i32 s0, 6
	s_mov_b32 s3, -1
	s_cbranch_scc1 .LBB28_2121
; %bb.2116:
	s_cmp_gt_i32 s0, 6
	s_cbranch_scc0 .LBB28_2118
; %bb.2117:
	v_cvt_f32_f16_e32 v4, v9
	s_mov_b32 s3, 0
	v_cvt_f64_f32_e32 v[4:5], v4
	global_store_dwordx2 v[0:1], v[4:5], off
.LBB28_2118:
	s_andn2_b32 vcc_lo, exec_lo, s3
	s_cbranch_vccnz .LBB28_2120
; %bb.2119:
	v_cvt_f32_f16_e32 v4, v9
	global_store_dword v[0:1], v4, off
.LBB28_2120:
	s_mov_b32 s3, 0
.LBB28_2121:
	s_andn2_b32 vcc_lo, exec_lo, s3
	s_cbranch_vccnz .LBB28_2123
; %bb.2122:
	global_store_short v[0:1], v9, off
.LBB28_2123:
	s_mov_b32 s3, 0
.LBB28_2124:
	s_andn2_b32 vcc_lo, exec_lo, s3
	s_cbranch_vccnz .LBB28_2140
; %bb.2125:
	s_cmp_lt_i32 s0, 2
	s_mov_b32 s3, -1
	s_cbranch_scc1 .LBB28_2135
; %bb.2126:
	s_cmp_lt_i32 s0, 3
	s_cbranch_scc1 .LBB28_2132
; %bb.2127:
	s_cmp_gt_i32 s0, 3
	s_cbranch_scc0 .LBB28_2129
; %bb.2128:
	v_cvt_f32_f16_e32 v4, v9
	s_mov_b32 s3, 0
	v_cvt_i32_f32_e32 v4, v4
	v_ashrrev_i32_e32 v5, 31, v4
	global_store_dwordx2 v[0:1], v[4:5], off
.LBB28_2129:
	s_andn2_b32 vcc_lo, exec_lo, s3
	s_cbranch_vccnz .LBB28_2131
; %bb.2130:
	v_cvt_f32_f16_e32 v4, v9
	v_cvt_i32_f32_e32 v4, v4
	global_store_dword v[0:1], v4, off
.LBB28_2131:
	s_mov_b32 s3, 0
.LBB28_2132:
	s_andn2_b32 vcc_lo, exec_lo, s3
	s_cbranch_vccnz .LBB28_2134
; %bb.2133:
	v_cvt_i16_f16_e32 v4, v9
	global_store_short v[0:1], v4, off
.LBB28_2134:
	s_mov_b32 s3, 0
.LBB28_2135:
	s_andn2_b32 vcc_lo, exec_lo, s3
	s_cbranch_vccnz .LBB28_2140
; %bb.2136:
	s_cmp_gt_i32 s0, 0
	s_mov_b32 s0, -1
	s_cbranch_scc0 .LBB28_2138
; %bb.2137:
	v_cvt_i16_f16_e32 v4, v9
	s_mov_b32 s0, 0
	global_store_byte v[0:1], v4, off
.LBB28_2138:
	s_andn2_b32 vcc_lo, exec_lo, s0
	s_cbranch_vccnz .LBB28_2140
; %bb.2139:
	v_cvt_f32_f16_e32 v4, v9
	v_cvt_i32_f32_e32 v4, v4
	global_store_byte v[0:1], v4, off
.LBB28_2140:
	s_mov_b32 s6, -1
.LBB28_2141:
	s_andn2_b32 vcc_lo, exec_lo, s6
	s_cbranch_vccnz .LBB28_2218
; %bb.2142:
	v_add_nc_u32_e32 v0, s2, v3
	s_cmp_lt_i32 s1, 11
	v_ashrrev_i32_e32 v1, 31, v0
	v_add_co_u32 v0, vcc_lo, s8, v0
	v_add_co_ci_u32_e64 v1, null, s9, v1, vcc_lo
	s_cbranch_scc1 .LBB28_2219
; %bb.2143:
	s_and_b32 s2, 0xffff, s1
	s_mov_b32 s4, -1
	s_mov_b32 s3, 0
	s_cmp_gt_i32 s2, 25
	s_mov_b32 s0, 0
	s_cbranch_scc0 .LBB28_2176
; %bb.2144:
	s_cmp_gt_i32 s2, 28
	s_cbranch_scc0 .LBB28_2160
; %bb.2145:
	s_cmp_gt_i32 s2, 43
	s_cbranch_scc0 .LBB28_2156
; %bb.2146:
	s_cmp_gt_i32 s2, 45
	s_cbranch_scc0 .LBB28_2150
; %bb.2147:
	s_cmp_eq_u32 s2, 46
	s_mov_b32 s0, -1
	s_cbranch_scc0 .LBB28_2149
; %bb.2148:
	v_cvt_f32_f16_e32 v3, v2
	v_cmp_o_f16_e32 vcc_lo, v2, v2
	s_mov_b32 s0, 0
	v_bfe_u32 v4, v3, 16, 1
	v_add3_u32 v3, v3, v4, 0x7fff
	v_mov_b32_e32 v4, 0x7fc0
	v_cndmask_b32_sdwa v3, v4, v3, vcc_lo dst_sel:DWORD dst_unused:UNUSED_PAD src0_sel:DWORD src1_sel:WORD_1
	global_store_dword v[0:1], v3, off
.LBB28_2149:
	s_mov_b32 s4, 0
.LBB28_2150:
	s_and_b32 vcc_lo, exec_lo, s4
	s_cbranch_vccz .LBB28_2155
; %bb.2151:
	s_cmp_eq_u32 s2, 44
	s_mov_b32 s0, -1
	s_cbranch_scc0 .LBB28_2155
; %bb.2152:
	v_cvt_f32_f16_e32 v3, v2
	v_mov_b32_e32 v4, 0xff
	s_mov_b32 s4, exec_lo
	v_bfe_u32 v5, v3, 23, 8
	v_cmpx_ne_u32_e32 0xff, v5
	s_cbranch_execz .LBB28_2154
; %bb.2153:
	v_and_b32_e32 v4, 0x400000, v3
	v_and_or_b32 v5, 0x3fffff, v3, v5
	v_lshrrev_b32_e32 v3, 23, v3
	v_cmp_ne_u32_e32 vcc_lo, 0, v4
	v_cmp_ne_u32_e64 s0, 0, v5
	s_and_b32 s0, vcc_lo, s0
	v_cndmask_b32_e64 v4, 0, 1, s0
	v_add_nc_u32_e32 v4, v3, v4
.LBB28_2154:
	s_or_b32 exec_lo, exec_lo, s4
	s_mov_b32 s0, 0
	global_store_byte v[0:1], v4, off
.LBB28_2155:
	s_mov_b32 s4, 0
.LBB28_2156:
	s_and_b32 vcc_lo, exec_lo, s4
	s_cbranch_vccz .LBB28_2159
; %bb.2157:
	s_cmp_eq_u32 s2, 29
	s_mov_b32 s0, -1
	s_cbranch_scc0 .LBB28_2159
; %bb.2158:
	v_cvt_f32_f16_e32 v3, v2
	v_mov_b32_e32 v4, 0
	s_mov_b32 s0, 0
	v_cvt_u32_f32_e32 v3, v3
	global_store_dwordx2 v[0:1], v[3:4], off
.LBB28_2159:
	s_mov_b32 s4, 0
.LBB28_2160:
	s_and_b32 vcc_lo, exec_lo, s4
	s_cbranch_vccz .LBB28_2175
; %bb.2161:
	s_cmp_lt_i32 s2, 27
	s_mov_b32 s4, -1
	s_cbranch_scc1 .LBB28_2167
; %bb.2162:
	s_cmp_gt_i32 s2, 27
	s_cbranch_scc0 .LBB28_2164
; %bb.2163:
	v_cvt_f32_f16_e32 v3, v2
	s_mov_b32 s4, 0
	v_cvt_u32_f32_e32 v3, v3
	global_store_dword v[0:1], v3, off
.LBB28_2164:
	s_andn2_b32 vcc_lo, exec_lo, s4
	s_cbranch_vccnz .LBB28_2166
; %bb.2165:
	v_cvt_u16_f16_e32 v3, v2
	global_store_short v[0:1], v3, off
.LBB28_2166:
	s_mov_b32 s4, 0
.LBB28_2167:
	s_andn2_b32 vcc_lo, exec_lo, s4
	s_cbranch_vccnz .LBB28_2175
; %bb.2168:
	v_cvt_f32_f16_e32 v3, v2
	v_mov_b32_e32 v5, 0x80
	s_mov_b32 s4, exec_lo
	v_and_b32_e32 v4, 0x7fffffff, v3
	v_cmpx_gt_u32_e32 0x43800000, v4
	s_cbranch_execz .LBB28_2174
; %bb.2169:
	v_cmp_lt_u32_e32 vcc_lo, 0x3bffffff, v4
	s_mov_b32 s6, 0
                                        ; implicit-def: $vgpr4
	s_and_saveexec_b32 s8, vcc_lo
	s_xor_b32 s8, exec_lo, s8
	s_cbranch_execz .LBB28_2236
; %bb.2170:
	v_bfe_u32 v4, v3, 20, 1
	s_mov_b32 s6, exec_lo
	v_add3_u32 v4, v3, v4, 0x487ffff
	v_lshrrev_b32_e32 v4, 20, v4
	s_andn2_saveexec_b32 s8, s8
	s_cbranch_execnz .LBB28_2237
.LBB28_2171:
	s_or_b32 exec_lo, exec_lo, s8
	v_mov_b32_e32 v5, 0
	s_and_saveexec_b32 s8, s6
.LBB28_2172:
	v_lshrrev_b32_e32 v3, 24, v3
	v_and_or_b32 v5, 0x80, v3, v4
.LBB28_2173:
	s_or_b32 exec_lo, exec_lo, s8
.LBB28_2174:
	s_or_b32 exec_lo, exec_lo, s4
	global_store_byte v[0:1], v5, off
.LBB28_2175:
	s_mov_b32 s4, 0
.LBB28_2176:
	s_and_b32 vcc_lo, exec_lo, s4
	s_cbranch_vccz .LBB28_2216
; %bb.2177:
	s_cmp_gt_i32 s2, 22
	s_mov_b32 s3, -1
	s_cbranch_scc0 .LBB28_2209
; %bb.2178:
	s_cmp_lt_i32 s2, 24
	s_cbranch_scc1 .LBB28_2198
; %bb.2179:
	s_cmp_gt_i32 s2, 24
	s_cbranch_scc0 .LBB28_2187
; %bb.2180:
	v_cvt_f32_f16_e32 v3, v2
	v_mov_b32_e32 v5, 0x80
	s_mov_b32 s3, exec_lo
	v_and_b32_e32 v4, 0x7fffffff, v3
	v_cmpx_gt_u32_e32 0x47800000, v4
	s_cbranch_execz .LBB28_2186
; %bb.2181:
	v_cmp_lt_u32_e32 vcc_lo, 0x37ffffff, v4
	s_mov_b32 s4, 0
                                        ; implicit-def: $vgpr4
	s_and_saveexec_b32 s6, vcc_lo
	s_xor_b32 s6, exec_lo, s6
	s_cbranch_execz .LBB28_2239
; %bb.2182:
	v_bfe_u32 v4, v3, 21, 1
	s_mov_b32 s4, exec_lo
	v_add3_u32 v4, v3, v4, 0x88fffff
	v_lshrrev_b32_e32 v4, 21, v4
	s_andn2_saveexec_b32 s6, s6
	s_cbranch_execnz .LBB28_2240
.LBB28_2183:
	s_or_b32 exec_lo, exec_lo, s6
	v_mov_b32_e32 v5, 0
	s_and_saveexec_b32 s6, s4
.LBB28_2184:
	v_lshrrev_b32_e32 v3, 24, v3
	v_and_or_b32 v5, 0x80, v3, v4
.LBB28_2185:
	s_or_b32 exec_lo, exec_lo, s6
.LBB28_2186:
	s_or_b32 exec_lo, exec_lo, s3
	s_mov_b32 s3, 0
	global_store_byte v[0:1], v5, off
.LBB28_2187:
	s_and_b32 vcc_lo, exec_lo, s3
	s_cbranch_vccz .LBB28_2197
; %bb.2188:
	v_cvt_f32_f16_e32 v3, v2
	s_mov_b32 s3, exec_lo
                                        ; implicit-def: $vgpr4
	v_and_b32_e32 v5, 0x7fffffff, v3
	v_cmpx_gt_u32_e32 0x43f00000, v5
	s_xor_b32 s3, exec_lo, s3
	s_cbranch_execz .LBB28_2194
; %bb.2189:
	s_mov_b32 s4, exec_lo
                                        ; implicit-def: $vgpr4
	v_cmpx_lt_u32_e32 0x3c7fffff, v5
	s_xor_b32 s4, exec_lo, s4
; %bb.2190:
	v_bfe_u32 v4, v3, 20, 1
	v_add3_u32 v4, v3, v4, 0x407ffff
	v_and_b32_e32 v5, 0xff00000, v4
	v_lshrrev_b32_e32 v4, 20, v4
	v_cmp_ne_u32_e32 vcc_lo, 0x7f00000, v5
	v_cndmask_b32_e32 v4, 0x7e, v4, vcc_lo
; %bb.2191:
	s_andn2_saveexec_b32 s4, s4
; %bb.2192:
	v_add_f32_e64 v4, 0x46800000, |v3|
; %bb.2193:
	s_or_b32 exec_lo, exec_lo, s4
                                        ; implicit-def: $vgpr5
.LBB28_2194:
	s_andn2_saveexec_b32 s3, s3
; %bb.2195:
	v_mov_b32_e32 v4, 0x7f
	v_cmp_lt_u32_e32 vcc_lo, 0x7f800000, v5
	v_cndmask_b32_e32 v4, 0x7e, v4, vcc_lo
; %bb.2196:
	s_or_b32 exec_lo, exec_lo, s3
	v_lshrrev_b32_e32 v3, 24, v3
	v_and_or_b32 v3, 0x80, v3, v4
	global_store_byte v[0:1], v3, off
.LBB28_2197:
	s_mov_b32 s3, 0
.LBB28_2198:
	s_andn2_b32 vcc_lo, exec_lo, s3
	s_cbranch_vccnz .LBB28_2208
; %bb.2199:
	v_cvt_f32_f16_e32 v3, v2
	s_mov_b32 s3, exec_lo
                                        ; implicit-def: $vgpr4
	v_and_b32_e32 v5, 0x7fffffff, v3
	v_cmpx_gt_u32_e32 0x47800000, v5
	s_xor_b32 s3, exec_lo, s3
	s_cbranch_execz .LBB28_2205
; %bb.2200:
	s_mov_b32 s4, exec_lo
                                        ; implicit-def: $vgpr4
	v_cmpx_lt_u32_e32 0x387fffff, v5
	s_xor_b32 s4, exec_lo, s4
; %bb.2201:
	v_bfe_u32 v4, v3, 21, 1
	v_add3_u32 v4, v3, v4, 0x80fffff
	v_lshrrev_b32_e32 v4, 21, v4
; %bb.2202:
	s_andn2_saveexec_b32 s4, s4
; %bb.2203:
	v_add_f32_e64 v4, 0x43000000, |v3|
; %bb.2204:
	s_or_b32 exec_lo, exec_lo, s4
                                        ; implicit-def: $vgpr5
.LBB28_2205:
	s_andn2_saveexec_b32 s3, s3
; %bb.2206:
	v_mov_b32_e32 v4, 0x7f
	v_cmp_lt_u32_e32 vcc_lo, 0x7f800000, v5
	v_cndmask_b32_e32 v4, 0x7c, v4, vcc_lo
; %bb.2207:
	s_or_b32 exec_lo, exec_lo, s3
	v_lshrrev_b32_e32 v3, 24, v3
	v_and_or_b32 v3, 0x80, v3, v4
	global_store_byte v[0:1], v3, off
.LBB28_2208:
	s_mov_b32 s3, 0
.LBB28_2209:
	s_andn2_b32 vcc_lo, exec_lo, s3
	s_mov_b32 s3, 0
	s_cbranch_vccnz .LBB28_2216
; %bb.2210:
	s_cmp_gt_i32 s2, 14
	s_mov_b32 s3, -1
	s_cbranch_scc0 .LBB28_2214
; %bb.2211:
	s_cmp_eq_u32 s2, 15
	s_mov_b32 s0, -1
	s_cbranch_scc0 .LBB28_2213
; %bb.2212:
	v_cvt_f32_f16_e32 v3, v2
	v_cmp_o_f16_e32 vcc_lo, v2, v2
	s_mov_b32 s0, 0
	v_bfe_u32 v4, v3, 16, 1
	v_add3_u32 v3, v3, v4, 0x7fff
	v_mov_b32_e32 v4, 0x7fc0
	v_cndmask_b32_sdwa v3, v4, v3, vcc_lo dst_sel:DWORD dst_unused:UNUSED_PAD src0_sel:DWORD src1_sel:WORD_1
	global_store_short v[0:1], v3, off
.LBB28_2213:
	s_mov_b32 s3, 0
.LBB28_2214:
	s_and_b32 vcc_lo, exec_lo, s3
	s_mov_b32 s3, 0
	s_cbranch_vccz .LBB28_2216
; %bb.2215:
	s_cmp_lg_u32 s2, 11
	s_mov_b32 s3, -1
	s_cselect_b32 s0, -1, 0
.LBB28_2216:
	s_and_b32 vcc_lo, exec_lo, s0
	s_cbranch_vccnz .LBB28_2238
.LBB28_2217:
	s_mov_b32 s0, 0
	s_branch .LBB28_1819
.LBB28_2218:
	s_mov_b32 s0, 0
	s_mov_b32 s3, 0
                                        ; implicit-def: $sgpr1
                                        ; implicit-def: $vgpr0_vgpr1
	s_branch .LBB28_1819
.LBB28_2219:
	s_mov_b32 s3, 0
	s_mov_b32 s0, -1
	s_branch .LBB28_1819
.LBB28_2220:
	s_or_b32 s5, s5, exec_lo
	s_trap 2
	s_cbranch_execz .LBB28_1664
	s_branch .LBB28_1665
.LBB28_2221:
	s_andn2_saveexec_b32 s11, s11
	s_cbranch_execz .LBB28_1768
.LBB28_2222:
	v_add_f32_e64 v5, 0x46000000, |v4|
	s_andn2_b32 s10, s10, exec_lo
	v_and_b32_e32 v5, 0xff, v5
	v_cmp_ne_u32_e32 vcc_lo, 0, v5
	s_and_b32 s13, vcc_lo, exec_lo
	s_or_b32 s10, s10, s13
	s_or_b32 exec_lo, exec_lo, s11
	v_mov_b32_e32 v6, 0
	s_and_saveexec_b32 s11, s10
	s_cbranch_execnz .LBB28_1769
	s_branch .LBB28_1770
.LBB28_2223:
	s_or_b32 s5, s5, exec_lo
	s_trap 2
	s_cbranch_execz .LBB28_1816
	s_branch .LBB28_1817
.LBB28_2224:
	s_andn2_saveexec_b32 s10, s10
	s_cbranch_execz .LBB28_1781
.LBB28_2225:
	v_add_f32_e64 v5, 0x42800000, |v4|
	s_andn2_b32 s6, s6, exec_lo
	v_and_b32_e32 v5, 0xff, v5
	v_cmp_ne_u32_e32 vcc_lo, 0, v5
	s_and_b32 s11, vcc_lo, exec_lo
	s_or_b32 s6, s6, s11
	s_or_b32 exec_lo, exec_lo, s10
	v_mov_b32_e32 v6, 0
	s_and_saveexec_b32 s10, s6
	s_cbranch_execnz .LBB28_1782
	s_branch .LBB28_1783
.LBB28_2226:
	s_andn2_saveexec_b32 s11, s11
	s_cbranch_execz .LBB28_1932
.LBB28_2227:
	v_add_f32_e64 v5, 0x46000000, |v4|
	s_andn2_b32 s10, s10, exec_lo
	v_and_b32_e32 v5, 0xff, v5
	v_cmp_ne_u32_e32 vcc_lo, 0, v5
	s_and_b32 s13, vcc_lo, exec_lo
	s_or_b32 s10, s10, s13
	s_or_b32 exec_lo, exec_lo, s11
	v_mov_b32_e32 v6, 0
	s_and_saveexec_b32 s11, s10
	s_cbranch_execnz .LBB28_1933
	s_branch .LBB28_1934
.LBB28_2228:
	s_or_b32 s5, s5, exec_lo
	s_trap 2
	s_cbranch_execz .LBB28_1980
	s_branch .LBB28_1981
.LBB28_2229:
	s_andn2_saveexec_b32 s10, s10
	s_cbranch_execz .LBB28_1945
.LBB28_2230:
	v_add_f32_e64 v5, 0x42800000, |v4|
	s_andn2_b32 s6, s6, exec_lo
	v_and_b32_e32 v5, 0xff, v5
	v_cmp_ne_u32_e32 vcc_lo, 0, v5
	s_and_b32 s11, vcc_lo, exec_lo
	s_or_b32 s6, s6, s11
	s_or_b32 exec_lo, exec_lo, s10
	v_mov_b32_e32 v6, 0
	s_and_saveexec_b32 s10, s6
	s_cbranch_execnz .LBB28_1946
	s_branch .LBB28_1947
.LBB28_2231:
	s_andn2_saveexec_b32 s11, s11
	s_cbranch_execz .LBB28_2051
.LBB28_2232:
	v_add_f32_e64 v5, 0x46000000, |v4|
	s_andn2_b32 s10, s10, exec_lo
	v_and_b32_e32 v5, 0xff, v5
	v_cmp_ne_u32_e32 vcc_lo, 0, v5
	s_and_b32 s13, vcc_lo, exec_lo
	s_or_b32 s10, s10, s13
	s_or_b32 exec_lo, exec_lo, s11
	v_mov_b32_e32 v6, 0
	s_and_saveexec_b32 s11, s10
	s_cbranch_execnz .LBB28_2052
	s_branch .LBB28_2053
.LBB28_2233:
	s_or_b32 s5, s5, exec_lo
	s_trap 2
	s_cbranch_execz .LBB28_2099
	s_branch .LBB28_2100
.LBB28_2234:
	s_andn2_saveexec_b32 s10, s10
	s_cbranch_execz .LBB28_2064
.LBB28_2235:
	v_add_f32_e64 v5, 0x42800000, |v4|
	s_andn2_b32 s6, s6, exec_lo
	v_and_b32_e32 v5, 0xff, v5
	v_cmp_ne_u32_e32 vcc_lo, 0, v5
	s_and_b32 s11, vcc_lo, exec_lo
	s_or_b32 s6, s6, s11
	s_or_b32 exec_lo, exec_lo, s10
	v_mov_b32_e32 v6, 0
	s_and_saveexec_b32 s10, s6
	s_cbranch_execnz .LBB28_2065
	s_branch .LBB28_2066
.LBB28_2236:
	s_andn2_saveexec_b32 s8, s8
	s_cbranch_execz .LBB28_2171
.LBB28_2237:
	v_add_f32_e64 v4, 0x46000000, |v3|
	s_andn2_b32 s6, s6, exec_lo
	v_and_b32_e32 v4, 0xff, v4
	v_cmp_ne_u32_e32 vcc_lo, 0, v4
	s_and_b32 s9, vcc_lo, exec_lo
	s_or_b32 s6, s6, s9
	s_or_b32 exec_lo, exec_lo, s8
	v_mov_b32_e32 v5, 0
	s_and_saveexec_b32 s8, s6
	s_cbranch_execnz .LBB28_2172
	s_branch .LBB28_2173
.LBB28_2238:
	s_mov_b32 s3, 0
	s_or_b32 s5, s5, exec_lo
	s_trap 2
	s_branch .LBB28_2217
.LBB28_2239:
	s_andn2_saveexec_b32 s6, s6
	s_cbranch_execz .LBB28_2183
.LBB28_2240:
	v_add_f32_e64 v4, 0x42800000, |v3|
	s_andn2_b32 s4, s4, exec_lo
	v_and_b32_e32 v4, 0xff, v4
	v_cmp_ne_u32_e32 vcc_lo, 0, v4
	s_and_b32 s8, vcc_lo, exec_lo
	s_or_b32 s4, s4, s8
	s_or_b32 exec_lo, exec_lo, s6
	v_mov_b32_e32 v5, 0
	s_and_saveexec_b32 s6, s4
	s_cbranch_execnz .LBB28_2184
	s_branch .LBB28_2185
	.section	.rodata,"a",@progbits
	.p2align	6, 0x0
	.amdhsa_kernel _ZN2at6native32elementwise_kernel_manual_unrollILi128ELi4EZNS0_15gpu_kernel_implIZZZNS0_19digamma_kernel_cudaERNS_18TensorIteratorBaseEENKUlvE_clEvENKUlvE1_clEvEUlN3c104HalfEE_EEvS4_RKT_EUlibE_EEviT1_
		.amdhsa_group_segment_fixed_size 0
		.amdhsa_private_segment_fixed_size 0
		.amdhsa_kernarg_size 40
		.amdhsa_user_sgpr_count 6
		.amdhsa_user_sgpr_private_segment_buffer 1
		.amdhsa_user_sgpr_dispatch_ptr 0
		.amdhsa_user_sgpr_queue_ptr 0
		.amdhsa_user_sgpr_kernarg_segment_ptr 1
		.amdhsa_user_sgpr_dispatch_id 0
		.amdhsa_user_sgpr_flat_scratch_init 0
		.amdhsa_user_sgpr_private_segment_size 0
		.amdhsa_wavefront_size32 1
		.amdhsa_uses_dynamic_stack 0
		.amdhsa_system_sgpr_private_segment_wavefront_offset 0
		.amdhsa_system_sgpr_workgroup_id_x 1
		.amdhsa_system_sgpr_workgroup_id_y 0
		.amdhsa_system_sgpr_workgroup_id_z 0
		.amdhsa_system_sgpr_workgroup_info 0
		.amdhsa_system_vgpr_workitem_id 0
		.amdhsa_next_free_vgpr 39
		.amdhsa_next_free_sgpr 28
		.amdhsa_reserve_vcc 1
		.amdhsa_reserve_flat_scratch 0
		.amdhsa_float_round_mode_32 0
		.amdhsa_float_round_mode_16_64 0
		.amdhsa_float_denorm_mode_32 3
		.amdhsa_float_denorm_mode_16_64 3
		.amdhsa_dx10_clamp 1
		.amdhsa_ieee_mode 1
		.amdhsa_fp16_overflow 0
		.amdhsa_workgroup_processor_mode 1
		.amdhsa_memory_ordered 1
		.amdhsa_forward_progress 1
		.amdhsa_shared_vgpr_count 0
		.amdhsa_exception_fp_ieee_invalid_op 0
		.amdhsa_exception_fp_denorm_src 0
		.amdhsa_exception_fp_ieee_div_zero 0
		.amdhsa_exception_fp_ieee_overflow 0
		.amdhsa_exception_fp_ieee_underflow 0
		.amdhsa_exception_fp_ieee_inexact 0
		.amdhsa_exception_int_div_zero 0
	.end_amdhsa_kernel
	.section	.text._ZN2at6native32elementwise_kernel_manual_unrollILi128ELi4EZNS0_15gpu_kernel_implIZZZNS0_19digamma_kernel_cudaERNS_18TensorIteratorBaseEENKUlvE_clEvENKUlvE1_clEvEUlN3c104HalfEE_EEvS4_RKT_EUlibE_EEviT1_,"axG",@progbits,_ZN2at6native32elementwise_kernel_manual_unrollILi128ELi4EZNS0_15gpu_kernel_implIZZZNS0_19digamma_kernel_cudaERNS_18TensorIteratorBaseEENKUlvE_clEvENKUlvE1_clEvEUlN3c104HalfEE_EEvS4_RKT_EUlibE_EEviT1_,comdat
.Lfunc_end28:
	.size	_ZN2at6native32elementwise_kernel_manual_unrollILi128ELi4EZNS0_15gpu_kernel_implIZZZNS0_19digamma_kernel_cudaERNS_18TensorIteratorBaseEENKUlvE_clEvENKUlvE1_clEvEUlN3c104HalfEE_EEvS4_RKT_EUlibE_EEviT1_, .Lfunc_end28-_ZN2at6native32elementwise_kernel_manual_unrollILi128ELi4EZNS0_15gpu_kernel_implIZZZNS0_19digamma_kernel_cudaERNS_18TensorIteratorBaseEENKUlvE_clEvENKUlvE1_clEvEUlN3c104HalfEE_EEvS4_RKT_EUlibE_EEviT1_
                                        ; -- End function
	.set _ZN2at6native32elementwise_kernel_manual_unrollILi128ELi4EZNS0_15gpu_kernel_implIZZZNS0_19digamma_kernel_cudaERNS_18TensorIteratorBaseEENKUlvE_clEvENKUlvE1_clEvEUlN3c104HalfEE_EEvS4_RKT_EUlibE_EEviT1_.num_vgpr, 39
	.set _ZN2at6native32elementwise_kernel_manual_unrollILi128ELi4EZNS0_15gpu_kernel_implIZZZNS0_19digamma_kernel_cudaERNS_18TensorIteratorBaseEENKUlvE_clEvENKUlvE1_clEvEUlN3c104HalfEE_EEvS4_RKT_EUlibE_EEviT1_.num_agpr, 0
	.set _ZN2at6native32elementwise_kernel_manual_unrollILi128ELi4EZNS0_15gpu_kernel_implIZZZNS0_19digamma_kernel_cudaERNS_18TensorIteratorBaseEENKUlvE_clEvENKUlvE1_clEvEUlN3c104HalfEE_EEvS4_RKT_EUlibE_EEviT1_.numbered_sgpr, 28
	.set _ZN2at6native32elementwise_kernel_manual_unrollILi128ELi4EZNS0_15gpu_kernel_implIZZZNS0_19digamma_kernel_cudaERNS_18TensorIteratorBaseEENKUlvE_clEvENKUlvE1_clEvEUlN3c104HalfEE_EEvS4_RKT_EUlibE_EEviT1_.num_named_barrier, 0
	.set _ZN2at6native32elementwise_kernel_manual_unrollILi128ELi4EZNS0_15gpu_kernel_implIZZZNS0_19digamma_kernel_cudaERNS_18TensorIteratorBaseEENKUlvE_clEvENKUlvE1_clEvEUlN3c104HalfEE_EEvS4_RKT_EUlibE_EEviT1_.private_seg_size, 0
	.set _ZN2at6native32elementwise_kernel_manual_unrollILi128ELi4EZNS0_15gpu_kernel_implIZZZNS0_19digamma_kernel_cudaERNS_18TensorIteratorBaseEENKUlvE_clEvENKUlvE1_clEvEUlN3c104HalfEE_EEvS4_RKT_EUlibE_EEviT1_.uses_vcc, 1
	.set _ZN2at6native32elementwise_kernel_manual_unrollILi128ELi4EZNS0_15gpu_kernel_implIZZZNS0_19digamma_kernel_cudaERNS_18TensorIteratorBaseEENKUlvE_clEvENKUlvE1_clEvEUlN3c104HalfEE_EEvS4_RKT_EUlibE_EEviT1_.uses_flat_scratch, 0
	.set _ZN2at6native32elementwise_kernel_manual_unrollILi128ELi4EZNS0_15gpu_kernel_implIZZZNS0_19digamma_kernel_cudaERNS_18TensorIteratorBaseEENKUlvE_clEvENKUlvE1_clEvEUlN3c104HalfEE_EEvS4_RKT_EUlibE_EEviT1_.has_dyn_sized_stack, 0
	.set _ZN2at6native32elementwise_kernel_manual_unrollILi128ELi4EZNS0_15gpu_kernel_implIZZZNS0_19digamma_kernel_cudaERNS_18TensorIteratorBaseEENKUlvE_clEvENKUlvE1_clEvEUlN3c104HalfEE_EEvS4_RKT_EUlibE_EEviT1_.has_recursion, 0
	.set _ZN2at6native32elementwise_kernel_manual_unrollILi128ELi4EZNS0_15gpu_kernel_implIZZZNS0_19digamma_kernel_cudaERNS_18TensorIteratorBaseEENKUlvE_clEvENKUlvE1_clEvEUlN3c104HalfEE_EEvS4_RKT_EUlibE_EEviT1_.has_indirect_call, 0
	.section	.AMDGPU.csdata,"",@progbits
; Kernel info:
; codeLenInByte = 53744
; TotalNumSgprs: 30
; NumVgprs: 39
; ScratchSize: 0
; MemoryBound: 0
; FloatMode: 240
; IeeeMode: 1
; LDSByteSize: 0 bytes/workgroup (compile time only)
; SGPRBlocks: 0
; VGPRBlocks: 4
; NumSGPRsForWavesPerEU: 30
; NumVGPRsForWavesPerEU: 39
; Occupancy: 16
; WaveLimiterHint : 0
; COMPUTE_PGM_RSRC2:SCRATCH_EN: 0
; COMPUTE_PGM_RSRC2:USER_SGPR: 6
; COMPUTE_PGM_RSRC2:TRAP_HANDLER: 0
; COMPUTE_PGM_RSRC2:TGID_X_EN: 1
; COMPUTE_PGM_RSRC2:TGID_Y_EN: 0
; COMPUTE_PGM_RSRC2:TGID_Z_EN: 0
; COMPUTE_PGM_RSRC2:TIDIG_COMP_CNT: 0
	.section	.text._ZN2at6native32elementwise_kernel_manual_unrollILi128ELi4EZNS0_15gpu_kernel_implIZZZNS0_19digamma_kernel_cudaERNS_18TensorIteratorBaseEENKUlvE_clEvENKUlvE1_clEvEUlN3c104HalfEE_EEvS4_RKT_EUlibE0_EEviT1_,"axG",@progbits,_ZN2at6native32elementwise_kernel_manual_unrollILi128ELi4EZNS0_15gpu_kernel_implIZZZNS0_19digamma_kernel_cudaERNS_18TensorIteratorBaseEENKUlvE_clEvENKUlvE1_clEvEUlN3c104HalfEE_EEvS4_RKT_EUlibE0_EEviT1_,comdat
	.globl	_ZN2at6native32elementwise_kernel_manual_unrollILi128ELi4EZNS0_15gpu_kernel_implIZZZNS0_19digamma_kernel_cudaERNS_18TensorIteratorBaseEENKUlvE_clEvENKUlvE1_clEvEUlN3c104HalfEE_EEvS4_RKT_EUlibE0_EEviT1_ ; -- Begin function _ZN2at6native32elementwise_kernel_manual_unrollILi128ELi4EZNS0_15gpu_kernel_implIZZZNS0_19digamma_kernel_cudaERNS_18TensorIteratorBaseEENKUlvE_clEvENKUlvE1_clEvEUlN3c104HalfEE_EEvS4_RKT_EUlibE0_EEviT1_
	.p2align	8
	.type	_ZN2at6native32elementwise_kernel_manual_unrollILi128ELi4EZNS0_15gpu_kernel_implIZZZNS0_19digamma_kernel_cudaERNS_18TensorIteratorBaseEENKUlvE_clEvENKUlvE1_clEvEUlN3c104HalfEE_EEvS4_RKT_EUlibE0_EEviT1_,@function
_ZN2at6native32elementwise_kernel_manual_unrollILi128ELi4EZNS0_15gpu_kernel_implIZZZNS0_19digamma_kernel_cudaERNS_18TensorIteratorBaseEENKUlvE_clEvENKUlvE1_clEvEUlN3c104HalfEE_EEvS4_RKT_EUlibE0_EEviT1_: ; @_ZN2at6native32elementwise_kernel_manual_unrollILi128ELi4EZNS0_15gpu_kernel_implIZZZNS0_19digamma_kernel_cudaERNS_18TensorIteratorBaseEENKUlvE_clEvENKUlvE1_clEvEUlN3c104HalfEE_EEvS4_RKT_EUlibE0_EEviT1_
; %bb.0:
	s_clause 0x1
	s_load_dword s24, s[4:5], 0x8
	s_load_dword s33, s[4:5], 0x0
	v_lshl_or_b32 v8, s6, 9, v0
	s_add_u32 s2, s4, 8
	s_addc_u32 s3, s5, 0
	s_mov_b32 s1, -1
	s_mov_b32 s26, 0
	v_or_b32_e32 v15, 0x180, v8
	s_mov_b32 s12, 0
	s_mov_b32 s0, exec_lo
	s_waitcnt lgkmcnt(0)
	s_add_i32 s25, s24, -1
	s_cmp_gt_u32 s25, 1
	s_cselect_b32 s27, -1, 0
	v_cmpx_le_i32_e64 s33, v15
	s_xor_b32 s28, exec_lo, s0
	s_cbranch_execz .LBB29_1185
; %bb.1:
	v_mov_b32_e32 v0, 0
	s_clause 0x3
	s_load_dwordx4 s[16:19], s[2:3], 0x4
	s_load_dwordx2 s[6:7], s[2:3], 0x14
	s_load_dwordx4 s[12:15], s[2:3], 0xc4
	s_load_dwordx4 s[8:11], s[2:3], 0x148
	s_cmp_lg_u32 s24, 0
	s_mov_b32 s39, 0
	s_cselect_b32 s34, -1, 0
	global_load_ushort v0, v0, s[2:3] offset:345
	s_add_u32 s20, s2, 0xc4
	s_addc_u32 s21, s3, 0
	s_min_u32 s35, s25, 15
	s_cmp_gt_u32 s24, 1
	s_mov_b32 s37, 0
	s_cselect_b32 s31, -1, 0
	s_mov_b32 s36, 0
	s_mov_b32 s38, exec_lo
	s_waitcnt vmcnt(0)
	v_readfirstlane_b32 s29, v0
	s_and_b32 s0, 0xffff, s29
	s_lshr_b32 s30, s0, 8
	v_cmpx_gt_i32_e64 s33, v8
	s_cbranch_execz .LBB29_290
; %bb.2:
	s_andn2_b32 vcc_lo, exec_lo, s27
	s_cbranch_vccnz .LBB29_7
; %bb.3:
	s_andn2_b32 vcc_lo, exec_lo, s34
	s_cbranch_vccnz .LBB29_8
; %bb.4:
	s_add_i32 s37, s35, 1
	s_cmp_eq_u32 s25, 2
	s_cbranch_scc1 .LBB29_9
; %bb.5:
	v_mov_b32_e32 v2, 0
	v_mov_b32_e32 v0, 0
	;; [unrolled: 1-line block ×3, first 2 shown]
	s_and_b32 s36, s37, 28
	s_mov_b32 s40, 0
	s_mov_b64 s[0:1], s[2:3]
	s_mov_b64 s[22:23], s[20:21]
.LBB29_6:                               ; =>This Inner Loop Header: Depth=1
	s_clause 0x1
	s_load_dwordx8 s[44:51], s[0:1], 0x4
	s_load_dwordx4 s[60:63], s[0:1], 0x24
	s_load_dwordx8 s[52:59], s[22:23], 0x0
	s_add_u32 s0, s0, 48
	s_addc_u32 s1, s1, 0
	s_add_i32 s40, s40, 4
	s_add_u32 s22, s22, 32
	s_addc_u32 s23, s23, 0
	s_cmp_lg_u32 s36, s40
	s_waitcnt lgkmcnt(0)
	v_mul_hi_u32 v3, s45, v1
	v_add_nc_u32_e32 v3, v1, v3
	v_lshrrev_b32_e32 v3, s46, v3
	v_mul_hi_u32 v4, s48, v3
	v_mul_lo_u32 v6, v3, s44
	v_add_nc_u32_e32 v4, v3, v4
	v_sub_nc_u32_e32 v1, v1, v6
	v_lshrrev_b32_e32 v4, s49, v4
	v_mul_lo_u32 v6, v1, s52
	v_mul_lo_u32 v9, v1, s53
	v_mul_hi_u32 v5, s51, v4
	v_add_nc_u32_e32 v5, v4, v5
	v_lshrrev_b32_e32 v5, s60, v5
	v_mul_hi_u32 v7, s62, v5
	v_mul_lo_u32 v10, v5, s50
	v_add_nc_u32_e32 v1, v5, v7
	v_mul_lo_u32 v7, v4, s47
	v_sub_nc_u32_e32 v4, v4, v10
	v_lshrrev_b32_e32 v1, s63, v1
	v_mul_lo_u32 v10, v4, s56
	v_mul_lo_u32 v4, v4, s57
	v_sub_nc_u32_e32 v3, v3, v7
	v_mul_lo_u32 v11, v1, s61
	v_mul_lo_u32 v7, v3, s54
	;; [unrolled: 1-line block ×3, first 2 shown]
	v_sub_nc_u32_e32 v5, v5, v11
	v_add3_u32 v0, v6, v0, v7
	v_mul_lo_u32 v11, v5, s58
	v_mul_lo_u32 v5, v5, s59
	v_add3_u32 v2, v9, v2, v3
	v_add3_u32 v0, v10, v0, v11
	;; [unrolled: 1-line block ×3, first 2 shown]
	s_cbranch_scc1 .LBB29_6
	s_branch .LBB29_10
.LBB29_7:
                                        ; implicit-def: $vgpr0
                                        ; implicit-def: $vgpr2
	s_branch .LBB29_14
.LBB29_8:
	v_mov_b32_e32 v0, 0
	v_mov_b32_e32 v2, 0
	s_branch .LBB29_13
.LBB29_9:
	v_mov_b32_e32 v0, 0
	v_mov_b32_e32 v2, 0
	;; [unrolled: 1-line block ×3, first 2 shown]
.LBB29_10:
	s_and_b32 s37, s37, 3
	s_cmp_eq_u32 s37, 0
	s_cbranch_scc1 .LBB29_13
; %bb.11:
	s_lshl_b32 s0, s36, 3
	s_mul_i32 s22, s36, 12
	s_add_u32 s0, s2, s0
	s_addc_u32 s1, s3, 0
	s_add_u32 s0, s0, 0xc4
	s_addc_u32 s1, s1, 0
	;; [unrolled: 2-line block ×3, first 2 shown]
	.p2align	6
.LBB29_12:                              ; =>This Inner Loop Header: Depth=1
	s_clause 0x1
	s_load_dwordx2 s[40:41], s[22:23], 0x4
	s_load_dword s36, s[22:23], 0xc
	s_load_dwordx2 s[42:43], s[0:1], 0x0
	s_add_u32 s22, s22, 12
	s_addc_u32 s23, s23, 0
	s_add_u32 s0, s0, 8
	s_addc_u32 s1, s1, 0
	s_add_i32 s37, s37, -1
	s_cmp_lg_u32 s37, 0
	s_waitcnt lgkmcnt(0)
	v_mul_hi_u32 v3, s41, v1
	v_add_nc_u32_e32 v3, v1, v3
	v_lshrrev_b32_e32 v4, s36, v3
	v_mul_lo_u32 v3, v4, s40
	v_sub_nc_u32_e32 v3, v1, v3
	v_mad_u64_u32 v[0:1], null, v3, s42, v[0:1]
	v_mad_u64_u32 v[2:3], null, v3, s43, v[2:3]
	v_mov_b32_e32 v1, v4
	s_cbranch_scc1 .LBB29_12
.LBB29_13:
	s_cbranch_execnz .LBB29_16
.LBB29_14:
	s_waitcnt lgkmcnt(0)
	v_mul_hi_u32 v0, s17, v8
	s_andn2_b32 vcc_lo, exec_lo, s31
	v_add_nc_u32_e32 v0, v8, v0
	v_lshrrev_b32_e32 v1, s18, v0
	v_mul_lo_u32 v0, v1, s16
	v_sub_nc_u32_e32 v2, v8, v0
	v_mul_lo_u32 v0, v2, s12
	v_mul_lo_u32 v2, v2, s13
	s_cbranch_vccnz .LBB29_16
; %bb.15:
	v_mul_hi_u32 v3, s6, v1
	v_add_nc_u32_e32 v3, v1, v3
	v_lshrrev_b32_e32 v3, s7, v3
	v_mul_lo_u32 v3, v3, s19
	v_sub_nc_u32_e32 v3, v1, v3
	v_mad_u64_u32 v[0:1], null, v3, s14, v[0:1]
	v_mad_u64_u32 v[2:3], null, v3, s15, v[2:3]
.LBB29_16:
	s_waitcnt lgkmcnt(0)
	v_add_co_u32 v1, s0, s10, v2
	v_add_co_ci_u32_e64 v2, null, s11, 0, s0
	s_and_b32 s0, 0xffff, s30
	s_cmp_lt_i32 s0, 11
	s_cbranch_scc1 .LBB29_23
; %bb.17:
	s_cmp_gt_i32 s0, 25
	s_cbranch_scc0 .LBB29_56
; %bb.18:
	s_cmp_gt_i32 s0, 28
	s_cbranch_scc0 .LBB29_59
	;; [unrolled: 3-line block ×4, first 2 shown]
; %bb.21:
	s_cmp_eq_u32 s0, 46
	s_mov_b32 s23, 0
	s_cbranch_scc0 .LBB29_65
; %bb.22:
	global_load_dword v3, v[1:2], off
	s_mov_b32 s1, -1
	s_mov_b32 s22, 0
	s_waitcnt vmcnt(0)
	v_lshlrev_b32_e32 v3, 16, v3
	v_cvt_f16_f32_e32 v3, v3
	s_branch .LBB29_67
.LBB29_23:
	s_mov_b32 s22, 0
	s_mov_b32 s1, 0
                                        ; implicit-def: $vgpr3
	s_cbranch_execnz .LBB29_240
.LBB29_24:
	s_andn2_b32 vcc_lo, exec_lo, s1
	s_cbranch_vccnz .LBB29_287
.LBB29_25:
	s_waitcnt vmcnt(0)
	v_cvt_f32_f16_e32 v7, v3
                                        ; implicit-def: $vgpr2
	s_mov_b32 s0, exec_lo
	v_cmpx_neq_f16_e32 0, v3
	s_xor_b32 s23, exec_lo, s0
	s_cbranch_execz .LBB29_47
; %bb.26:
	v_mov_b32_e32 v1, 0
	s_mov_b32 s0, -1
	s_mov_b32 s36, exec_lo
	v_cmpx_gt_f16_e32 0, v3
	s_cbranch_execz .LBB29_34
; %bb.27:
	v_trunc_f32_e32 v1, v7
	s_mov_b32 s1, 0
	v_cmp_neq_f32_e32 vcc_lo, v1, v7
	v_mov_b32_e32 v1, 0
	s_and_saveexec_b32 s37, vcc_lo
	s_cbranch_execz .LBB29_33
; %bb.28:
	v_cvt_f32_f16_e32 v1, v3
	s_mov_b32 s1, 0xc00921fb
	s_mov_b32 s0, 0x54442d18
	s_mov_b32 s40, exec_lo
                                        ; implicit-def: $vgpr9
                                        ; implicit-def: $vgpr5_vgpr6
	v_cvt_f64_f32_e32 v[1:2], v1
	v_trunc_f64_e32 v[3:4], v[1:2]
	v_cmp_neq_f64_e64 vcc_lo, 0x7ff00000, |v[1:2]|
	v_add_f64 v[3:4], v[1:2], -v[3:4]
	v_mul_f64 v[3:4], |v[3:4]|, s[0:1]
	v_cndmask_b32_e32 v2, 0x80000000, v4, vcc_lo
	v_cndmask_b32_e32 v1, 0, v3, vcc_lo
                                        ; implicit-def: $vgpr3_vgpr4
	v_cmpx_ngt_f64_e64 0x41d00000, |v[1:2]|
	s_xor_b32 s40, exec_lo, s40
	s_cbranch_execz .LBB29_30
; %bb.29:
	v_ldexp_f64 v[3:4], |v[1:2]|, 0xffffff80
	v_cmp_le_f64_e64 vcc_lo, 0x7b000000, |v[1:2]|
	v_trig_preop_f64 v[5:6], |v[1:2]|, 0
	v_and_b32_e32 v9, 0x7fffffff, v2
	v_trig_preop_f64 v[19:20], |v[1:2]|, 2
	v_mov_b32_e32 v27, 0
	s_mov_b32 s1, 0x3ff921fb
	s_mov_b32 s42, 0x33145c07
	;; [unrolled: 1-line block ×3, first 2 shown]
	v_cndmask_b32_e32 v4, v9, v4, vcc_lo
	v_cndmask_b32_e32 v3, v1, v3, vcc_lo
	v_trig_preop_f64 v[9:10], |v[1:2]|, 1
	v_mul_f64 v[11:12], v[5:6], v[3:4]
	v_mul_f64 v[25:26], v[19:20], v[3:4]
	;; [unrolled: 1-line block ×3, first 2 shown]
	v_fma_f64 v[5:6], v[5:6], v[3:4], -v[11:12]
	v_fma_f64 v[9:10], v[9:10], v[3:4], -v[13:14]
	;; [unrolled: 1-line block ×3, first 2 shown]
	v_add_f64 v[15:16], v[13:14], v[5:6]
	v_add_f64 v[17:18], v[15:16], -v[13:14]
	v_add_f64 v[23:24], v[11:12], v[15:16]
	v_add_f64 v[21:22], v[15:16], -v[17:18]
	v_add_f64 v[5:6], v[5:6], -v[17:18]
	v_ldexp_f64 v[17:18], v[23:24], -2
	v_add_f64 v[11:12], v[23:24], -v[11:12]
	v_add_f64 v[13:14], v[13:14], -v[21:22]
	v_add_f64 v[21:22], v[25:26], v[9:10]
	v_cmp_neq_f64_e64 vcc_lo, 0x7ff00000, |v[17:18]|
	v_add_f64 v[11:12], v[15:16], -v[11:12]
	v_add_f64 v[5:6], v[5:6], v[13:14]
	v_fract_f64_e32 v[13:14], v[17:18]
	v_add_f64 v[15:16], v[21:22], v[5:6]
	v_ldexp_f64 v[13:14], v[13:14], 2
	v_add_f64 v[17:18], v[11:12], v[15:16]
	v_cndmask_b32_e32 v14, 0, v14, vcc_lo
	v_cndmask_b32_e32 v13, 0, v13, vcc_lo
	v_add_f64 v[23:24], v[17:18], v[13:14]
	v_add_f64 v[11:12], v[17:18], -v[11:12]
	v_cmp_gt_f64_e32 vcc_lo, 0, v[23:24]
	v_add_f64 v[23:24], v[21:22], -v[25:26]
	v_cndmask_b32_e64 v28, 0, 0x40100000, vcc_lo
	v_add_f64 v[32:33], v[21:22], -v[23:24]
	v_add_f64 v[9:10], v[9:10], -v[23:24]
	v_add_f64 v[13:14], v[13:14], v[27:28]
	v_add_f64 v[28:29], v[15:16], -v[21:22]
	v_add_f64 v[23:24], v[25:26], -v[32:33]
	v_add_f64 v[30:31], v[17:18], v[13:14]
	;; [unrolled: 3-line block ×3, first 2 shown]
	v_cvt_i32_f64_e32 v30, v[30:31]
	v_add_f64 v[21:22], v[21:22], -v[34:35]
	v_cvt_f64_i32_e32 v[28:29], v30
	v_add_f64 v[5:6], v[5:6], v[21:22]
	v_add_f64 v[13:14], v[13:14], -v[28:29]
	v_add_f64 v[5:6], v[9:10], v[5:6]
	v_add_f64 v[9:10], v[15:16], -v[11:12]
	v_add_f64 v[19:20], v[17:18], v[13:14]
	v_add_f64 v[3:4], v[3:4], v[5:6]
	v_add_f64 v[5:6], v[19:20], -v[13:14]
	v_cmp_le_f64_e32 vcc_lo, 0.5, v[19:20]
	v_add_f64 v[3:4], v[9:10], v[3:4]
	v_add_f64 v[5:6], v[17:18], -v[5:6]
	v_cndmask_b32_e64 v28, 0, 0x3ff00000, vcc_lo
	v_add_co_ci_u32_e64 v9, null, 0, v30, vcc_lo
	v_add_f64 v[3:4], v[3:4], v[5:6]
	v_add_f64 v[5:6], v[19:20], -v[27:28]
	v_add_f64 v[10:11], v[5:6], v[3:4]
	v_mul_f64 v[12:13], v[10:11], s[0:1]
	v_add_f64 v[5:6], v[10:11], -v[5:6]
	v_fma_f64 v[14:15], v[10:11], s[0:1], -v[12:13]
	v_add_f64 v[3:4], v[3:4], -v[5:6]
	v_fma_f64 v[5:6], v[10:11], s[42:43], v[14:15]
	v_fma_f64 v[5:6], v[3:4], s[0:1], v[5:6]
	v_add_f64 v[3:4], v[12:13], v[5:6]
	v_add_f64 v[10:11], v[3:4], -v[12:13]
	v_add_f64 v[5:6], v[5:6], -v[10:11]
.LBB29_30:
	s_andn2_saveexec_b32 s0, s40
	s_cbranch_execz .LBB29_32
; %bb.31:
	s_mov_b32 s40, 0x6dc9c883
	s_mov_b32 s41, 0x3fe45f30
	;; [unrolled: 1-line block ×3, first 2 shown]
	v_mul_f64 v[3:4], |v[1:2]|, s[40:41]
	s_mov_b32 s40, 0x54442d18
	s_mov_b32 s41, 0xbff921fb
	;; [unrolled: 1-line block ×3, first 2 shown]
	v_rndne_f64_e32 v[9:10], v[3:4]
	v_fma_f64 v[3:4], v[9:10], s[40:41], |v[1:2]|
	v_mul_f64 v[5:6], v[9:10], s[42:43]
	s_mov_b32 s40, 0x252049c0
	s_mov_b32 s41, 0xb97b839a
	v_fma_f64 v[13:14], v[9:10], s[42:43], v[3:4]
	v_add_f64 v[11:12], v[3:4], v[5:6]
	s_mov_b32 s43, 0x3c91a626
	v_add_f64 v[3:4], v[3:4], -v[11:12]
	v_add_f64 v[11:12], v[11:12], -v[13:14]
	v_add_f64 v[3:4], v[3:4], v[5:6]
	v_fma_f64 v[5:6], v[9:10], s[42:43], v[5:6]
	v_add_f64 v[3:4], v[11:12], v[3:4]
	v_add_f64 v[3:4], v[3:4], -v[5:6]
	v_fma_f64 v[5:6], v[9:10], s[40:41], v[3:4]
	v_cvt_i32_f64_e32 v9, v[9:10]
	v_add_f64 v[3:4], v[13:14], v[5:6]
	v_add_f64 v[11:12], v[3:4], -v[13:14]
	v_add_f64 v[5:6], v[5:6], -v[11:12]
.LBB29_32:
	s_or_b32 exec_lo, exec_lo, s0
	v_mul_f64 v[10:11], v[3:4], v[3:4]
	v_add_f64 v[12:13], v[5:6], v[5:6]
	s_mov_b32 s40, 0xa9a29f71
	s_mov_b32 s42, 0xc751c08c
	;; [unrolled: 1-line block ×4, first 2 shown]
	v_cmp_class_f64_e64 s0, v[1:2], 0x1f8
	v_and_b32_e32 v9, 1, v9
	v_and_b32_e32 v2, 0x80000000, v2
	v_sub_f32_e32 v7, 1.0, v7
	s_mov_b32 s1, exec_lo
	v_cmp_eq_u32_e32 vcc_lo, 0, v9
	v_fma_f64 v[14:15], v[3:4], v[3:4], -v[10:11]
	v_fma_f64 v[12:13], v[3:4], v[12:13], v[14:15]
	v_add_f64 v[10:11], v[10:11], v[12:13]
	v_fma_f64 v[12:13], v[10:11], s[42:43], s[40:41]
	s_mov_b32 s40, 0x90a8aae0
	s_mov_b32 s41, 0x3f17746f
	v_fma_f64 v[12:13], v[10:11], v[12:13], s[40:41]
	s_mov_b32 s40, 0xa6fbf144
	s_mov_b32 s41, 0xbefbb44d
	;; [unrolled: 3-line block ×13, first 2 shown]
	v_mul_f64 v[10:11], v[10:11], v[12:13]
	v_mul_f64 v[12:13], v[3:4], v[10:11]
	v_add_f64 v[14:15], v[3:4], v[12:13]
	v_fma_f64 v[10:11], v[3:4], v[10:11], -v[12:13]
	v_add_f64 v[3:4], v[14:15], -v[3:4]
	v_add_f64 v[5:6], v[5:6], v[10:11]
	v_add_f64 v[3:4], v[12:13], -v[3:4]
	v_add_f64 v[3:4], v[5:6], v[3:4]
	v_add_f64 v[5:6], v[14:15], v[3:4]
	v_rcp_f64_e32 v[10:11], v[5:6]
	v_fma_f64 v[12:13], -v[5:6], v[10:11], 1.0
	v_fma_f64 v[10:11], v[12:13], v[10:11], v[10:11]
	v_fma_f64 v[12:13], -v[5:6], v[10:11], 1.0
	v_fma_f64 v[10:11], v[12:13], v[10:11], v[10:11]
	v_add_f64 v[12:13], v[5:6], -v[14:15]
	v_mul_f64 v[14:15], v[5:6], v[10:11]
	v_add_f64 v[3:4], v[3:4], -v[12:13]
	v_fma_f64 v[12:13], v[10:11], v[5:6], -v[14:15]
	v_fma_f64 v[3:4], v[10:11], v[3:4], v[12:13]
	v_add_f64 v[12:13], v[14:15], v[3:4]
	v_add_f64 v[16:17], -v[12:13], 1.0
	v_add_f64 v[14:15], v[12:13], -v[14:15]
	v_add_f64 v[18:19], -v[16:17], 1.0
	v_add_f64 v[3:4], v[14:15], -v[3:4]
	v_add_f64 v[12:13], v[18:19], -v[12:13]
	v_add_f64 v[3:4], v[3:4], v[12:13]
	v_add_f64 v[3:4], v[16:17], v[3:4]
	v_mul_f64 v[3:4], v[10:11], v[3:4]
	v_add_f64 v[3:4], v[10:11], v[3:4]
	v_xor_b32_e32 v1, 0x80000000, v4
	v_cndmask_b32_e32 v3, v3, v5, vcc_lo
	v_cndmask_b32_e32 v1, v1, v6, vcc_lo
	v_xor_b32_e32 v2, v1, v2
	v_cndmask_b32_e64 v1, 0, v3, s0
	v_cndmask_b32_e64 v2, 0x7ff80000, v2, s0
	v_div_scale_f64 v[3:4], null, v[1:2], v[1:2], s[40:41]
	v_rcp_f64_e32 v[5:6], v[3:4]
	v_fma_f64 v[9:10], -v[3:4], v[5:6], 1.0
	v_fma_f64 v[5:6], v[5:6], v[9:10], v[5:6]
	v_fma_f64 v[9:10], -v[3:4], v[5:6], 1.0
	v_fma_f64 v[5:6], v[5:6], v[9:10], v[5:6]
	v_div_scale_f64 v[9:10], vcc_lo, s[40:41], v[1:2], s[40:41]
	v_mul_f64 v[11:12], v[9:10], v[5:6]
	v_fma_f64 v[3:4], -v[3:4], v[11:12], v[9:10]
	v_div_fmas_f64 v[3:4], v[3:4], v[5:6], v[11:12]
	v_div_fixup_f64 v[1:2], v[3:4], v[1:2], s[40:41]
	v_cvt_f32_f64_e32 v1, v[1:2]
.LBB29_33:
	s_or_b32 exec_lo, exec_lo, s37
	s_orn2_b32 s0, s1, exec_lo
.LBB29_34:
	s_or_b32 exec_lo, exec_lo, s36
	v_mov_b32_e32 v2, 0x7e00
	s_and_saveexec_b32 s36, s0
	s_cbranch_execz .LBB29_46
; %bb.35:
	s_mov_b32 s0, exec_lo
	v_cmpx_gt_f32_e32 0x41200000, v7
	s_cbranch_execz .LBB29_39
; %bb.36:
	s_mov_b32 s1, 0
	.p2align	6
.LBB29_37:                              ; =>This Inner Loop Header: Depth=1
	v_div_scale_f32 v2, null, v7, v7, 1.0
	v_div_scale_f32 v5, vcc_lo, 1.0, v7, 1.0
	v_rcp_f32_e32 v3, v2
	v_fma_f32 v4, -v2, v3, 1.0
	v_fmac_f32_e32 v3, v4, v3
	v_mul_f32_e32 v4, v5, v3
	v_fma_f32 v6, -v2, v4, v5
	v_fmac_f32_e32 v4, v6, v3
	v_fma_f32 v2, -v2, v4, v5
	v_div_fmas_f32 v2, v2, v3, v4
	v_div_fixup_f32 v2, v2, v7, 1.0
	v_add_f32_e32 v7, 1.0, v7
	v_sub_f32_e32 v1, v1, v2
	v_cmp_ngt_f32_e32 vcc_lo, 0x41200000, v7
	s_or_b32 s1, vcc_lo, s1
	s_andn2_b32 exec_lo, exec_lo, s1
	s_cbranch_execnz .LBB29_37
; %bb.38:
	s_or_b32 exec_lo, exec_lo, s1
.LBB29_39:
	s_or_b32 exec_lo, exec_lo, s0
                                        ; implicit-def: $vgpr2
	s_mov_b32 s0, exec_lo
	v_cmpx_neq_f32_e32 0x41200000, v7
	s_xor_b32 s37, exec_lo, s0
	s_cbranch_execz .LBB29_43
; %bb.40:
	v_cvt_f64_f32_e32 v[2:3], v7
	s_mov_b32 s0, 0x85d8a000
	s_mov_b32 s1, 0x43763457
	v_cmp_gt_f64_e32 vcc_lo, s[0:1], v[2:3]
	v_mov_b32_e32 v2, 0
	s_and_saveexec_b32 s0, vcc_lo
	s_cbranch_execz .LBB29_42
; %bb.41:
	v_mul_f32_e32 v2, v7, v7
	v_div_scale_f32 v3, null, v2, v2, 1.0
	v_rcp_f32_e32 v4, v3
	v_fma_f32 v5, -v3, v4, 1.0
	v_fmac_f32_e32 v4, v5, v4
	v_div_scale_f32 v5, vcc_lo, 1.0, v2, 1.0
	v_mul_f32_e32 v6, v5, v4
	v_fma_f32 v9, -v3, v6, v5
	v_fmac_f32_e32 v6, v9, v4
	v_fma_f32 v3, -v3, v6, v5
	v_div_fmas_f32 v3, v3, v4, v6
	v_div_fixup_f32 v2, v3, v2, 1.0
	v_fmaak_f32 v3, 0, v2, 0x3daaaaab
	v_fmaak_f32 v3, v2, v3, 0xbcaccacd
	v_fmaak_f32 v3, v2, v3, 0x3bf83e10
	v_fmaak_f32 v3, v2, v3, 0xbb888889
	v_fmaak_f32 v3, v2, v3, 0x3b820821
	v_fmaak_f32 v3, v2, v3, 0xbc088889
	v_fmaak_f32 v3, v2, v3, 0x3daaaaab
	v_mul_f32_e32 v2, v2, v3
.LBB29_42:
	s_or_b32 exec_lo, exec_lo, s0
	v_cmp_gt_f32_e32 vcc_lo, 0x800000, v7
	v_div_scale_f32 v3, null, v7, v7, -0.5
	v_div_scale_f32 v9, s0, -0.5, v7, -0.5
	v_cndmask_b32_e64 v4, 0, 32, vcc_lo
	v_rcp_f32_e32 v5, v3
	v_ldexp_f32 v4, v7, v4
	v_log_f32_e32 v4, v4
	v_fma_f32 v6, -v3, v5, 1.0
	v_fmac_f32_e32 v5, v6, v5
	v_mul_f32_e32 v6, 0x3f317217, v4
	v_mul_f32_e32 v10, v9, v5
	v_cmp_gt_f32_e64 s1, 0x7f800000, |v4|
	v_fma_f32 v6, 0x3f317217, v4, -v6
	v_fma_f32 v11, -v3, v10, v9
	v_fmamk_f32 v6, v4, 0x3377d1cf, v6
	v_fmac_f32_e32 v10, v11, v5
	v_fmac_f32_e32 v6, 0x3f317217, v4
	v_fma_f32 v3, -v3, v10, v9
	v_cndmask_b32_e64 v4, v4, v6, s1
	v_cndmask_b32_e64 v6, 0, 0x41b17218, vcc_lo
	s_mov_b32 vcc_lo, s0
	v_div_fmas_f32 v3, v3, v5, v10
	v_sub_f32_e32 v4, v4, v6
	v_div_fixup_f32 v3, v3, v7, -0.5
	v_add_f32_e32 v3, v4, v3
	v_sub_f32_e32 v2, v3, v2
	v_add_f32_e32 v1, v1, v2
	v_cvt_f16_f32_e32 v2, v1
                                        ; implicit-def: $vgpr1
.LBB29_43:
	s_andn2_saveexec_b32 s0, s37
; %bb.44:
	v_add_f32_e32 v1, 0x40101cb7, v1
	v_cvt_f16_f32_e32 v2, v1
; %bb.45:
	s_or_b32 exec_lo, exec_lo, s0
.LBB29_46:
	s_or_b32 exec_lo, exec_lo, s36
                                        ; implicit-def: $vgpr7
.LBB29_47:
	s_andn2_saveexec_b32 s0, s23
; %bb.48:
	v_xor_b32_e32 v1, 0x80000000, v7
	v_mov_b32_e32 v2, 0xffff8000
	v_and_b32_sdwa v1, v1, v2 dst_sel:DWORD dst_unused:UNUSED_PAD src0_sel:WORD_1 src1_sel:DWORD
	v_or_b32_e32 v2, 0x7c00, v1
; %bb.49:
	s_or_b32 exec_lo, exec_lo, s0
	v_add_co_u32 v0, s0, s8, v0
	v_add_co_ci_u32_e64 v1, null, s9, 0, s0
	s_and_b32 s1, s29, 0xff
	s_cmp_lt_i32 s1, 11
	s_cbranch_scc1 .LBB29_57
; %bb.50:
	s_and_b32 s23, 0xffff, s1
	s_cmp_gt_i32 s23, 25
	s_cbranch_scc0 .LBB29_60
; %bb.51:
	s_cmp_gt_i32 s23, 28
	s_cbranch_scc0 .LBB29_62
; %bb.52:
	;; [unrolled: 3-line block ×4, first 2 shown]
	s_mov_b32 s37, 0
	s_mov_b32 s0, -1
	s_cmp_eq_u32 s23, 46
	s_mov_b32 s36, 0
	s_cbranch_scc0 .LBB29_71
; %bb.55:
	v_cvt_f32_f16_e32 v3, v2
	v_cmp_o_f16_e32 vcc_lo, v2, v2
	s_mov_b32 s36, -1
	s_mov_b32 s0, 0
	v_bfe_u32 v4, v3, 16, 1
	v_add3_u32 v3, v3, v4, 0x7fff
	v_mov_b32_e32 v4, 0x7fc0
	v_cndmask_b32_sdwa v3, v4, v3, vcc_lo dst_sel:DWORD dst_unused:UNUSED_PAD src0_sel:DWORD src1_sel:WORD_1
	global_store_dword v[0:1], v3, off
	s_branch .LBB29_71
.LBB29_56:
	s_mov_b32 s22, 0
	s_mov_b32 s1, 0
                                        ; implicit-def: $vgpr3
	s_cbranch_execnz .LBB29_205
	s_branch .LBB29_239
.LBB29_57:
	s_mov_b32 s0, 0
	s_mov_b32 s36, 0
	s_cbranch_execnz .LBB29_140
.LBB29_58:
	s_andn2_b32 vcc_lo, exec_lo, s36
	s_cbranch_vccz .LBB29_178
	s_branch .LBB29_288
.LBB29_59:
	s_mov_b32 s23, -1
	s_mov_b32 s22, 0
	s_mov_b32 s1, 0
                                        ; implicit-def: $vgpr3
	s_branch .LBB29_186
.LBB29_60:
	s_mov_b32 s37, -1
	s_mov_b32 s0, 0
	s_mov_b32 s36, 0
	s_branch .LBB29_98
.LBB29_61:
	s_mov_b32 s23, -1
	s_mov_b32 s22, 0
	s_mov_b32 s1, 0
                                        ; implicit-def: $vgpr3
	s_branch .LBB29_181
.LBB29_62:
	s_mov_b32 s37, -1
	s_mov_b32 s0, 0
	s_mov_b32 s36, 0
	s_branch .LBB29_81
.LBB29_63:
	s_mov_b32 s23, -1
	s_mov_b32 s22, 0
	s_branch .LBB29_66
.LBB29_64:
	s_mov_b32 s37, -1
	s_mov_b32 s0, 0
	s_mov_b32 s36, 0
	s_branch .LBB29_77
.LBB29_65:
	s_mov_b32 s22, -1
.LBB29_66:
	s_mov_b32 s1, 0
                                        ; implicit-def: $vgpr3
.LBB29_67:
	s_and_b32 vcc_lo, exec_lo, s23
	s_cbranch_vccz .LBB29_180
; %bb.68:
	s_cmp_eq_u32 s0, 44
	s_cbranch_scc0 .LBB29_179
; %bb.69:
	global_load_ubyte v3, v[1:2], off
	s_mov_b32 s22, 0
	s_mov_b32 s1, -1
	s_waitcnt vmcnt(0)
	v_lshlrev_b32_e32 v4, 23, v3
	v_cmp_ne_u32_e32 vcc_lo, 0xff, v3
	v_cvt_f16_f32_e32 v4, v4
	v_cndmask_b32_e32 v4, 0x7e00, v4, vcc_lo
	v_cmp_ne_u32_e32 vcc_lo, 0, v3
	v_cndmask_b32_e32 v3, 0, v4, vcc_lo
	s_branch .LBB29_180
.LBB29_70:
	s_mov_b32 s37, -1
	s_mov_b32 s0, 0
	s_mov_b32 s36, 0
.LBB29_71:
	s_and_b32 vcc_lo, exec_lo, s37
	s_cbranch_vccz .LBB29_76
; %bb.72:
	s_cmp_eq_u32 s23, 44
	s_mov_b32 s0, -1
	s_cbranch_scc0 .LBB29_76
; %bb.73:
	v_cvt_f32_f16_e32 v3, v2
	v_mov_b32_e32 v4, 0xff
	s_mov_b32 s36, exec_lo
	v_bfe_u32 v5, v3, 23, 8
	v_cmpx_ne_u32_e32 0xff, v5
	s_cbranch_execz .LBB29_75
; %bb.74:
	v_and_b32_e32 v4, 0x400000, v3
	v_and_or_b32 v5, 0x3fffff, v3, v5
	v_lshrrev_b32_e32 v3, 23, v3
	v_cmp_ne_u32_e32 vcc_lo, 0, v4
	v_cmp_ne_u32_e64 s0, 0, v5
	s_and_b32 s0, vcc_lo, s0
	v_cndmask_b32_e64 v4, 0, 1, s0
	v_add_nc_u32_e32 v4, v3, v4
.LBB29_75:
	s_or_b32 exec_lo, exec_lo, s36
	s_mov_b32 s36, -1
	s_mov_b32 s0, 0
	global_store_byte v[0:1], v4, off
.LBB29_76:
	s_mov_b32 s37, 0
.LBB29_77:
	s_and_b32 vcc_lo, exec_lo, s37
	s_cbranch_vccz .LBB29_80
; %bb.78:
	s_cmp_eq_u32 s23, 29
	s_mov_b32 s0, -1
	s_cbranch_scc0 .LBB29_80
; %bb.79:
	v_cvt_f32_f16_e32 v3, v2
	v_mov_b32_e32 v4, 0
	s_mov_b32 s36, -1
	s_mov_b32 s0, 0
	s_mov_b32 s37, 0
	v_cvt_u32_f32_e32 v3, v3
	global_store_dwordx2 v[0:1], v[3:4], off
	s_branch .LBB29_81
.LBB29_80:
	s_mov_b32 s37, 0
.LBB29_81:
	s_and_b32 vcc_lo, exec_lo, s37
	s_cbranch_vccz .LBB29_97
; %bb.82:
	s_cmp_lt_i32 s23, 27
	s_mov_b32 s36, -1
	s_cbranch_scc1 .LBB29_88
; %bb.83:
	s_cmp_gt_i32 s23, 27
	s_cbranch_scc0 .LBB29_85
; %bb.84:
	v_cvt_f32_f16_e32 v3, v2
	s_mov_b32 s36, 0
	v_cvt_u32_f32_e32 v3, v3
	global_store_dword v[0:1], v3, off
.LBB29_85:
	s_andn2_b32 vcc_lo, exec_lo, s36
	s_cbranch_vccnz .LBB29_87
; %bb.86:
	v_cvt_u16_f16_e32 v3, v2
	global_store_short v[0:1], v3, off
.LBB29_87:
	s_mov_b32 s36, 0
.LBB29_88:
	s_andn2_b32 vcc_lo, exec_lo, s36
	s_cbranch_vccnz .LBB29_96
; %bb.89:
	v_cvt_f32_f16_e32 v3, v2
	v_mov_b32_e32 v5, 0x80
	s_mov_b32 s36, exec_lo
	v_and_b32_e32 v4, 0x7fffffff, v3
	v_cmpx_gt_u32_e32 0x43800000, v4
	s_cbranch_execz .LBB29_95
; %bb.90:
	v_cmp_lt_u32_e32 vcc_lo, 0x3bffffff, v4
	s_mov_b32 s37, 0
                                        ; implicit-def: $vgpr4
	s_and_saveexec_b32 s40, vcc_lo
	s_xor_b32 s40, exec_lo, s40
	s_cbranch_execz .LBB29_355
; %bb.91:
	v_bfe_u32 v4, v3, 20, 1
	s_mov_b32 s37, exec_lo
	v_add3_u32 v4, v3, v4, 0x487ffff
	v_lshrrev_b32_e32 v4, 20, v4
	s_andn2_saveexec_b32 s40, s40
	s_cbranch_execnz .LBB29_356
.LBB29_92:
	s_or_b32 exec_lo, exec_lo, s40
	v_mov_b32_e32 v5, 0
	s_and_saveexec_b32 s40, s37
.LBB29_93:
	v_lshrrev_b32_e32 v3, 24, v3
	v_and_or_b32 v5, 0x80, v3, v4
.LBB29_94:
	s_or_b32 exec_lo, exec_lo, s40
.LBB29_95:
	s_or_b32 exec_lo, exec_lo, s36
	global_store_byte v[0:1], v5, off
.LBB29_96:
	s_mov_b32 s36, -1
.LBB29_97:
	s_mov_b32 s37, 0
.LBB29_98:
	s_and_b32 vcc_lo, exec_lo, s37
	s_cbranch_vccz .LBB29_139
; %bb.99:
	s_cmp_gt_i32 s23, 22
	s_mov_b32 s37, -1
	s_cbranch_scc0 .LBB29_131
; %bb.100:
	s_cmp_lt_i32 s23, 24
	s_mov_b32 s36, -1
	s_cbranch_scc1 .LBB29_120
; %bb.101:
	s_cmp_gt_i32 s23, 24
	s_cbranch_scc0 .LBB29_109
; %bb.102:
	v_cvt_f32_f16_e32 v3, v2
	v_mov_b32_e32 v5, 0x80
	s_mov_b32 s36, exec_lo
	v_and_b32_e32 v4, 0x7fffffff, v3
	v_cmpx_gt_u32_e32 0x47800000, v4
	s_cbranch_execz .LBB29_108
; %bb.103:
	v_cmp_lt_u32_e32 vcc_lo, 0x37ffffff, v4
	s_mov_b32 s37, 0
                                        ; implicit-def: $vgpr4
	s_and_saveexec_b32 s40, vcc_lo
	s_xor_b32 s40, exec_lo, s40
	s_cbranch_execz .LBB29_359
; %bb.104:
	v_bfe_u32 v4, v3, 21, 1
	s_mov_b32 s37, exec_lo
	v_add3_u32 v4, v3, v4, 0x88fffff
	v_lshrrev_b32_e32 v4, 21, v4
	s_andn2_saveexec_b32 s40, s40
	s_cbranch_execnz .LBB29_360
.LBB29_105:
	s_or_b32 exec_lo, exec_lo, s40
	v_mov_b32_e32 v5, 0
	s_and_saveexec_b32 s40, s37
.LBB29_106:
	v_lshrrev_b32_e32 v3, 24, v3
	v_and_or_b32 v5, 0x80, v3, v4
.LBB29_107:
	s_or_b32 exec_lo, exec_lo, s40
.LBB29_108:
	s_or_b32 exec_lo, exec_lo, s36
	s_mov_b32 s36, 0
	global_store_byte v[0:1], v5, off
.LBB29_109:
	s_and_b32 vcc_lo, exec_lo, s36
	s_cbranch_vccz .LBB29_119
; %bb.110:
	v_cvt_f32_f16_e32 v3, v2
	s_mov_b32 s36, exec_lo
                                        ; implicit-def: $vgpr4
	v_and_b32_e32 v5, 0x7fffffff, v3
	v_cmpx_gt_u32_e32 0x43f00000, v5
	s_xor_b32 s36, exec_lo, s36
	s_cbranch_execz .LBB29_116
; %bb.111:
	s_mov_b32 s37, exec_lo
                                        ; implicit-def: $vgpr4
	v_cmpx_lt_u32_e32 0x3c7fffff, v5
	s_xor_b32 s37, exec_lo, s37
; %bb.112:
	v_bfe_u32 v4, v3, 20, 1
	v_add3_u32 v4, v3, v4, 0x407ffff
	v_and_b32_e32 v5, 0xff00000, v4
	v_lshrrev_b32_e32 v4, 20, v4
	v_cmp_ne_u32_e32 vcc_lo, 0x7f00000, v5
	v_cndmask_b32_e32 v4, 0x7e, v4, vcc_lo
; %bb.113:
	s_andn2_saveexec_b32 s37, s37
; %bb.114:
	v_add_f32_e64 v4, 0x46800000, |v3|
; %bb.115:
	s_or_b32 exec_lo, exec_lo, s37
                                        ; implicit-def: $vgpr5
.LBB29_116:
	s_andn2_saveexec_b32 s36, s36
; %bb.117:
	v_mov_b32_e32 v4, 0x7f
	v_cmp_lt_u32_e32 vcc_lo, 0x7f800000, v5
	v_cndmask_b32_e32 v4, 0x7e, v4, vcc_lo
; %bb.118:
	s_or_b32 exec_lo, exec_lo, s36
	v_lshrrev_b32_e32 v3, 24, v3
	v_and_or_b32 v3, 0x80, v3, v4
	global_store_byte v[0:1], v3, off
.LBB29_119:
	s_mov_b32 s36, 0
.LBB29_120:
	s_andn2_b32 vcc_lo, exec_lo, s36
	s_cbranch_vccnz .LBB29_130
; %bb.121:
	v_cvt_f32_f16_e32 v3, v2
	s_mov_b32 s36, exec_lo
                                        ; implicit-def: $vgpr4
	v_and_b32_e32 v5, 0x7fffffff, v3
	v_cmpx_gt_u32_e32 0x47800000, v5
	s_xor_b32 s36, exec_lo, s36
	s_cbranch_execz .LBB29_127
; %bb.122:
	s_mov_b32 s37, exec_lo
                                        ; implicit-def: $vgpr4
	v_cmpx_lt_u32_e32 0x387fffff, v5
	s_xor_b32 s37, exec_lo, s37
; %bb.123:
	v_bfe_u32 v4, v3, 21, 1
	v_add3_u32 v4, v3, v4, 0x80fffff
	v_lshrrev_b32_e32 v4, 21, v4
; %bb.124:
	s_andn2_saveexec_b32 s37, s37
; %bb.125:
	v_add_f32_e64 v4, 0x43000000, |v3|
; %bb.126:
	s_or_b32 exec_lo, exec_lo, s37
                                        ; implicit-def: $vgpr5
.LBB29_127:
	s_andn2_saveexec_b32 s36, s36
; %bb.128:
	v_mov_b32_e32 v4, 0x7f
	v_cmp_lt_u32_e32 vcc_lo, 0x7f800000, v5
	v_cndmask_b32_e32 v4, 0x7c, v4, vcc_lo
; %bb.129:
	s_or_b32 exec_lo, exec_lo, s36
	v_lshrrev_b32_e32 v3, 24, v3
	v_and_or_b32 v3, 0x80, v3, v4
	global_store_byte v[0:1], v3, off
.LBB29_130:
	s_mov_b32 s37, 0
	s_mov_b32 s36, -1
.LBB29_131:
	s_andn2_b32 vcc_lo, exec_lo, s37
	s_cbranch_vccnz .LBB29_139
; %bb.132:
	s_cmp_gt_i32 s23, 14
	s_mov_b32 s37, -1
	s_cbranch_scc0 .LBB29_136
; %bb.133:
	s_cmp_eq_u32 s23, 15
	s_mov_b32 s0, -1
	s_cbranch_scc0 .LBB29_135
; %bb.134:
	v_cvt_f32_f16_e32 v3, v2
	v_cmp_o_f16_e32 vcc_lo, v2, v2
	s_mov_b32 s36, -1
	s_mov_b32 s0, 0
	v_bfe_u32 v4, v3, 16, 1
	v_add3_u32 v3, v3, v4, 0x7fff
	v_mov_b32_e32 v4, 0x7fc0
	v_cndmask_b32_sdwa v3, v4, v3, vcc_lo dst_sel:DWORD dst_unused:UNUSED_PAD src0_sel:DWORD src1_sel:WORD_1
	global_store_short v[0:1], v3, off
.LBB29_135:
	s_mov_b32 s37, 0
.LBB29_136:
	s_and_b32 vcc_lo, exec_lo, s37
	s_cbranch_vccz .LBB29_139
; %bb.137:
	s_cmp_eq_u32 s23, 11
	s_mov_b32 s0, -1
	s_cbranch_scc0 .LBB29_139
; %bb.138:
	v_and_b32_e32 v3, 0x7fff, v2
	s_mov_b32 s0, 0
	s_mov_b32 s36, -1
	v_cmp_ne_u16_e32 vcc_lo, 0, v3
	v_cndmask_b32_e64 v3, 0, 1, vcc_lo
	global_store_byte v[0:1], v3, off
.LBB29_139:
	s_branch .LBB29_58
.LBB29_140:
	s_and_b32 s1, 0xffff, s1
	s_mov_b32 s23, -1
	s_cmp_lt_i32 s1, 5
	s_cbranch_scc1 .LBB29_161
; %bb.141:
	s_cmp_lt_i32 s1, 8
	s_cbranch_scc1 .LBB29_151
; %bb.142:
	;; [unrolled: 3-line block ×3, first 2 shown]
	s_cmp_gt_i32 s1, 9
	s_cbranch_scc0 .LBB29_145
; %bb.144:
	v_cvt_f32_f16_e32 v3, v2
	v_mov_b32_e32 v5, 0
	s_mov_b32 s23, 0
	v_cvt_f64_f32_e32 v[3:4], v3
	v_mov_b32_e32 v6, v5
	global_store_dwordx4 v[0:1], v[3:6], off
.LBB29_145:
	s_andn2_b32 vcc_lo, exec_lo, s23
	s_cbranch_vccnz .LBB29_147
; %bb.146:
	v_cvt_f32_f16_e32 v3, v2
	v_mov_b32_e32 v4, 0
	global_store_dwordx2 v[0:1], v[3:4], off
.LBB29_147:
	s_mov_b32 s23, 0
.LBB29_148:
	s_andn2_b32 vcc_lo, exec_lo, s23
	s_cbranch_vccnz .LBB29_150
; %bb.149:
	v_and_b32_e32 v3, 0xffff, v2
	global_store_dword v[0:1], v3, off
.LBB29_150:
	s_mov_b32 s23, 0
.LBB29_151:
	s_andn2_b32 vcc_lo, exec_lo, s23
	s_cbranch_vccnz .LBB29_160
; %bb.152:
	s_cmp_lt_i32 s1, 6
	s_mov_b32 s23, -1
	s_cbranch_scc1 .LBB29_158
; %bb.153:
	s_cmp_gt_i32 s1, 6
	s_cbranch_scc0 .LBB29_155
; %bb.154:
	v_cvt_f32_f16_e32 v3, v2
	s_mov_b32 s23, 0
	v_cvt_f64_f32_e32 v[3:4], v3
	global_store_dwordx2 v[0:1], v[3:4], off
.LBB29_155:
	s_andn2_b32 vcc_lo, exec_lo, s23
	s_cbranch_vccnz .LBB29_157
; %bb.156:
	v_cvt_f32_f16_e32 v3, v2
	global_store_dword v[0:1], v3, off
.LBB29_157:
	s_mov_b32 s23, 0
.LBB29_158:
	s_andn2_b32 vcc_lo, exec_lo, s23
	s_cbranch_vccnz .LBB29_160
; %bb.159:
	global_store_short v[0:1], v2, off
.LBB29_160:
	s_mov_b32 s23, 0
.LBB29_161:
	s_andn2_b32 vcc_lo, exec_lo, s23
	s_cbranch_vccnz .LBB29_177
; %bb.162:
	s_cmp_lt_i32 s1, 2
	s_mov_b32 s23, -1
	s_cbranch_scc1 .LBB29_172
; %bb.163:
	s_cmp_lt_i32 s1, 3
	s_cbranch_scc1 .LBB29_169
; %bb.164:
	s_cmp_gt_i32 s1, 3
	s_cbranch_scc0 .LBB29_166
; %bb.165:
	v_cvt_f32_f16_e32 v3, v2
	s_mov_b32 s23, 0
	v_cvt_i32_f32_e32 v3, v3
	v_ashrrev_i32_e32 v4, 31, v3
	global_store_dwordx2 v[0:1], v[3:4], off
.LBB29_166:
	s_andn2_b32 vcc_lo, exec_lo, s23
	s_cbranch_vccnz .LBB29_168
; %bb.167:
	v_cvt_f32_f16_e32 v3, v2
	v_cvt_i32_f32_e32 v3, v3
	global_store_dword v[0:1], v3, off
.LBB29_168:
	s_mov_b32 s23, 0
.LBB29_169:
	s_andn2_b32 vcc_lo, exec_lo, s23
	s_cbranch_vccnz .LBB29_171
; %bb.170:
	v_cvt_i16_f16_e32 v3, v2
	global_store_short v[0:1], v3, off
.LBB29_171:
	s_mov_b32 s23, 0
.LBB29_172:
	s_andn2_b32 vcc_lo, exec_lo, s23
	s_cbranch_vccnz .LBB29_177
; %bb.173:
	s_cmp_gt_i32 s1, 0
	s_mov_b32 s1, -1
	s_cbranch_scc0 .LBB29_175
; %bb.174:
	v_cvt_i16_f16_e32 v3, v2
	s_mov_b32 s1, 0
	global_store_byte v[0:1], v3, off
.LBB29_175:
	s_andn2_b32 vcc_lo, exec_lo, s1
	s_cbranch_vccnz .LBB29_177
; %bb.176:
	v_cvt_f32_f16_e32 v2, v2
	v_cvt_i32_f32_e32 v2, v2
	global_store_byte v[0:1], v2, off
.LBB29_177:
.LBB29_178:
	v_add_nc_u32_e32 v8, 0x80, v8
	s_mov_b32 s1, -1
	s_branch .LBB29_289
.LBB29_179:
	s_mov_b32 s22, -1
                                        ; implicit-def: $vgpr3
.LBB29_180:
	s_mov_b32 s23, 0
.LBB29_181:
	s_and_b32 vcc_lo, exec_lo, s23
	s_cbranch_vccz .LBB29_185
; %bb.182:
	s_cmp_eq_u32 s0, 29
	s_cbranch_scc0 .LBB29_184
; %bb.183:
	global_load_dwordx2 v[3:4], v[1:2], off
	s_mov_b32 s1, -1
	s_mov_b32 s22, 0
	s_mov_b32 s23, 0
	s_waitcnt vmcnt(0)
	v_ffbh_u32_e32 v5, v4
	v_min_u32_e32 v5, 32, v5
	v_lshlrev_b64 v[3:4], v5, v[3:4]
	v_min_u32_e32 v3, 1, v3
	v_or_b32_e32 v3, v4, v3
	v_sub_nc_u32_e32 v4, 32, v5
	v_cvt_f32_u32_e32 v3, v3
	v_ldexp_f32 v3, v3, v4
	v_cvt_f16_f32_e32 v3, v3
	s_branch .LBB29_186
.LBB29_184:
	s_mov_b32 s22, -1
                                        ; implicit-def: $vgpr3
.LBB29_185:
	s_mov_b32 s23, 0
.LBB29_186:
	s_and_b32 vcc_lo, exec_lo, s23
	s_cbranch_vccz .LBB29_204
; %bb.187:
	s_cmp_lt_i32 s0, 27
	s_cbranch_scc1 .LBB29_190
; %bb.188:
	s_cmp_gt_i32 s0, 27
	s_cbranch_scc0 .LBB29_191
; %bb.189:
	global_load_dword v3, v[1:2], off
	s_mov_b32 s1, 0
	s_waitcnt vmcnt(0)
	v_cvt_f32_u32_e32 v3, v3
	v_cvt_f16_f32_e32 v3, v3
	s_branch .LBB29_192
.LBB29_190:
	s_mov_b32 s1, -1
                                        ; implicit-def: $vgpr3
	s_branch .LBB29_195
.LBB29_191:
	s_mov_b32 s1, -1
                                        ; implicit-def: $vgpr3
.LBB29_192:
	s_andn2_b32 vcc_lo, exec_lo, s1
	s_cbranch_vccnz .LBB29_194
; %bb.193:
	global_load_ushort v3, v[1:2], off
	s_waitcnt vmcnt(0)
	v_cvt_f16_u16_e32 v3, v3
.LBB29_194:
	s_mov_b32 s1, 0
.LBB29_195:
	s_andn2_b32 vcc_lo, exec_lo, s1
	s_cbranch_vccnz .LBB29_203
; %bb.196:
	global_load_ubyte v4, v[1:2], off
	s_mov_b32 s1, 0
	s_mov_b32 s23, exec_lo
	s_waitcnt vmcnt(0)
	v_cmpx_lt_i16_e32 0x7f, v4
	s_xor_b32 s23, exec_lo, s23
	s_cbranch_execz .LBB29_216
; %bb.197:
	s_mov_b32 s1, -1
	s_mov_b32 s36, exec_lo
	v_cmpx_eq_u16_e32 0x80, v4
; %bb.198:
	s_xor_b32 s1, exec_lo, -1
; %bb.199:
	s_or_b32 exec_lo, exec_lo, s36
	s_and_b32 s1, s1, exec_lo
	s_or_saveexec_b32 s23, s23
	v_mov_b32_e32 v3, 0x7e00
	s_xor_b32 exec_lo, exec_lo, s23
	s_cbranch_execnz .LBB29_217
.LBB29_200:
	s_or_b32 exec_lo, exec_lo, s23
	s_and_saveexec_b32 s23, s1
	s_cbranch_execz .LBB29_202
.LBB29_201:
	v_and_b32_e32 v3, 0xffff, v4
	v_lshlrev_b32_e32 v4, 24, v4
	v_and_b32_e32 v5, 7, v3
	v_bfe_u32 v9, v3, 3, 4
	v_and_b32_e32 v4, 0x80000000, v4
	v_ffbh_u32_e32 v6, v5
	v_cmp_eq_u32_e32 vcc_lo, 0, v9
	v_min_u32_e32 v6, 32, v6
	v_subrev_nc_u32_e32 v7, 28, v6
	v_sub_nc_u32_e32 v6, 29, v6
	v_lshlrev_b32_e32 v3, v7, v3
	v_cndmask_b32_e32 v6, v9, v6, vcc_lo
	v_and_b32_e32 v3, 7, v3
	v_cndmask_b32_e32 v3, v5, v3, vcc_lo
	v_lshl_add_u32 v5, v6, 23, 0x3b800000
	v_lshlrev_b32_e32 v3, 20, v3
	v_or3_b32 v3, v4, v5, v3
	v_cvt_f16_f32_e32 v3, v3
.LBB29_202:
	s_or_b32 exec_lo, exec_lo, s23
.LBB29_203:
	s_mov_b32 s1, -1
.LBB29_204:
	s_branch .LBB29_239
.LBB29_205:
	s_cmp_gt_i32 s0, 22
	s_cbranch_scc0 .LBB29_215
; %bb.206:
	s_cmp_lt_i32 s0, 24
	s_cbranch_scc1 .LBB29_218
; %bb.207:
	s_cmp_gt_i32 s0, 24
	s_cbranch_scc0 .LBB29_219
; %bb.208:
	global_load_ubyte v4, v[1:2], off
	s_mov_b32 s1, 0
	s_mov_b32 s23, exec_lo
	s_waitcnt vmcnt(0)
	v_cmpx_lt_i16_e32 0x7f, v4
	s_xor_b32 s23, exec_lo, s23
	s_cbranch_execz .LBB29_231
; %bb.209:
	s_mov_b32 s1, -1
	s_mov_b32 s36, exec_lo
	v_cmpx_eq_u16_e32 0x80, v4
; %bb.210:
	s_xor_b32 s1, exec_lo, -1
; %bb.211:
	s_or_b32 exec_lo, exec_lo, s36
	s_and_b32 s1, s1, exec_lo
	s_or_saveexec_b32 s23, s23
	v_mov_b32_e32 v3, 0x7e00
	s_xor_b32 exec_lo, exec_lo, s23
	s_cbranch_execnz .LBB29_232
.LBB29_212:
	s_or_b32 exec_lo, exec_lo, s23
	s_and_saveexec_b32 s23, s1
	s_cbranch_execz .LBB29_214
.LBB29_213:
	v_and_b32_e32 v3, 0xffff, v4
	v_lshlrev_b32_e32 v4, 24, v4
	v_and_b32_e32 v5, 3, v3
	v_bfe_u32 v9, v3, 2, 5
	v_and_b32_e32 v4, 0x80000000, v4
	v_ffbh_u32_e32 v6, v5
	v_cmp_eq_u32_e32 vcc_lo, 0, v9
	v_min_u32_e32 v6, 32, v6
	v_subrev_nc_u32_e32 v7, 29, v6
	v_sub_nc_u32_e32 v6, 30, v6
	v_lshlrev_b32_e32 v3, v7, v3
	v_cndmask_b32_e32 v6, v9, v6, vcc_lo
	v_and_b32_e32 v3, 3, v3
	v_cndmask_b32_e32 v3, v5, v3, vcc_lo
	v_lshl_add_u32 v5, v6, 23, 0x37800000
	v_lshlrev_b32_e32 v3, 21, v3
	v_or3_b32 v3, v4, v5, v3
	v_cvt_f16_f32_e32 v3, v3
.LBB29_214:
	s_or_b32 exec_lo, exec_lo, s23
	s_mov_b32 s1, 0
	s_branch .LBB29_220
.LBB29_215:
	s_mov_b32 s23, -1
                                        ; implicit-def: $vgpr3
	s_branch .LBB29_226
.LBB29_216:
	s_or_saveexec_b32 s23, s23
	v_mov_b32_e32 v3, 0x7e00
	s_xor_b32 exec_lo, exec_lo, s23
	s_cbranch_execz .LBB29_200
.LBB29_217:
	v_cmp_ne_u16_e32 vcc_lo, 0, v4
	v_mov_b32_e32 v3, v4
	s_andn2_b32 s1, s1, exec_lo
	s_and_b32 s36, vcc_lo, exec_lo
	s_or_b32 s1, s1, s36
	s_or_b32 exec_lo, exec_lo, s23
	s_and_saveexec_b32 s23, s1
	s_cbranch_execnz .LBB29_201
	s_branch .LBB29_202
.LBB29_218:
	s_mov_b32 s1, -1
                                        ; implicit-def: $vgpr3
	s_branch .LBB29_223
.LBB29_219:
	s_mov_b32 s1, -1
                                        ; implicit-def: $vgpr3
.LBB29_220:
	s_and_b32 vcc_lo, exec_lo, s1
	s_cbranch_vccz .LBB29_222
; %bb.221:
	global_load_ubyte v3, v[1:2], off
	s_waitcnt vmcnt(0)
	v_lshlrev_b32_e32 v3, 24, v3
	v_and_b32_e32 v4, 0x7f000000, v3
	v_ffbh_u32_e32 v5, v4
	v_add_nc_u32_e32 v7, 0x1000000, v4
	v_cmp_ne_u32_e32 vcc_lo, 0, v4
	v_min_u32_e32 v5, 32, v5
	v_sub_nc_u32_e64 v5, v5, 4 clamp
	v_lshlrev_b32_e32 v6, v5, v4
	v_lshlrev_b32_e32 v5, 23, v5
	v_lshrrev_b32_e32 v6, 4, v6
	v_sub_nc_u32_e32 v5, v6, v5
	v_ashrrev_i32_e32 v6, 8, v7
	v_add_nc_u32_e32 v5, 0x3c000000, v5
	v_and_or_b32 v5, 0x7f800000, v6, v5
	v_cndmask_b32_e32 v4, 0, v5, vcc_lo
	v_and_or_b32 v3, 0x80000000, v3, v4
	v_cvt_f16_f32_e32 v3, v3
.LBB29_222:
	s_mov_b32 s1, 0
.LBB29_223:
	s_andn2_b32 vcc_lo, exec_lo, s1
	s_cbranch_vccnz .LBB29_225
; %bb.224:
	global_load_ubyte v3, v[1:2], off
	s_waitcnt vmcnt(0)
	v_lshlrev_b32_e32 v4, 25, v3
	v_lshlrev_b16 v3, 8, v3
	v_lshrrev_b32_e32 v5, 4, v4
	v_and_or_b32 v6, 0x7f00, v3, 0.5
	v_cmp_gt_u32_e32 vcc_lo, 0x8000000, v4
	v_bfe_i32 v3, v3, 0, 16
	v_or_b32_e32 v5, 0x70000000, v5
	v_add_f32_e32 v6, -0.5, v6
	v_mul_f32_e32 v5, 0x7800000, v5
	v_cndmask_b32_e32 v4, v5, v6, vcc_lo
	v_and_or_b32 v3, 0x80000000, v3, v4
	v_cvt_f16_f32_e32 v3, v3
.LBB29_225:
	s_mov_b32 s23, 0
	s_mov_b32 s1, -1
.LBB29_226:
	s_andn2_b32 vcc_lo, exec_lo, s23
	s_cbranch_vccnz .LBB29_239
; %bb.227:
	s_cmp_gt_i32 s0, 14
	s_cbranch_scc0 .LBB29_230
; %bb.228:
	s_cmp_eq_u32 s0, 15
	s_cbranch_scc0 .LBB29_233
; %bb.229:
	global_load_ushort v3, v[1:2], off
	s_mov_b32 s1, -1
	s_mov_b32 s22, 0
	s_waitcnt vmcnt(0)
	v_lshlrev_b32_e32 v3, 16, v3
	v_cvt_f16_f32_e32 v3, v3
	s_branch .LBB29_234
.LBB29_230:
	s_mov_b32 s23, -1
                                        ; implicit-def: $vgpr3
	s_branch .LBB29_235
.LBB29_231:
	s_or_saveexec_b32 s23, s23
	v_mov_b32_e32 v3, 0x7e00
	s_xor_b32 exec_lo, exec_lo, s23
	s_cbranch_execz .LBB29_212
.LBB29_232:
	v_cmp_ne_u16_e32 vcc_lo, 0, v4
	v_mov_b32_e32 v3, v4
	s_andn2_b32 s1, s1, exec_lo
	s_and_b32 s36, vcc_lo, exec_lo
	s_or_b32 s1, s1, s36
	s_or_b32 exec_lo, exec_lo, s23
	s_and_saveexec_b32 s23, s1
	s_cbranch_execnz .LBB29_213
	s_branch .LBB29_214
.LBB29_233:
	s_mov_b32 s22, -1
                                        ; implicit-def: $vgpr3
.LBB29_234:
	s_mov_b32 s23, 0
.LBB29_235:
	s_and_b32 vcc_lo, exec_lo, s23
	s_cbranch_vccz .LBB29_239
; %bb.236:
	s_cmp_eq_u32 s0, 11
	s_cbranch_scc0 .LBB29_238
; %bb.237:
	global_load_ubyte v3, v[1:2], off
	s_mov_b32 s22, 0
	s_mov_b32 s1, -1
	s_waitcnt vmcnt(0)
	v_cmp_ne_u16_e32 vcc_lo, 0, v3
	v_cndmask_b32_e64 v3, 0, 0x3c00, vcc_lo
	s_branch .LBB29_239
.LBB29_238:
	s_mov_b32 s22, -1
                                        ; implicit-def: $vgpr3
.LBB29_239:
	s_branch .LBB29_24
.LBB29_240:
	s_cmp_lt_i32 s0, 5
	s_cbranch_scc1 .LBB29_245
; %bb.241:
	s_cmp_lt_i32 s0, 8
	s_cbranch_scc1 .LBB29_246
; %bb.242:
	;; [unrolled: 3-line block ×3, first 2 shown]
	s_cmp_gt_i32 s0, 9
	s_cbranch_scc0 .LBB29_248
; %bb.244:
	global_load_dwordx2 v[3:4], v[1:2], off
	s_mov_b32 s1, 0
	s_waitcnt vmcnt(0)
	v_and_or_b32 v3, 0x1ff, v4, v3
	v_lshrrev_b32_e32 v5, 8, v4
	v_bfe_u32 v6, v4, 20, 11
	v_lshrrev_b32_e32 v4, 16, v4
	v_cmp_ne_u32_e32 vcc_lo, 0, v3
	v_sub_nc_u32_e32 v7, 0x3f1, v6
	v_add_nc_u32_e32 v6, 0xfffffc10, v6
	v_cndmask_b32_e64 v3, 0, 1, vcc_lo
	v_and_or_b32 v3, 0xffe, v5, v3
	v_med3_i32 v5, v7, 0, 13
	v_or_b32_e32 v7, 0x1000, v3
	v_lshrrev_b32_e32 v9, v5, v7
	v_lshlrev_b32_e32 v5, v5, v9
	v_cmp_ne_u32_e32 vcc_lo, v5, v7
	v_lshl_or_b32 v7, v6, 12, v3
	v_cndmask_b32_e64 v5, 0, 1, vcc_lo
	v_cmp_gt_i32_e32 vcc_lo, 1, v6
	v_or_b32_e32 v5, v9, v5
	v_cndmask_b32_e32 v5, v7, v5, vcc_lo
	v_and_b32_e32 v7, 7, v5
	v_lshrrev_b32_e32 v5, 2, v5
	v_cmp_lt_i32_e32 vcc_lo, 5, v7
	v_cndmask_b32_e64 v9, 0, 1, vcc_lo
	v_cmp_eq_u32_e32 vcc_lo, 3, v7
	v_cndmask_b32_e64 v7, 0, 1, vcc_lo
	v_cmp_ne_u32_e32 vcc_lo, 0, v3
	v_or_b32_e32 v7, v7, v9
	v_mov_b32_e32 v9, 0x7e00
	v_add_nc_u32_e32 v5, v5, v7
	v_cndmask_b32_e32 v3, 0x7c00, v9, vcc_lo
	v_cmp_gt_i32_e32 vcc_lo, 31, v6
	v_cndmask_b32_e32 v5, 0x7c00, v5, vcc_lo
	v_cmp_eq_u32_e32 vcc_lo, 0x40f, v6
	v_cndmask_b32_e32 v3, v5, v3, vcc_lo
	v_and_or_b32 v3, 0x8000, v4, v3
	s_branch .LBB29_249
.LBB29_245:
                                        ; implicit-def: $vgpr3
	s_branch .LBB29_267
.LBB29_246:
	s_mov_b32 s1, -1
                                        ; implicit-def: $vgpr3
	s_branch .LBB29_255
.LBB29_247:
	s_mov_b32 s1, -1
                                        ; implicit-def: $vgpr3
	s_branch .LBB29_252
.LBB29_248:
	s_mov_b32 s1, -1
                                        ; implicit-def: $vgpr3
.LBB29_249:
	s_andn2_b32 vcc_lo, exec_lo, s1
	s_cbranch_vccnz .LBB29_251
; %bb.250:
	global_load_dword v3, v[1:2], off
	s_waitcnt vmcnt(0)
	v_cvt_f16_f32_e32 v3, v3
.LBB29_251:
	s_mov_b32 s1, 0
.LBB29_252:
	s_andn2_b32 vcc_lo, exec_lo, s1
	s_cbranch_vccnz .LBB29_254
; %bb.253:
	global_load_dword v3, v[1:2], off
.LBB29_254:
	s_mov_b32 s1, 0
.LBB29_255:
	s_andn2_b32 vcc_lo, exec_lo, s1
	s_cbranch_vccnz .LBB29_266
; %bb.256:
	s_cmp_lt_i32 s0, 6
	s_cbranch_scc1 .LBB29_259
; %bb.257:
	s_cmp_gt_i32 s0, 6
	s_cbranch_scc0 .LBB29_260
; %bb.258:
	global_load_dwordx2 v[3:4], v[1:2], off
	s_mov_b32 s1, 0
	s_waitcnt vmcnt(0)
	v_and_or_b32 v3, 0x1ff, v4, v3
	v_lshrrev_b32_e32 v5, 8, v4
	v_bfe_u32 v6, v4, 20, 11
	v_lshrrev_b32_e32 v4, 16, v4
	v_cmp_ne_u32_e32 vcc_lo, 0, v3
	v_sub_nc_u32_e32 v7, 0x3f1, v6
	v_add_nc_u32_e32 v6, 0xfffffc10, v6
	v_cndmask_b32_e64 v3, 0, 1, vcc_lo
	v_and_or_b32 v3, 0xffe, v5, v3
	v_med3_i32 v5, v7, 0, 13
	v_or_b32_e32 v7, 0x1000, v3
	v_lshrrev_b32_e32 v9, v5, v7
	v_lshlrev_b32_e32 v5, v5, v9
	v_cmp_ne_u32_e32 vcc_lo, v5, v7
	v_lshl_or_b32 v7, v6, 12, v3
	v_cndmask_b32_e64 v5, 0, 1, vcc_lo
	v_cmp_gt_i32_e32 vcc_lo, 1, v6
	v_or_b32_e32 v5, v9, v5
	v_cndmask_b32_e32 v5, v7, v5, vcc_lo
	v_and_b32_e32 v7, 7, v5
	v_lshrrev_b32_e32 v5, 2, v5
	v_cmp_lt_i32_e32 vcc_lo, 5, v7
	v_cndmask_b32_e64 v9, 0, 1, vcc_lo
	v_cmp_eq_u32_e32 vcc_lo, 3, v7
	v_cndmask_b32_e64 v7, 0, 1, vcc_lo
	v_cmp_ne_u32_e32 vcc_lo, 0, v3
	v_or_b32_e32 v7, v7, v9
	v_mov_b32_e32 v9, 0x7e00
	v_add_nc_u32_e32 v5, v5, v7
	v_cndmask_b32_e32 v3, 0x7c00, v9, vcc_lo
	v_cmp_gt_i32_e32 vcc_lo, 31, v6
	v_cndmask_b32_e32 v5, 0x7c00, v5, vcc_lo
	v_cmp_eq_u32_e32 vcc_lo, 0x40f, v6
	v_cndmask_b32_e32 v3, v5, v3, vcc_lo
	v_and_or_b32 v3, 0x8000, v4, v3
	s_branch .LBB29_261
.LBB29_259:
	s_mov_b32 s1, -1
                                        ; implicit-def: $vgpr3
	s_branch .LBB29_264
.LBB29_260:
	s_mov_b32 s1, -1
                                        ; implicit-def: $vgpr3
.LBB29_261:
	s_andn2_b32 vcc_lo, exec_lo, s1
	s_cbranch_vccnz .LBB29_263
; %bb.262:
	global_load_dword v3, v[1:2], off
	s_waitcnt vmcnt(0)
	v_cvt_f16_f32_e32 v3, v3
.LBB29_263:
	s_mov_b32 s1, 0
.LBB29_264:
	s_andn2_b32 vcc_lo, exec_lo, s1
	s_cbranch_vccnz .LBB29_266
; %bb.265:
	global_load_ushort v3, v[1:2], off
.LBB29_266:
	s_cbranch_execnz .LBB29_286
.LBB29_267:
	s_cmp_lt_i32 s0, 2
	s_cbranch_scc1 .LBB29_271
; %bb.268:
	s_cmp_lt_i32 s0, 3
	s_cbranch_scc1 .LBB29_272
; %bb.269:
	s_cmp_gt_i32 s0, 3
	s_cbranch_scc0 .LBB29_273
; %bb.270:
	global_load_dwordx2 v[3:4], v[1:2], off
	s_mov_b32 s1, 0
	s_waitcnt vmcnt(0)
	v_xor_b32_e32 v5, v3, v4
	v_ffbh_i32_e32 v6, v4
	v_ashrrev_i32_e32 v5, 31, v5
	v_add_nc_u32_e32 v6, -1, v6
	v_add_nc_u32_e32 v5, 32, v5
	v_min_u32_e32 v5, v6, v5
	v_lshlrev_b64 v[3:4], v5, v[3:4]
	v_min_u32_e32 v3, 1, v3
	v_or_b32_e32 v3, v4, v3
	v_sub_nc_u32_e32 v4, 32, v5
	v_cvt_f32_i32_e32 v3, v3
	v_ldexp_f32 v3, v3, v4
	v_cvt_f16_f32_e32 v3, v3
	s_branch .LBB29_274
.LBB29_271:
	s_mov_b32 s1, -1
                                        ; implicit-def: $vgpr3
	s_branch .LBB29_280
.LBB29_272:
	s_mov_b32 s1, -1
                                        ; implicit-def: $vgpr3
	s_branch .LBB29_277
.LBB29_273:
	s_mov_b32 s1, -1
                                        ; implicit-def: $vgpr3
.LBB29_274:
	s_andn2_b32 vcc_lo, exec_lo, s1
	s_cbranch_vccnz .LBB29_276
; %bb.275:
	global_load_dword v3, v[1:2], off
	s_waitcnt vmcnt(0)
	v_cvt_f32_i32_e32 v3, v3
	v_cvt_f16_f32_e32 v3, v3
.LBB29_276:
	s_mov_b32 s1, 0
.LBB29_277:
	s_andn2_b32 vcc_lo, exec_lo, s1
	s_cbranch_vccnz .LBB29_279
; %bb.278:
	global_load_ushort v3, v[1:2], off
	s_waitcnt vmcnt(0)
	v_cvt_f16_i16_e32 v3, v3
.LBB29_279:
	s_mov_b32 s1, 0
.LBB29_280:
	s_andn2_b32 vcc_lo, exec_lo, s1
	s_cbranch_vccnz .LBB29_286
; %bb.281:
	s_cmp_gt_i32 s0, 0
	s_mov_b32 s0, 0
	s_cbranch_scc0 .LBB29_283
; %bb.282:
	global_load_sbyte v3, v[1:2], off
	s_waitcnt vmcnt(0)
	v_cvt_f16_i16_e32 v3, v3
	s_branch .LBB29_284
.LBB29_283:
	s_mov_b32 s0, -1
                                        ; implicit-def: $vgpr3
.LBB29_284:
	s_andn2_b32 vcc_lo, exec_lo, s0
	s_cbranch_vccnz .LBB29_286
; %bb.285:
	global_load_ubyte v1, v[1:2], off
	s_waitcnt vmcnt(0)
	v_cvt_f16_u16_e32 v3, v1
.LBB29_286:
	s_branch .LBB29_25
.LBB29_287:
	s_mov_b32 s0, 0
.LBB29_288:
	s_mov_b32 s1, 0
                                        ; implicit-def: $vgpr8
.LBB29_289:
	s_and_b32 s36, s0, exec_lo
	s_and_b32 s37, s22, exec_lo
	s_orn2_b32 s1, s1, exec_lo
.LBB29_290:
	s_or_b32 exec_lo, exec_lo, s38
	s_mov_b32 s22, 0
	s_mov_b32 s0, 0
                                        ; implicit-def: $vgpr1_vgpr2
                                        ; implicit-def: $vgpr0
                                        ; implicit-def: $vgpr4
	s_and_saveexec_b32 s38, s1
	s_cbranch_execz .LBB29_297
; %bb.291:
	s_mov_b32 s0, -1
	s_mov_b32 s39, s37
	s_mov_b32 s40, s36
	s_mov_b32 s41, exec_lo
	v_cmpx_gt_i32_e64 s33, v8
	s_cbranch_execz .LBB29_591
; %bb.292:
	s_andn2_b32 vcc_lo, exec_lo, s27
	s_cbranch_vccnz .LBB29_300
; %bb.293:
	s_andn2_b32 vcc_lo, exec_lo, s34
	s_cbranch_vccnz .LBB29_301
; %bb.294:
	s_add_i32 s40, s35, 1
	s_cmp_eq_u32 s25, 2
	s_cbranch_scc1 .LBB29_302
; %bb.295:
	v_mov_b32_e32 v2, 0
	v_mov_b32_e32 v0, 0
	;; [unrolled: 1-line block ×3, first 2 shown]
	s_and_b32 s39, s40, 28
	s_mov_b32 s42, 0
	s_mov_b64 s[0:1], s[2:3]
	s_mov_b64 s[22:23], s[20:21]
.LBB29_296:                             ; =>This Inner Loop Header: Depth=1
	s_clause 0x1
	s_load_dwordx8 s[44:51], s[0:1], 0x4
	s_load_dwordx4 s[60:63], s[0:1], 0x24
	s_load_dwordx8 s[52:59], s[22:23], 0x0
	s_add_u32 s0, s0, 48
	s_addc_u32 s1, s1, 0
	s_add_i32 s42, s42, 4
	s_add_u32 s22, s22, 32
	s_addc_u32 s23, s23, 0
	s_cmp_eq_u32 s39, s42
	s_waitcnt vmcnt(0) lgkmcnt(0)
	v_mul_hi_u32 v3, s45, v1
	v_add_nc_u32_e32 v3, v1, v3
	v_lshrrev_b32_e32 v3, s46, v3
	v_mul_hi_u32 v4, s48, v3
	v_mul_lo_u32 v6, v3, s44
	v_add_nc_u32_e32 v4, v3, v4
	v_sub_nc_u32_e32 v1, v1, v6
	v_lshrrev_b32_e32 v4, s49, v4
	v_mul_lo_u32 v6, v1, s52
	v_mul_lo_u32 v9, v1, s53
	v_mul_hi_u32 v5, s51, v4
	v_add_nc_u32_e32 v5, v4, v5
	v_lshrrev_b32_e32 v5, s60, v5
	v_mul_hi_u32 v7, s62, v5
	v_mul_lo_u32 v10, v5, s50
	v_add_nc_u32_e32 v1, v5, v7
	v_mul_lo_u32 v7, v4, s47
	v_sub_nc_u32_e32 v4, v4, v10
	v_lshrrev_b32_e32 v1, s63, v1
	v_mul_lo_u32 v10, v4, s56
	v_mul_lo_u32 v4, v4, s57
	v_sub_nc_u32_e32 v3, v3, v7
	v_mul_lo_u32 v11, v1, s61
	v_mul_lo_u32 v7, v3, s54
	;; [unrolled: 1-line block ×3, first 2 shown]
	v_sub_nc_u32_e32 v5, v5, v11
	v_add3_u32 v0, v6, v0, v7
	v_mul_lo_u32 v11, v5, s58
	v_mul_lo_u32 v5, v5, s59
	v_add3_u32 v2, v9, v2, v3
	v_add3_u32 v0, v10, v0, v11
	;; [unrolled: 1-line block ×3, first 2 shown]
	s_cbranch_scc0 .LBB29_296
	s_branch .LBB29_303
.LBB29_297:
	s_or_b32 exec_lo, exec_lo, s38
	s_waitcnt lgkmcnt(0)
	s_mov_b32 s6, 0
	s_and_saveexec_b32 s1, s37
	s_cbranch_execnz .LBB29_993
.LBB29_298:
	s_or_b32 exec_lo, exec_lo, s1
	s_and_saveexec_b32 s1, s39
	s_xor_b32 s1, exec_lo, s1
	s_cbranch_execz .LBB29_994
.LBB29_299:
	global_load_ubyte v3, v[1:2], off
	s_or_b32 s0, s0, exec_lo
	s_waitcnt vmcnt(0)
	v_cmp_ne_u16_e32 vcc_lo, 0, v3
	v_cndmask_b32_e64 v4, 0, 0x3c00, vcc_lo
	s_or_b32 exec_lo, exec_lo, s1
	s_and_saveexec_b32 s1, s22
	s_cbranch_execz .LBB29_1040
	s_branch .LBB29_995
.LBB29_300:
                                        ; implicit-def: $vgpr0
                                        ; implicit-def: $vgpr2
	s_andn2_b32 vcc_lo, exec_lo, s0
	s_cbranch_vccz .LBB29_307
	s_branch .LBB29_309
.LBB29_301:
	v_mov_b32_e32 v0, 0
	v_mov_b32_e32 v2, 0
	s_branch .LBB29_306
.LBB29_302:
	v_mov_b32_e32 v0, 0
	v_mov_b32_e32 v2, 0
	;; [unrolled: 1-line block ×3, first 2 shown]
	s_mov_b32 s39, 0
.LBB29_303:
	s_and_b32 s40, s40, 3
	s_cmp_eq_u32 s40, 0
	s_cbranch_scc1 .LBB29_306
; %bb.304:
	s_lshl_b32 s0, s39, 3
	s_mul_i32 s22, s39, 12
	s_add_u32 s0, s2, s0
	s_addc_u32 s1, s3, 0
	s_add_u32 s0, s0, 0xc4
	s_addc_u32 s1, s1, 0
	;; [unrolled: 2-line block ×3, first 2 shown]
	.p2align	6
.LBB29_305:                             ; =>This Inner Loop Header: Depth=1
	s_clause 0x1
	s_load_dwordx2 s[42:43], s[22:23], 0x4
	s_load_dword s39, s[22:23], 0xc
	s_load_dwordx2 s[44:45], s[0:1], 0x0
	s_add_u32 s22, s22, 12
	s_addc_u32 s23, s23, 0
	s_add_u32 s0, s0, 8
	s_addc_u32 s1, s1, 0
	s_add_i32 s40, s40, -1
	s_cmp_lg_u32 s40, 0
	s_waitcnt vmcnt(0) lgkmcnt(0)
	v_mul_hi_u32 v3, s43, v1
	v_add_nc_u32_e32 v3, v1, v3
	v_lshrrev_b32_e32 v4, s39, v3
	v_mul_lo_u32 v3, v4, s42
	v_sub_nc_u32_e32 v3, v1, v3
	v_mad_u64_u32 v[0:1], null, v3, s44, v[0:1]
	v_mad_u64_u32 v[2:3], null, v3, s45, v[2:3]
	v_mov_b32_e32 v1, v4
	s_cbranch_scc1 .LBB29_305
.LBB29_306:
	s_cbranch_execnz .LBB29_309
.LBB29_307:
	s_waitcnt lgkmcnt(0)
	v_mul_hi_u32 v0, s17, v8
	s_andn2_b32 vcc_lo, exec_lo, s31
	v_add_nc_u32_e32 v0, v8, v0
	v_lshrrev_b32_e32 v1, s18, v0
	v_mul_lo_u32 v0, v1, s16
	v_sub_nc_u32_e32 v2, v8, v0
	v_mul_lo_u32 v0, v2, s12
	v_mul_lo_u32 v2, v2, s13
	s_cbranch_vccnz .LBB29_309
; %bb.308:
	s_waitcnt vmcnt(0)
	v_mul_hi_u32 v3, s6, v1
	v_add_nc_u32_e32 v3, v1, v3
	v_lshrrev_b32_e32 v3, s7, v3
	v_mul_lo_u32 v3, v3, s19
	v_sub_nc_u32_e32 v3, v1, v3
	v_mad_u64_u32 v[0:1], null, v3, s14, v[0:1]
	v_mad_u64_u32 v[2:3], null, v3, s15, v[2:3]
.LBB29_309:
	s_waitcnt lgkmcnt(0)
	v_add_co_u32 v1, s0, s10, v2
	v_add_co_ci_u32_e64 v2, null, s11, 0, s0
	s_and_b32 s0, 0xffff, s30
	s_cmp_lt_i32 s0, 11
	s_cbranch_scc1 .LBB29_316
; %bb.310:
	s_cmp_gt_i32 s0, 25
	s_cbranch_scc0 .LBB29_349
; %bb.311:
	s_cmp_gt_i32 s0, 28
	s_cbranch_scc0 .LBB29_351
	;; [unrolled: 3-line block ×4, first 2 shown]
; %bb.314:
	s_cmp_eq_u32 s0, 46
	s_mov_b32 s23, 0
	s_cbranch_scc0 .LBB29_361
; %bb.315:
	global_load_dword v3, v[1:2], off
	s_mov_b32 s1, -1
	s_mov_b32 s22, 0
	s_waitcnt vmcnt(0)
	v_lshlrev_b32_e32 v3, 16, v3
	v_cvt_f16_f32_e32 v3, v3
	s_branch .LBB29_363
.LBB29_316:
	s_mov_b32 s1, 0
	s_mov_b32 s22, s37
                                        ; implicit-def: $vgpr3
	s_cbranch_execnz .LBB29_540
.LBB29_317:
	s_andn2_b32 vcc_lo, exec_lo, s1
	s_cbranch_vccnz .LBB29_588
.LBB29_318:
	s_waitcnt vmcnt(0)
	v_cvt_f32_f16_e32 v7, v3
                                        ; implicit-def: $vgpr2
	s_mov_b32 s0, exec_lo
	v_cmpx_neq_f16_e32 0, v3
	s_xor_b32 s23, exec_lo, s0
	s_cbranch_execz .LBB29_340
; %bb.319:
	v_mov_b32_e32 v1, 0
	s_mov_b32 s0, -1
	s_mov_b32 s39, exec_lo
	v_cmpx_gt_f16_e32 0, v3
	s_cbranch_execz .LBB29_327
; %bb.320:
	v_trunc_f32_e32 v1, v7
	s_mov_b32 s1, 0
	v_cmp_neq_f32_e32 vcc_lo, v1, v7
	v_mov_b32_e32 v1, 0
	s_and_saveexec_b32 s40, vcc_lo
	s_cbranch_execz .LBB29_326
; %bb.321:
	v_cvt_f32_f16_e32 v1, v3
	s_mov_b32 s1, 0xc00921fb
	s_mov_b32 s0, 0x54442d18
	s_mov_b32 s42, exec_lo
                                        ; implicit-def: $vgpr9
                                        ; implicit-def: $vgpr5_vgpr6
	v_cvt_f64_f32_e32 v[1:2], v1
	v_trunc_f64_e32 v[3:4], v[1:2]
	v_cmp_neq_f64_e64 vcc_lo, 0x7ff00000, |v[1:2]|
	v_add_f64 v[3:4], v[1:2], -v[3:4]
	v_mul_f64 v[3:4], |v[3:4]|, s[0:1]
	v_cndmask_b32_e32 v2, 0x80000000, v4, vcc_lo
	v_cndmask_b32_e32 v1, 0, v3, vcc_lo
                                        ; implicit-def: $vgpr3_vgpr4
	v_cmpx_ngt_f64_e64 0x41d00000, |v[1:2]|
	s_xor_b32 s42, exec_lo, s42
	s_cbranch_execz .LBB29_323
; %bb.322:
	v_ldexp_f64 v[3:4], |v[1:2]|, 0xffffff80
	v_cmp_le_f64_e64 vcc_lo, 0x7b000000, |v[1:2]|
	v_trig_preop_f64 v[5:6], |v[1:2]|, 0
	v_and_b32_e32 v9, 0x7fffffff, v2
	v_trig_preop_f64 v[19:20], |v[1:2]|, 2
	v_mov_b32_e32 v27, 0
	s_mov_b32 s1, 0x3ff921fb
	s_mov_b32 s44, 0x33145c07
	s_mov_b32 s45, 0x3c91a626
	v_cndmask_b32_e32 v4, v9, v4, vcc_lo
	v_cndmask_b32_e32 v3, v1, v3, vcc_lo
	v_trig_preop_f64 v[9:10], |v[1:2]|, 1
	v_mul_f64 v[11:12], v[5:6], v[3:4]
	v_mul_f64 v[25:26], v[19:20], v[3:4]
	;; [unrolled: 1-line block ×3, first 2 shown]
	v_fma_f64 v[5:6], v[5:6], v[3:4], -v[11:12]
	v_fma_f64 v[9:10], v[9:10], v[3:4], -v[13:14]
	;; [unrolled: 1-line block ×3, first 2 shown]
	v_add_f64 v[15:16], v[13:14], v[5:6]
	v_add_f64 v[17:18], v[15:16], -v[13:14]
	v_add_f64 v[23:24], v[11:12], v[15:16]
	v_add_f64 v[21:22], v[15:16], -v[17:18]
	v_add_f64 v[5:6], v[5:6], -v[17:18]
	v_ldexp_f64 v[17:18], v[23:24], -2
	v_add_f64 v[11:12], v[23:24], -v[11:12]
	v_add_f64 v[13:14], v[13:14], -v[21:22]
	v_add_f64 v[21:22], v[25:26], v[9:10]
	v_cmp_neq_f64_e64 vcc_lo, 0x7ff00000, |v[17:18]|
	v_add_f64 v[11:12], v[15:16], -v[11:12]
	v_add_f64 v[5:6], v[5:6], v[13:14]
	v_fract_f64_e32 v[13:14], v[17:18]
	v_add_f64 v[15:16], v[21:22], v[5:6]
	v_ldexp_f64 v[13:14], v[13:14], 2
	v_add_f64 v[17:18], v[11:12], v[15:16]
	v_cndmask_b32_e32 v14, 0, v14, vcc_lo
	v_cndmask_b32_e32 v13, 0, v13, vcc_lo
	v_add_f64 v[23:24], v[17:18], v[13:14]
	v_add_f64 v[11:12], v[17:18], -v[11:12]
	v_cmp_gt_f64_e32 vcc_lo, 0, v[23:24]
	v_add_f64 v[23:24], v[21:22], -v[25:26]
	v_cndmask_b32_e64 v28, 0, 0x40100000, vcc_lo
	v_add_f64 v[32:33], v[21:22], -v[23:24]
	v_add_f64 v[9:10], v[9:10], -v[23:24]
	v_add_f64 v[13:14], v[13:14], v[27:28]
	v_add_f64 v[28:29], v[15:16], -v[21:22]
	v_add_f64 v[23:24], v[25:26], -v[32:33]
	v_add_f64 v[30:31], v[17:18], v[13:14]
	;; [unrolled: 3-line block ×3, first 2 shown]
	v_cvt_i32_f64_e32 v30, v[30:31]
	v_add_f64 v[21:22], v[21:22], -v[34:35]
	v_cvt_f64_i32_e32 v[28:29], v30
	v_add_f64 v[5:6], v[5:6], v[21:22]
	v_add_f64 v[13:14], v[13:14], -v[28:29]
	v_add_f64 v[5:6], v[9:10], v[5:6]
	v_add_f64 v[9:10], v[15:16], -v[11:12]
	v_add_f64 v[19:20], v[17:18], v[13:14]
	v_add_f64 v[3:4], v[3:4], v[5:6]
	v_add_f64 v[5:6], v[19:20], -v[13:14]
	v_cmp_le_f64_e32 vcc_lo, 0.5, v[19:20]
	v_add_f64 v[3:4], v[9:10], v[3:4]
	v_add_f64 v[5:6], v[17:18], -v[5:6]
	v_cndmask_b32_e64 v28, 0, 0x3ff00000, vcc_lo
	v_add_co_ci_u32_e64 v9, null, 0, v30, vcc_lo
	v_add_f64 v[3:4], v[3:4], v[5:6]
	v_add_f64 v[5:6], v[19:20], -v[27:28]
	v_add_f64 v[10:11], v[5:6], v[3:4]
	v_mul_f64 v[12:13], v[10:11], s[0:1]
	v_add_f64 v[5:6], v[10:11], -v[5:6]
	v_fma_f64 v[14:15], v[10:11], s[0:1], -v[12:13]
	v_add_f64 v[3:4], v[3:4], -v[5:6]
	v_fma_f64 v[5:6], v[10:11], s[44:45], v[14:15]
	v_fma_f64 v[5:6], v[3:4], s[0:1], v[5:6]
	v_add_f64 v[3:4], v[12:13], v[5:6]
	v_add_f64 v[10:11], v[3:4], -v[12:13]
	v_add_f64 v[5:6], v[5:6], -v[10:11]
.LBB29_323:
	s_andn2_saveexec_b32 s0, s42
	s_cbranch_execz .LBB29_325
; %bb.324:
	s_mov_b32 s42, 0x6dc9c883
	s_mov_b32 s43, 0x3fe45f30
	s_mov_b32 s45, 0xbc91a626
	v_mul_f64 v[3:4], |v[1:2]|, s[42:43]
	s_mov_b32 s42, 0x54442d18
	s_mov_b32 s43, 0xbff921fb
	;; [unrolled: 1-line block ×3, first 2 shown]
	v_rndne_f64_e32 v[9:10], v[3:4]
	v_fma_f64 v[3:4], v[9:10], s[42:43], |v[1:2]|
	v_mul_f64 v[5:6], v[9:10], s[44:45]
	s_mov_b32 s42, 0x252049c0
	s_mov_b32 s43, 0xb97b839a
	v_fma_f64 v[13:14], v[9:10], s[44:45], v[3:4]
	v_add_f64 v[11:12], v[3:4], v[5:6]
	s_mov_b32 s45, 0x3c91a626
	v_add_f64 v[3:4], v[3:4], -v[11:12]
	v_add_f64 v[11:12], v[11:12], -v[13:14]
	v_add_f64 v[3:4], v[3:4], v[5:6]
	v_fma_f64 v[5:6], v[9:10], s[44:45], v[5:6]
	v_add_f64 v[3:4], v[11:12], v[3:4]
	v_add_f64 v[3:4], v[3:4], -v[5:6]
	v_fma_f64 v[5:6], v[9:10], s[42:43], v[3:4]
	v_cvt_i32_f64_e32 v9, v[9:10]
	v_add_f64 v[3:4], v[13:14], v[5:6]
	v_add_f64 v[11:12], v[3:4], -v[13:14]
	v_add_f64 v[5:6], v[5:6], -v[11:12]
.LBB29_325:
	s_or_b32 exec_lo, exec_lo, s0
	v_mul_f64 v[10:11], v[3:4], v[3:4]
	v_add_f64 v[12:13], v[5:6], v[5:6]
	s_mov_b32 s42, 0xa9a29f71
	s_mov_b32 s44, 0xc751c08c
	;; [unrolled: 1-line block ×4, first 2 shown]
	v_cmp_class_f64_e64 s0, v[1:2], 0x1f8
	v_and_b32_e32 v9, 1, v9
	v_and_b32_e32 v2, 0x80000000, v2
	v_sub_f32_e32 v7, 1.0, v7
	s_mov_b32 s1, exec_lo
	v_cmp_eq_u32_e32 vcc_lo, 0, v9
	v_fma_f64 v[14:15], v[3:4], v[3:4], -v[10:11]
	v_fma_f64 v[12:13], v[3:4], v[12:13], v[14:15]
	v_add_f64 v[10:11], v[10:11], v[12:13]
	v_fma_f64 v[12:13], v[10:11], s[44:45], s[42:43]
	s_mov_b32 s42, 0x90a8aae0
	s_mov_b32 s43, 0x3f17746f
	v_fma_f64 v[12:13], v[10:11], v[12:13], s[42:43]
	s_mov_b32 s42, 0xa6fbf144
	s_mov_b32 s43, 0xbefbb44d
	;; [unrolled: 3-line block ×13, first 2 shown]
	v_mul_f64 v[10:11], v[10:11], v[12:13]
	v_mul_f64 v[12:13], v[3:4], v[10:11]
	v_add_f64 v[14:15], v[3:4], v[12:13]
	v_fma_f64 v[10:11], v[3:4], v[10:11], -v[12:13]
	v_add_f64 v[3:4], v[14:15], -v[3:4]
	v_add_f64 v[5:6], v[5:6], v[10:11]
	v_add_f64 v[3:4], v[12:13], -v[3:4]
	v_add_f64 v[3:4], v[5:6], v[3:4]
	v_add_f64 v[5:6], v[14:15], v[3:4]
	v_rcp_f64_e32 v[10:11], v[5:6]
	v_fma_f64 v[12:13], -v[5:6], v[10:11], 1.0
	v_fma_f64 v[10:11], v[12:13], v[10:11], v[10:11]
	v_fma_f64 v[12:13], -v[5:6], v[10:11], 1.0
	v_fma_f64 v[10:11], v[12:13], v[10:11], v[10:11]
	v_add_f64 v[12:13], v[5:6], -v[14:15]
	v_mul_f64 v[14:15], v[5:6], v[10:11]
	v_add_f64 v[3:4], v[3:4], -v[12:13]
	v_fma_f64 v[12:13], v[10:11], v[5:6], -v[14:15]
	v_fma_f64 v[3:4], v[10:11], v[3:4], v[12:13]
	v_add_f64 v[12:13], v[14:15], v[3:4]
	v_add_f64 v[16:17], -v[12:13], 1.0
	v_add_f64 v[14:15], v[12:13], -v[14:15]
	v_add_f64 v[18:19], -v[16:17], 1.0
	v_add_f64 v[3:4], v[14:15], -v[3:4]
	v_add_f64 v[12:13], v[18:19], -v[12:13]
	v_add_f64 v[3:4], v[3:4], v[12:13]
	v_add_f64 v[3:4], v[16:17], v[3:4]
	v_mul_f64 v[3:4], v[10:11], v[3:4]
	v_add_f64 v[3:4], v[10:11], v[3:4]
	v_xor_b32_e32 v1, 0x80000000, v4
	v_cndmask_b32_e32 v3, v3, v5, vcc_lo
	v_cndmask_b32_e32 v1, v1, v6, vcc_lo
	v_xor_b32_e32 v2, v1, v2
	v_cndmask_b32_e64 v1, 0, v3, s0
	v_cndmask_b32_e64 v2, 0x7ff80000, v2, s0
	v_div_scale_f64 v[3:4], null, v[1:2], v[1:2], s[42:43]
	v_rcp_f64_e32 v[5:6], v[3:4]
	v_fma_f64 v[9:10], -v[3:4], v[5:6], 1.0
	v_fma_f64 v[5:6], v[5:6], v[9:10], v[5:6]
	v_fma_f64 v[9:10], -v[3:4], v[5:6], 1.0
	v_fma_f64 v[5:6], v[5:6], v[9:10], v[5:6]
	v_div_scale_f64 v[9:10], vcc_lo, s[42:43], v[1:2], s[42:43]
	v_mul_f64 v[11:12], v[9:10], v[5:6]
	v_fma_f64 v[3:4], -v[3:4], v[11:12], v[9:10]
	v_div_fmas_f64 v[3:4], v[3:4], v[5:6], v[11:12]
	v_div_fixup_f64 v[1:2], v[3:4], v[1:2], s[42:43]
	v_cvt_f32_f64_e32 v1, v[1:2]
.LBB29_326:
	s_or_b32 exec_lo, exec_lo, s40
	s_orn2_b32 s0, s1, exec_lo
.LBB29_327:
	s_or_b32 exec_lo, exec_lo, s39
	v_mov_b32_e32 v2, 0x7e00
	s_and_saveexec_b32 s39, s0
	s_cbranch_execz .LBB29_339
; %bb.328:
	s_mov_b32 s0, exec_lo
	v_cmpx_gt_f32_e32 0x41200000, v7
	s_cbranch_execz .LBB29_332
; %bb.329:
	s_mov_b32 s1, 0
	.p2align	6
.LBB29_330:                             ; =>This Inner Loop Header: Depth=1
	v_div_scale_f32 v2, null, v7, v7, 1.0
	v_div_scale_f32 v5, vcc_lo, 1.0, v7, 1.0
	v_rcp_f32_e32 v3, v2
	v_fma_f32 v4, -v2, v3, 1.0
	v_fmac_f32_e32 v3, v4, v3
	v_mul_f32_e32 v4, v5, v3
	v_fma_f32 v6, -v2, v4, v5
	v_fmac_f32_e32 v4, v6, v3
	v_fma_f32 v2, -v2, v4, v5
	v_div_fmas_f32 v2, v2, v3, v4
	v_div_fixup_f32 v2, v2, v7, 1.0
	v_add_f32_e32 v7, 1.0, v7
	v_sub_f32_e32 v1, v1, v2
	v_cmp_ngt_f32_e32 vcc_lo, 0x41200000, v7
	s_or_b32 s1, vcc_lo, s1
	s_andn2_b32 exec_lo, exec_lo, s1
	s_cbranch_execnz .LBB29_330
; %bb.331:
	s_or_b32 exec_lo, exec_lo, s1
.LBB29_332:
	s_or_b32 exec_lo, exec_lo, s0
                                        ; implicit-def: $vgpr2
	s_mov_b32 s0, exec_lo
	v_cmpx_neq_f32_e32 0x41200000, v7
	s_xor_b32 s40, exec_lo, s0
	s_cbranch_execz .LBB29_336
; %bb.333:
	v_cvt_f64_f32_e32 v[2:3], v7
	s_mov_b32 s0, 0x85d8a000
	s_mov_b32 s1, 0x43763457
	v_cmp_gt_f64_e32 vcc_lo, s[0:1], v[2:3]
	v_mov_b32_e32 v2, 0
	s_and_saveexec_b32 s0, vcc_lo
	s_cbranch_execz .LBB29_335
; %bb.334:
	v_mul_f32_e32 v2, v7, v7
	v_div_scale_f32 v3, null, v2, v2, 1.0
	v_rcp_f32_e32 v4, v3
	v_fma_f32 v5, -v3, v4, 1.0
	v_fmac_f32_e32 v4, v5, v4
	v_div_scale_f32 v5, vcc_lo, 1.0, v2, 1.0
	v_mul_f32_e32 v6, v5, v4
	v_fma_f32 v9, -v3, v6, v5
	v_fmac_f32_e32 v6, v9, v4
	v_fma_f32 v3, -v3, v6, v5
	v_div_fmas_f32 v3, v3, v4, v6
	v_div_fixup_f32 v2, v3, v2, 1.0
	v_fmaak_f32 v3, 0, v2, 0x3daaaaab
	v_fmaak_f32 v3, v2, v3, 0xbcaccacd
	;; [unrolled: 1-line block ×7, first 2 shown]
	v_mul_f32_e32 v2, v2, v3
.LBB29_335:
	s_or_b32 exec_lo, exec_lo, s0
	v_cmp_gt_f32_e32 vcc_lo, 0x800000, v7
	v_div_scale_f32 v3, null, v7, v7, -0.5
	v_div_scale_f32 v9, s0, -0.5, v7, -0.5
	v_cndmask_b32_e64 v4, 0, 32, vcc_lo
	v_rcp_f32_e32 v5, v3
	v_ldexp_f32 v4, v7, v4
	v_log_f32_e32 v4, v4
	v_fma_f32 v6, -v3, v5, 1.0
	v_fmac_f32_e32 v5, v6, v5
	v_mul_f32_e32 v6, 0x3f317217, v4
	v_mul_f32_e32 v10, v9, v5
	v_cmp_gt_f32_e64 s1, 0x7f800000, |v4|
	v_fma_f32 v6, 0x3f317217, v4, -v6
	v_fma_f32 v11, -v3, v10, v9
	v_fmamk_f32 v6, v4, 0x3377d1cf, v6
	v_fmac_f32_e32 v10, v11, v5
	v_fmac_f32_e32 v6, 0x3f317217, v4
	v_fma_f32 v3, -v3, v10, v9
	v_cndmask_b32_e64 v4, v4, v6, s1
	v_cndmask_b32_e64 v6, 0, 0x41b17218, vcc_lo
	s_mov_b32 vcc_lo, s0
	v_div_fmas_f32 v3, v3, v5, v10
	v_sub_f32_e32 v4, v4, v6
	v_div_fixup_f32 v3, v3, v7, -0.5
	v_add_f32_e32 v3, v4, v3
	v_sub_f32_e32 v2, v3, v2
	v_add_f32_e32 v1, v1, v2
	v_cvt_f16_f32_e32 v2, v1
                                        ; implicit-def: $vgpr1
.LBB29_336:
	s_andn2_saveexec_b32 s0, s40
; %bb.337:
	v_add_f32_e32 v1, 0x40101cb7, v1
	v_cvt_f16_f32_e32 v2, v1
; %bb.338:
	s_or_b32 exec_lo, exec_lo, s0
.LBB29_339:
	s_or_b32 exec_lo, exec_lo, s39
                                        ; implicit-def: $vgpr7
.LBB29_340:
	s_andn2_saveexec_b32 s0, s23
; %bb.341:
	v_xor_b32_e32 v1, 0x80000000, v7
	v_mov_b32_e32 v2, 0xffff8000
	v_and_b32_sdwa v1, v1, v2 dst_sel:DWORD dst_unused:UNUSED_PAD src0_sel:WORD_1 src1_sel:DWORD
	v_or_b32_e32 v2, 0x7c00, v1
; %bb.342:
	s_or_b32 exec_lo, exec_lo, s0
	v_add_co_u32 v0, s0, s8, v0
	v_add_co_ci_u32_e64 v1, null, s9, 0, s0
	s_and_b32 s1, s29, 0xff
	s_cmp_lt_i32 s1, 11
	s_cbranch_scc1 .LBB29_350
; %bb.343:
	s_and_b32 s23, 0xffff, s1
	s_cmp_gt_i32 s23, 25
	s_cbranch_scc0 .LBB29_352
; %bb.344:
	s_cmp_gt_i32 s23, 28
	s_cbranch_scc0 .LBB29_354
; %bb.345:
	;; [unrolled: 3-line block ×4, first 2 shown]
	s_mov_b32 s40, 0
	s_mov_b32 s0, -1
	s_cmp_eq_u32 s23, 46
	s_mov_b32 s39, 0
	s_cbranch_scc0 .LBB29_367
; %bb.348:
	v_cvt_f32_f16_e32 v3, v2
	v_cmp_o_f16_e32 vcc_lo, v2, v2
	s_mov_b32 s39, -1
	s_mov_b32 s0, 0
	v_bfe_u32 v4, v3, 16, 1
	v_add3_u32 v3, v3, v4, 0x7fff
	v_mov_b32_e32 v4, 0x7fc0
	v_cndmask_b32_sdwa v3, v4, v3, vcc_lo dst_sel:DWORD dst_unused:UNUSED_PAD src0_sel:DWORD src1_sel:WORD_1
	global_store_dword v[0:1], v3, off
	s_branch .LBB29_367
.LBB29_349:
	s_mov_b32 s23, -1
	s_mov_b32 s1, 0
	s_mov_b32 s22, s37
                                        ; implicit-def: $vgpr3
	s_branch .LBB29_504
.LBB29_350:
	s_mov_b32 s23, -1
	s_mov_b32 s39, 0
	s_mov_b32 s0, s36
	s_branch .LBB29_436
.LBB29_351:
	s_mov_b32 s23, -1
	s_mov_b32 s1, 0
	s_mov_b32 s22, s37
                                        ; implicit-def: $vgpr3
	s_branch .LBB29_485
.LBB29_352:
	s_mov_b32 s40, -1
	s_mov_b32 s39, 0
	s_mov_b32 s0, s36
	s_branch .LBB29_394
.LBB29_353:
	s_mov_b32 s23, -1
	s_mov_b32 s1, 0
	s_mov_b32 s22, s37
                                        ; implicit-def: $vgpr3
	s_branch .LBB29_480
.LBB29_354:
	s_mov_b32 s40, -1
	s_mov_b32 s39, 0
	s_mov_b32 s0, s36
	s_branch .LBB29_377
.LBB29_355:
	s_andn2_saveexec_b32 s40, s40
	s_cbranch_execz .LBB29_92
.LBB29_356:
	v_add_f32_e64 v4, 0x46000000, |v3|
	s_andn2_b32 s37, s37, exec_lo
	v_and_b32_e32 v4, 0xff, v4
	v_cmp_ne_u32_e32 vcc_lo, 0, v4
	s_and_b32 s41, vcc_lo, exec_lo
	s_or_b32 s37, s37, s41
	s_or_b32 exec_lo, exec_lo, s40
	v_mov_b32_e32 v5, 0
	s_and_saveexec_b32 s40, s37
	s_cbranch_execnz .LBB29_93
	s_branch .LBB29_94
.LBB29_357:
	s_mov_b32 s23, -1
	s_mov_b32 s1, 0
	s_mov_b32 s22, s37
	s_branch .LBB29_362
.LBB29_358:
	s_mov_b32 s40, -1
	s_mov_b32 s39, 0
	s_mov_b32 s0, s36
	s_branch .LBB29_373
.LBB29_359:
	s_andn2_saveexec_b32 s40, s40
	s_cbranch_execz .LBB29_105
.LBB29_360:
	v_add_f32_e64 v4, 0x42800000, |v3|
	s_andn2_b32 s37, s37, exec_lo
	v_and_b32_e32 v4, 0xff, v4
	v_cmp_ne_u32_e32 vcc_lo, 0, v4
	s_and_b32 s41, vcc_lo, exec_lo
	s_or_b32 s37, s37, s41
	s_or_b32 exec_lo, exec_lo, s40
	v_mov_b32_e32 v5, 0
	s_and_saveexec_b32 s40, s37
	s_cbranch_execnz .LBB29_106
	s_branch .LBB29_107
.LBB29_361:
	s_mov_b32 s22, -1
	s_mov_b32 s1, 0
.LBB29_362:
                                        ; implicit-def: $vgpr3
.LBB29_363:
	s_and_b32 vcc_lo, exec_lo, s23
	s_cbranch_vccz .LBB29_479
; %bb.364:
	s_cmp_eq_u32 s0, 44
	s_cbranch_scc0 .LBB29_478
; %bb.365:
	global_load_ubyte v3, v[1:2], off
	s_mov_b32 s22, 0
	s_mov_b32 s1, -1
	s_waitcnt vmcnt(0)
	v_lshlrev_b32_e32 v4, 23, v3
	v_cmp_ne_u32_e32 vcc_lo, 0xff, v3
	v_cvt_f16_f32_e32 v4, v4
	v_cndmask_b32_e32 v4, 0x7e00, v4, vcc_lo
	v_cmp_ne_u32_e32 vcc_lo, 0, v3
	v_cndmask_b32_e32 v3, 0, v4, vcc_lo
	s_branch .LBB29_479
.LBB29_366:
	s_mov_b32 s40, -1
	s_mov_b32 s39, 0
	s_mov_b32 s0, s36
.LBB29_367:
	s_and_b32 vcc_lo, exec_lo, s40
	s_cbranch_vccz .LBB29_372
; %bb.368:
	s_cmp_eq_u32 s23, 44
	s_mov_b32 s0, -1
	s_cbranch_scc0 .LBB29_372
; %bb.369:
	v_cvt_f32_f16_e32 v3, v2
	v_mov_b32_e32 v4, 0xff
	s_mov_b32 s39, exec_lo
	v_bfe_u32 v5, v3, 23, 8
	v_cmpx_ne_u32_e32 0xff, v5
	s_cbranch_execz .LBB29_371
; %bb.370:
	v_and_b32_e32 v4, 0x400000, v3
	v_and_or_b32 v5, 0x3fffff, v3, v5
	v_lshrrev_b32_e32 v3, 23, v3
	v_cmp_ne_u32_e32 vcc_lo, 0, v4
	v_cmp_ne_u32_e64 s0, 0, v5
	s_and_b32 s0, vcc_lo, s0
	v_cndmask_b32_e64 v4, 0, 1, s0
	v_add_nc_u32_e32 v4, v3, v4
.LBB29_371:
	s_or_b32 exec_lo, exec_lo, s39
	s_mov_b32 s39, -1
	s_mov_b32 s0, 0
	global_store_byte v[0:1], v4, off
.LBB29_372:
	s_mov_b32 s40, 0
.LBB29_373:
	s_and_b32 vcc_lo, exec_lo, s40
	s_cbranch_vccz .LBB29_376
; %bb.374:
	s_cmp_eq_u32 s23, 29
	s_mov_b32 s0, -1
	s_cbranch_scc0 .LBB29_376
; %bb.375:
	v_cvt_f32_f16_e32 v3, v2
	v_mov_b32_e32 v4, 0
	s_mov_b32 s39, -1
	s_mov_b32 s0, 0
	s_mov_b32 s40, 0
	v_cvt_u32_f32_e32 v3, v3
	global_store_dwordx2 v[0:1], v[3:4], off
	s_branch .LBB29_377
.LBB29_376:
	s_mov_b32 s40, 0
.LBB29_377:
	s_and_b32 vcc_lo, exec_lo, s40
	s_cbranch_vccz .LBB29_393
; %bb.378:
	s_cmp_lt_i32 s23, 27
	s_mov_b32 s39, -1
	s_cbranch_scc1 .LBB29_384
; %bb.379:
	s_cmp_gt_i32 s23, 27
	s_cbranch_scc0 .LBB29_381
; %bb.380:
	v_cvt_f32_f16_e32 v3, v2
	s_mov_b32 s39, 0
	v_cvt_u32_f32_e32 v3, v3
	global_store_dword v[0:1], v3, off
.LBB29_381:
	s_andn2_b32 vcc_lo, exec_lo, s39
	s_cbranch_vccnz .LBB29_383
; %bb.382:
	v_cvt_u16_f16_e32 v3, v2
	global_store_short v[0:1], v3, off
.LBB29_383:
	s_mov_b32 s39, 0
.LBB29_384:
	s_andn2_b32 vcc_lo, exec_lo, s39
	s_cbranch_vccnz .LBB29_392
; %bb.385:
	v_cvt_f32_f16_e32 v3, v2
	v_mov_b32_e32 v5, 0x80
	s_mov_b32 s39, exec_lo
	v_and_b32_e32 v4, 0x7fffffff, v3
	v_cmpx_gt_u32_e32 0x43800000, v4
	s_cbranch_execz .LBB29_391
; %bb.386:
	v_cmp_lt_u32_e32 vcc_lo, 0x3bffffff, v4
	s_mov_b32 s40, 0
                                        ; implicit-def: $vgpr4
	s_and_saveexec_b32 s42, vcc_lo
	s_xor_b32 s42, exec_lo, s42
	s_cbranch_execz .LBB29_619
; %bb.387:
	v_bfe_u32 v4, v3, 20, 1
	s_mov_b32 s40, exec_lo
	v_add3_u32 v4, v3, v4, 0x487ffff
	v_lshrrev_b32_e32 v4, 20, v4
	s_andn2_saveexec_b32 s42, s42
	s_cbranch_execnz .LBB29_620
.LBB29_388:
	s_or_b32 exec_lo, exec_lo, s42
	v_mov_b32_e32 v5, 0
	s_and_saveexec_b32 s42, s40
.LBB29_389:
	v_lshrrev_b32_e32 v3, 24, v3
	v_and_or_b32 v5, 0x80, v3, v4
.LBB29_390:
	s_or_b32 exec_lo, exec_lo, s42
.LBB29_391:
	s_or_b32 exec_lo, exec_lo, s39
	global_store_byte v[0:1], v5, off
.LBB29_392:
	s_mov_b32 s39, -1
.LBB29_393:
	s_mov_b32 s40, 0
.LBB29_394:
	s_and_b32 vcc_lo, exec_lo, s40
	s_cbranch_vccz .LBB29_435
; %bb.395:
	s_cmp_gt_i32 s23, 22
	s_mov_b32 s40, -1
	s_cbranch_scc0 .LBB29_427
; %bb.396:
	s_cmp_lt_i32 s23, 24
	s_mov_b32 s39, -1
	s_cbranch_scc1 .LBB29_416
; %bb.397:
	s_cmp_gt_i32 s23, 24
	s_cbranch_scc0 .LBB29_405
; %bb.398:
	v_cvt_f32_f16_e32 v3, v2
	v_mov_b32_e32 v5, 0x80
	s_mov_b32 s39, exec_lo
	v_and_b32_e32 v4, 0x7fffffff, v3
	v_cmpx_gt_u32_e32 0x47800000, v4
	s_cbranch_execz .LBB29_404
; %bb.399:
	v_cmp_lt_u32_e32 vcc_lo, 0x37ffffff, v4
	s_mov_b32 s40, 0
                                        ; implicit-def: $vgpr4
	s_and_saveexec_b32 s42, vcc_lo
	s_xor_b32 s42, exec_lo, s42
	s_cbranch_execz .LBB29_622
; %bb.400:
	v_bfe_u32 v4, v3, 21, 1
	s_mov_b32 s40, exec_lo
	v_add3_u32 v4, v3, v4, 0x88fffff
	v_lshrrev_b32_e32 v4, 21, v4
	s_andn2_saveexec_b32 s42, s42
	s_cbranch_execnz .LBB29_623
.LBB29_401:
	s_or_b32 exec_lo, exec_lo, s42
	v_mov_b32_e32 v5, 0
	s_and_saveexec_b32 s42, s40
.LBB29_402:
	v_lshrrev_b32_e32 v3, 24, v3
	v_and_or_b32 v5, 0x80, v3, v4
.LBB29_403:
	s_or_b32 exec_lo, exec_lo, s42
.LBB29_404:
	s_or_b32 exec_lo, exec_lo, s39
	s_mov_b32 s39, 0
	global_store_byte v[0:1], v5, off
.LBB29_405:
	s_and_b32 vcc_lo, exec_lo, s39
	s_cbranch_vccz .LBB29_415
; %bb.406:
	v_cvt_f32_f16_e32 v3, v2
	s_mov_b32 s39, exec_lo
                                        ; implicit-def: $vgpr4
	v_and_b32_e32 v5, 0x7fffffff, v3
	v_cmpx_gt_u32_e32 0x43f00000, v5
	s_xor_b32 s39, exec_lo, s39
	s_cbranch_execz .LBB29_412
; %bb.407:
	s_mov_b32 s40, exec_lo
                                        ; implicit-def: $vgpr4
	v_cmpx_lt_u32_e32 0x3c7fffff, v5
	s_xor_b32 s40, exec_lo, s40
; %bb.408:
	v_bfe_u32 v4, v3, 20, 1
	v_add3_u32 v4, v3, v4, 0x407ffff
	v_and_b32_e32 v5, 0xff00000, v4
	v_lshrrev_b32_e32 v4, 20, v4
	v_cmp_ne_u32_e32 vcc_lo, 0x7f00000, v5
	v_cndmask_b32_e32 v4, 0x7e, v4, vcc_lo
; %bb.409:
	s_andn2_saveexec_b32 s40, s40
; %bb.410:
	v_add_f32_e64 v4, 0x46800000, |v3|
; %bb.411:
	s_or_b32 exec_lo, exec_lo, s40
                                        ; implicit-def: $vgpr5
.LBB29_412:
	s_andn2_saveexec_b32 s39, s39
; %bb.413:
	v_mov_b32_e32 v4, 0x7f
	v_cmp_lt_u32_e32 vcc_lo, 0x7f800000, v5
	v_cndmask_b32_e32 v4, 0x7e, v4, vcc_lo
; %bb.414:
	s_or_b32 exec_lo, exec_lo, s39
	v_lshrrev_b32_e32 v3, 24, v3
	v_and_or_b32 v3, 0x80, v3, v4
	global_store_byte v[0:1], v3, off
.LBB29_415:
	s_mov_b32 s39, 0
.LBB29_416:
	s_andn2_b32 vcc_lo, exec_lo, s39
	s_cbranch_vccnz .LBB29_426
; %bb.417:
	v_cvt_f32_f16_e32 v3, v2
	s_mov_b32 s39, exec_lo
                                        ; implicit-def: $vgpr4
	v_and_b32_e32 v5, 0x7fffffff, v3
	v_cmpx_gt_u32_e32 0x47800000, v5
	s_xor_b32 s39, exec_lo, s39
	s_cbranch_execz .LBB29_423
; %bb.418:
	s_mov_b32 s40, exec_lo
                                        ; implicit-def: $vgpr4
	v_cmpx_lt_u32_e32 0x387fffff, v5
	s_xor_b32 s40, exec_lo, s40
; %bb.419:
	v_bfe_u32 v4, v3, 21, 1
	v_add3_u32 v4, v3, v4, 0x80fffff
	v_lshrrev_b32_e32 v4, 21, v4
; %bb.420:
	s_andn2_saveexec_b32 s40, s40
; %bb.421:
	v_add_f32_e64 v4, 0x43000000, |v3|
; %bb.422:
	s_or_b32 exec_lo, exec_lo, s40
                                        ; implicit-def: $vgpr5
.LBB29_423:
	s_andn2_saveexec_b32 s39, s39
; %bb.424:
	v_mov_b32_e32 v4, 0x7f
	v_cmp_lt_u32_e32 vcc_lo, 0x7f800000, v5
	v_cndmask_b32_e32 v4, 0x7c, v4, vcc_lo
; %bb.425:
	s_or_b32 exec_lo, exec_lo, s39
	v_lshrrev_b32_e32 v3, 24, v3
	v_and_or_b32 v3, 0x80, v3, v4
	global_store_byte v[0:1], v3, off
.LBB29_426:
	s_mov_b32 s40, 0
	s_mov_b32 s39, -1
.LBB29_427:
	s_andn2_b32 vcc_lo, exec_lo, s40
	s_cbranch_vccnz .LBB29_435
; %bb.428:
	s_cmp_gt_i32 s23, 14
	s_mov_b32 s40, -1
	s_cbranch_scc0 .LBB29_432
; %bb.429:
	s_cmp_eq_u32 s23, 15
	s_mov_b32 s0, -1
	s_cbranch_scc0 .LBB29_431
; %bb.430:
	v_cvt_f32_f16_e32 v3, v2
	v_cmp_o_f16_e32 vcc_lo, v2, v2
	s_mov_b32 s39, -1
	s_mov_b32 s0, 0
	v_bfe_u32 v4, v3, 16, 1
	v_add3_u32 v3, v3, v4, 0x7fff
	v_mov_b32_e32 v4, 0x7fc0
	v_cndmask_b32_sdwa v3, v4, v3, vcc_lo dst_sel:DWORD dst_unused:UNUSED_PAD src0_sel:DWORD src1_sel:WORD_1
	global_store_short v[0:1], v3, off
.LBB29_431:
	s_mov_b32 s40, 0
.LBB29_432:
	s_and_b32 vcc_lo, exec_lo, s40
	s_cbranch_vccz .LBB29_435
; %bb.433:
	s_cmp_eq_u32 s23, 11
	s_mov_b32 s0, -1
	s_cbranch_scc0 .LBB29_435
; %bb.434:
	v_and_b32_e32 v3, 0x7fff, v2
	s_mov_b32 s0, 0
	s_mov_b32 s39, -1
	v_cmp_ne_u16_e32 vcc_lo, 0, v3
	v_cndmask_b32_e64 v3, 0, 1, vcc_lo
	global_store_byte v[0:1], v3, off
.LBB29_435:
	s_mov_b32 s23, 0
.LBB29_436:
	s_and_b32 vcc_lo, exec_lo, s23
	s_cbranch_vccz .LBB29_475
; %bb.437:
	s_and_b32 s1, 0xffff, s1
	s_mov_b32 s23, -1
	s_cmp_lt_i32 s1, 5
	s_cbranch_scc1 .LBB29_458
; %bb.438:
	s_cmp_lt_i32 s1, 8
	s_cbranch_scc1 .LBB29_448
; %bb.439:
	;; [unrolled: 3-line block ×3, first 2 shown]
	s_cmp_gt_i32 s1, 9
	s_cbranch_scc0 .LBB29_442
; %bb.441:
	v_cvt_f32_f16_e32 v3, v2
	v_mov_b32_e32 v5, 0
	s_mov_b32 s23, 0
	v_cvt_f64_f32_e32 v[3:4], v3
	v_mov_b32_e32 v6, v5
	global_store_dwordx4 v[0:1], v[3:6], off
.LBB29_442:
	s_andn2_b32 vcc_lo, exec_lo, s23
	s_cbranch_vccnz .LBB29_444
; %bb.443:
	v_cvt_f32_f16_e32 v3, v2
	v_mov_b32_e32 v4, 0
	global_store_dwordx2 v[0:1], v[3:4], off
.LBB29_444:
	s_mov_b32 s23, 0
.LBB29_445:
	s_andn2_b32 vcc_lo, exec_lo, s23
	s_cbranch_vccnz .LBB29_447
; %bb.446:
	v_and_b32_e32 v3, 0xffff, v2
	global_store_dword v[0:1], v3, off
.LBB29_447:
	s_mov_b32 s23, 0
.LBB29_448:
	s_andn2_b32 vcc_lo, exec_lo, s23
	s_cbranch_vccnz .LBB29_457
; %bb.449:
	s_cmp_lt_i32 s1, 6
	s_mov_b32 s23, -1
	s_cbranch_scc1 .LBB29_455
; %bb.450:
	s_cmp_gt_i32 s1, 6
	s_cbranch_scc0 .LBB29_452
; %bb.451:
	v_cvt_f32_f16_e32 v3, v2
	s_mov_b32 s23, 0
	v_cvt_f64_f32_e32 v[3:4], v3
	global_store_dwordx2 v[0:1], v[3:4], off
.LBB29_452:
	s_andn2_b32 vcc_lo, exec_lo, s23
	s_cbranch_vccnz .LBB29_454
; %bb.453:
	v_cvt_f32_f16_e32 v3, v2
	global_store_dword v[0:1], v3, off
.LBB29_454:
	s_mov_b32 s23, 0
.LBB29_455:
	s_andn2_b32 vcc_lo, exec_lo, s23
	s_cbranch_vccnz .LBB29_457
; %bb.456:
	global_store_short v[0:1], v2, off
.LBB29_457:
	s_mov_b32 s23, 0
.LBB29_458:
	s_andn2_b32 vcc_lo, exec_lo, s23
	s_cbranch_vccnz .LBB29_474
; %bb.459:
	s_cmp_lt_i32 s1, 2
	s_mov_b32 s23, -1
	s_cbranch_scc1 .LBB29_469
; %bb.460:
	s_cmp_lt_i32 s1, 3
	s_cbranch_scc1 .LBB29_466
; %bb.461:
	s_cmp_gt_i32 s1, 3
	s_cbranch_scc0 .LBB29_463
; %bb.462:
	v_cvt_f32_f16_e32 v3, v2
	s_mov_b32 s23, 0
	v_cvt_i32_f32_e32 v3, v3
	v_ashrrev_i32_e32 v4, 31, v3
	global_store_dwordx2 v[0:1], v[3:4], off
.LBB29_463:
	s_andn2_b32 vcc_lo, exec_lo, s23
	s_cbranch_vccnz .LBB29_465
; %bb.464:
	v_cvt_f32_f16_e32 v3, v2
	v_cvt_i32_f32_e32 v3, v3
	global_store_dword v[0:1], v3, off
.LBB29_465:
	s_mov_b32 s23, 0
.LBB29_466:
	s_andn2_b32 vcc_lo, exec_lo, s23
	s_cbranch_vccnz .LBB29_468
; %bb.467:
	v_cvt_i16_f16_e32 v3, v2
	global_store_short v[0:1], v3, off
.LBB29_468:
	s_mov_b32 s23, 0
.LBB29_469:
	s_andn2_b32 vcc_lo, exec_lo, s23
	s_cbranch_vccnz .LBB29_474
; %bb.470:
	s_cmp_gt_i32 s1, 0
	s_mov_b32 s1, -1
	s_cbranch_scc0 .LBB29_472
; %bb.471:
	v_cvt_i16_f16_e32 v3, v2
	s_mov_b32 s1, 0
	global_store_byte v[0:1], v3, off
.LBB29_472:
	s_andn2_b32 vcc_lo, exec_lo, s1
	s_cbranch_vccnz .LBB29_474
; %bb.473:
	v_cvt_f32_f16_e32 v2, v2
	v_cvt_i32_f32_e32 v2, v2
	global_store_byte v[0:1], v2, off
.LBB29_474:
	s_mov_b32 s39, -1
.LBB29_475:
	s_andn2_b32 vcc_lo, exec_lo, s39
	s_cbranch_vccnz .LBB29_477
; %bb.476:
	v_add_nc_u32_e32 v8, 0x80, v8
	s_mov_b32 s1, -1
	s_branch .LBB29_590
.LBB29_477:
	s_mov_b32 s1, 0
	s_branch .LBB29_589
.LBB29_478:
	s_mov_b32 s22, -1
                                        ; implicit-def: $vgpr3
.LBB29_479:
	s_mov_b32 s23, 0
.LBB29_480:
	s_and_b32 vcc_lo, exec_lo, s23
	s_cbranch_vccz .LBB29_484
; %bb.481:
	s_cmp_eq_u32 s0, 29
	s_cbranch_scc0 .LBB29_483
; %bb.482:
	global_load_dwordx2 v[3:4], v[1:2], off
	s_mov_b32 s1, -1
	s_mov_b32 s22, 0
	s_mov_b32 s23, 0
	s_waitcnt vmcnt(0)
	v_ffbh_u32_e32 v5, v4
	v_min_u32_e32 v5, 32, v5
	v_lshlrev_b64 v[3:4], v5, v[3:4]
	v_min_u32_e32 v3, 1, v3
	v_or_b32_e32 v3, v4, v3
	v_sub_nc_u32_e32 v4, 32, v5
	v_cvt_f32_u32_e32 v3, v3
	v_ldexp_f32 v3, v3, v4
	v_cvt_f16_f32_e32 v3, v3
	s_branch .LBB29_485
.LBB29_483:
	s_mov_b32 s22, -1
                                        ; implicit-def: $vgpr3
.LBB29_484:
	s_mov_b32 s23, 0
.LBB29_485:
	s_and_b32 vcc_lo, exec_lo, s23
	s_cbranch_vccz .LBB29_503
; %bb.486:
	s_cmp_lt_i32 s0, 27
	s_cbranch_scc1 .LBB29_489
; %bb.487:
	s_cmp_gt_i32 s0, 27
	s_cbranch_scc0 .LBB29_490
; %bb.488:
	global_load_dword v3, v[1:2], off
	s_mov_b32 s1, 0
	s_waitcnt vmcnt(0)
	v_cvt_f32_u32_e32 v3, v3
	v_cvt_f16_f32_e32 v3, v3
	s_branch .LBB29_491
.LBB29_489:
	s_mov_b32 s1, -1
                                        ; implicit-def: $vgpr3
	s_branch .LBB29_494
.LBB29_490:
	s_mov_b32 s1, -1
                                        ; implicit-def: $vgpr3
.LBB29_491:
	s_andn2_b32 vcc_lo, exec_lo, s1
	s_cbranch_vccnz .LBB29_493
; %bb.492:
	global_load_ushort v3, v[1:2], off
	s_waitcnt vmcnt(0)
	v_cvt_f16_u16_e32 v3, v3
.LBB29_493:
	s_mov_b32 s1, 0
.LBB29_494:
	s_andn2_b32 vcc_lo, exec_lo, s1
	s_cbranch_vccnz .LBB29_502
; %bb.495:
	global_load_ubyte v4, v[1:2], off
	s_mov_b32 s1, 0
	s_mov_b32 s23, exec_lo
	s_waitcnt vmcnt(0)
	v_cmpx_lt_i16_e32 0x7f, v4
	s_xor_b32 s23, exec_lo, s23
	s_cbranch_execz .LBB29_516
; %bb.496:
	s_mov_b32 s1, -1
	s_mov_b32 s39, exec_lo
	v_cmpx_eq_u16_e32 0x80, v4
; %bb.497:
	s_xor_b32 s1, exec_lo, -1
; %bb.498:
	s_or_b32 exec_lo, exec_lo, s39
	s_and_b32 s1, s1, exec_lo
	s_or_saveexec_b32 s23, s23
	v_mov_b32_e32 v3, 0x7e00
	s_xor_b32 exec_lo, exec_lo, s23
	s_cbranch_execnz .LBB29_517
.LBB29_499:
	s_or_b32 exec_lo, exec_lo, s23
	s_and_saveexec_b32 s23, s1
	s_cbranch_execz .LBB29_501
.LBB29_500:
	v_and_b32_e32 v3, 0xffff, v4
	v_lshlrev_b32_e32 v4, 24, v4
	v_and_b32_e32 v5, 7, v3
	v_bfe_u32 v9, v3, 3, 4
	v_and_b32_e32 v4, 0x80000000, v4
	v_ffbh_u32_e32 v6, v5
	v_cmp_eq_u32_e32 vcc_lo, 0, v9
	v_min_u32_e32 v6, 32, v6
	v_subrev_nc_u32_e32 v7, 28, v6
	v_sub_nc_u32_e32 v6, 29, v6
	v_lshlrev_b32_e32 v3, v7, v3
	v_cndmask_b32_e32 v6, v9, v6, vcc_lo
	v_and_b32_e32 v3, 7, v3
	v_cndmask_b32_e32 v3, v5, v3, vcc_lo
	v_lshl_add_u32 v5, v6, 23, 0x3b800000
	v_lshlrev_b32_e32 v3, 20, v3
	v_or3_b32 v3, v4, v5, v3
	v_cvt_f16_f32_e32 v3, v3
.LBB29_501:
	s_or_b32 exec_lo, exec_lo, s23
.LBB29_502:
	s_mov_b32 s1, -1
.LBB29_503:
	s_mov_b32 s23, 0
.LBB29_504:
	s_and_b32 vcc_lo, exec_lo, s23
	s_cbranch_vccz .LBB29_539
; %bb.505:
	s_cmp_gt_i32 s0, 22
	s_cbranch_scc0 .LBB29_515
; %bb.506:
	s_cmp_lt_i32 s0, 24
	s_cbranch_scc1 .LBB29_518
; %bb.507:
	s_cmp_gt_i32 s0, 24
	s_cbranch_scc0 .LBB29_519
; %bb.508:
	global_load_ubyte v4, v[1:2], off
	s_mov_b32 s1, 0
	s_mov_b32 s23, exec_lo
	s_waitcnt vmcnt(0)
	v_cmpx_lt_i16_e32 0x7f, v4
	s_xor_b32 s23, exec_lo, s23
	s_cbranch_execz .LBB29_531
; %bb.509:
	s_mov_b32 s1, -1
	s_mov_b32 s39, exec_lo
	v_cmpx_eq_u16_e32 0x80, v4
; %bb.510:
	s_xor_b32 s1, exec_lo, -1
; %bb.511:
	s_or_b32 exec_lo, exec_lo, s39
	s_and_b32 s1, s1, exec_lo
	s_or_saveexec_b32 s23, s23
	v_mov_b32_e32 v3, 0x7e00
	s_xor_b32 exec_lo, exec_lo, s23
	s_cbranch_execnz .LBB29_532
.LBB29_512:
	s_or_b32 exec_lo, exec_lo, s23
	s_and_saveexec_b32 s23, s1
	s_cbranch_execz .LBB29_514
.LBB29_513:
	v_and_b32_e32 v3, 0xffff, v4
	v_lshlrev_b32_e32 v4, 24, v4
	v_and_b32_e32 v5, 3, v3
	v_bfe_u32 v9, v3, 2, 5
	v_and_b32_e32 v4, 0x80000000, v4
	v_ffbh_u32_e32 v6, v5
	v_cmp_eq_u32_e32 vcc_lo, 0, v9
	v_min_u32_e32 v6, 32, v6
	v_subrev_nc_u32_e32 v7, 29, v6
	v_sub_nc_u32_e32 v6, 30, v6
	v_lshlrev_b32_e32 v3, v7, v3
	v_cndmask_b32_e32 v6, v9, v6, vcc_lo
	v_and_b32_e32 v3, 3, v3
	v_cndmask_b32_e32 v3, v5, v3, vcc_lo
	v_lshl_add_u32 v5, v6, 23, 0x37800000
	v_lshlrev_b32_e32 v3, 21, v3
	v_or3_b32 v3, v4, v5, v3
	v_cvt_f16_f32_e32 v3, v3
.LBB29_514:
	s_or_b32 exec_lo, exec_lo, s23
	s_mov_b32 s1, 0
	s_branch .LBB29_520
.LBB29_515:
	s_mov_b32 s23, -1
                                        ; implicit-def: $vgpr3
	s_branch .LBB29_526
.LBB29_516:
	s_or_saveexec_b32 s23, s23
	v_mov_b32_e32 v3, 0x7e00
	s_xor_b32 exec_lo, exec_lo, s23
	s_cbranch_execz .LBB29_499
.LBB29_517:
	v_cmp_ne_u16_e32 vcc_lo, 0, v4
	v_mov_b32_e32 v3, v4
	s_andn2_b32 s1, s1, exec_lo
	s_and_b32 s39, vcc_lo, exec_lo
	s_or_b32 s1, s1, s39
	s_or_b32 exec_lo, exec_lo, s23
	s_and_saveexec_b32 s23, s1
	s_cbranch_execnz .LBB29_500
	s_branch .LBB29_501
.LBB29_518:
	s_mov_b32 s1, -1
                                        ; implicit-def: $vgpr3
	s_branch .LBB29_523
.LBB29_519:
	s_mov_b32 s1, -1
                                        ; implicit-def: $vgpr3
.LBB29_520:
	s_and_b32 vcc_lo, exec_lo, s1
	s_cbranch_vccz .LBB29_522
; %bb.521:
	global_load_ubyte v3, v[1:2], off
	s_waitcnt vmcnt(0)
	v_lshlrev_b32_e32 v3, 24, v3
	v_and_b32_e32 v4, 0x7f000000, v3
	v_ffbh_u32_e32 v5, v4
	v_add_nc_u32_e32 v7, 0x1000000, v4
	v_cmp_ne_u32_e32 vcc_lo, 0, v4
	v_min_u32_e32 v5, 32, v5
	v_sub_nc_u32_e64 v5, v5, 4 clamp
	v_lshlrev_b32_e32 v6, v5, v4
	v_lshlrev_b32_e32 v5, 23, v5
	v_lshrrev_b32_e32 v6, 4, v6
	v_sub_nc_u32_e32 v5, v6, v5
	v_ashrrev_i32_e32 v6, 8, v7
	v_add_nc_u32_e32 v5, 0x3c000000, v5
	v_and_or_b32 v5, 0x7f800000, v6, v5
	v_cndmask_b32_e32 v4, 0, v5, vcc_lo
	v_and_or_b32 v3, 0x80000000, v3, v4
	v_cvt_f16_f32_e32 v3, v3
.LBB29_522:
	s_mov_b32 s1, 0
.LBB29_523:
	s_andn2_b32 vcc_lo, exec_lo, s1
	s_cbranch_vccnz .LBB29_525
; %bb.524:
	global_load_ubyte v3, v[1:2], off
	s_waitcnt vmcnt(0)
	v_lshlrev_b32_e32 v4, 25, v3
	v_lshlrev_b16 v3, 8, v3
	v_lshrrev_b32_e32 v5, 4, v4
	v_and_or_b32 v6, 0x7f00, v3, 0.5
	v_cmp_gt_u32_e32 vcc_lo, 0x8000000, v4
	v_bfe_i32 v3, v3, 0, 16
	v_or_b32_e32 v5, 0x70000000, v5
	v_add_f32_e32 v6, -0.5, v6
	v_mul_f32_e32 v5, 0x7800000, v5
	v_cndmask_b32_e32 v4, v5, v6, vcc_lo
	v_and_or_b32 v3, 0x80000000, v3, v4
	v_cvt_f16_f32_e32 v3, v3
.LBB29_525:
	s_mov_b32 s23, 0
	s_mov_b32 s1, -1
.LBB29_526:
	s_andn2_b32 vcc_lo, exec_lo, s23
	s_cbranch_vccnz .LBB29_539
; %bb.527:
	s_cmp_gt_i32 s0, 14
	s_cbranch_scc0 .LBB29_530
; %bb.528:
	s_cmp_eq_u32 s0, 15
	s_cbranch_scc0 .LBB29_533
; %bb.529:
	global_load_ushort v3, v[1:2], off
	s_mov_b32 s1, -1
	s_mov_b32 s22, 0
	s_waitcnt vmcnt(0)
	v_lshlrev_b32_e32 v3, 16, v3
	v_cvt_f16_f32_e32 v3, v3
	s_branch .LBB29_534
.LBB29_530:
	s_mov_b32 s23, -1
                                        ; implicit-def: $vgpr3
	s_branch .LBB29_535
.LBB29_531:
	s_or_saveexec_b32 s23, s23
	v_mov_b32_e32 v3, 0x7e00
	s_xor_b32 exec_lo, exec_lo, s23
	s_cbranch_execz .LBB29_512
.LBB29_532:
	v_cmp_ne_u16_e32 vcc_lo, 0, v4
	v_mov_b32_e32 v3, v4
	s_andn2_b32 s1, s1, exec_lo
	s_and_b32 s39, vcc_lo, exec_lo
	s_or_b32 s1, s1, s39
	s_or_b32 exec_lo, exec_lo, s23
	s_and_saveexec_b32 s23, s1
	s_cbranch_execnz .LBB29_513
	s_branch .LBB29_514
.LBB29_533:
	s_mov_b32 s22, -1
                                        ; implicit-def: $vgpr3
.LBB29_534:
	s_mov_b32 s23, 0
.LBB29_535:
	s_and_b32 vcc_lo, exec_lo, s23
	s_cbranch_vccz .LBB29_539
; %bb.536:
	s_cmp_eq_u32 s0, 11
	s_cbranch_scc0 .LBB29_538
; %bb.537:
	global_load_ubyte v3, v[1:2], off
	s_mov_b32 s22, 0
	s_mov_b32 s1, -1
	s_waitcnt vmcnt(0)
	v_cmp_ne_u16_e32 vcc_lo, 0, v3
	v_cndmask_b32_e64 v3, 0, 0x3c00, vcc_lo
	s_branch .LBB29_539
.LBB29_538:
	s_mov_b32 s22, -1
                                        ; implicit-def: $vgpr3
.LBB29_539:
	s_branch .LBB29_317
.LBB29_540:
	s_cmp_lt_i32 s0, 5
	s_cbranch_scc1 .LBB29_545
; %bb.541:
	s_cmp_lt_i32 s0, 8
	s_cbranch_scc1 .LBB29_546
; %bb.542:
	;; [unrolled: 3-line block ×3, first 2 shown]
	s_cmp_gt_i32 s0, 9
	s_cbranch_scc0 .LBB29_548
; %bb.544:
	global_load_dwordx2 v[3:4], v[1:2], off
	s_mov_b32 s1, 0
	s_waitcnt vmcnt(0)
	v_and_or_b32 v3, 0x1ff, v4, v3
	v_lshrrev_b32_e32 v5, 8, v4
	v_bfe_u32 v6, v4, 20, 11
	v_lshrrev_b32_e32 v4, 16, v4
	v_cmp_ne_u32_e32 vcc_lo, 0, v3
	v_sub_nc_u32_e32 v7, 0x3f1, v6
	v_add_nc_u32_e32 v6, 0xfffffc10, v6
	v_cndmask_b32_e64 v3, 0, 1, vcc_lo
	v_and_or_b32 v3, 0xffe, v5, v3
	v_med3_i32 v5, v7, 0, 13
	v_or_b32_e32 v7, 0x1000, v3
	v_lshrrev_b32_e32 v9, v5, v7
	v_lshlrev_b32_e32 v5, v5, v9
	v_cmp_ne_u32_e32 vcc_lo, v5, v7
	v_lshl_or_b32 v7, v6, 12, v3
	v_cndmask_b32_e64 v5, 0, 1, vcc_lo
	v_cmp_gt_i32_e32 vcc_lo, 1, v6
	v_or_b32_e32 v5, v9, v5
	v_cndmask_b32_e32 v5, v7, v5, vcc_lo
	v_and_b32_e32 v7, 7, v5
	v_lshrrev_b32_e32 v5, 2, v5
	v_cmp_lt_i32_e32 vcc_lo, 5, v7
	v_cndmask_b32_e64 v9, 0, 1, vcc_lo
	v_cmp_eq_u32_e32 vcc_lo, 3, v7
	v_cndmask_b32_e64 v7, 0, 1, vcc_lo
	v_cmp_ne_u32_e32 vcc_lo, 0, v3
	v_or_b32_e32 v7, v7, v9
	v_mov_b32_e32 v9, 0x7e00
	v_add_nc_u32_e32 v5, v5, v7
	v_cndmask_b32_e32 v3, 0x7c00, v9, vcc_lo
	v_cmp_gt_i32_e32 vcc_lo, 31, v6
	v_cndmask_b32_e32 v5, 0x7c00, v5, vcc_lo
	v_cmp_eq_u32_e32 vcc_lo, 0x40f, v6
	v_cndmask_b32_e32 v3, v5, v3, vcc_lo
	v_and_or_b32 v3, 0x8000, v4, v3
	s_branch .LBB29_549
.LBB29_545:
	s_mov_b32 s1, -1
                                        ; implicit-def: $vgpr3
	s_branch .LBB29_567
.LBB29_546:
	s_mov_b32 s1, -1
                                        ; implicit-def: $vgpr3
	s_branch .LBB29_555
.LBB29_547:
	s_mov_b32 s1, -1
                                        ; implicit-def: $vgpr3
	s_branch .LBB29_552
.LBB29_548:
	s_mov_b32 s1, -1
                                        ; implicit-def: $vgpr3
.LBB29_549:
	s_andn2_b32 vcc_lo, exec_lo, s1
	s_cbranch_vccnz .LBB29_551
; %bb.550:
	global_load_dword v3, v[1:2], off
	s_waitcnt vmcnt(0)
	v_cvt_f16_f32_e32 v3, v3
.LBB29_551:
	s_mov_b32 s1, 0
.LBB29_552:
	s_andn2_b32 vcc_lo, exec_lo, s1
	s_cbranch_vccnz .LBB29_554
; %bb.553:
	global_load_dword v3, v[1:2], off
.LBB29_554:
	s_mov_b32 s1, 0
.LBB29_555:
	s_andn2_b32 vcc_lo, exec_lo, s1
	s_cbranch_vccnz .LBB29_566
; %bb.556:
	s_cmp_lt_i32 s0, 6
	s_cbranch_scc1 .LBB29_559
; %bb.557:
	s_cmp_gt_i32 s0, 6
	s_cbranch_scc0 .LBB29_560
; %bb.558:
	global_load_dwordx2 v[3:4], v[1:2], off
	s_mov_b32 s1, 0
	s_waitcnt vmcnt(0)
	v_and_or_b32 v3, 0x1ff, v4, v3
	v_lshrrev_b32_e32 v5, 8, v4
	v_bfe_u32 v6, v4, 20, 11
	v_lshrrev_b32_e32 v4, 16, v4
	v_cmp_ne_u32_e32 vcc_lo, 0, v3
	v_sub_nc_u32_e32 v7, 0x3f1, v6
	v_add_nc_u32_e32 v6, 0xfffffc10, v6
	v_cndmask_b32_e64 v3, 0, 1, vcc_lo
	v_and_or_b32 v3, 0xffe, v5, v3
	v_med3_i32 v5, v7, 0, 13
	v_or_b32_e32 v7, 0x1000, v3
	v_lshrrev_b32_e32 v9, v5, v7
	v_lshlrev_b32_e32 v5, v5, v9
	v_cmp_ne_u32_e32 vcc_lo, v5, v7
	v_lshl_or_b32 v7, v6, 12, v3
	v_cndmask_b32_e64 v5, 0, 1, vcc_lo
	v_cmp_gt_i32_e32 vcc_lo, 1, v6
	v_or_b32_e32 v5, v9, v5
	v_cndmask_b32_e32 v5, v7, v5, vcc_lo
	v_and_b32_e32 v7, 7, v5
	v_lshrrev_b32_e32 v5, 2, v5
	v_cmp_lt_i32_e32 vcc_lo, 5, v7
	v_cndmask_b32_e64 v9, 0, 1, vcc_lo
	v_cmp_eq_u32_e32 vcc_lo, 3, v7
	v_cndmask_b32_e64 v7, 0, 1, vcc_lo
	v_cmp_ne_u32_e32 vcc_lo, 0, v3
	v_or_b32_e32 v7, v7, v9
	v_mov_b32_e32 v9, 0x7e00
	v_add_nc_u32_e32 v5, v5, v7
	v_cndmask_b32_e32 v3, 0x7c00, v9, vcc_lo
	v_cmp_gt_i32_e32 vcc_lo, 31, v6
	v_cndmask_b32_e32 v5, 0x7c00, v5, vcc_lo
	v_cmp_eq_u32_e32 vcc_lo, 0x40f, v6
	v_cndmask_b32_e32 v3, v5, v3, vcc_lo
	v_and_or_b32 v3, 0x8000, v4, v3
	s_branch .LBB29_561
.LBB29_559:
	s_mov_b32 s1, -1
                                        ; implicit-def: $vgpr3
	s_branch .LBB29_564
.LBB29_560:
	s_mov_b32 s1, -1
                                        ; implicit-def: $vgpr3
.LBB29_561:
	s_andn2_b32 vcc_lo, exec_lo, s1
	s_cbranch_vccnz .LBB29_563
; %bb.562:
	global_load_dword v3, v[1:2], off
	s_waitcnt vmcnt(0)
	v_cvt_f16_f32_e32 v3, v3
.LBB29_563:
	s_mov_b32 s1, 0
.LBB29_564:
	s_andn2_b32 vcc_lo, exec_lo, s1
	s_cbranch_vccnz .LBB29_566
; %bb.565:
	global_load_ushort v3, v[1:2], off
.LBB29_566:
	s_mov_b32 s1, 0
.LBB29_567:
	s_andn2_b32 vcc_lo, exec_lo, s1
	s_cbranch_vccnz .LBB29_587
; %bb.568:
	s_cmp_lt_i32 s0, 2
	s_cbranch_scc1 .LBB29_572
; %bb.569:
	s_cmp_lt_i32 s0, 3
	s_cbranch_scc1 .LBB29_573
; %bb.570:
	s_cmp_gt_i32 s0, 3
	s_cbranch_scc0 .LBB29_574
; %bb.571:
	global_load_dwordx2 v[3:4], v[1:2], off
	s_mov_b32 s1, 0
	s_waitcnt vmcnt(0)
	v_xor_b32_e32 v5, v3, v4
	v_ffbh_i32_e32 v6, v4
	v_ashrrev_i32_e32 v5, 31, v5
	v_add_nc_u32_e32 v6, -1, v6
	v_add_nc_u32_e32 v5, 32, v5
	v_min_u32_e32 v5, v6, v5
	v_lshlrev_b64 v[3:4], v5, v[3:4]
	v_min_u32_e32 v3, 1, v3
	v_or_b32_e32 v3, v4, v3
	v_sub_nc_u32_e32 v4, 32, v5
	v_cvt_f32_i32_e32 v3, v3
	v_ldexp_f32 v3, v3, v4
	v_cvt_f16_f32_e32 v3, v3
	s_branch .LBB29_575
.LBB29_572:
	s_mov_b32 s1, -1
                                        ; implicit-def: $vgpr3
	s_branch .LBB29_581
.LBB29_573:
	s_mov_b32 s1, -1
                                        ; implicit-def: $vgpr3
	s_branch .LBB29_578
.LBB29_574:
	s_mov_b32 s1, -1
                                        ; implicit-def: $vgpr3
.LBB29_575:
	s_andn2_b32 vcc_lo, exec_lo, s1
	s_cbranch_vccnz .LBB29_577
; %bb.576:
	global_load_dword v3, v[1:2], off
	s_waitcnt vmcnt(0)
	v_cvt_f32_i32_e32 v3, v3
	v_cvt_f16_f32_e32 v3, v3
.LBB29_577:
	s_mov_b32 s1, 0
.LBB29_578:
	s_andn2_b32 vcc_lo, exec_lo, s1
	s_cbranch_vccnz .LBB29_580
; %bb.579:
	global_load_ushort v3, v[1:2], off
	s_waitcnt vmcnt(0)
	v_cvt_f16_i16_e32 v3, v3
.LBB29_580:
	s_mov_b32 s1, 0
.LBB29_581:
	s_andn2_b32 vcc_lo, exec_lo, s1
	s_cbranch_vccnz .LBB29_587
; %bb.582:
	s_cmp_gt_i32 s0, 0
	s_mov_b32 s0, 0
	s_cbranch_scc0 .LBB29_584
; %bb.583:
	global_load_sbyte v3, v[1:2], off
	s_waitcnt vmcnt(0)
	v_cvt_f16_i16_e32 v3, v3
	s_branch .LBB29_585
.LBB29_584:
	s_mov_b32 s0, -1
                                        ; implicit-def: $vgpr3
.LBB29_585:
	s_andn2_b32 vcc_lo, exec_lo, s0
	s_cbranch_vccnz .LBB29_587
; %bb.586:
	global_load_ubyte v1, v[1:2], off
	s_waitcnt vmcnt(0)
	v_cvt_f16_u16_e32 v3, v1
.LBB29_587:
	s_branch .LBB29_318
.LBB29_588:
	s_mov_b32 s1, 0
	s_mov_b32 s0, s36
.LBB29_589:
                                        ; implicit-def: $vgpr8
.LBB29_590:
	s_andn2_b32 s23, s36, exec_lo
	s_and_b32 s0, s0, exec_lo
	s_andn2_b32 s39, s37, exec_lo
	s_and_b32 s22, s22, exec_lo
	s_or_b32 s40, s23, s0
	s_or_b32 s39, s39, s22
	s_orn2_b32 s0, s1, exec_lo
.LBB29_591:
	s_or_b32 exec_lo, exec_lo, s41
	s_mov_b32 s1, 0
	s_mov_b32 s23, 0
	;; [unrolled: 1-line block ×3, first 2 shown]
                                        ; implicit-def: $vgpr1_vgpr2
                                        ; implicit-def: $vgpr0
                                        ; implicit-def: $vgpr4
	s_and_saveexec_b32 s41, s0
	s_cbranch_execz .LBB29_992
; %bb.592:
	s_mov_b32 s44, -1
	s_mov_b32 s22, s39
	s_mov_b32 s23, s40
	s_mov_b32 s42, exec_lo
	v_cmpx_gt_i32_e64 s33, v8
	s_cbranch_execz .LBB29_891
; %bb.593:
	s_andn2_b32 vcc_lo, exec_lo, s27
	s_cbranch_vccnz .LBB29_598
; %bb.594:
	s_andn2_b32 vcc_lo, exec_lo, s34
	s_cbranch_vccnz .LBB29_599
; %bb.595:
	s_add_i32 s44, s35, 1
	s_cmp_eq_u32 s25, 2
	s_cbranch_scc1 .LBB29_600
; %bb.596:
	v_mov_b32_e32 v2, 0
	v_mov_b32_e32 v0, 0
	;; [unrolled: 1-line block ×3, first 2 shown]
	s_and_b32 s43, s44, 28
	s_mov_b32 s45, 0
	s_mov_b64 s[0:1], s[2:3]
	s_mov_b64 s[22:23], s[20:21]
.LBB29_597:                             ; =>This Inner Loop Header: Depth=1
	s_clause 0x1
	s_load_dwordx8 s[48:55], s[0:1], 0x4
	s_load_dwordx4 s[64:67], s[0:1], 0x24
	s_load_dwordx8 s[56:63], s[22:23], 0x0
	s_add_u32 s0, s0, 48
	s_addc_u32 s1, s1, 0
	s_add_i32 s45, s45, 4
	s_add_u32 s22, s22, 32
	s_addc_u32 s23, s23, 0
	s_cmp_eq_u32 s43, s45
	s_waitcnt vmcnt(0) lgkmcnt(0)
	v_mul_hi_u32 v3, s49, v1
	v_add_nc_u32_e32 v3, v1, v3
	v_lshrrev_b32_e32 v3, s50, v3
	v_mul_hi_u32 v4, s52, v3
	v_mul_lo_u32 v6, v3, s48
	v_add_nc_u32_e32 v4, v3, v4
	v_sub_nc_u32_e32 v1, v1, v6
	v_lshrrev_b32_e32 v4, s53, v4
	v_mul_lo_u32 v6, v1, s56
	v_mul_lo_u32 v9, v1, s57
	v_mul_hi_u32 v5, s55, v4
	v_add_nc_u32_e32 v5, v4, v5
	v_lshrrev_b32_e32 v5, s64, v5
	v_mul_hi_u32 v7, s66, v5
	v_mul_lo_u32 v10, v5, s54
	v_add_nc_u32_e32 v1, v5, v7
	v_mul_lo_u32 v7, v4, s51
	v_sub_nc_u32_e32 v4, v4, v10
	v_lshrrev_b32_e32 v1, s67, v1
	v_mul_lo_u32 v10, v4, s60
	v_mul_lo_u32 v4, v4, s61
	v_sub_nc_u32_e32 v3, v3, v7
	v_mul_lo_u32 v11, v1, s65
	v_mul_lo_u32 v7, v3, s58
	;; [unrolled: 1-line block ×3, first 2 shown]
	v_sub_nc_u32_e32 v5, v5, v11
	v_add3_u32 v0, v6, v0, v7
	v_mul_lo_u32 v11, v5, s62
	v_mul_lo_u32 v5, v5, s63
	v_add3_u32 v2, v9, v2, v3
	v_add3_u32 v0, v10, v0, v11
	;; [unrolled: 1-line block ×3, first 2 shown]
	s_cbranch_scc0 .LBB29_597
	s_branch .LBB29_601
.LBB29_598:
	s_mov_b32 s0, -1
                                        ; implicit-def: $vgpr0
                                        ; implicit-def: $vgpr2
	s_branch .LBB29_605
.LBB29_599:
	v_mov_b32_e32 v0, 0
	v_mov_b32_e32 v2, 0
	s_branch .LBB29_604
.LBB29_600:
	v_mov_b32_e32 v0, 0
	v_mov_b32_e32 v2, 0
	;; [unrolled: 1-line block ×3, first 2 shown]
	s_mov_b32 s43, 0
.LBB29_601:
	s_and_b32 s44, s44, 3
	s_cmp_eq_u32 s44, 0
	s_cbranch_scc1 .LBB29_604
; %bb.602:
	s_lshl_b32 s0, s43, 3
	s_mul_i32 s22, s43, 12
	s_add_u32 s0, s2, s0
	s_addc_u32 s1, s3, 0
	s_add_u32 s0, s0, 0xc4
	s_addc_u32 s1, s1, 0
	;; [unrolled: 2-line block ×3, first 2 shown]
	.p2align	6
.LBB29_603:                             ; =>This Inner Loop Header: Depth=1
	s_clause 0x1
	s_load_dwordx2 s[46:47], s[22:23], 0x4
	s_load_dword s43, s[22:23], 0xc
	s_load_dwordx2 s[48:49], s[0:1], 0x0
	s_add_u32 s22, s22, 12
	s_addc_u32 s23, s23, 0
	s_add_u32 s0, s0, 8
	s_addc_u32 s1, s1, 0
	s_add_i32 s44, s44, -1
	s_cmp_lg_u32 s44, 0
	s_waitcnt vmcnt(0) lgkmcnt(0)
	v_mul_hi_u32 v3, s47, v1
	v_add_nc_u32_e32 v3, v1, v3
	v_lshrrev_b32_e32 v4, s43, v3
	v_mul_lo_u32 v3, v4, s46
	v_sub_nc_u32_e32 v3, v1, v3
	v_mad_u64_u32 v[0:1], null, v3, s48, v[0:1]
	v_mad_u64_u32 v[2:3], null, v3, s49, v[2:3]
	v_mov_b32_e32 v1, v4
	s_cbranch_scc1 .LBB29_603
.LBB29_604:
	s_mov_b32 s0, 0
.LBB29_605:
	s_andn2_b32 vcc_lo, exec_lo, s0
	s_cbranch_vccnz .LBB29_608
; %bb.606:
	s_waitcnt lgkmcnt(0)
	v_mul_hi_u32 v0, s17, v8
	s_andn2_b32 vcc_lo, exec_lo, s31
	v_add_nc_u32_e32 v0, v8, v0
	v_lshrrev_b32_e32 v1, s18, v0
	v_mul_lo_u32 v0, v1, s16
	v_sub_nc_u32_e32 v2, v8, v0
	v_mul_lo_u32 v0, v2, s12
	v_mul_lo_u32 v2, v2, s13
	s_cbranch_vccnz .LBB29_608
; %bb.607:
	s_waitcnt vmcnt(0)
	v_mul_hi_u32 v3, s6, v1
	v_add_nc_u32_e32 v3, v1, v3
	v_lshrrev_b32_e32 v3, s7, v3
	v_mul_lo_u32 v3, v3, s19
	v_sub_nc_u32_e32 v3, v1, v3
	v_mad_u64_u32 v[0:1], null, v3, s14, v[0:1]
	v_mad_u64_u32 v[2:3], null, v3, s15, v[2:3]
.LBB29_608:
	s_waitcnt lgkmcnt(0)
	v_add_co_u32 v1, s0, s10, v2
	v_add_co_ci_u32_e64 v2, null, s11, 0, s0
	s_and_b32 s0, 0xffff, s30
	s_cmp_lt_i32 s0, 11
	s_cbranch_scc1 .LBB29_615
; %bb.609:
	s_cmp_gt_i32 s0, 25
	s_cbranch_scc0 .LBB29_616
; %bb.610:
	s_cmp_gt_i32 s0, 28
	s_cbranch_scc0 .LBB29_617
	;; [unrolled: 3-line block ×4, first 2 shown]
; %bb.613:
	s_cmp_eq_u32 s0, 46
	s_mov_b32 s23, 0
	s_cbranch_scc0 .LBB29_624
; %bb.614:
	global_load_dword v3, v[1:2], off
	s_mov_b32 s1, -1
	s_mov_b32 s22, 0
	s_waitcnt vmcnt(0)
	v_lshlrev_b32_e32 v3, 16, v3
	v_cvt_f16_f32_e32 v3, v3
	s_branch .LBB29_626
.LBB29_615:
	s_mov_b32 s23, -1
	s_mov_b32 s1, 0
	s_mov_b32 s22, s39
                                        ; implicit-def: $vgpr3
	s_branch .LBB29_691
.LBB29_616:
	s_mov_b32 s23, -1
	s_mov_b32 s1, 0
	s_mov_b32 s22, s39
                                        ; implicit-def: $vgpr3
	s_branch .LBB29_655
.LBB29_617:
	s_mov_b32 s23, -1
	s_mov_b32 s1, 0
	s_mov_b32 s22, s39
                                        ; implicit-def: $vgpr3
	s_branch .LBB29_636
.LBB29_618:
	s_mov_b32 s23, -1
	s_mov_b32 s1, 0
	s_mov_b32 s22, s39
                                        ; implicit-def: $vgpr3
	s_branch .LBB29_631
.LBB29_619:
	s_andn2_saveexec_b32 s42, s42
	s_cbranch_execz .LBB29_388
.LBB29_620:
	v_add_f32_e64 v4, 0x46000000, |v3|
	s_andn2_b32 s40, s40, exec_lo
	v_and_b32_e32 v4, 0xff, v4
	v_cmp_ne_u32_e32 vcc_lo, 0, v4
	s_and_b32 s43, vcc_lo, exec_lo
	s_or_b32 s40, s40, s43
	s_or_b32 exec_lo, exec_lo, s42
	v_mov_b32_e32 v5, 0
	s_and_saveexec_b32 s42, s40
	s_cbranch_execnz .LBB29_389
	s_branch .LBB29_390
.LBB29_621:
	s_mov_b32 s23, -1
	s_mov_b32 s1, 0
	s_mov_b32 s22, s39
	s_branch .LBB29_625
.LBB29_622:
	s_andn2_saveexec_b32 s42, s42
	s_cbranch_execz .LBB29_401
.LBB29_623:
	v_add_f32_e64 v4, 0x42800000, |v3|
	s_andn2_b32 s40, s40, exec_lo
	v_and_b32_e32 v4, 0xff, v4
	v_cmp_ne_u32_e32 vcc_lo, 0, v4
	s_and_b32 s43, vcc_lo, exec_lo
	s_or_b32 s40, s40, s43
	s_or_b32 exec_lo, exec_lo, s42
	v_mov_b32_e32 v5, 0
	s_and_saveexec_b32 s42, s40
	s_cbranch_execnz .LBB29_402
	s_branch .LBB29_403
.LBB29_624:
	s_mov_b32 s22, -1
	s_mov_b32 s1, 0
.LBB29_625:
                                        ; implicit-def: $vgpr3
.LBB29_626:
	s_and_b32 vcc_lo, exec_lo, s23
	s_cbranch_vccz .LBB29_630
; %bb.627:
	s_cmp_eq_u32 s0, 44
	s_cbranch_scc0 .LBB29_629
; %bb.628:
	global_load_ubyte v3, v[1:2], off
	s_mov_b32 s22, 0
	s_mov_b32 s1, -1
	s_waitcnt vmcnt(0)
	v_lshlrev_b32_e32 v4, 23, v3
	v_cmp_ne_u32_e32 vcc_lo, 0xff, v3
	v_cvt_f16_f32_e32 v4, v4
	v_cndmask_b32_e32 v4, 0x7e00, v4, vcc_lo
	v_cmp_ne_u32_e32 vcc_lo, 0, v3
	v_cndmask_b32_e32 v3, 0, v4, vcc_lo
	s_branch .LBB29_630
.LBB29_629:
	s_mov_b32 s22, -1
                                        ; implicit-def: $vgpr3
.LBB29_630:
	s_mov_b32 s23, 0
.LBB29_631:
	s_and_b32 vcc_lo, exec_lo, s23
	s_cbranch_vccz .LBB29_635
; %bb.632:
	s_cmp_eq_u32 s0, 29
	s_cbranch_scc0 .LBB29_634
; %bb.633:
	global_load_dwordx2 v[3:4], v[1:2], off
	s_mov_b32 s1, -1
	s_mov_b32 s22, 0
	s_mov_b32 s23, 0
	s_waitcnt vmcnt(0)
	v_ffbh_u32_e32 v5, v4
	v_min_u32_e32 v5, 32, v5
	v_lshlrev_b64 v[3:4], v5, v[3:4]
	v_min_u32_e32 v3, 1, v3
	v_or_b32_e32 v3, v4, v3
	v_sub_nc_u32_e32 v4, 32, v5
	v_cvt_f32_u32_e32 v3, v3
	v_ldexp_f32 v3, v3, v4
	v_cvt_f16_f32_e32 v3, v3
	s_branch .LBB29_636
.LBB29_634:
	s_mov_b32 s22, -1
                                        ; implicit-def: $vgpr3
.LBB29_635:
	s_mov_b32 s23, 0
.LBB29_636:
	s_and_b32 vcc_lo, exec_lo, s23
	s_cbranch_vccz .LBB29_654
; %bb.637:
	s_cmp_lt_i32 s0, 27
	s_cbranch_scc1 .LBB29_640
; %bb.638:
	s_cmp_gt_i32 s0, 27
	s_cbranch_scc0 .LBB29_641
; %bb.639:
	global_load_dword v3, v[1:2], off
	s_mov_b32 s1, 0
	s_waitcnt vmcnt(0)
	v_cvt_f32_u32_e32 v3, v3
	v_cvt_f16_f32_e32 v3, v3
	s_branch .LBB29_642
.LBB29_640:
	s_mov_b32 s1, -1
                                        ; implicit-def: $vgpr3
	s_branch .LBB29_645
.LBB29_641:
	s_mov_b32 s1, -1
                                        ; implicit-def: $vgpr3
.LBB29_642:
	s_andn2_b32 vcc_lo, exec_lo, s1
	s_cbranch_vccnz .LBB29_644
; %bb.643:
	global_load_ushort v3, v[1:2], off
	s_waitcnt vmcnt(0)
	v_cvt_f16_u16_e32 v3, v3
.LBB29_644:
	s_mov_b32 s1, 0
.LBB29_645:
	s_andn2_b32 vcc_lo, exec_lo, s1
	s_cbranch_vccnz .LBB29_653
; %bb.646:
	global_load_ubyte v4, v[1:2], off
	s_mov_b32 s1, 0
	s_mov_b32 s23, exec_lo
	s_waitcnt vmcnt(0)
	v_cmpx_lt_i16_e32 0x7f, v4
	s_xor_b32 s23, exec_lo, s23
	s_cbranch_execz .LBB29_667
; %bb.647:
	s_mov_b32 s1, -1
	s_mov_b32 s43, exec_lo
	v_cmpx_eq_u16_e32 0x80, v4
; %bb.648:
	s_xor_b32 s1, exec_lo, -1
; %bb.649:
	s_or_b32 exec_lo, exec_lo, s43
	s_and_b32 s1, s1, exec_lo
	s_or_saveexec_b32 s23, s23
	v_mov_b32_e32 v3, 0x7e00
	s_xor_b32 exec_lo, exec_lo, s23
	s_cbranch_execnz .LBB29_668
.LBB29_650:
	s_or_b32 exec_lo, exec_lo, s23
	s_and_saveexec_b32 s23, s1
	s_cbranch_execz .LBB29_652
.LBB29_651:
	v_and_b32_e32 v3, 0xffff, v4
	v_lshlrev_b32_e32 v4, 24, v4
	v_and_b32_e32 v5, 7, v3
	v_bfe_u32 v9, v3, 3, 4
	v_and_b32_e32 v4, 0x80000000, v4
	v_ffbh_u32_e32 v6, v5
	v_cmp_eq_u32_e32 vcc_lo, 0, v9
	v_min_u32_e32 v6, 32, v6
	v_subrev_nc_u32_e32 v7, 28, v6
	v_sub_nc_u32_e32 v6, 29, v6
	v_lshlrev_b32_e32 v3, v7, v3
	v_cndmask_b32_e32 v6, v9, v6, vcc_lo
	v_and_b32_e32 v3, 7, v3
	v_cndmask_b32_e32 v3, v5, v3, vcc_lo
	v_lshl_add_u32 v5, v6, 23, 0x3b800000
	v_lshlrev_b32_e32 v3, 20, v3
	v_or3_b32 v3, v4, v5, v3
	v_cvt_f16_f32_e32 v3, v3
.LBB29_652:
	s_or_b32 exec_lo, exec_lo, s23
.LBB29_653:
	s_mov_b32 s1, -1
.LBB29_654:
	s_mov_b32 s23, 0
.LBB29_655:
	s_and_b32 vcc_lo, exec_lo, s23
	s_cbranch_vccz .LBB29_690
; %bb.656:
	s_cmp_gt_i32 s0, 22
	s_cbranch_scc0 .LBB29_666
; %bb.657:
	s_cmp_lt_i32 s0, 24
	s_cbranch_scc1 .LBB29_669
; %bb.658:
	s_cmp_gt_i32 s0, 24
	s_cbranch_scc0 .LBB29_670
; %bb.659:
	global_load_ubyte v4, v[1:2], off
	s_mov_b32 s1, 0
	s_mov_b32 s23, exec_lo
	s_waitcnt vmcnt(0)
	v_cmpx_lt_i16_e32 0x7f, v4
	s_xor_b32 s23, exec_lo, s23
	s_cbranch_execz .LBB29_682
; %bb.660:
	s_mov_b32 s1, -1
	s_mov_b32 s43, exec_lo
	v_cmpx_eq_u16_e32 0x80, v4
; %bb.661:
	s_xor_b32 s1, exec_lo, -1
; %bb.662:
	s_or_b32 exec_lo, exec_lo, s43
	s_and_b32 s1, s1, exec_lo
	s_or_saveexec_b32 s23, s23
	v_mov_b32_e32 v3, 0x7e00
	s_xor_b32 exec_lo, exec_lo, s23
	s_cbranch_execnz .LBB29_683
.LBB29_663:
	s_or_b32 exec_lo, exec_lo, s23
	s_and_saveexec_b32 s23, s1
	s_cbranch_execz .LBB29_665
.LBB29_664:
	v_and_b32_e32 v3, 0xffff, v4
	v_lshlrev_b32_e32 v4, 24, v4
	v_and_b32_e32 v5, 3, v3
	v_bfe_u32 v9, v3, 2, 5
	v_and_b32_e32 v4, 0x80000000, v4
	v_ffbh_u32_e32 v6, v5
	v_cmp_eq_u32_e32 vcc_lo, 0, v9
	v_min_u32_e32 v6, 32, v6
	v_subrev_nc_u32_e32 v7, 29, v6
	v_sub_nc_u32_e32 v6, 30, v6
	v_lshlrev_b32_e32 v3, v7, v3
	v_cndmask_b32_e32 v6, v9, v6, vcc_lo
	v_and_b32_e32 v3, 3, v3
	v_cndmask_b32_e32 v3, v5, v3, vcc_lo
	v_lshl_add_u32 v5, v6, 23, 0x37800000
	v_lshlrev_b32_e32 v3, 21, v3
	v_or3_b32 v3, v4, v5, v3
	v_cvt_f16_f32_e32 v3, v3
.LBB29_665:
	s_or_b32 exec_lo, exec_lo, s23
	s_mov_b32 s1, 0
	s_branch .LBB29_671
.LBB29_666:
	s_mov_b32 s23, -1
                                        ; implicit-def: $vgpr3
	s_branch .LBB29_677
.LBB29_667:
	s_or_saveexec_b32 s23, s23
	v_mov_b32_e32 v3, 0x7e00
	s_xor_b32 exec_lo, exec_lo, s23
	s_cbranch_execz .LBB29_650
.LBB29_668:
	v_cmp_ne_u16_e32 vcc_lo, 0, v4
	v_mov_b32_e32 v3, v4
	s_andn2_b32 s1, s1, exec_lo
	s_and_b32 s43, vcc_lo, exec_lo
	s_or_b32 s1, s1, s43
	s_or_b32 exec_lo, exec_lo, s23
	s_and_saveexec_b32 s23, s1
	s_cbranch_execnz .LBB29_651
	s_branch .LBB29_652
.LBB29_669:
	s_mov_b32 s1, -1
                                        ; implicit-def: $vgpr3
	s_branch .LBB29_674
.LBB29_670:
	s_mov_b32 s1, -1
                                        ; implicit-def: $vgpr3
.LBB29_671:
	s_and_b32 vcc_lo, exec_lo, s1
	s_cbranch_vccz .LBB29_673
; %bb.672:
	global_load_ubyte v3, v[1:2], off
	s_waitcnt vmcnt(0)
	v_lshlrev_b32_e32 v3, 24, v3
	v_and_b32_e32 v4, 0x7f000000, v3
	v_ffbh_u32_e32 v5, v4
	v_add_nc_u32_e32 v7, 0x1000000, v4
	v_cmp_ne_u32_e32 vcc_lo, 0, v4
	v_min_u32_e32 v5, 32, v5
	v_sub_nc_u32_e64 v5, v5, 4 clamp
	v_lshlrev_b32_e32 v6, v5, v4
	v_lshlrev_b32_e32 v5, 23, v5
	v_lshrrev_b32_e32 v6, 4, v6
	v_sub_nc_u32_e32 v5, v6, v5
	v_ashrrev_i32_e32 v6, 8, v7
	v_add_nc_u32_e32 v5, 0x3c000000, v5
	v_and_or_b32 v5, 0x7f800000, v6, v5
	v_cndmask_b32_e32 v4, 0, v5, vcc_lo
	v_and_or_b32 v3, 0x80000000, v3, v4
	v_cvt_f16_f32_e32 v3, v3
.LBB29_673:
	s_mov_b32 s1, 0
.LBB29_674:
	s_andn2_b32 vcc_lo, exec_lo, s1
	s_cbranch_vccnz .LBB29_676
; %bb.675:
	global_load_ubyte v3, v[1:2], off
	s_waitcnt vmcnt(0)
	v_lshlrev_b32_e32 v4, 25, v3
	v_lshlrev_b16 v3, 8, v3
	v_lshrrev_b32_e32 v5, 4, v4
	v_and_or_b32 v6, 0x7f00, v3, 0.5
	v_cmp_gt_u32_e32 vcc_lo, 0x8000000, v4
	v_bfe_i32 v3, v3, 0, 16
	v_or_b32_e32 v5, 0x70000000, v5
	v_add_f32_e32 v6, -0.5, v6
	v_mul_f32_e32 v5, 0x7800000, v5
	v_cndmask_b32_e32 v4, v5, v6, vcc_lo
	v_and_or_b32 v3, 0x80000000, v3, v4
	v_cvt_f16_f32_e32 v3, v3
.LBB29_676:
	s_mov_b32 s23, 0
	s_mov_b32 s1, -1
.LBB29_677:
	s_andn2_b32 vcc_lo, exec_lo, s23
	s_cbranch_vccnz .LBB29_690
; %bb.678:
	s_cmp_gt_i32 s0, 14
	s_cbranch_scc0 .LBB29_681
; %bb.679:
	s_cmp_eq_u32 s0, 15
	s_cbranch_scc0 .LBB29_684
; %bb.680:
	global_load_ushort v3, v[1:2], off
	s_mov_b32 s1, -1
	s_mov_b32 s22, 0
	s_waitcnt vmcnt(0)
	v_lshlrev_b32_e32 v3, 16, v3
	v_cvt_f16_f32_e32 v3, v3
	s_branch .LBB29_685
.LBB29_681:
	s_mov_b32 s23, -1
                                        ; implicit-def: $vgpr3
	s_branch .LBB29_686
.LBB29_682:
	s_or_saveexec_b32 s23, s23
	v_mov_b32_e32 v3, 0x7e00
	s_xor_b32 exec_lo, exec_lo, s23
	s_cbranch_execz .LBB29_663
.LBB29_683:
	v_cmp_ne_u16_e32 vcc_lo, 0, v4
	v_mov_b32_e32 v3, v4
	s_andn2_b32 s1, s1, exec_lo
	s_and_b32 s43, vcc_lo, exec_lo
	s_or_b32 s1, s1, s43
	s_or_b32 exec_lo, exec_lo, s23
	s_and_saveexec_b32 s23, s1
	s_cbranch_execnz .LBB29_664
	s_branch .LBB29_665
.LBB29_684:
	s_mov_b32 s22, -1
                                        ; implicit-def: $vgpr3
.LBB29_685:
	s_mov_b32 s23, 0
.LBB29_686:
	s_and_b32 vcc_lo, exec_lo, s23
	s_cbranch_vccz .LBB29_690
; %bb.687:
	s_cmp_eq_u32 s0, 11
	s_cbranch_scc0 .LBB29_689
; %bb.688:
	global_load_ubyte v3, v[1:2], off
	s_mov_b32 s22, 0
	s_mov_b32 s1, -1
	s_waitcnt vmcnt(0)
	v_cmp_ne_u16_e32 vcc_lo, 0, v3
	v_cndmask_b32_e64 v3, 0, 0x3c00, vcc_lo
	s_branch .LBB29_690
.LBB29_689:
	s_mov_b32 s22, -1
                                        ; implicit-def: $vgpr3
.LBB29_690:
	s_mov_b32 s23, 0
.LBB29_691:
	s_and_b32 vcc_lo, exec_lo, s23
	s_cbranch_vccz .LBB29_740
; %bb.692:
	s_cmp_lt_i32 s0, 5
	s_cbranch_scc1 .LBB29_697
; %bb.693:
	s_cmp_lt_i32 s0, 8
	s_cbranch_scc1 .LBB29_698
	;; [unrolled: 3-line block ×3, first 2 shown]
; %bb.695:
	s_cmp_gt_i32 s0, 9
	s_cbranch_scc0 .LBB29_700
; %bb.696:
	global_load_dwordx2 v[3:4], v[1:2], off
	s_mov_b32 s1, 0
	s_waitcnt vmcnt(0)
	v_and_or_b32 v3, 0x1ff, v4, v3
	v_lshrrev_b32_e32 v5, 8, v4
	v_bfe_u32 v6, v4, 20, 11
	v_lshrrev_b32_e32 v4, 16, v4
	v_cmp_ne_u32_e32 vcc_lo, 0, v3
	v_sub_nc_u32_e32 v7, 0x3f1, v6
	v_add_nc_u32_e32 v6, 0xfffffc10, v6
	v_cndmask_b32_e64 v3, 0, 1, vcc_lo
	v_and_or_b32 v3, 0xffe, v5, v3
	v_med3_i32 v5, v7, 0, 13
	v_or_b32_e32 v7, 0x1000, v3
	v_lshrrev_b32_e32 v9, v5, v7
	v_lshlrev_b32_e32 v5, v5, v9
	v_cmp_ne_u32_e32 vcc_lo, v5, v7
	v_lshl_or_b32 v7, v6, 12, v3
	v_cndmask_b32_e64 v5, 0, 1, vcc_lo
	v_cmp_gt_i32_e32 vcc_lo, 1, v6
	v_or_b32_e32 v5, v9, v5
	v_cndmask_b32_e32 v5, v7, v5, vcc_lo
	v_and_b32_e32 v7, 7, v5
	v_lshrrev_b32_e32 v5, 2, v5
	v_cmp_lt_i32_e32 vcc_lo, 5, v7
	v_cndmask_b32_e64 v9, 0, 1, vcc_lo
	v_cmp_eq_u32_e32 vcc_lo, 3, v7
	v_cndmask_b32_e64 v7, 0, 1, vcc_lo
	v_cmp_ne_u32_e32 vcc_lo, 0, v3
	v_or_b32_e32 v7, v7, v9
	v_mov_b32_e32 v9, 0x7e00
	v_add_nc_u32_e32 v5, v5, v7
	v_cndmask_b32_e32 v3, 0x7c00, v9, vcc_lo
	v_cmp_gt_i32_e32 vcc_lo, 31, v6
	v_cndmask_b32_e32 v5, 0x7c00, v5, vcc_lo
	v_cmp_eq_u32_e32 vcc_lo, 0x40f, v6
	v_cndmask_b32_e32 v3, v5, v3, vcc_lo
	v_and_or_b32 v3, 0x8000, v4, v3
	s_branch .LBB29_701
.LBB29_697:
	s_mov_b32 s1, -1
                                        ; implicit-def: $vgpr3
	s_branch .LBB29_719
.LBB29_698:
	s_mov_b32 s1, -1
                                        ; implicit-def: $vgpr3
	s_branch .LBB29_707
.LBB29_699:
	s_mov_b32 s1, -1
                                        ; implicit-def: $vgpr3
	s_branch .LBB29_704
.LBB29_700:
	s_mov_b32 s1, -1
                                        ; implicit-def: $vgpr3
.LBB29_701:
	s_andn2_b32 vcc_lo, exec_lo, s1
	s_cbranch_vccnz .LBB29_703
; %bb.702:
	global_load_dword v3, v[1:2], off
	s_waitcnt vmcnt(0)
	v_cvt_f16_f32_e32 v3, v3
.LBB29_703:
	s_mov_b32 s1, 0
.LBB29_704:
	s_andn2_b32 vcc_lo, exec_lo, s1
	s_cbranch_vccnz .LBB29_706
; %bb.705:
	global_load_dword v3, v[1:2], off
.LBB29_706:
	s_mov_b32 s1, 0
.LBB29_707:
	s_andn2_b32 vcc_lo, exec_lo, s1
	s_cbranch_vccnz .LBB29_718
; %bb.708:
	s_cmp_lt_i32 s0, 6
	s_cbranch_scc1 .LBB29_711
; %bb.709:
	s_cmp_gt_i32 s0, 6
	s_cbranch_scc0 .LBB29_712
; %bb.710:
	global_load_dwordx2 v[3:4], v[1:2], off
	s_mov_b32 s1, 0
	s_waitcnt vmcnt(0)
	v_and_or_b32 v3, 0x1ff, v4, v3
	v_lshrrev_b32_e32 v5, 8, v4
	v_bfe_u32 v6, v4, 20, 11
	v_lshrrev_b32_e32 v4, 16, v4
	v_cmp_ne_u32_e32 vcc_lo, 0, v3
	v_sub_nc_u32_e32 v7, 0x3f1, v6
	v_add_nc_u32_e32 v6, 0xfffffc10, v6
	v_cndmask_b32_e64 v3, 0, 1, vcc_lo
	v_and_or_b32 v3, 0xffe, v5, v3
	v_med3_i32 v5, v7, 0, 13
	v_or_b32_e32 v7, 0x1000, v3
	v_lshrrev_b32_e32 v9, v5, v7
	v_lshlrev_b32_e32 v5, v5, v9
	v_cmp_ne_u32_e32 vcc_lo, v5, v7
	v_lshl_or_b32 v7, v6, 12, v3
	v_cndmask_b32_e64 v5, 0, 1, vcc_lo
	v_cmp_gt_i32_e32 vcc_lo, 1, v6
	v_or_b32_e32 v5, v9, v5
	v_cndmask_b32_e32 v5, v7, v5, vcc_lo
	v_and_b32_e32 v7, 7, v5
	v_lshrrev_b32_e32 v5, 2, v5
	v_cmp_lt_i32_e32 vcc_lo, 5, v7
	v_cndmask_b32_e64 v9, 0, 1, vcc_lo
	v_cmp_eq_u32_e32 vcc_lo, 3, v7
	v_cndmask_b32_e64 v7, 0, 1, vcc_lo
	v_cmp_ne_u32_e32 vcc_lo, 0, v3
	v_or_b32_e32 v7, v7, v9
	v_mov_b32_e32 v9, 0x7e00
	v_add_nc_u32_e32 v5, v5, v7
	v_cndmask_b32_e32 v3, 0x7c00, v9, vcc_lo
	v_cmp_gt_i32_e32 vcc_lo, 31, v6
	v_cndmask_b32_e32 v5, 0x7c00, v5, vcc_lo
	v_cmp_eq_u32_e32 vcc_lo, 0x40f, v6
	v_cndmask_b32_e32 v3, v5, v3, vcc_lo
	v_and_or_b32 v3, 0x8000, v4, v3
	s_branch .LBB29_713
.LBB29_711:
	s_mov_b32 s1, -1
                                        ; implicit-def: $vgpr3
	s_branch .LBB29_716
.LBB29_712:
	s_mov_b32 s1, -1
                                        ; implicit-def: $vgpr3
.LBB29_713:
	s_andn2_b32 vcc_lo, exec_lo, s1
	s_cbranch_vccnz .LBB29_715
; %bb.714:
	global_load_dword v3, v[1:2], off
	s_waitcnt vmcnt(0)
	v_cvt_f16_f32_e32 v3, v3
.LBB29_715:
	s_mov_b32 s1, 0
.LBB29_716:
	s_andn2_b32 vcc_lo, exec_lo, s1
	s_cbranch_vccnz .LBB29_718
; %bb.717:
	global_load_ushort v3, v[1:2], off
.LBB29_718:
	s_mov_b32 s1, 0
.LBB29_719:
	s_andn2_b32 vcc_lo, exec_lo, s1
	s_cbranch_vccnz .LBB29_739
; %bb.720:
	s_cmp_lt_i32 s0, 2
	s_cbranch_scc1 .LBB29_724
; %bb.721:
	s_cmp_lt_i32 s0, 3
	s_cbranch_scc1 .LBB29_725
; %bb.722:
	s_cmp_gt_i32 s0, 3
	s_cbranch_scc0 .LBB29_726
; %bb.723:
	global_load_dwordx2 v[3:4], v[1:2], off
	s_mov_b32 s1, 0
	s_waitcnt vmcnt(0)
	v_xor_b32_e32 v5, v3, v4
	v_ffbh_i32_e32 v6, v4
	v_ashrrev_i32_e32 v5, 31, v5
	v_add_nc_u32_e32 v6, -1, v6
	v_add_nc_u32_e32 v5, 32, v5
	v_min_u32_e32 v5, v6, v5
	v_lshlrev_b64 v[3:4], v5, v[3:4]
	v_min_u32_e32 v3, 1, v3
	v_or_b32_e32 v3, v4, v3
	v_sub_nc_u32_e32 v4, 32, v5
	v_cvt_f32_i32_e32 v3, v3
	v_ldexp_f32 v3, v3, v4
	v_cvt_f16_f32_e32 v3, v3
	s_branch .LBB29_727
.LBB29_724:
	s_mov_b32 s1, -1
                                        ; implicit-def: $vgpr3
	s_branch .LBB29_733
.LBB29_725:
	s_mov_b32 s1, -1
                                        ; implicit-def: $vgpr3
	s_branch .LBB29_730
.LBB29_726:
	s_mov_b32 s1, -1
                                        ; implicit-def: $vgpr3
.LBB29_727:
	s_andn2_b32 vcc_lo, exec_lo, s1
	s_cbranch_vccnz .LBB29_729
; %bb.728:
	global_load_dword v3, v[1:2], off
	s_waitcnt vmcnt(0)
	v_cvt_f32_i32_e32 v3, v3
	v_cvt_f16_f32_e32 v3, v3
.LBB29_729:
	s_mov_b32 s1, 0
.LBB29_730:
	s_andn2_b32 vcc_lo, exec_lo, s1
	s_cbranch_vccnz .LBB29_732
; %bb.731:
	global_load_ushort v3, v[1:2], off
	s_waitcnt vmcnt(0)
	v_cvt_f16_i16_e32 v3, v3
.LBB29_732:
	s_mov_b32 s1, 0
.LBB29_733:
	s_andn2_b32 vcc_lo, exec_lo, s1
	s_cbranch_vccnz .LBB29_739
; %bb.734:
	s_cmp_gt_i32 s0, 0
	s_mov_b32 s0, 0
	s_cbranch_scc0 .LBB29_736
; %bb.735:
	global_load_sbyte v3, v[1:2], off
	s_waitcnt vmcnt(0)
	v_cvt_f16_i16_e32 v3, v3
	s_branch .LBB29_737
.LBB29_736:
	s_mov_b32 s0, -1
                                        ; implicit-def: $vgpr3
.LBB29_737:
	s_andn2_b32 vcc_lo, exec_lo, s0
	s_cbranch_vccnz .LBB29_739
; %bb.738:
	global_load_ubyte v1, v[1:2], off
	s_waitcnt vmcnt(0)
	v_cvt_f16_u16_e32 v3, v1
.LBB29_739:
	s_mov_b32 s1, -1
.LBB29_740:
	s_andn2_b32 vcc_lo, exec_lo, s1
	s_cbranch_vccnz .LBB29_772
; %bb.741:
	s_waitcnt vmcnt(0)
	v_cvt_f32_f16_e32 v7, v3
                                        ; implicit-def: $vgpr2
	s_mov_b32 s0, exec_lo
	v_cmpx_neq_f16_e32 0, v3
	s_xor_b32 s23, exec_lo, s0
	s_cbranch_execz .LBB29_763
; %bb.742:
	v_mov_b32_e32 v1, 0
	s_mov_b32 s0, -1
	s_mov_b32 s43, exec_lo
	v_cmpx_gt_f16_e32 0, v3
	s_cbranch_execz .LBB29_750
; %bb.743:
	v_trunc_f32_e32 v1, v7
	s_mov_b32 s1, 0
	v_cmp_neq_f32_e32 vcc_lo, v1, v7
	v_mov_b32_e32 v1, 0
	s_and_saveexec_b32 s44, vcc_lo
	s_cbranch_execz .LBB29_749
; %bb.744:
	v_cvt_f32_f16_e32 v1, v3
	s_mov_b32 s1, 0xc00921fb
	s_mov_b32 s0, 0x54442d18
	s_mov_b32 s45, exec_lo
                                        ; implicit-def: $vgpr9
                                        ; implicit-def: $vgpr5_vgpr6
	v_cvt_f64_f32_e32 v[1:2], v1
	v_trunc_f64_e32 v[3:4], v[1:2]
	v_cmp_neq_f64_e64 vcc_lo, 0x7ff00000, |v[1:2]|
	v_add_f64 v[3:4], v[1:2], -v[3:4]
	v_mul_f64 v[3:4], |v[3:4]|, s[0:1]
	v_cndmask_b32_e32 v2, 0x80000000, v4, vcc_lo
	v_cndmask_b32_e32 v1, 0, v3, vcc_lo
                                        ; implicit-def: $vgpr3_vgpr4
	v_cmpx_ngt_f64_e64 0x41d00000, |v[1:2]|
	s_xor_b32 s45, exec_lo, s45
	s_cbranch_execz .LBB29_746
; %bb.745:
	v_ldexp_f64 v[3:4], |v[1:2]|, 0xffffff80
	v_cmp_le_f64_e64 vcc_lo, 0x7b000000, |v[1:2]|
	v_trig_preop_f64 v[5:6], |v[1:2]|, 0
	v_and_b32_e32 v9, 0x7fffffff, v2
	v_trig_preop_f64 v[19:20], |v[1:2]|, 2
	v_mov_b32_e32 v27, 0
	s_mov_b32 s1, 0x3ff921fb
	s_mov_b32 s46, 0x33145c07
	;; [unrolled: 1-line block ×3, first 2 shown]
	v_cndmask_b32_e32 v4, v9, v4, vcc_lo
	v_cndmask_b32_e32 v3, v1, v3, vcc_lo
	v_trig_preop_f64 v[9:10], |v[1:2]|, 1
	v_mul_f64 v[11:12], v[5:6], v[3:4]
	v_mul_f64 v[25:26], v[19:20], v[3:4]
	;; [unrolled: 1-line block ×3, first 2 shown]
	v_fma_f64 v[5:6], v[5:6], v[3:4], -v[11:12]
	v_fma_f64 v[9:10], v[9:10], v[3:4], -v[13:14]
	;; [unrolled: 1-line block ×3, first 2 shown]
	v_add_f64 v[15:16], v[13:14], v[5:6]
	v_add_f64 v[17:18], v[15:16], -v[13:14]
	v_add_f64 v[23:24], v[11:12], v[15:16]
	v_add_f64 v[21:22], v[15:16], -v[17:18]
	v_add_f64 v[5:6], v[5:6], -v[17:18]
	v_ldexp_f64 v[17:18], v[23:24], -2
	v_add_f64 v[11:12], v[23:24], -v[11:12]
	v_add_f64 v[13:14], v[13:14], -v[21:22]
	v_add_f64 v[21:22], v[25:26], v[9:10]
	v_cmp_neq_f64_e64 vcc_lo, 0x7ff00000, |v[17:18]|
	v_add_f64 v[11:12], v[15:16], -v[11:12]
	v_add_f64 v[5:6], v[5:6], v[13:14]
	v_fract_f64_e32 v[13:14], v[17:18]
	v_add_f64 v[15:16], v[21:22], v[5:6]
	v_ldexp_f64 v[13:14], v[13:14], 2
	v_add_f64 v[17:18], v[11:12], v[15:16]
	v_cndmask_b32_e32 v14, 0, v14, vcc_lo
	v_cndmask_b32_e32 v13, 0, v13, vcc_lo
	v_add_f64 v[23:24], v[17:18], v[13:14]
	v_add_f64 v[11:12], v[17:18], -v[11:12]
	v_cmp_gt_f64_e32 vcc_lo, 0, v[23:24]
	v_add_f64 v[23:24], v[21:22], -v[25:26]
	v_cndmask_b32_e64 v28, 0, 0x40100000, vcc_lo
	v_add_f64 v[32:33], v[21:22], -v[23:24]
	v_add_f64 v[9:10], v[9:10], -v[23:24]
	v_add_f64 v[13:14], v[13:14], v[27:28]
	v_add_f64 v[28:29], v[15:16], -v[21:22]
	v_add_f64 v[23:24], v[25:26], -v[32:33]
	v_add_f64 v[30:31], v[17:18], v[13:14]
	;; [unrolled: 3-line block ×3, first 2 shown]
	v_cvt_i32_f64_e32 v30, v[30:31]
	v_add_f64 v[21:22], v[21:22], -v[34:35]
	v_cvt_f64_i32_e32 v[28:29], v30
	v_add_f64 v[5:6], v[5:6], v[21:22]
	v_add_f64 v[13:14], v[13:14], -v[28:29]
	v_add_f64 v[5:6], v[9:10], v[5:6]
	v_add_f64 v[9:10], v[15:16], -v[11:12]
	v_add_f64 v[19:20], v[17:18], v[13:14]
	v_add_f64 v[3:4], v[3:4], v[5:6]
	v_add_f64 v[5:6], v[19:20], -v[13:14]
	v_cmp_le_f64_e32 vcc_lo, 0.5, v[19:20]
	v_add_f64 v[3:4], v[9:10], v[3:4]
	v_add_f64 v[5:6], v[17:18], -v[5:6]
	v_cndmask_b32_e64 v28, 0, 0x3ff00000, vcc_lo
	v_add_co_ci_u32_e64 v9, null, 0, v30, vcc_lo
	v_add_f64 v[3:4], v[3:4], v[5:6]
	v_add_f64 v[5:6], v[19:20], -v[27:28]
	v_add_f64 v[10:11], v[5:6], v[3:4]
	v_mul_f64 v[12:13], v[10:11], s[0:1]
	v_add_f64 v[5:6], v[10:11], -v[5:6]
	v_fma_f64 v[14:15], v[10:11], s[0:1], -v[12:13]
	v_add_f64 v[3:4], v[3:4], -v[5:6]
	v_fma_f64 v[5:6], v[10:11], s[46:47], v[14:15]
	v_fma_f64 v[5:6], v[3:4], s[0:1], v[5:6]
	v_add_f64 v[3:4], v[12:13], v[5:6]
	v_add_f64 v[10:11], v[3:4], -v[12:13]
	v_add_f64 v[5:6], v[5:6], -v[10:11]
.LBB29_746:
	s_andn2_saveexec_b32 s0, s45
	s_cbranch_execz .LBB29_748
; %bb.747:
	s_mov_b32 s46, 0x6dc9c883
	s_mov_b32 s47, 0x3fe45f30
	;; [unrolled: 1-line block ×3, first 2 shown]
	v_mul_f64 v[3:4], |v[1:2]|, s[46:47]
	s_mov_b32 s46, 0x54442d18
	s_mov_b32 s47, 0xbff921fb
	;; [unrolled: 1-line block ×3, first 2 shown]
	v_rndne_f64_e32 v[9:10], v[3:4]
	v_fma_f64 v[3:4], v[9:10], s[46:47], |v[1:2]|
	v_mul_f64 v[5:6], v[9:10], s[48:49]
	s_mov_b32 s46, 0x252049c0
	s_mov_b32 s47, 0xb97b839a
	v_fma_f64 v[13:14], v[9:10], s[48:49], v[3:4]
	v_add_f64 v[11:12], v[3:4], v[5:6]
	s_mov_b32 s49, 0x3c91a626
	v_add_f64 v[3:4], v[3:4], -v[11:12]
	v_add_f64 v[11:12], v[11:12], -v[13:14]
	v_add_f64 v[3:4], v[3:4], v[5:6]
	v_fma_f64 v[5:6], v[9:10], s[48:49], v[5:6]
	v_add_f64 v[3:4], v[11:12], v[3:4]
	v_add_f64 v[3:4], v[3:4], -v[5:6]
	v_fma_f64 v[5:6], v[9:10], s[46:47], v[3:4]
	v_cvt_i32_f64_e32 v9, v[9:10]
	v_add_f64 v[3:4], v[13:14], v[5:6]
	v_add_f64 v[11:12], v[3:4], -v[13:14]
	v_add_f64 v[5:6], v[5:6], -v[11:12]
.LBB29_748:
	s_or_b32 exec_lo, exec_lo, s0
	v_mul_f64 v[10:11], v[3:4], v[3:4]
	v_add_f64 v[12:13], v[5:6], v[5:6]
	s_mov_b32 s46, 0xa9a29f71
	s_mov_b32 s48, 0xc751c08c
	;; [unrolled: 1-line block ×4, first 2 shown]
	v_cmp_class_f64_e64 s0, v[1:2], 0x1f8
	v_and_b32_e32 v9, 1, v9
	v_and_b32_e32 v2, 0x80000000, v2
	v_sub_f32_e32 v7, 1.0, v7
	s_mov_b32 s1, exec_lo
	v_cmp_eq_u32_e32 vcc_lo, 0, v9
	v_fma_f64 v[14:15], v[3:4], v[3:4], -v[10:11]
	v_fma_f64 v[12:13], v[3:4], v[12:13], v[14:15]
	v_add_f64 v[10:11], v[10:11], v[12:13]
	v_fma_f64 v[12:13], v[10:11], s[48:49], s[46:47]
	s_mov_b32 s46, 0x90a8aae0
	s_mov_b32 s47, 0x3f17746f
	v_fma_f64 v[12:13], v[10:11], v[12:13], s[46:47]
	s_mov_b32 s46, 0xa6fbf144
	s_mov_b32 s47, 0xbefbb44d
	;; [unrolled: 3-line block ×13, first 2 shown]
	v_mul_f64 v[10:11], v[10:11], v[12:13]
	v_mul_f64 v[12:13], v[3:4], v[10:11]
	v_add_f64 v[14:15], v[3:4], v[12:13]
	v_fma_f64 v[10:11], v[3:4], v[10:11], -v[12:13]
	v_add_f64 v[3:4], v[14:15], -v[3:4]
	v_add_f64 v[5:6], v[5:6], v[10:11]
	v_add_f64 v[3:4], v[12:13], -v[3:4]
	v_add_f64 v[3:4], v[5:6], v[3:4]
	v_add_f64 v[5:6], v[14:15], v[3:4]
	v_rcp_f64_e32 v[10:11], v[5:6]
	v_fma_f64 v[12:13], -v[5:6], v[10:11], 1.0
	v_fma_f64 v[10:11], v[12:13], v[10:11], v[10:11]
	v_fma_f64 v[12:13], -v[5:6], v[10:11], 1.0
	v_fma_f64 v[10:11], v[12:13], v[10:11], v[10:11]
	v_add_f64 v[12:13], v[5:6], -v[14:15]
	v_mul_f64 v[14:15], v[5:6], v[10:11]
	v_add_f64 v[3:4], v[3:4], -v[12:13]
	v_fma_f64 v[12:13], v[10:11], v[5:6], -v[14:15]
	v_fma_f64 v[3:4], v[10:11], v[3:4], v[12:13]
	v_add_f64 v[12:13], v[14:15], v[3:4]
	v_add_f64 v[16:17], -v[12:13], 1.0
	v_add_f64 v[14:15], v[12:13], -v[14:15]
	v_add_f64 v[18:19], -v[16:17], 1.0
	v_add_f64 v[3:4], v[14:15], -v[3:4]
	v_add_f64 v[12:13], v[18:19], -v[12:13]
	v_add_f64 v[3:4], v[3:4], v[12:13]
	v_add_f64 v[3:4], v[16:17], v[3:4]
	v_mul_f64 v[3:4], v[10:11], v[3:4]
	v_add_f64 v[3:4], v[10:11], v[3:4]
	v_xor_b32_e32 v1, 0x80000000, v4
	v_cndmask_b32_e32 v3, v3, v5, vcc_lo
	v_cndmask_b32_e32 v1, v1, v6, vcc_lo
	v_xor_b32_e32 v2, v1, v2
	v_cndmask_b32_e64 v1, 0, v3, s0
	v_cndmask_b32_e64 v2, 0x7ff80000, v2, s0
	v_div_scale_f64 v[3:4], null, v[1:2], v[1:2], s[46:47]
	v_rcp_f64_e32 v[5:6], v[3:4]
	v_fma_f64 v[9:10], -v[3:4], v[5:6], 1.0
	v_fma_f64 v[5:6], v[5:6], v[9:10], v[5:6]
	v_fma_f64 v[9:10], -v[3:4], v[5:6], 1.0
	v_fma_f64 v[5:6], v[5:6], v[9:10], v[5:6]
	v_div_scale_f64 v[9:10], vcc_lo, s[46:47], v[1:2], s[46:47]
	v_mul_f64 v[11:12], v[9:10], v[5:6]
	v_fma_f64 v[3:4], -v[3:4], v[11:12], v[9:10]
	v_div_fmas_f64 v[3:4], v[3:4], v[5:6], v[11:12]
	v_div_fixup_f64 v[1:2], v[3:4], v[1:2], s[46:47]
	v_cvt_f32_f64_e32 v1, v[1:2]
.LBB29_749:
	s_or_b32 exec_lo, exec_lo, s44
	s_orn2_b32 s0, s1, exec_lo
.LBB29_750:
	s_or_b32 exec_lo, exec_lo, s43
	v_mov_b32_e32 v2, 0x7e00
	s_and_saveexec_b32 s43, s0
	s_cbranch_execz .LBB29_762
; %bb.751:
	s_mov_b32 s0, exec_lo
	v_cmpx_gt_f32_e32 0x41200000, v7
	s_cbranch_execz .LBB29_755
; %bb.752:
	s_mov_b32 s1, 0
.LBB29_753:                             ; =>This Inner Loop Header: Depth=1
	v_div_scale_f32 v2, null, v7, v7, 1.0
	v_div_scale_f32 v5, vcc_lo, 1.0, v7, 1.0
	v_rcp_f32_e32 v3, v2
	v_fma_f32 v4, -v2, v3, 1.0
	v_fmac_f32_e32 v3, v4, v3
	v_mul_f32_e32 v4, v5, v3
	v_fma_f32 v6, -v2, v4, v5
	v_fmac_f32_e32 v4, v6, v3
	v_fma_f32 v2, -v2, v4, v5
	v_div_fmas_f32 v2, v2, v3, v4
	v_div_fixup_f32 v2, v2, v7, 1.0
	v_add_f32_e32 v7, 1.0, v7
	v_sub_f32_e32 v1, v1, v2
	v_cmp_ngt_f32_e32 vcc_lo, 0x41200000, v7
	s_or_b32 s1, vcc_lo, s1
	s_andn2_b32 exec_lo, exec_lo, s1
	s_cbranch_execnz .LBB29_753
; %bb.754:
	s_or_b32 exec_lo, exec_lo, s1
.LBB29_755:
	s_or_b32 exec_lo, exec_lo, s0
                                        ; implicit-def: $vgpr2
	s_mov_b32 s0, exec_lo
	v_cmpx_neq_f32_e32 0x41200000, v7
	s_xor_b32 s44, exec_lo, s0
	s_cbranch_execz .LBB29_759
; %bb.756:
	v_cvt_f64_f32_e32 v[2:3], v7
	s_mov_b32 s0, 0x85d8a000
	s_mov_b32 s1, 0x43763457
	v_cmp_gt_f64_e32 vcc_lo, s[0:1], v[2:3]
	v_mov_b32_e32 v2, 0
	s_and_saveexec_b32 s0, vcc_lo
	s_cbranch_execz .LBB29_758
; %bb.757:
	v_mul_f32_e32 v2, v7, v7
	v_div_scale_f32 v3, null, v2, v2, 1.0
	v_rcp_f32_e32 v4, v3
	v_fma_f32 v5, -v3, v4, 1.0
	v_fmac_f32_e32 v4, v5, v4
	v_div_scale_f32 v5, vcc_lo, 1.0, v2, 1.0
	v_mul_f32_e32 v6, v5, v4
	v_fma_f32 v9, -v3, v6, v5
	v_fmac_f32_e32 v6, v9, v4
	v_fma_f32 v3, -v3, v6, v5
	v_div_fmas_f32 v3, v3, v4, v6
	v_div_fixup_f32 v2, v3, v2, 1.0
	v_fmaak_f32 v3, 0, v2, 0x3daaaaab
	v_fmaak_f32 v3, v2, v3, 0xbcaccacd
	;; [unrolled: 1-line block ×7, first 2 shown]
	v_mul_f32_e32 v2, v2, v3
.LBB29_758:
	s_or_b32 exec_lo, exec_lo, s0
	v_cmp_gt_f32_e32 vcc_lo, 0x800000, v7
	v_div_scale_f32 v3, null, v7, v7, -0.5
	v_div_scale_f32 v9, s0, -0.5, v7, -0.5
	v_cndmask_b32_e64 v4, 0, 32, vcc_lo
	v_rcp_f32_e32 v5, v3
	v_ldexp_f32 v4, v7, v4
	v_log_f32_e32 v4, v4
	v_fma_f32 v6, -v3, v5, 1.0
	v_fmac_f32_e32 v5, v6, v5
	v_mul_f32_e32 v6, 0x3f317217, v4
	v_mul_f32_e32 v10, v9, v5
	v_cmp_gt_f32_e64 s1, 0x7f800000, |v4|
	v_fma_f32 v6, 0x3f317217, v4, -v6
	v_fma_f32 v11, -v3, v10, v9
	v_fmamk_f32 v6, v4, 0x3377d1cf, v6
	v_fmac_f32_e32 v10, v11, v5
	v_fmac_f32_e32 v6, 0x3f317217, v4
	v_fma_f32 v3, -v3, v10, v9
	v_cndmask_b32_e64 v4, v4, v6, s1
	v_cndmask_b32_e64 v6, 0, 0x41b17218, vcc_lo
	s_mov_b32 vcc_lo, s0
	v_div_fmas_f32 v3, v3, v5, v10
	v_sub_f32_e32 v4, v4, v6
	v_div_fixup_f32 v3, v3, v7, -0.5
	v_add_f32_e32 v3, v4, v3
	v_sub_f32_e32 v2, v3, v2
	v_add_f32_e32 v1, v1, v2
	v_cvt_f16_f32_e32 v2, v1
                                        ; implicit-def: $vgpr1
.LBB29_759:
	s_andn2_saveexec_b32 s0, s44
; %bb.760:
	v_add_f32_e32 v1, 0x40101cb7, v1
	v_cvt_f16_f32_e32 v2, v1
; %bb.761:
	s_or_b32 exec_lo, exec_lo, s0
.LBB29_762:
	s_or_b32 exec_lo, exec_lo, s43
                                        ; implicit-def: $vgpr7
.LBB29_763:
	s_andn2_saveexec_b32 s0, s23
; %bb.764:
	v_xor_b32_e32 v1, 0x80000000, v7
	v_mov_b32_e32 v2, 0xffff8000
	v_and_b32_sdwa v1, v1, v2 dst_sel:DWORD dst_unused:UNUSED_PAD src0_sel:WORD_1 src1_sel:DWORD
	v_or_b32_e32 v2, 0x7c00, v1
; %bb.765:
	s_or_b32 exec_lo, exec_lo, s0
	v_add_co_u32 v0, s0, s8, v0
	v_add_co_ci_u32_e64 v1, null, s9, 0, s0
	s_and_b32 s1, s29, 0xff
	s_cmp_lt_i32 s1, 11
	s_cbranch_scc1 .LBB29_773
; %bb.766:
	s_and_b32 s23, 0xffff, s1
	s_cmp_gt_i32 s23, 25
	s_cbranch_scc0 .LBB29_774
; %bb.767:
	s_cmp_gt_i32 s23, 28
	s_cbranch_scc0 .LBB29_775
; %bb.768:
	;; [unrolled: 3-line block ×4, first 2 shown]
	s_mov_b32 s44, 0
	s_mov_b32 s0, -1
	s_cmp_eq_u32 s23, 46
	s_mov_b32 s43, 0
	s_cbranch_scc0 .LBB29_778
; %bb.771:
	v_cvt_f32_f16_e32 v3, v2
	v_cmp_o_f16_e32 vcc_lo, v2, v2
	s_mov_b32 s43, -1
	s_mov_b32 s0, 0
	v_bfe_u32 v4, v3, 16, 1
	v_add3_u32 v3, v3, v4, 0x7fff
	v_mov_b32_e32 v4, 0x7fc0
	v_cndmask_b32_sdwa v3, v4, v3, vcc_lo dst_sel:DWORD dst_unused:UNUSED_PAD src0_sel:DWORD src1_sel:WORD_1
	global_store_dword v[0:1], v3, off
	s_branch .LBB29_778
.LBB29_772:
	s_mov_b32 s1, 0
	s_mov_b32 s0, s40
	s_branch .LBB29_889
.LBB29_773:
	s_mov_b32 s23, -1
	s_mov_b32 s43, 0
	s_mov_b32 s0, s40
	s_branch .LBB29_847
.LBB29_774:
	s_mov_b32 s44, -1
	s_mov_b32 s43, 0
	s_mov_b32 s0, s40
	s_branch .LBB29_805
.LBB29_775:
	s_mov_b32 s44, -1
	s_mov_b32 s43, 0
	s_mov_b32 s0, s40
	s_branch .LBB29_788
.LBB29_776:
	s_mov_b32 s44, -1
	s_mov_b32 s43, 0
	s_mov_b32 s0, s40
	s_branch .LBB29_784
.LBB29_777:
	s_mov_b32 s44, -1
	s_mov_b32 s43, 0
	s_mov_b32 s0, s40
.LBB29_778:
	s_and_b32 vcc_lo, exec_lo, s44
	s_cbranch_vccz .LBB29_783
; %bb.779:
	s_cmp_eq_u32 s23, 44
	s_mov_b32 s0, -1
	s_cbranch_scc0 .LBB29_783
; %bb.780:
	v_cvt_f32_f16_e32 v3, v2
	v_mov_b32_e32 v4, 0xff
	s_mov_b32 s43, exec_lo
	v_bfe_u32 v5, v3, 23, 8
	v_cmpx_ne_u32_e32 0xff, v5
	s_cbranch_execz .LBB29_782
; %bb.781:
	v_and_b32_e32 v4, 0x400000, v3
	v_and_or_b32 v5, 0x3fffff, v3, v5
	v_lshrrev_b32_e32 v3, 23, v3
	v_cmp_ne_u32_e32 vcc_lo, 0, v4
	v_cmp_ne_u32_e64 s0, 0, v5
	s_and_b32 s0, vcc_lo, s0
	v_cndmask_b32_e64 v4, 0, 1, s0
	v_add_nc_u32_e32 v4, v3, v4
.LBB29_782:
	s_or_b32 exec_lo, exec_lo, s43
	s_mov_b32 s43, -1
	s_mov_b32 s0, 0
	global_store_byte v[0:1], v4, off
.LBB29_783:
	s_mov_b32 s44, 0
.LBB29_784:
	s_and_b32 vcc_lo, exec_lo, s44
	s_cbranch_vccz .LBB29_787
; %bb.785:
	s_cmp_eq_u32 s23, 29
	s_mov_b32 s0, -1
	s_cbranch_scc0 .LBB29_787
; %bb.786:
	v_cvt_f32_f16_e32 v3, v2
	v_mov_b32_e32 v4, 0
	s_mov_b32 s43, -1
	s_mov_b32 s0, 0
	s_mov_b32 s44, 0
	v_cvt_u32_f32_e32 v3, v3
	global_store_dwordx2 v[0:1], v[3:4], off
	s_branch .LBB29_788
.LBB29_787:
	s_mov_b32 s44, 0
.LBB29_788:
	s_and_b32 vcc_lo, exec_lo, s44
	s_cbranch_vccz .LBB29_804
; %bb.789:
	s_cmp_lt_i32 s23, 27
	s_mov_b32 s43, -1
	s_cbranch_scc1 .LBB29_795
; %bb.790:
	s_cmp_gt_i32 s23, 27
	s_cbranch_scc0 .LBB29_792
; %bb.791:
	v_cvt_f32_f16_e32 v3, v2
	s_mov_b32 s43, 0
	v_cvt_u32_f32_e32 v3, v3
	global_store_dword v[0:1], v3, off
.LBB29_792:
	s_andn2_b32 vcc_lo, exec_lo, s43
	s_cbranch_vccnz .LBB29_794
; %bb.793:
	v_cvt_u16_f16_e32 v3, v2
	global_store_short v[0:1], v3, off
.LBB29_794:
	s_mov_b32 s43, 0
.LBB29_795:
	s_andn2_b32 vcc_lo, exec_lo, s43
	s_cbranch_vccnz .LBB29_803
; %bb.796:
	v_cvt_f32_f16_e32 v3, v2
	v_mov_b32_e32 v5, 0x80
	s_mov_b32 s43, exec_lo
	v_and_b32_e32 v4, 0x7fffffff, v3
	v_cmpx_gt_u32_e32 0x43800000, v4
	s_cbranch_execz .LBB29_802
; %bb.797:
	v_cmp_lt_u32_e32 vcc_lo, 0x3bffffff, v4
	s_mov_b32 s44, 0
                                        ; implicit-def: $vgpr4
	s_and_saveexec_b32 s45, vcc_lo
	s_xor_b32 s45, exec_lo, s45
	s_cbranch_execz .LBB29_919
; %bb.798:
	v_bfe_u32 v4, v3, 20, 1
	s_mov_b32 s44, exec_lo
	v_add3_u32 v4, v3, v4, 0x487ffff
	v_lshrrev_b32_e32 v4, 20, v4
	s_andn2_saveexec_b32 s45, s45
	s_cbranch_execnz .LBB29_920
.LBB29_799:
	s_or_b32 exec_lo, exec_lo, s45
	v_mov_b32_e32 v5, 0
	s_and_saveexec_b32 s45, s44
.LBB29_800:
	v_lshrrev_b32_e32 v3, 24, v3
	v_and_or_b32 v5, 0x80, v3, v4
.LBB29_801:
	s_or_b32 exec_lo, exec_lo, s45
.LBB29_802:
	s_or_b32 exec_lo, exec_lo, s43
	global_store_byte v[0:1], v5, off
.LBB29_803:
	s_mov_b32 s43, -1
.LBB29_804:
	s_mov_b32 s44, 0
.LBB29_805:
	s_and_b32 vcc_lo, exec_lo, s44
	s_cbranch_vccz .LBB29_846
; %bb.806:
	s_cmp_gt_i32 s23, 22
	s_mov_b32 s44, -1
	s_cbranch_scc0 .LBB29_838
; %bb.807:
	s_cmp_lt_i32 s23, 24
	s_mov_b32 s43, -1
	s_cbranch_scc1 .LBB29_827
; %bb.808:
	s_cmp_gt_i32 s23, 24
	s_cbranch_scc0 .LBB29_816
; %bb.809:
	v_cvt_f32_f16_e32 v3, v2
	v_mov_b32_e32 v5, 0x80
	s_mov_b32 s43, exec_lo
	v_and_b32_e32 v4, 0x7fffffff, v3
	v_cmpx_gt_u32_e32 0x47800000, v4
	s_cbranch_execz .LBB29_815
; %bb.810:
	v_cmp_lt_u32_e32 vcc_lo, 0x37ffffff, v4
	s_mov_b32 s44, 0
                                        ; implicit-def: $vgpr4
	s_and_saveexec_b32 s45, vcc_lo
	s_xor_b32 s45, exec_lo, s45
	s_cbranch_execz .LBB29_922
; %bb.811:
	v_bfe_u32 v4, v3, 21, 1
	s_mov_b32 s44, exec_lo
	v_add3_u32 v4, v3, v4, 0x88fffff
	v_lshrrev_b32_e32 v4, 21, v4
	s_andn2_saveexec_b32 s45, s45
	s_cbranch_execnz .LBB29_923
.LBB29_812:
	s_or_b32 exec_lo, exec_lo, s45
	v_mov_b32_e32 v5, 0
	s_and_saveexec_b32 s45, s44
.LBB29_813:
	v_lshrrev_b32_e32 v3, 24, v3
	v_and_or_b32 v5, 0x80, v3, v4
.LBB29_814:
	s_or_b32 exec_lo, exec_lo, s45
.LBB29_815:
	s_or_b32 exec_lo, exec_lo, s43
	s_mov_b32 s43, 0
	global_store_byte v[0:1], v5, off
.LBB29_816:
	s_and_b32 vcc_lo, exec_lo, s43
	s_cbranch_vccz .LBB29_826
; %bb.817:
	v_cvt_f32_f16_e32 v3, v2
	s_mov_b32 s43, exec_lo
                                        ; implicit-def: $vgpr4
	v_and_b32_e32 v5, 0x7fffffff, v3
	v_cmpx_gt_u32_e32 0x43f00000, v5
	s_xor_b32 s43, exec_lo, s43
	s_cbranch_execz .LBB29_823
; %bb.818:
	s_mov_b32 s44, exec_lo
                                        ; implicit-def: $vgpr4
	v_cmpx_lt_u32_e32 0x3c7fffff, v5
	s_xor_b32 s44, exec_lo, s44
; %bb.819:
	v_bfe_u32 v4, v3, 20, 1
	v_add3_u32 v4, v3, v4, 0x407ffff
	v_and_b32_e32 v5, 0xff00000, v4
	v_lshrrev_b32_e32 v4, 20, v4
	v_cmp_ne_u32_e32 vcc_lo, 0x7f00000, v5
	v_cndmask_b32_e32 v4, 0x7e, v4, vcc_lo
; %bb.820:
	s_andn2_saveexec_b32 s44, s44
; %bb.821:
	v_add_f32_e64 v4, 0x46800000, |v3|
; %bb.822:
	s_or_b32 exec_lo, exec_lo, s44
                                        ; implicit-def: $vgpr5
.LBB29_823:
	s_andn2_saveexec_b32 s43, s43
; %bb.824:
	v_mov_b32_e32 v4, 0x7f
	v_cmp_lt_u32_e32 vcc_lo, 0x7f800000, v5
	v_cndmask_b32_e32 v4, 0x7e, v4, vcc_lo
; %bb.825:
	s_or_b32 exec_lo, exec_lo, s43
	v_lshrrev_b32_e32 v3, 24, v3
	v_and_or_b32 v3, 0x80, v3, v4
	global_store_byte v[0:1], v3, off
.LBB29_826:
	s_mov_b32 s43, 0
.LBB29_827:
	s_andn2_b32 vcc_lo, exec_lo, s43
	s_cbranch_vccnz .LBB29_837
; %bb.828:
	v_cvt_f32_f16_e32 v3, v2
	s_mov_b32 s43, exec_lo
                                        ; implicit-def: $vgpr4
	v_and_b32_e32 v5, 0x7fffffff, v3
	v_cmpx_gt_u32_e32 0x47800000, v5
	s_xor_b32 s43, exec_lo, s43
	s_cbranch_execz .LBB29_834
; %bb.829:
	s_mov_b32 s44, exec_lo
                                        ; implicit-def: $vgpr4
	v_cmpx_lt_u32_e32 0x387fffff, v5
	s_xor_b32 s44, exec_lo, s44
; %bb.830:
	v_bfe_u32 v4, v3, 21, 1
	v_add3_u32 v4, v3, v4, 0x80fffff
	v_lshrrev_b32_e32 v4, 21, v4
; %bb.831:
	s_andn2_saveexec_b32 s44, s44
; %bb.832:
	v_add_f32_e64 v4, 0x43000000, |v3|
; %bb.833:
	s_or_b32 exec_lo, exec_lo, s44
                                        ; implicit-def: $vgpr5
.LBB29_834:
	s_andn2_saveexec_b32 s43, s43
; %bb.835:
	v_mov_b32_e32 v4, 0x7f
	v_cmp_lt_u32_e32 vcc_lo, 0x7f800000, v5
	v_cndmask_b32_e32 v4, 0x7c, v4, vcc_lo
; %bb.836:
	s_or_b32 exec_lo, exec_lo, s43
	v_lshrrev_b32_e32 v3, 24, v3
	v_and_or_b32 v3, 0x80, v3, v4
	global_store_byte v[0:1], v3, off
.LBB29_837:
	s_mov_b32 s44, 0
	s_mov_b32 s43, -1
.LBB29_838:
	s_andn2_b32 vcc_lo, exec_lo, s44
	s_cbranch_vccnz .LBB29_846
; %bb.839:
	s_cmp_gt_i32 s23, 14
	s_mov_b32 s44, -1
	s_cbranch_scc0 .LBB29_843
; %bb.840:
	s_cmp_eq_u32 s23, 15
	s_mov_b32 s0, -1
	s_cbranch_scc0 .LBB29_842
; %bb.841:
	v_cvt_f32_f16_e32 v3, v2
	v_cmp_o_f16_e32 vcc_lo, v2, v2
	s_mov_b32 s43, -1
	s_mov_b32 s0, 0
	v_bfe_u32 v4, v3, 16, 1
	v_add3_u32 v3, v3, v4, 0x7fff
	v_mov_b32_e32 v4, 0x7fc0
	v_cndmask_b32_sdwa v3, v4, v3, vcc_lo dst_sel:DWORD dst_unused:UNUSED_PAD src0_sel:DWORD src1_sel:WORD_1
	global_store_short v[0:1], v3, off
.LBB29_842:
	s_mov_b32 s44, 0
.LBB29_843:
	s_and_b32 vcc_lo, exec_lo, s44
	s_cbranch_vccz .LBB29_846
; %bb.844:
	s_cmp_eq_u32 s23, 11
	s_mov_b32 s0, -1
	s_cbranch_scc0 .LBB29_846
; %bb.845:
	v_and_b32_e32 v3, 0x7fff, v2
	s_mov_b32 s0, 0
	s_mov_b32 s43, -1
	v_cmp_ne_u16_e32 vcc_lo, 0, v3
	v_cndmask_b32_e64 v3, 0, 1, vcc_lo
	global_store_byte v[0:1], v3, off
.LBB29_846:
	s_mov_b32 s23, 0
.LBB29_847:
	s_and_b32 vcc_lo, exec_lo, s23
	s_cbranch_vccz .LBB29_886
; %bb.848:
	s_and_b32 s1, 0xffff, s1
	s_mov_b32 s23, -1
	s_cmp_lt_i32 s1, 5
	s_cbranch_scc1 .LBB29_869
; %bb.849:
	s_cmp_lt_i32 s1, 8
	s_cbranch_scc1 .LBB29_859
; %bb.850:
	;; [unrolled: 3-line block ×3, first 2 shown]
	s_cmp_gt_i32 s1, 9
	s_cbranch_scc0 .LBB29_853
; %bb.852:
	v_cvt_f32_f16_e32 v3, v2
	v_mov_b32_e32 v5, 0
	s_mov_b32 s23, 0
	v_cvt_f64_f32_e32 v[3:4], v3
	v_mov_b32_e32 v6, v5
	global_store_dwordx4 v[0:1], v[3:6], off
.LBB29_853:
	s_andn2_b32 vcc_lo, exec_lo, s23
	s_cbranch_vccnz .LBB29_855
; %bb.854:
	v_cvt_f32_f16_e32 v3, v2
	v_mov_b32_e32 v4, 0
	global_store_dwordx2 v[0:1], v[3:4], off
.LBB29_855:
	s_mov_b32 s23, 0
.LBB29_856:
	s_andn2_b32 vcc_lo, exec_lo, s23
	s_cbranch_vccnz .LBB29_858
; %bb.857:
	v_and_b32_e32 v3, 0xffff, v2
	global_store_dword v[0:1], v3, off
.LBB29_858:
	s_mov_b32 s23, 0
.LBB29_859:
	s_andn2_b32 vcc_lo, exec_lo, s23
	s_cbranch_vccnz .LBB29_868
; %bb.860:
	s_cmp_lt_i32 s1, 6
	s_mov_b32 s23, -1
	s_cbranch_scc1 .LBB29_866
; %bb.861:
	s_cmp_gt_i32 s1, 6
	s_cbranch_scc0 .LBB29_863
; %bb.862:
	v_cvt_f32_f16_e32 v3, v2
	s_mov_b32 s23, 0
	v_cvt_f64_f32_e32 v[3:4], v3
	global_store_dwordx2 v[0:1], v[3:4], off
.LBB29_863:
	s_andn2_b32 vcc_lo, exec_lo, s23
	s_cbranch_vccnz .LBB29_865
; %bb.864:
	v_cvt_f32_f16_e32 v3, v2
	global_store_dword v[0:1], v3, off
.LBB29_865:
	s_mov_b32 s23, 0
.LBB29_866:
	s_andn2_b32 vcc_lo, exec_lo, s23
	s_cbranch_vccnz .LBB29_868
; %bb.867:
	global_store_short v[0:1], v2, off
.LBB29_868:
	s_mov_b32 s23, 0
.LBB29_869:
	s_andn2_b32 vcc_lo, exec_lo, s23
	s_cbranch_vccnz .LBB29_885
; %bb.870:
	s_cmp_lt_i32 s1, 2
	s_mov_b32 s23, -1
	s_cbranch_scc1 .LBB29_880
; %bb.871:
	s_cmp_lt_i32 s1, 3
	s_cbranch_scc1 .LBB29_877
; %bb.872:
	s_cmp_gt_i32 s1, 3
	s_cbranch_scc0 .LBB29_874
; %bb.873:
	v_cvt_f32_f16_e32 v3, v2
	s_mov_b32 s23, 0
	v_cvt_i32_f32_e32 v3, v3
	v_ashrrev_i32_e32 v4, 31, v3
	global_store_dwordx2 v[0:1], v[3:4], off
.LBB29_874:
	s_andn2_b32 vcc_lo, exec_lo, s23
	s_cbranch_vccnz .LBB29_876
; %bb.875:
	v_cvt_f32_f16_e32 v3, v2
	v_cvt_i32_f32_e32 v3, v3
	global_store_dword v[0:1], v3, off
.LBB29_876:
	s_mov_b32 s23, 0
.LBB29_877:
	s_andn2_b32 vcc_lo, exec_lo, s23
	s_cbranch_vccnz .LBB29_879
; %bb.878:
	v_cvt_i16_f16_e32 v3, v2
	global_store_short v[0:1], v3, off
.LBB29_879:
	s_mov_b32 s23, 0
.LBB29_880:
	s_andn2_b32 vcc_lo, exec_lo, s23
	s_cbranch_vccnz .LBB29_885
; %bb.881:
	s_cmp_gt_i32 s1, 0
	s_mov_b32 s1, -1
	s_cbranch_scc0 .LBB29_883
; %bb.882:
	v_cvt_i16_f16_e32 v3, v2
	s_mov_b32 s1, 0
	global_store_byte v[0:1], v3, off
.LBB29_883:
	s_andn2_b32 vcc_lo, exec_lo, s1
	s_cbranch_vccnz .LBB29_885
; %bb.884:
	v_cvt_f32_f16_e32 v2, v2
	v_cvt_i32_f32_e32 v2, v2
	global_store_byte v[0:1], v2, off
.LBB29_885:
	s_mov_b32 s43, -1
.LBB29_886:
	s_andn2_b32 vcc_lo, exec_lo, s43
	s_cbranch_vccnz .LBB29_888
; %bb.887:
	v_add_nc_u32_e32 v8, 0x80, v8
	s_mov_b32 s1, -1
	s_branch .LBB29_890
.LBB29_888:
	s_mov_b32 s1, 0
.LBB29_889:
                                        ; implicit-def: $vgpr8
.LBB29_890:
	s_andn2_b32 s23, s40, exec_lo
	s_and_b32 s0, s0, exec_lo
	s_andn2_b32 s43, s39, exec_lo
	s_and_b32 s22, s22, exec_lo
	s_or_b32 s23, s23, s0
	s_or_b32 s22, s43, s22
	s_orn2_b32 s44, s1, exec_lo
.LBB29_891:
	s_or_b32 exec_lo, exec_lo, s42
	s_mov_b32 s0, 0
	s_mov_b32 s1, 0
	;; [unrolled: 1-line block ×3, first 2 shown]
                                        ; implicit-def: $vgpr1_vgpr2
                                        ; implicit-def: $vgpr0
                                        ; implicit-def: $vgpr4
	s_and_saveexec_b32 s42, s44
	s_cbranch_execz .LBB29_991
; %bb.892:
	v_cmp_gt_i32_e32 vcc_lo, s33, v8
	s_mov_b32 s45, s22
	s_mov_b32 s44, 0
                                        ; implicit-def: $vgpr1_vgpr2
                                        ; implicit-def: $vgpr0
                                        ; implicit-def: $vgpr4
	s_and_saveexec_b32 s33, vcc_lo
	s_cbranch_execz .LBB29_990
; %bb.893:
	s_andn2_b32 vcc_lo, exec_lo, s27
	s_cbranch_vccnz .LBB29_898
; %bb.894:
	s_andn2_b32 vcc_lo, exec_lo, s34
	s_cbranch_vccnz .LBB29_899
; %bb.895:
	s_add_i32 s35, s35, 1
	s_cmp_eq_u32 s25, 2
	s_cbranch_scc1 .LBB29_900
; %bb.896:
	v_mov_b32_e32 v2, 0
	v_mov_b32_e32 v0, 0
	;; [unrolled: 1-line block ×3, first 2 shown]
	s_and_b32 s34, s35, 28
	s_mov_b64 s[0:1], s[2:3]
.LBB29_897:                             ; =>This Inner Loop Header: Depth=1
	s_clause 0x1
	s_load_dwordx8 s[44:51], s[0:1], 0x4
	s_load_dwordx4 s[60:63], s[0:1], 0x24
	s_load_dwordx8 s[52:59], s[20:21], 0x0
	s_add_u32 s0, s0, 48
	s_addc_u32 s1, s1, 0
	s_add_i32 s43, s43, 4
	s_add_u32 s20, s20, 32
	s_addc_u32 s21, s21, 0
	s_cmp_eq_u32 s34, s43
	s_waitcnt vmcnt(0) lgkmcnt(0)
	v_mul_hi_u32 v3, s45, v1
	v_add_nc_u32_e32 v3, v1, v3
	v_lshrrev_b32_e32 v3, s46, v3
	v_mul_hi_u32 v4, s48, v3
	v_mul_lo_u32 v6, v3, s44
	v_add_nc_u32_e32 v4, v3, v4
	v_sub_nc_u32_e32 v1, v1, v6
	v_lshrrev_b32_e32 v4, s49, v4
	v_mul_lo_u32 v6, v1, s52
	v_mul_lo_u32 v9, v1, s53
	v_mul_hi_u32 v5, s51, v4
	v_add_nc_u32_e32 v5, v4, v5
	v_lshrrev_b32_e32 v5, s60, v5
	v_mul_hi_u32 v7, s62, v5
	v_mul_lo_u32 v10, v5, s50
	v_add_nc_u32_e32 v1, v5, v7
	v_mul_lo_u32 v7, v4, s47
	v_sub_nc_u32_e32 v4, v4, v10
	v_lshrrev_b32_e32 v1, s63, v1
	v_mul_lo_u32 v10, v4, s56
	v_mul_lo_u32 v4, v4, s57
	v_sub_nc_u32_e32 v3, v3, v7
	v_mul_lo_u32 v11, v1, s61
	v_mul_lo_u32 v7, v3, s54
	;; [unrolled: 1-line block ×3, first 2 shown]
	v_sub_nc_u32_e32 v5, v5, v11
	v_add3_u32 v0, v6, v0, v7
	v_mul_lo_u32 v11, v5, s58
	v_mul_lo_u32 v5, v5, s59
	v_add3_u32 v2, v9, v2, v3
	v_add3_u32 v0, v10, v0, v11
	;; [unrolled: 1-line block ×3, first 2 shown]
	s_cbranch_scc0 .LBB29_897
	s_branch .LBB29_901
.LBB29_898:
	s_mov_b32 s0, -1
                                        ; implicit-def: $vgpr0
                                        ; implicit-def: $vgpr2
	s_branch .LBB29_905
.LBB29_899:
	v_mov_b32_e32 v0, 0
	v_mov_b32_e32 v2, 0
	s_branch .LBB29_904
.LBB29_900:
	v_mov_b32_e32 v0, 0
	v_mov_b32_e32 v2, 0
	;; [unrolled: 1-line block ×3, first 2 shown]
	s_mov_b32 s34, 0
.LBB29_901:
	s_and_b32 s35, s35, 3
	s_cmp_eq_u32 s35, 0
	s_cbranch_scc1 .LBB29_904
; %bb.902:
	s_lshl_b32 s0, s34, 3
	s_mul_i32 s20, s34, 12
	s_add_u32 s0, s2, s0
	s_addc_u32 s1, s3, 0
	s_add_u32 s0, s0, 0xc4
	s_addc_u32 s1, s1, 0
	s_add_u32 s20, s2, s20
	s_addc_u32 s21, s3, 0
.LBB29_903:                             ; =>This Inner Loop Header: Depth=1
	s_clause 0x1
	s_load_dwordx2 s[44:45], s[20:21], 0x4
	s_load_dword s34, s[20:21], 0xc
	s_load_dwordx2 s[46:47], s[0:1], 0x0
	s_add_u32 s20, s20, 12
	s_addc_u32 s21, s21, 0
	s_add_u32 s0, s0, 8
	s_addc_u32 s1, s1, 0
	s_add_i32 s35, s35, -1
	s_cmp_lg_u32 s35, 0
	s_waitcnt vmcnt(0) lgkmcnt(0)
	v_mul_hi_u32 v3, s45, v1
	v_add_nc_u32_e32 v3, v1, v3
	v_lshrrev_b32_e32 v4, s34, v3
	v_mul_lo_u32 v3, v4, s44
	v_sub_nc_u32_e32 v3, v1, v3
	v_mad_u64_u32 v[0:1], null, v3, s46, v[0:1]
	v_mad_u64_u32 v[2:3], null, v3, s47, v[2:3]
	v_mov_b32_e32 v1, v4
	s_cbranch_scc1 .LBB29_903
.LBB29_904:
	s_mov_b32 s0, 0
.LBB29_905:
	s_andn2_b32 vcc_lo, exec_lo, s0
	s_cbranch_vccnz .LBB29_908
; %bb.906:
	s_waitcnt lgkmcnt(0)
	v_mul_hi_u32 v0, s17, v8
	s_andn2_b32 vcc_lo, exec_lo, s31
	v_add_nc_u32_e32 v0, v8, v0
	v_lshrrev_b32_e32 v1, s18, v0
	v_mul_lo_u32 v0, v1, s16
	v_sub_nc_u32_e32 v2, v8, v0
	v_mul_lo_u32 v0, v2, s12
	v_mul_lo_u32 v2, v2, s13
	s_cbranch_vccnz .LBB29_908
; %bb.907:
	s_waitcnt vmcnt(0)
	v_mul_hi_u32 v3, s6, v1
	v_add_nc_u32_e32 v3, v1, v3
	v_lshrrev_b32_e32 v3, s7, v3
	v_mul_lo_u32 v3, v3, s19
	v_sub_nc_u32_e32 v3, v1, v3
	v_mad_u64_u32 v[0:1], null, v3, s14, v[0:1]
	v_mad_u64_u32 v[2:3], null, v3, s15, v[2:3]
.LBB29_908:
	s_waitcnt lgkmcnt(0)
	v_add_co_u32 v1, s0, s10, v2
	v_add_co_ci_u32_e64 v2, null, s11, 0, s0
	s_and_b32 s0, 0xffff, s30
	s_cmp_lt_i32 s0, 11
	s_cbranch_scc1 .LBB29_915
; %bb.909:
	s_cmp_gt_i32 s0, 25
	s_mov_b32 s6, 0
	s_cbranch_scc0 .LBB29_916
; %bb.910:
	s_cmp_gt_i32 s0, 28
	s_cbranch_scc0 .LBB29_917
; %bb.911:
	s_cmp_gt_i32 s0, 43
	;; [unrolled: 3-line block ×3, first 2 shown]
	s_cbranch_scc0 .LBB29_921
; %bb.913:
	s_cmp_eq_u32 s0, 46
	s_mov_b32 s10, 0
	s_cbranch_scc0 .LBB29_924
; %bb.914:
	global_load_dword v3, v[1:2], off
	s_mov_b32 s1, 0
	s_mov_b32 s7, -1
	s_waitcnt vmcnt(0)
	v_lshlrev_b32_e32 v3, 16, v3
	v_cvt_f16_f32_e32 v4, v3
	s_branch .LBB29_926
.LBB29_915:
	s_mov_b32 s0, -1
	s_mov_b32 s7, 0
	s_mov_b32 s6, 0
	;; [unrolled: 1-line block ×3, first 2 shown]
                                        ; implicit-def: $vgpr4
	s_branch .LBB29_989
.LBB29_916:
	s_mov_b32 s10, -1
	s_mov_b32 s7, 0
	s_mov_b32 s1, s22
                                        ; implicit-def: $vgpr4
	s_branch .LBB29_955
.LBB29_917:
	s_mov_b32 s10, -1
	s_mov_b32 s7, 0
	s_mov_b32 s1, s22
                                        ; implicit-def: $vgpr4
	s_branch .LBB29_936
.LBB29_918:
	s_mov_b32 s10, -1
	s_mov_b32 s7, 0
	s_mov_b32 s1, s22
                                        ; implicit-def: $vgpr4
	s_branch .LBB29_931
.LBB29_919:
	s_andn2_saveexec_b32 s45, s45
	s_cbranch_execz .LBB29_799
.LBB29_920:
	v_add_f32_e64 v4, 0x46000000, |v3|
	s_andn2_b32 s44, s44, exec_lo
	v_and_b32_e32 v4, 0xff, v4
	v_cmp_ne_u32_e32 vcc_lo, 0, v4
	s_and_b32 s46, vcc_lo, exec_lo
	s_or_b32 s44, s44, s46
	s_or_b32 exec_lo, exec_lo, s45
	v_mov_b32_e32 v5, 0
	s_and_saveexec_b32 s45, s44
	s_cbranch_execnz .LBB29_800
	s_branch .LBB29_801
.LBB29_921:
	s_mov_b32 s10, -1
	s_mov_b32 s7, 0
	s_mov_b32 s1, s22
	s_branch .LBB29_925
.LBB29_922:
	s_andn2_saveexec_b32 s45, s45
	s_cbranch_execz .LBB29_812
.LBB29_923:
	v_add_f32_e64 v4, 0x42800000, |v3|
	s_andn2_b32 s44, s44, exec_lo
	v_and_b32_e32 v4, 0xff, v4
	v_cmp_ne_u32_e32 vcc_lo, 0, v4
	s_and_b32 s46, vcc_lo, exec_lo
	s_or_b32 s44, s44, s46
	s_or_b32 exec_lo, exec_lo, s45
	v_mov_b32_e32 v5, 0
	s_and_saveexec_b32 s45, s44
	s_cbranch_execnz .LBB29_813
	s_branch .LBB29_814
.LBB29_924:
	s_mov_b32 s1, -1
	s_mov_b32 s7, 0
.LBB29_925:
                                        ; implicit-def: $vgpr4
.LBB29_926:
	s_and_b32 vcc_lo, exec_lo, s10
	s_cbranch_vccz .LBB29_930
; %bb.927:
	s_cmp_eq_u32 s0, 44
	s_cbranch_scc0 .LBB29_929
; %bb.928:
	global_load_ubyte v3, v[1:2], off
	s_mov_b32 s1, 0
	s_mov_b32 s7, -1
	s_waitcnt vmcnt(0)
	v_lshlrev_b32_e32 v4, 23, v3
	v_cmp_ne_u32_e32 vcc_lo, 0xff, v3
	v_cvt_f16_f32_e32 v4, v4
	v_cndmask_b32_e32 v4, 0x7e00, v4, vcc_lo
	v_cmp_ne_u32_e32 vcc_lo, 0, v3
	v_cndmask_b32_e32 v4, 0, v4, vcc_lo
	s_branch .LBB29_930
.LBB29_929:
	s_mov_b32 s1, -1
                                        ; implicit-def: $vgpr4
.LBB29_930:
	s_mov_b32 s10, 0
.LBB29_931:
	s_and_b32 vcc_lo, exec_lo, s10
	s_cbranch_vccz .LBB29_935
; %bb.932:
	s_cmp_eq_u32 s0, 29
	s_cbranch_scc0 .LBB29_934
; %bb.933:
	global_load_dwordx2 v[3:4], v[1:2], off
	s_mov_b32 s1, 0
	s_mov_b32 s7, -1
	s_mov_b32 s10, 0
	s_waitcnt vmcnt(0)
	v_ffbh_u32_e32 v5, v4
	v_min_u32_e32 v5, 32, v5
	v_lshlrev_b64 v[3:4], v5, v[3:4]
	v_min_u32_e32 v3, 1, v3
	v_or_b32_e32 v3, v4, v3
	v_sub_nc_u32_e32 v4, 32, v5
	v_cvt_f32_u32_e32 v3, v3
	v_ldexp_f32 v3, v3, v4
	v_cvt_f16_f32_e32 v4, v3
	s_branch .LBB29_936
.LBB29_934:
	s_mov_b32 s1, -1
                                        ; implicit-def: $vgpr4
.LBB29_935:
	s_mov_b32 s10, 0
.LBB29_936:
	s_and_b32 vcc_lo, exec_lo, s10
	s_cbranch_vccz .LBB29_954
; %bb.937:
	s_cmp_lt_i32 s0, 27
	s_cbranch_scc1 .LBB29_940
; %bb.938:
	s_cmp_gt_i32 s0, 27
	s_cbranch_scc0 .LBB29_941
; %bb.939:
	global_load_dword v3, v[1:2], off
	s_mov_b32 s7, 0
	s_waitcnt vmcnt(0)
	v_cvt_f32_u32_e32 v3, v3
	v_cvt_f16_f32_e32 v4, v3
	s_branch .LBB29_942
.LBB29_940:
	s_mov_b32 s7, -1
                                        ; implicit-def: $vgpr4
	s_branch .LBB29_945
.LBB29_941:
	s_mov_b32 s7, -1
                                        ; implicit-def: $vgpr4
.LBB29_942:
	s_andn2_b32 vcc_lo, exec_lo, s7
	s_cbranch_vccnz .LBB29_944
; %bb.943:
	global_load_ushort v3, v[1:2], off
	s_waitcnt vmcnt(0)
	v_cvt_f16_u16_e32 v4, v3
.LBB29_944:
	s_mov_b32 s7, 0
.LBB29_945:
	s_andn2_b32 vcc_lo, exec_lo, s7
	s_cbranch_vccnz .LBB29_953
; %bb.946:
	global_load_ubyte v3, v[1:2], off
	s_mov_b32 s7, 0
	s_mov_b32 s10, exec_lo
	s_waitcnt vmcnt(0)
	v_cmpx_lt_i16_e32 0x7f, v3
	s_xor_b32 s10, exec_lo, s10
	s_cbranch_execz .LBB29_967
; %bb.947:
	s_mov_b32 s7, -1
	s_mov_b32 s11, exec_lo
	v_cmpx_eq_u16_e32 0x80, v3
; %bb.948:
	s_xor_b32 s7, exec_lo, -1
; %bb.949:
	s_or_b32 exec_lo, exec_lo, s11
	s_and_b32 s7, s7, exec_lo
	s_or_saveexec_b32 s10, s10
	v_mov_b32_e32 v4, 0x7e00
	s_xor_b32 exec_lo, exec_lo, s10
	s_cbranch_execnz .LBB29_968
.LBB29_950:
	s_or_b32 exec_lo, exec_lo, s10
	s_and_saveexec_b32 s10, s7
	s_cbranch_execz .LBB29_952
.LBB29_951:
	v_and_b32_e32 v4, 0xffff, v3
	v_lshlrev_b32_e32 v3, 24, v3
	v_and_b32_e32 v5, 7, v4
	v_bfe_u32 v8, v4, 3, 4
	v_and_b32_e32 v3, 0x80000000, v3
	v_ffbh_u32_e32 v6, v5
	v_cmp_eq_u32_e32 vcc_lo, 0, v8
	v_min_u32_e32 v6, 32, v6
	v_subrev_nc_u32_e32 v7, 28, v6
	v_sub_nc_u32_e32 v6, 29, v6
	v_lshlrev_b32_e32 v4, v7, v4
	v_cndmask_b32_e32 v6, v8, v6, vcc_lo
	v_and_b32_e32 v4, 7, v4
	v_cndmask_b32_e32 v4, v5, v4, vcc_lo
	v_lshl_add_u32 v5, v6, 23, 0x3b800000
	v_lshlrev_b32_e32 v4, 20, v4
	v_or3_b32 v3, v3, v5, v4
	v_cvt_f16_f32_e32 v4, v3
.LBB29_952:
	s_or_b32 exec_lo, exec_lo, s10
.LBB29_953:
	s_mov_b32 s7, -1
.LBB29_954:
	s_mov_b32 s10, 0
.LBB29_955:
	s_and_b32 vcc_lo, exec_lo, s10
	s_cbranch_vccz .LBB29_988
; %bb.956:
	s_cmp_gt_i32 s0, 22
	s_cbranch_scc0 .LBB29_966
; %bb.957:
	s_cmp_lt_i32 s0, 24
	s_cbranch_scc1 .LBB29_969
; %bb.958:
	s_cmp_gt_i32 s0, 24
	s_cbranch_scc0 .LBB29_970
; %bb.959:
	global_load_ubyte v3, v[1:2], off
	s_mov_b32 s7, exec_lo
	s_waitcnt vmcnt(0)
	v_cmpx_lt_i16_e32 0x7f, v3
	s_xor_b32 s7, exec_lo, s7
	s_cbranch_execz .LBB29_982
; %bb.960:
	s_mov_b32 s6, -1
	s_mov_b32 s10, exec_lo
	v_cmpx_eq_u16_e32 0x80, v3
; %bb.961:
	s_xor_b32 s6, exec_lo, -1
; %bb.962:
	s_or_b32 exec_lo, exec_lo, s10
	s_and_b32 s6, s6, exec_lo
	s_or_saveexec_b32 s7, s7
	v_mov_b32_e32 v4, 0x7e00
	s_xor_b32 exec_lo, exec_lo, s7
	s_cbranch_execnz .LBB29_983
.LBB29_963:
	s_or_b32 exec_lo, exec_lo, s7
	s_and_saveexec_b32 s7, s6
	s_cbranch_execz .LBB29_965
.LBB29_964:
	v_and_b32_e32 v4, 0xffff, v3
	v_lshlrev_b32_e32 v3, 24, v3
	v_and_b32_e32 v5, 3, v4
	v_bfe_u32 v8, v4, 2, 5
	v_and_b32_e32 v3, 0x80000000, v3
	v_ffbh_u32_e32 v6, v5
	v_cmp_eq_u32_e32 vcc_lo, 0, v8
	v_min_u32_e32 v6, 32, v6
	v_subrev_nc_u32_e32 v7, 29, v6
	v_sub_nc_u32_e32 v6, 30, v6
	v_lshlrev_b32_e32 v4, v7, v4
	v_cndmask_b32_e32 v6, v8, v6, vcc_lo
	v_and_b32_e32 v4, 3, v4
	v_cndmask_b32_e32 v4, v5, v4, vcc_lo
	v_lshl_add_u32 v5, v6, 23, 0x37800000
	v_lshlrev_b32_e32 v4, 21, v4
	v_or3_b32 v3, v3, v5, v4
	v_cvt_f16_f32_e32 v4, v3
.LBB29_965:
	s_or_b32 exec_lo, exec_lo, s7
	s_mov_b32 s6, 0
	s_branch .LBB29_971
.LBB29_966:
	s_mov_b32 s6, -1
                                        ; implicit-def: $vgpr4
	s_branch .LBB29_977
.LBB29_967:
	s_or_saveexec_b32 s10, s10
	v_mov_b32_e32 v4, 0x7e00
	s_xor_b32 exec_lo, exec_lo, s10
	s_cbranch_execz .LBB29_950
.LBB29_968:
	v_cmp_ne_u16_e32 vcc_lo, 0, v3
	v_mov_b32_e32 v4, v3
	s_andn2_b32 s7, s7, exec_lo
	s_and_b32 s11, vcc_lo, exec_lo
	s_or_b32 s7, s7, s11
	s_or_b32 exec_lo, exec_lo, s10
	s_and_saveexec_b32 s10, s7
	s_cbranch_execnz .LBB29_951
	s_branch .LBB29_952
.LBB29_969:
	s_mov_b32 s6, -1
                                        ; implicit-def: $vgpr4
	s_branch .LBB29_974
.LBB29_970:
	s_mov_b32 s6, -1
                                        ; implicit-def: $vgpr4
.LBB29_971:
	s_and_b32 vcc_lo, exec_lo, s6
	s_cbranch_vccz .LBB29_973
; %bb.972:
	global_load_ubyte v3, v[1:2], off
	s_waitcnt vmcnt(0)
	v_lshlrev_b32_e32 v3, 24, v3
	v_and_b32_e32 v4, 0x7f000000, v3
	v_ffbh_u32_e32 v5, v4
	v_add_nc_u32_e32 v7, 0x1000000, v4
	v_cmp_ne_u32_e32 vcc_lo, 0, v4
	v_min_u32_e32 v5, 32, v5
	v_sub_nc_u32_e64 v5, v5, 4 clamp
	v_lshlrev_b32_e32 v6, v5, v4
	v_lshlrev_b32_e32 v5, 23, v5
	v_lshrrev_b32_e32 v6, 4, v6
	v_sub_nc_u32_e32 v5, v6, v5
	v_ashrrev_i32_e32 v6, 8, v7
	v_add_nc_u32_e32 v5, 0x3c000000, v5
	v_and_or_b32 v5, 0x7f800000, v6, v5
	v_cndmask_b32_e32 v4, 0, v5, vcc_lo
	v_and_or_b32 v3, 0x80000000, v3, v4
	v_cvt_f16_f32_e32 v4, v3
.LBB29_973:
	s_mov_b32 s6, 0
.LBB29_974:
	s_andn2_b32 vcc_lo, exec_lo, s6
	s_cbranch_vccnz .LBB29_976
; %bb.975:
	global_load_ubyte v3, v[1:2], off
	s_waitcnt vmcnt(0)
	v_lshlrev_b32_e32 v4, 25, v3
	v_lshlrev_b16 v3, 8, v3
	v_lshrrev_b32_e32 v5, 4, v4
	v_and_or_b32 v6, 0x7f00, v3, 0.5
	v_cmp_gt_u32_e32 vcc_lo, 0x8000000, v4
	v_bfe_i32 v3, v3, 0, 16
	v_or_b32_e32 v5, 0x70000000, v5
	v_add_f32_e32 v6, -0.5, v6
	v_mul_f32_e32 v5, 0x7800000, v5
	v_cndmask_b32_e32 v4, v5, v6, vcc_lo
	v_and_or_b32 v3, 0x80000000, v3, v4
	v_cvt_f16_f32_e32 v4, v3
.LBB29_976:
	s_mov_b32 s6, 0
	s_mov_b32 s7, -1
.LBB29_977:
	s_andn2_b32 vcc_lo, exec_lo, s6
	s_mov_b32 s6, 0
	s_cbranch_vccnz .LBB29_988
; %bb.978:
	s_cmp_gt_i32 s0, 14
	s_cbranch_scc0 .LBB29_981
; %bb.979:
	s_cmp_eq_u32 s0, 15
	s_cbranch_scc0 .LBB29_984
; %bb.980:
	global_load_ushort v3, v[1:2], off
	s_mov_b32 s1, 0
	s_mov_b32 s7, -1
	s_waitcnt vmcnt(0)
	v_lshlrev_b32_e32 v3, 16, v3
	v_cvt_f16_f32_e32 v4, v3
	s_branch .LBB29_986
.LBB29_981:
	s_mov_b32 s6, -1
	s_branch .LBB29_985
.LBB29_982:
	s_or_saveexec_b32 s7, s7
	v_mov_b32_e32 v4, 0x7e00
	s_xor_b32 exec_lo, exec_lo, s7
	s_cbranch_execz .LBB29_963
.LBB29_983:
	v_cmp_ne_u16_e32 vcc_lo, 0, v3
	v_mov_b32_e32 v4, v3
	s_andn2_b32 s6, s6, exec_lo
	s_and_b32 s10, vcc_lo, exec_lo
	s_or_b32 s6, s6, s10
	s_or_b32 exec_lo, exec_lo, s7
	s_and_saveexec_b32 s7, s6
	s_cbranch_execnz .LBB29_964
	s_branch .LBB29_965
.LBB29_984:
	s_mov_b32 s1, -1
.LBB29_985:
                                        ; implicit-def: $vgpr4
.LBB29_986:
	s_and_b32 vcc_lo, exec_lo, s6
	s_mov_b32 s6, 0
	s_cbranch_vccz .LBB29_988
; %bb.987:
	s_cmp_lg_u32 s0, 11
	s_mov_b32 s6, -1
	s_cselect_b32 s0, -1, 0
	s_andn2_b32 s1, s1, exec_lo
	s_and_b32 s0, s0, exec_lo
	s_or_b32 s1, s1, s0
.LBB29_988:
	s_mov_b32 s0, 0
.LBB29_989:
	s_and_b32 s43, s7, exec_lo
	s_andn2_b32 s7, s22, exec_lo
	s_and_b32 s1, s1, exec_lo
	s_and_b32 s44, s0, exec_lo
	;; [unrolled: 1-line block ×3, first 2 shown]
	s_or_b32 s45, s7, s1
.LBB29_990:
	s_or_b32 exec_lo, exec_lo, s33
	s_waitcnt lgkmcnt(0)
	s_andn2_b32 s6, s22, exec_lo
	s_and_b32 s7, s45, exec_lo
	s_and_b32 s43, s43, exec_lo
	s_and_b32 s1, s44, exec_lo
	s_and_b32 s0, s0, exec_lo
	s_or_b32 s22, s6, s7
.LBB29_991:
	s_or_b32 exec_lo, exec_lo, s42
	s_waitcnt lgkmcnt(0)
	s_andn2_b32 s6, s40, exec_lo
	s_and_b32 s7, s23, exec_lo
	s_and_b32 s42, s43, exec_lo
	s_or_b32 s40, s6, s7
	s_andn2_b32 s6, s39, exec_lo
	s_and_b32 s7, s22, exec_lo
	s_and_b32 s23, s1, exec_lo
	;; [unrolled: 1-line block ×3, first 2 shown]
	s_or_b32 s39, s6, s7
.LBB29_992:
	s_or_b32 exec_lo, exec_lo, s41
	s_andn2_b32 s0, s36, exec_lo
	s_waitcnt lgkmcnt(0)
	s_and_b32 s6, s40, exec_lo
	s_and_b32 s7, s39, exec_lo
	s_or_b32 s36, s0, s6
	s_andn2_b32 s6, s37, exec_lo
	s_and_b32 s0, s42, exec_lo
	s_and_b32 s22, s23, exec_lo
	;; [unrolled: 1-line block ×3, first 2 shown]
	s_or_b32 s37, s6, s7
	s_or_b32 exec_lo, exec_lo, s38
	s_mov_b32 s6, 0
	s_and_saveexec_b32 s1, s37
	s_cbranch_execz .LBB29_298
.LBB29_993:
	s_mov_b32 s6, exec_lo
	s_andn2_b32 s39, s39, exec_lo
	s_trap 2
	s_or_b32 exec_lo, exec_lo, s1
	s_and_saveexec_b32 s1, s39
	s_xor_b32 s1, exec_lo, s1
	s_cbranch_execnz .LBB29_299
.LBB29_994:
	s_or_b32 exec_lo, exec_lo, s1
	s_and_saveexec_b32 s1, s22
	s_cbranch_execz .LBB29_1040
.LBB29_995:
	s_sext_i32_i16 s7, s30
	s_cmp_lt_i32 s7, 5
	s_cbranch_scc1 .LBB29_1000
; %bb.996:
	s_cmp_lt_i32 s7, 8
	s_cbranch_scc1 .LBB29_1001
; %bb.997:
	s_cmp_lt_i32 s7, 9
	s_cbranch_scc1 .LBB29_1002
; %bb.998:
	s_cmp_gt_i32 s7, 9
	s_cbranch_scc0 .LBB29_1003
; %bb.999:
	global_load_dwordx2 v[3:4], v[1:2], off
	s_mov_b32 s7, 0
	s_waitcnt vmcnt(0)
	v_and_or_b32 v3, 0x1ff, v4, v3
	v_lshrrev_b32_e32 v5, 8, v4
	v_bfe_u32 v6, v4, 20, 11
	v_lshrrev_b32_e32 v4, 16, v4
	v_cmp_ne_u32_e32 vcc_lo, 0, v3
	v_sub_nc_u32_e32 v7, 0x3f1, v6
	v_add_nc_u32_e32 v6, 0xfffffc10, v6
	v_cndmask_b32_e64 v3, 0, 1, vcc_lo
	v_and_or_b32 v3, 0xffe, v5, v3
	v_med3_i32 v5, v7, 0, 13
	v_or_b32_e32 v7, 0x1000, v3
	v_lshrrev_b32_e32 v8, v5, v7
	v_lshlrev_b32_e32 v5, v5, v8
	v_cmp_ne_u32_e32 vcc_lo, v5, v7
	v_lshl_or_b32 v7, v6, 12, v3
	v_cndmask_b32_e64 v5, 0, 1, vcc_lo
	v_cmp_gt_i32_e32 vcc_lo, 1, v6
	v_or_b32_e32 v5, v8, v5
	v_cndmask_b32_e32 v5, v7, v5, vcc_lo
	v_and_b32_e32 v7, 7, v5
	v_lshrrev_b32_e32 v5, 2, v5
	v_cmp_lt_i32_e32 vcc_lo, 5, v7
	v_cndmask_b32_e64 v8, 0, 1, vcc_lo
	v_cmp_eq_u32_e32 vcc_lo, 3, v7
	v_cndmask_b32_e64 v7, 0, 1, vcc_lo
	v_cmp_ne_u32_e32 vcc_lo, 0, v3
	v_or_b32_e32 v7, v7, v8
	v_mov_b32_e32 v8, 0x7e00
	v_add_nc_u32_e32 v5, v5, v7
	v_cndmask_b32_e32 v3, 0x7c00, v8, vcc_lo
	v_cmp_gt_i32_e32 vcc_lo, 31, v6
	v_cndmask_b32_e32 v5, 0x7c00, v5, vcc_lo
	v_cmp_eq_u32_e32 vcc_lo, 0x40f, v6
	v_cndmask_b32_e32 v3, v5, v3, vcc_lo
	v_and_or_b32 v4, 0x8000, v4, v3
	s_branch .LBB29_1004
.LBB29_1000:
                                        ; implicit-def: $vgpr4
	s_branch .LBB29_1021
.LBB29_1001:
                                        ; implicit-def: $vgpr4
	s_branch .LBB29_1010
.LBB29_1002:
	s_mov_b32 s7, -1
                                        ; implicit-def: $vgpr4
	s_branch .LBB29_1007
.LBB29_1003:
	s_mov_b32 s7, -1
                                        ; implicit-def: $vgpr4
.LBB29_1004:
	s_andn2_b32 vcc_lo, exec_lo, s7
	s_cbranch_vccnz .LBB29_1006
; %bb.1005:
	global_load_dword v3, v[1:2], off
	s_waitcnt vmcnt(0)
	v_cvt_f16_f32_e32 v4, v3
.LBB29_1006:
	s_mov_b32 s7, 0
.LBB29_1007:
	s_andn2_b32 vcc_lo, exec_lo, s7
	s_cbranch_vccnz .LBB29_1009
; %bb.1008:
	global_load_dword v4, v[1:2], off
.LBB29_1009:
	s_cbranch_execnz .LBB29_1020
.LBB29_1010:
	s_sext_i32_i16 s7, s30
	s_cmp_lt_i32 s7, 6
	s_cbranch_scc1 .LBB29_1013
; %bb.1011:
	s_cmp_gt_i32 s7, 6
	s_cbranch_scc0 .LBB29_1014
; %bb.1012:
	global_load_dwordx2 v[3:4], v[1:2], off
	s_mov_b32 s7, 0
	s_waitcnt vmcnt(0)
	v_and_or_b32 v3, 0x1ff, v4, v3
	v_lshrrev_b32_e32 v5, 8, v4
	v_bfe_u32 v6, v4, 20, 11
	v_lshrrev_b32_e32 v4, 16, v4
	v_cmp_ne_u32_e32 vcc_lo, 0, v3
	v_sub_nc_u32_e32 v7, 0x3f1, v6
	v_add_nc_u32_e32 v6, 0xfffffc10, v6
	v_cndmask_b32_e64 v3, 0, 1, vcc_lo
	v_and_or_b32 v3, 0xffe, v5, v3
	v_med3_i32 v5, v7, 0, 13
	v_or_b32_e32 v7, 0x1000, v3
	v_lshrrev_b32_e32 v8, v5, v7
	v_lshlrev_b32_e32 v5, v5, v8
	v_cmp_ne_u32_e32 vcc_lo, v5, v7
	v_lshl_or_b32 v7, v6, 12, v3
	v_cndmask_b32_e64 v5, 0, 1, vcc_lo
	v_cmp_gt_i32_e32 vcc_lo, 1, v6
	v_or_b32_e32 v5, v8, v5
	v_cndmask_b32_e32 v5, v7, v5, vcc_lo
	v_and_b32_e32 v7, 7, v5
	v_lshrrev_b32_e32 v5, 2, v5
	v_cmp_lt_i32_e32 vcc_lo, 5, v7
	v_cndmask_b32_e64 v8, 0, 1, vcc_lo
	v_cmp_eq_u32_e32 vcc_lo, 3, v7
	v_cndmask_b32_e64 v7, 0, 1, vcc_lo
	v_cmp_ne_u32_e32 vcc_lo, 0, v3
	v_or_b32_e32 v7, v7, v8
	v_mov_b32_e32 v8, 0x7e00
	v_add_nc_u32_e32 v5, v5, v7
	v_cndmask_b32_e32 v3, 0x7c00, v8, vcc_lo
	v_cmp_gt_i32_e32 vcc_lo, 31, v6
	v_cndmask_b32_e32 v5, 0x7c00, v5, vcc_lo
	v_cmp_eq_u32_e32 vcc_lo, 0x40f, v6
	v_cndmask_b32_e32 v3, v5, v3, vcc_lo
	v_and_or_b32 v4, 0x8000, v4, v3
	s_branch .LBB29_1015
.LBB29_1013:
	s_mov_b32 s7, -1
                                        ; implicit-def: $vgpr4
	s_branch .LBB29_1018
.LBB29_1014:
	s_mov_b32 s7, -1
                                        ; implicit-def: $vgpr4
.LBB29_1015:
	s_andn2_b32 vcc_lo, exec_lo, s7
	s_cbranch_vccnz .LBB29_1017
; %bb.1016:
	global_load_dword v3, v[1:2], off
	s_waitcnt vmcnt(0)
	v_cvt_f16_f32_e32 v4, v3
.LBB29_1017:
	s_mov_b32 s7, 0
.LBB29_1018:
	s_andn2_b32 vcc_lo, exec_lo, s7
	s_cbranch_vccnz .LBB29_1020
; %bb.1019:
	global_load_ushort v4, v[1:2], off
.LBB29_1020:
	s_cbranch_execnz .LBB29_1039
.LBB29_1021:
	s_sext_i32_i16 s7, s30
	s_cmp_lt_i32 s7, 2
	s_cbranch_scc1 .LBB29_1025
; %bb.1022:
	s_cmp_lt_i32 s7, 3
	s_cbranch_scc1 .LBB29_1026
; %bb.1023:
	s_cmp_gt_i32 s7, 3
	s_cbranch_scc0 .LBB29_1027
; %bb.1024:
	global_load_dwordx2 v[3:4], v[1:2], off
	s_mov_b32 s7, 0
	s_waitcnt vmcnt(0)
	v_xor_b32_e32 v5, v3, v4
	v_ffbh_i32_e32 v6, v4
	v_ashrrev_i32_e32 v5, 31, v5
	v_add_nc_u32_e32 v6, -1, v6
	v_add_nc_u32_e32 v5, 32, v5
	v_min_u32_e32 v5, v6, v5
	v_lshlrev_b64 v[3:4], v5, v[3:4]
	v_min_u32_e32 v3, 1, v3
	v_or_b32_e32 v3, v4, v3
	v_sub_nc_u32_e32 v4, 32, v5
	v_cvt_f32_i32_e32 v3, v3
	v_ldexp_f32 v3, v3, v4
	v_cvt_f16_f32_e32 v4, v3
	s_branch .LBB29_1028
.LBB29_1025:
                                        ; implicit-def: $vgpr4
	s_branch .LBB29_1034
.LBB29_1026:
	s_mov_b32 s7, -1
                                        ; implicit-def: $vgpr4
	s_branch .LBB29_1031
.LBB29_1027:
	s_mov_b32 s7, -1
                                        ; implicit-def: $vgpr4
.LBB29_1028:
	s_andn2_b32 vcc_lo, exec_lo, s7
	s_cbranch_vccnz .LBB29_1030
; %bb.1029:
	global_load_dword v3, v[1:2], off
	s_waitcnt vmcnt(0)
	v_cvt_f32_i32_e32 v3, v3
	v_cvt_f16_f32_e32 v4, v3
.LBB29_1030:
	s_mov_b32 s7, 0
.LBB29_1031:
	s_andn2_b32 vcc_lo, exec_lo, s7
	s_cbranch_vccnz .LBB29_1033
; %bb.1032:
	global_load_ushort v3, v[1:2], off
	s_waitcnt vmcnt(0)
	v_cvt_f16_i16_e32 v4, v3
.LBB29_1033:
	s_cbranch_execnz .LBB29_1039
.LBB29_1034:
	s_sext_i32_i16 s7, s30
	s_cmp_gt_i32 s7, 0
	s_mov_b32 s7, 0
	s_cbranch_scc0 .LBB29_1036
; %bb.1035:
	global_load_sbyte v3, v[1:2], off
	s_waitcnt vmcnt(0)
	v_cvt_f16_i16_e32 v4, v3
	s_branch .LBB29_1037
.LBB29_1036:
	s_mov_b32 s7, -1
                                        ; implicit-def: $vgpr4
.LBB29_1037:
	s_andn2_b32 vcc_lo, exec_lo, s7
	s_cbranch_vccnz .LBB29_1039
; %bb.1038:
	global_load_ubyte v1, v[1:2], off
	s_waitcnt vmcnt(0)
	v_cvt_f16_u16_e32 v4, v1
.LBB29_1039:
	s_or_b32 s0, s0, exec_lo
.LBB29_1040:
	s_or_b32 exec_lo, exec_lo, s1
	s_mov_b32 s11, 0
	s_mov_b32 s10, 0
                                        ; implicit-def: $sgpr1
                                        ; implicit-def: $vgpr1_vgpr2
                                        ; implicit-def: $vgpr3
	s_and_saveexec_b32 s7, s0
	s_cbranch_execz .LBB29_1072
; %bb.1041:
	s_waitcnt vmcnt(0)
	v_cvt_f32_f16_e32 v7, v4
                                        ; implicit-def: $vgpr3
	s_mov_b32 s0, exec_lo
	v_cmpx_neq_f16_e32 0, v4
	s_xor_b32 s10, exec_lo, s0
	s_cbranch_execz .LBB29_1063
; %bb.1042:
	v_mov_b32_e32 v1, 0
	s_mov_b32 s0, -1
	s_mov_b32 s11, exec_lo
	v_cmpx_gt_f16_e32 0, v4
	s_cbranch_execz .LBB29_1050
; %bb.1043:
	v_trunc_f32_e32 v1, v7
	s_mov_b32 s1, 0
	v_cmp_neq_f32_e32 vcc_lo, v1, v7
	v_mov_b32_e32 v1, 0
	s_and_saveexec_b32 s12, vcc_lo
	s_cbranch_execz .LBB29_1049
; %bb.1044:
	v_cvt_f32_f16_e32 v1, v4
	s_mov_b32 s1, 0xc00921fb
	s_mov_b32 s0, 0x54442d18
	s_mov_b32 s13, exec_lo
                                        ; implicit-def: $vgpr8
                                        ; implicit-def: $vgpr5_vgpr6
	v_cvt_f64_f32_e32 v[1:2], v1
	v_trunc_f64_e32 v[3:4], v[1:2]
	v_cmp_neq_f64_e64 vcc_lo, 0x7ff00000, |v[1:2]|
	v_add_f64 v[3:4], v[1:2], -v[3:4]
	v_mul_f64 v[3:4], |v[3:4]|, s[0:1]
	v_cndmask_b32_e32 v2, 0x80000000, v4, vcc_lo
	v_cndmask_b32_e32 v1, 0, v3, vcc_lo
                                        ; implicit-def: $vgpr3_vgpr4
	v_cmpx_ngt_f64_e64 0x41d00000, |v[1:2]|
	s_xor_b32 s13, exec_lo, s13
	s_cbranch_execz .LBB29_1046
; %bb.1045:
	v_ldexp_f64 v[3:4], |v[1:2]|, 0xffffff80
	v_cmp_le_f64_e64 vcc_lo, 0x7b000000, |v[1:2]|
	v_trig_preop_f64 v[5:6], |v[1:2]|, 0
	v_and_b32_e32 v8, 0x7fffffff, v2
	v_trig_preop_f64 v[18:19], |v[1:2]|, 2
	v_mov_b32_e32 v26, 0
	s_mov_b32 s1, 0x3ff921fb
	s_mov_b32 s14, 0x33145c07
	;; [unrolled: 1-line block ×3, first 2 shown]
	v_cndmask_b32_e32 v4, v8, v4, vcc_lo
	v_cndmask_b32_e32 v3, v1, v3, vcc_lo
	v_trig_preop_f64 v[8:9], |v[1:2]|, 1
	v_mul_f64 v[10:11], v[5:6], v[3:4]
	v_mul_f64 v[24:25], v[18:19], v[3:4]
	;; [unrolled: 1-line block ×3, first 2 shown]
	v_fma_f64 v[5:6], v[5:6], v[3:4], -v[10:11]
	v_fma_f64 v[8:9], v[8:9], v[3:4], -v[12:13]
	;; [unrolled: 1-line block ×3, first 2 shown]
	v_add_f64 v[14:15], v[12:13], v[5:6]
	v_add_f64 v[16:17], v[14:15], -v[12:13]
	v_add_f64 v[22:23], v[10:11], v[14:15]
	v_add_f64 v[20:21], v[14:15], -v[16:17]
	v_add_f64 v[5:6], v[5:6], -v[16:17]
	v_ldexp_f64 v[16:17], v[22:23], -2
	v_add_f64 v[10:11], v[22:23], -v[10:11]
	v_add_f64 v[12:13], v[12:13], -v[20:21]
	v_add_f64 v[20:21], v[24:25], v[8:9]
	v_cmp_neq_f64_e64 vcc_lo, 0x7ff00000, |v[16:17]|
	v_add_f64 v[10:11], v[14:15], -v[10:11]
	v_add_f64 v[5:6], v[5:6], v[12:13]
	v_fract_f64_e32 v[12:13], v[16:17]
	v_add_f64 v[14:15], v[20:21], v[5:6]
	v_ldexp_f64 v[12:13], v[12:13], 2
	v_add_f64 v[16:17], v[10:11], v[14:15]
	v_cndmask_b32_e32 v13, 0, v13, vcc_lo
	v_cndmask_b32_e32 v12, 0, v12, vcc_lo
	v_add_f64 v[22:23], v[16:17], v[12:13]
	v_add_f64 v[10:11], v[16:17], -v[10:11]
	v_cmp_gt_f64_e32 vcc_lo, 0, v[22:23]
	v_add_f64 v[22:23], v[20:21], -v[24:25]
	v_cndmask_b32_e64 v27, 0, 0x40100000, vcc_lo
	v_add_f64 v[31:32], v[20:21], -v[22:23]
	v_add_f64 v[8:9], v[8:9], -v[22:23]
	v_add_f64 v[12:13], v[12:13], v[26:27]
	v_add_f64 v[27:28], v[14:15], -v[20:21]
	v_add_f64 v[22:23], v[24:25], -v[31:32]
	v_add_f64 v[29:30], v[16:17], v[12:13]
	v_add_f64 v[33:34], v[14:15], -v[27:28]
	v_add_f64 v[5:6], v[5:6], -v[27:28]
	v_add_f64 v[8:9], v[8:9], v[22:23]
	v_cvt_i32_f64_e32 v29, v[29:30]
	v_add_f64 v[20:21], v[20:21], -v[33:34]
	v_cvt_f64_i32_e32 v[27:28], v29
	v_add_f64 v[5:6], v[5:6], v[20:21]
	v_add_f64 v[12:13], v[12:13], -v[27:28]
	v_add_f64 v[5:6], v[8:9], v[5:6]
	v_add_f64 v[8:9], v[14:15], -v[10:11]
	v_add_f64 v[18:19], v[16:17], v[12:13]
	v_add_f64 v[3:4], v[3:4], v[5:6]
	v_add_f64 v[5:6], v[18:19], -v[12:13]
	v_cmp_le_f64_e32 vcc_lo, 0.5, v[18:19]
	v_add_f64 v[3:4], v[8:9], v[3:4]
	v_add_f64 v[5:6], v[16:17], -v[5:6]
	v_cndmask_b32_e64 v27, 0, 0x3ff00000, vcc_lo
	v_add_co_ci_u32_e64 v8, null, 0, v29, vcc_lo
	v_add_f64 v[3:4], v[3:4], v[5:6]
	v_add_f64 v[5:6], v[18:19], -v[26:27]
	v_add_f64 v[9:10], v[5:6], v[3:4]
	v_mul_f64 v[11:12], v[9:10], s[0:1]
	v_add_f64 v[5:6], v[9:10], -v[5:6]
	v_fma_f64 v[13:14], v[9:10], s[0:1], -v[11:12]
	v_add_f64 v[3:4], v[3:4], -v[5:6]
	v_fma_f64 v[5:6], v[9:10], s[14:15], v[13:14]
	v_fma_f64 v[5:6], v[3:4], s[0:1], v[5:6]
	v_add_f64 v[3:4], v[11:12], v[5:6]
	v_add_f64 v[9:10], v[3:4], -v[11:12]
	v_add_f64 v[5:6], v[5:6], -v[9:10]
.LBB29_1046:
	s_andn2_saveexec_b32 s0, s13
	s_cbranch_execz .LBB29_1048
; %bb.1047:
	s_mov_b32 s14, 0x6dc9c883
	s_mov_b32 s15, 0x3fe45f30
	;; [unrolled: 1-line block ×3, first 2 shown]
	v_mul_f64 v[3:4], |v[1:2]|, s[14:15]
	s_mov_b32 s14, 0x54442d18
	s_mov_b32 s15, 0xbff921fb
	;; [unrolled: 1-line block ×3, first 2 shown]
	v_rndne_f64_e32 v[8:9], v[3:4]
	v_fma_f64 v[3:4], v[8:9], s[14:15], |v[1:2]|
	v_mul_f64 v[5:6], v[8:9], s[16:17]
	s_mov_b32 s14, 0x252049c0
	s_mov_b32 s15, 0xb97b839a
	v_fma_f64 v[12:13], v[8:9], s[16:17], v[3:4]
	v_add_f64 v[10:11], v[3:4], v[5:6]
	s_mov_b32 s17, 0x3c91a626
	v_add_f64 v[3:4], v[3:4], -v[10:11]
	v_add_f64 v[10:11], v[10:11], -v[12:13]
	v_add_f64 v[3:4], v[3:4], v[5:6]
	v_fma_f64 v[5:6], v[8:9], s[16:17], v[5:6]
	v_add_f64 v[3:4], v[10:11], v[3:4]
	v_add_f64 v[3:4], v[3:4], -v[5:6]
	v_fma_f64 v[5:6], v[8:9], s[14:15], v[3:4]
	v_cvt_i32_f64_e32 v8, v[8:9]
	v_add_f64 v[3:4], v[12:13], v[5:6]
	v_add_f64 v[10:11], v[3:4], -v[12:13]
	v_add_f64 v[5:6], v[5:6], -v[10:11]
.LBB29_1048:
	s_or_b32 exec_lo, exec_lo, s0
	v_mul_f64 v[9:10], v[3:4], v[3:4]
	v_add_f64 v[11:12], v[5:6], v[5:6]
	s_mov_b32 s14, 0xa9a29f71
	s_mov_b32 s16, 0xc751c08c
	;; [unrolled: 1-line block ×4, first 2 shown]
	v_cmp_class_f64_e64 s0, v[1:2], 0x1f8
	v_and_b32_e32 v8, 1, v8
	v_and_b32_e32 v2, 0x80000000, v2
	v_sub_f32_e32 v7, 1.0, v7
	s_mov_b32 s1, exec_lo
	v_cmp_eq_u32_e32 vcc_lo, 0, v8
	v_fma_f64 v[13:14], v[3:4], v[3:4], -v[9:10]
	v_fma_f64 v[11:12], v[3:4], v[11:12], v[13:14]
	v_add_f64 v[9:10], v[9:10], v[11:12]
	v_fma_f64 v[11:12], v[9:10], s[16:17], s[14:15]
	s_mov_b32 s14, 0x90a8aae0
	s_mov_b32 s15, 0x3f17746f
	v_fma_f64 v[11:12], v[9:10], v[11:12], s[14:15]
	s_mov_b32 s14, 0xa6fbf144
	s_mov_b32 s15, 0xbefbb44d
	;; [unrolled: 3-line block ×13, first 2 shown]
	v_mul_f64 v[9:10], v[9:10], v[11:12]
	v_mul_f64 v[11:12], v[3:4], v[9:10]
	v_add_f64 v[13:14], v[3:4], v[11:12]
	v_fma_f64 v[9:10], v[3:4], v[9:10], -v[11:12]
	v_add_f64 v[3:4], v[13:14], -v[3:4]
	v_add_f64 v[5:6], v[5:6], v[9:10]
	v_add_f64 v[3:4], v[11:12], -v[3:4]
	v_add_f64 v[3:4], v[5:6], v[3:4]
	v_add_f64 v[5:6], v[13:14], v[3:4]
	v_rcp_f64_e32 v[9:10], v[5:6]
	v_fma_f64 v[11:12], -v[5:6], v[9:10], 1.0
	v_fma_f64 v[9:10], v[11:12], v[9:10], v[9:10]
	v_fma_f64 v[11:12], -v[5:6], v[9:10], 1.0
	v_fma_f64 v[9:10], v[11:12], v[9:10], v[9:10]
	v_add_f64 v[11:12], v[5:6], -v[13:14]
	v_mul_f64 v[13:14], v[5:6], v[9:10]
	v_add_f64 v[3:4], v[3:4], -v[11:12]
	v_fma_f64 v[11:12], v[9:10], v[5:6], -v[13:14]
	v_fma_f64 v[3:4], v[9:10], v[3:4], v[11:12]
	v_add_f64 v[11:12], v[13:14], v[3:4]
	v_add_f64 v[15:16], -v[11:12], 1.0
	v_add_f64 v[13:14], v[11:12], -v[13:14]
	v_add_f64 v[17:18], -v[15:16], 1.0
	v_add_f64 v[3:4], v[13:14], -v[3:4]
	v_add_f64 v[11:12], v[17:18], -v[11:12]
	v_add_f64 v[3:4], v[3:4], v[11:12]
	v_add_f64 v[3:4], v[15:16], v[3:4]
	v_mul_f64 v[3:4], v[9:10], v[3:4]
	v_add_f64 v[3:4], v[9:10], v[3:4]
	v_xor_b32_e32 v1, 0x80000000, v4
	v_cndmask_b32_e32 v3, v3, v5, vcc_lo
	v_cndmask_b32_e32 v1, v1, v6, vcc_lo
	v_xor_b32_e32 v2, v1, v2
	v_cndmask_b32_e64 v1, 0, v3, s0
	v_cndmask_b32_e64 v2, 0x7ff80000, v2, s0
	v_div_scale_f64 v[3:4], null, v[1:2], v[1:2], s[14:15]
	v_rcp_f64_e32 v[5:6], v[3:4]
	v_fma_f64 v[8:9], -v[3:4], v[5:6], 1.0
	v_fma_f64 v[5:6], v[5:6], v[8:9], v[5:6]
	v_fma_f64 v[8:9], -v[3:4], v[5:6], 1.0
	v_fma_f64 v[5:6], v[5:6], v[8:9], v[5:6]
	v_div_scale_f64 v[8:9], vcc_lo, s[14:15], v[1:2], s[14:15]
	v_mul_f64 v[10:11], v[8:9], v[5:6]
	v_fma_f64 v[3:4], -v[3:4], v[10:11], v[8:9]
	v_div_fmas_f64 v[3:4], v[3:4], v[5:6], v[10:11]
	v_div_fixup_f64 v[1:2], v[3:4], v[1:2], s[14:15]
	v_cvt_f32_f64_e32 v1, v[1:2]
.LBB29_1049:
	s_or_b32 exec_lo, exec_lo, s12
	s_orn2_b32 s0, s1, exec_lo
.LBB29_1050:
	s_or_b32 exec_lo, exec_lo, s11
	v_mov_b32_e32 v3, 0x7e00
	s_and_saveexec_b32 s11, s0
	s_cbranch_execz .LBB29_1062
; %bb.1051:
	s_mov_b32 s0, exec_lo
	v_cmpx_gt_f32_e32 0x41200000, v7
	s_cbranch_execz .LBB29_1055
; %bb.1052:
	s_mov_b32 s1, 0
	.p2align	6
.LBB29_1053:                            ; =>This Inner Loop Header: Depth=1
	v_div_scale_f32 v2, null, v7, v7, 1.0
	v_div_scale_f32 v5, vcc_lo, 1.0, v7, 1.0
	v_rcp_f32_e32 v3, v2
	v_fma_f32 v4, -v2, v3, 1.0
	v_fmac_f32_e32 v3, v4, v3
	v_mul_f32_e32 v4, v5, v3
	v_fma_f32 v6, -v2, v4, v5
	v_fmac_f32_e32 v4, v6, v3
	v_fma_f32 v2, -v2, v4, v5
	v_div_fmas_f32 v2, v2, v3, v4
	v_div_fixup_f32 v2, v2, v7, 1.0
	v_add_f32_e32 v7, 1.0, v7
	v_sub_f32_e32 v1, v1, v2
	v_cmp_ngt_f32_e32 vcc_lo, 0x41200000, v7
	s_or_b32 s1, vcc_lo, s1
	s_andn2_b32 exec_lo, exec_lo, s1
	s_cbranch_execnz .LBB29_1053
; %bb.1054:
	s_or_b32 exec_lo, exec_lo, s1
.LBB29_1055:
	s_or_b32 exec_lo, exec_lo, s0
                                        ; implicit-def: $vgpr3
	s_mov_b32 s0, exec_lo
	v_cmpx_neq_f32_e32 0x41200000, v7
	s_xor_b32 s12, exec_lo, s0
	s_cbranch_execz .LBB29_1059
; %bb.1056:
	v_cvt_f64_f32_e32 v[2:3], v7
	s_mov_b32 s0, 0x85d8a000
	s_mov_b32 s1, 0x43763457
	v_cmp_gt_f64_e32 vcc_lo, s[0:1], v[2:3]
	v_mov_b32_e32 v2, 0
	s_and_saveexec_b32 s0, vcc_lo
	s_cbranch_execz .LBB29_1058
; %bb.1057:
	v_mul_f32_e32 v2, v7, v7
	v_div_scale_f32 v3, null, v2, v2, 1.0
	v_rcp_f32_e32 v4, v3
	v_fma_f32 v5, -v3, v4, 1.0
	v_fmac_f32_e32 v4, v5, v4
	v_div_scale_f32 v5, vcc_lo, 1.0, v2, 1.0
	v_mul_f32_e32 v6, v5, v4
	v_fma_f32 v8, -v3, v6, v5
	v_fmac_f32_e32 v6, v8, v4
	v_fma_f32 v3, -v3, v6, v5
	v_div_fmas_f32 v3, v3, v4, v6
	v_div_fixup_f32 v2, v3, v2, 1.0
	v_fmaak_f32 v3, 0, v2, 0x3daaaaab
	v_fmaak_f32 v3, v2, v3, 0xbcaccacd
	v_fmaak_f32 v3, v2, v3, 0x3bf83e10
	v_fmaak_f32 v3, v2, v3, 0xbb888889
	v_fmaak_f32 v3, v2, v3, 0x3b820821
	v_fmaak_f32 v3, v2, v3, 0xbc088889
	v_fmaak_f32 v3, v2, v3, 0x3daaaaab
	v_mul_f32_e32 v2, v2, v3
.LBB29_1058:
	s_or_b32 exec_lo, exec_lo, s0
	v_cmp_gt_f32_e32 vcc_lo, 0x800000, v7
	v_div_scale_f32 v3, null, v7, v7, -0.5
	v_div_scale_f32 v8, s0, -0.5, v7, -0.5
	v_cndmask_b32_e64 v4, 0, 32, vcc_lo
	v_rcp_f32_e32 v5, v3
	v_ldexp_f32 v4, v7, v4
	v_log_f32_e32 v4, v4
	v_fma_f32 v6, -v3, v5, 1.0
	v_fmac_f32_e32 v5, v6, v5
	v_mul_f32_e32 v6, 0x3f317217, v4
	v_mul_f32_e32 v9, v8, v5
	v_cmp_gt_f32_e64 s1, 0x7f800000, |v4|
	v_fma_f32 v6, 0x3f317217, v4, -v6
	v_fma_f32 v10, -v3, v9, v8
	v_fmamk_f32 v6, v4, 0x3377d1cf, v6
	v_fmac_f32_e32 v9, v10, v5
	v_fmac_f32_e32 v6, 0x3f317217, v4
	v_fma_f32 v3, -v3, v9, v8
	v_cndmask_b32_e64 v4, v4, v6, s1
	v_cndmask_b32_e64 v6, 0, 0x41b17218, vcc_lo
	s_mov_b32 vcc_lo, s0
	v_div_fmas_f32 v3, v3, v5, v9
	v_sub_f32_e32 v4, v4, v6
	v_div_fixup_f32 v3, v3, v7, -0.5
	v_add_f32_e32 v3, v4, v3
	v_sub_f32_e32 v2, v3, v2
	v_add_f32_e32 v1, v1, v2
	v_cvt_f16_f32_e32 v3, v1
                                        ; implicit-def: $vgpr1
.LBB29_1059:
	s_andn2_saveexec_b32 s0, s12
; %bb.1060:
	v_add_f32_e32 v1, 0x40101cb7, v1
	v_cvt_f16_f32_e32 v3, v1
; %bb.1061:
	s_or_b32 exec_lo, exec_lo, s0
.LBB29_1062:
	s_or_b32 exec_lo, exec_lo, s11
                                        ; implicit-def: $vgpr7
.LBB29_1063:
	s_andn2_saveexec_b32 s0, s10
; %bb.1064:
	v_xor_b32_e32 v1, 0x80000000, v7
	v_mov_b32_e32 v2, 0xffff8000
	v_and_b32_sdwa v1, v1, v2 dst_sel:DWORD dst_unused:UNUSED_PAD src0_sel:WORD_1 src1_sel:DWORD
	v_or_b32_e32 v3, 0x7c00, v1
; %bb.1065:
	s_or_b32 exec_lo, exec_lo, s0
	v_add_co_u32 v1, s0, s8, v0
	v_add_co_ci_u32_e64 v2, null, s9, 0, s0
	s_and_b32 s1, s29, 0xff
	s_cmp_lt_i32 s1, 11
	s_cbranch_scc1 .LBB29_1075
; %bb.1066:
	s_and_b32 s8, 0xffff, s1
	s_mov_b32 s9, -1
	s_cmp_gt_i32 s8, 25
	s_mov_b32 s0, s36
	s_cbranch_scc0 .LBB29_1103
; %bb.1067:
	s_cmp_gt_i32 s8, 28
	s_mov_b32 s0, s36
	s_cbranch_scc0 .LBB29_1087
; %bb.1068:
	;; [unrolled: 4-line block ×4, first 2 shown]
	s_cmp_eq_u32 s8, 46
	s_mov_b32 s0, -1
	s_cbranch_scc0 .LBB29_1076
; %bb.1071:
	v_cvt_f32_f16_e32 v0, v3
	v_cmp_o_f16_e32 vcc_lo, v3, v3
	s_mov_b32 s0, 0
	s_mov_b32 s9, 0
	v_bfe_u32 v4, v0, 16, 1
	v_add3_u32 v0, v0, v4, 0x7fff
	v_mov_b32_e32 v4, 0x7fc0
	v_cndmask_b32_sdwa v0, v4, v0, vcc_lo dst_sel:DWORD dst_unused:UNUSED_PAD src0_sel:DWORD src1_sel:WORD_1
	global_store_dword v[1:2], v0, off
	s_branch .LBB29_1077
.LBB29_1072:
	s_or_b32 exec_lo, exec_lo, s7
	s_and_saveexec_b32 s0, s36
	s_cbranch_execnz .LBB29_1145
.LBB29_1073:
	s_or_b32 exec_lo, exec_lo, s0
	s_and_saveexec_b32 s0, s11
	s_xor_b32 s0, exec_lo, s0
	s_cbranch_execz .LBB29_1146
.LBB29_1074:
	s_waitcnt vmcnt(0)
	v_and_b32_e32 v0, 0x7fff, v3
	v_cmp_ne_u16_e32 vcc_lo, 0, v0
	v_cndmask_b32_e64 v0, 0, 1, vcc_lo
	global_store_byte v[1:2], v0, off
	s_or_b32 exec_lo, exec_lo, s0
	s_and_saveexec_b32 s0, s10
	s_xor_b32 s0, exec_lo, s0
	s_cbranch_execz .LBB29_1184
	s_branch .LBB29_1147
.LBB29_1075:
	s_mov_b32 s11, 0
	s_mov_b32 s9, -1
	s_mov_b32 s0, s36
	s_branch .LBB29_1144
.LBB29_1076:
	s_mov_b32 s9, 0
.LBB29_1077:
	s_and_b32 vcc_lo, exec_lo, s9
	s_cbranch_vccz .LBB29_1082
; %bb.1078:
	s_cmp_eq_u32 s8, 44
	s_mov_b32 s0, -1
	s_cbranch_scc0 .LBB29_1082
; %bb.1079:
	v_cvt_f32_f16_e32 v0, v3
	v_mov_b32_e32 v4, 0xff
	s_mov_b32 s9, exec_lo
	v_bfe_u32 v5, v0, 23, 8
	v_cmpx_ne_u32_e32 0xff, v5
	s_cbranch_execz .LBB29_1081
; %bb.1080:
	v_and_b32_e32 v4, 0x400000, v0
	v_and_or_b32 v5, 0x3fffff, v0, v5
	v_lshrrev_b32_e32 v0, 23, v0
	v_cmp_ne_u32_e32 vcc_lo, 0, v4
	v_cmp_ne_u32_e64 s0, 0, v5
	s_and_b32 s0, vcc_lo, s0
	v_cndmask_b32_e64 v4, 0, 1, s0
	v_add_nc_u32_e32 v4, v0, v4
.LBB29_1081:
	s_or_b32 exec_lo, exec_lo, s9
	s_mov_b32 s0, 0
	global_store_byte v[1:2], v4, off
.LBB29_1082:
	s_mov_b32 s9, 0
.LBB29_1083:
	s_and_b32 vcc_lo, exec_lo, s9
	s_cbranch_vccz .LBB29_1086
; %bb.1084:
	s_cmp_eq_u32 s8, 29
	s_mov_b32 s0, -1
	s_cbranch_scc0 .LBB29_1086
; %bb.1085:
	v_cvt_f32_f16_e32 v0, v3
	v_mov_b32_e32 v5, 0
	s_mov_b32 s0, 0
	s_mov_b32 s9, 0
	v_cvt_u32_f32_e32 v4, v0
	global_store_dwordx2 v[1:2], v[4:5], off
	s_branch .LBB29_1087
.LBB29_1086:
	s_mov_b32 s9, 0
.LBB29_1087:
	s_and_b32 vcc_lo, exec_lo, s9
	s_cbranch_vccz .LBB29_1102
; %bb.1088:
	s_cmp_lt_i32 s8, 27
	s_mov_b32 s9, -1
	s_cbranch_scc1 .LBB29_1094
; %bb.1089:
	s_cmp_gt_i32 s8, 27
	s_cbranch_scc0 .LBB29_1091
; %bb.1090:
	v_cvt_f32_f16_e32 v0, v3
	s_mov_b32 s9, 0
	v_cvt_u32_f32_e32 v0, v0
	global_store_dword v[1:2], v0, off
.LBB29_1091:
	s_andn2_b32 vcc_lo, exec_lo, s9
	s_cbranch_vccnz .LBB29_1093
; %bb.1092:
	v_cvt_u16_f16_e32 v0, v3
	global_store_short v[1:2], v0, off
.LBB29_1093:
	s_mov_b32 s9, 0
.LBB29_1094:
	s_andn2_b32 vcc_lo, exec_lo, s9
	s_cbranch_vccnz .LBB29_1102
; %bb.1095:
	v_cvt_f32_f16_e32 v0, v3
	v_mov_b32_e32 v5, 0x80
	s_mov_b32 s9, exec_lo
	v_and_b32_e32 v4, 0x7fffffff, v0
	v_cmpx_gt_u32_e32 0x43800000, v4
	s_cbranch_execz .LBB29_1101
; %bb.1096:
	v_cmp_lt_u32_e32 vcc_lo, 0x3bffffff, v4
	s_mov_b32 s10, 0
                                        ; implicit-def: $vgpr4
	s_and_saveexec_b32 s11, vcc_lo
	s_xor_b32 s11, exec_lo, s11
	s_cbranch_execz .LBB29_1255
; %bb.1097:
	v_bfe_u32 v4, v0, 20, 1
	s_mov_b32 s10, exec_lo
	v_add3_u32 v4, v0, v4, 0x487ffff
	v_lshrrev_b32_e32 v4, 20, v4
	s_andn2_saveexec_b32 s11, s11
	s_cbranch_execnz .LBB29_1256
.LBB29_1098:
	s_or_b32 exec_lo, exec_lo, s11
	v_mov_b32_e32 v5, 0
	s_and_saveexec_b32 s11, s10
.LBB29_1099:
	v_lshrrev_b32_e32 v0, 24, v0
	v_and_or_b32 v5, 0x80, v0, v4
.LBB29_1100:
	s_or_b32 exec_lo, exec_lo, s11
.LBB29_1101:
	s_or_b32 exec_lo, exec_lo, s9
	global_store_byte v[1:2], v5, off
.LBB29_1102:
	s_mov_b32 s9, 0
.LBB29_1103:
	s_and_b32 vcc_lo, exec_lo, s9
	s_mov_b32 s9, 0
	s_cbranch_vccz .LBB29_1143
; %bb.1104:
	s_cmp_gt_i32 s8, 22
	s_mov_b32 s10, -1
	s_cbranch_scc0 .LBB29_1136
; %bb.1105:
	s_cmp_lt_i32 s8, 24
	s_cbranch_scc1 .LBB29_1125
; %bb.1106:
	s_cmp_gt_i32 s8, 24
	s_cbranch_scc0 .LBB29_1114
; %bb.1107:
	v_cvt_f32_f16_e32 v0, v3
	v_mov_b32_e32 v5, 0x80
	s_mov_b32 s10, exec_lo
	v_and_b32_e32 v4, 0x7fffffff, v0
	v_cmpx_gt_u32_e32 0x47800000, v4
	s_cbranch_execz .LBB29_1113
; %bb.1108:
	v_cmp_lt_u32_e32 vcc_lo, 0x37ffffff, v4
	s_mov_b32 s11, 0
                                        ; implicit-def: $vgpr4
	s_and_saveexec_b32 s12, vcc_lo
	s_xor_b32 s12, exec_lo, s12
	s_cbranch_execz .LBB29_1405
; %bb.1109:
	v_bfe_u32 v4, v0, 21, 1
	s_mov_b32 s11, exec_lo
	v_add3_u32 v4, v0, v4, 0x88fffff
	v_lshrrev_b32_e32 v4, 21, v4
	s_andn2_saveexec_b32 s12, s12
	s_cbranch_execnz .LBB29_1406
.LBB29_1110:
	s_or_b32 exec_lo, exec_lo, s12
	v_mov_b32_e32 v5, 0
	s_and_saveexec_b32 s12, s11
.LBB29_1111:
	v_lshrrev_b32_e32 v0, 24, v0
	v_and_or_b32 v5, 0x80, v0, v4
.LBB29_1112:
	s_or_b32 exec_lo, exec_lo, s12
.LBB29_1113:
	s_or_b32 exec_lo, exec_lo, s10
	s_mov_b32 s10, 0
	global_store_byte v[1:2], v5, off
.LBB29_1114:
	s_and_b32 vcc_lo, exec_lo, s10
	s_cbranch_vccz .LBB29_1124
; %bb.1115:
	v_cvt_f32_f16_e32 v0, v3
	s_mov_b32 s10, exec_lo
                                        ; implicit-def: $vgpr4
	v_and_b32_e32 v5, 0x7fffffff, v0
	v_cmpx_gt_u32_e32 0x43f00000, v5
	s_xor_b32 s10, exec_lo, s10
	s_cbranch_execz .LBB29_1121
; %bb.1116:
	s_mov_b32 s11, exec_lo
                                        ; implicit-def: $vgpr4
	v_cmpx_lt_u32_e32 0x3c7fffff, v5
	s_xor_b32 s11, exec_lo, s11
; %bb.1117:
	v_bfe_u32 v4, v0, 20, 1
	v_add3_u32 v4, v0, v4, 0x407ffff
	v_and_b32_e32 v5, 0xff00000, v4
	v_lshrrev_b32_e32 v4, 20, v4
	v_cmp_ne_u32_e32 vcc_lo, 0x7f00000, v5
	v_cndmask_b32_e32 v4, 0x7e, v4, vcc_lo
; %bb.1118:
	s_andn2_saveexec_b32 s11, s11
; %bb.1119:
	v_add_f32_e64 v4, 0x46800000, |v0|
; %bb.1120:
	s_or_b32 exec_lo, exec_lo, s11
                                        ; implicit-def: $vgpr5
.LBB29_1121:
	s_andn2_saveexec_b32 s10, s10
; %bb.1122:
	v_mov_b32_e32 v4, 0x7f
	v_cmp_lt_u32_e32 vcc_lo, 0x7f800000, v5
	v_cndmask_b32_e32 v4, 0x7e, v4, vcc_lo
; %bb.1123:
	s_or_b32 exec_lo, exec_lo, s10
	v_lshrrev_b32_e32 v0, 24, v0
	v_and_or_b32 v0, 0x80, v0, v4
	global_store_byte v[1:2], v0, off
.LBB29_1124:
	s_mov_b32 s10, 0
.LBB29_1125:
	s_andn2_b32 vcc_lo, exec_lo, s10
	s_cbranch_vccnz .LBB29_1135
; %bb.1126:
	v_cvt_f32_f16_e32 v0, v3
	s_mov_b32 s10, exec_lo
                                        ; implicit-def: $vgpr4
	v_and_b32_e32 v5, 0x7fffffff, v0
	v_cmpx_gt_u32_e32 0x47800000, v5
	s_xor_b32 s10, exec_lo, s10
	s_cbranch_execz .LBB29_1132
; %bb.1127:
	s_mov_b32 s11, exec_lo
                                        ; implicit-def: $vgpr4
	v_cmpx_lt_u32_e32 0x387fffff, v5
	s_xor_b32 s11, exec_lo, s11
; %bb.1128:
	v_bfe_u32 v4, v0, 21, 1
	v_add3_u32 v4, v0, v4, 0x80fffff
	v_lshrrev_b32_e32 v4, 21, v4
; %bb.1129:
	s_andn2_saveexec_b32 s11, s11
; %bb.1130:
	v_add_f32_e64 v4, 0x43000000, |v0|
; %bb.1131:
	s_or_b32 exec_lo, exec_lo, s11
                                        ; implicit-def: $vgpr5
.LBB29_1132:
	s_andn2_saveexec_b32 s10, s10
; %bb.1133:
	v_mov_b32_e32 v4, 0x7f
	v_cmp_lt_u32_e32 vcc_lo, 0x7f800000, v5
	v_cndmask_b32_e32 v4, 0x7c, v4, vcc_lo
; %bb.1134:
	s_or_b32 exec_lo, exec_lo, s10
	v_lshrrev_b32_e32 v0, 24, v0
	v_and_or_b32 v0, 0x80, v0, v4
	global_store_byte v[1:2], v0, off
.LBB29_1135:
	s_mov_b32 s10, 0
.LBB29_1136:
	s_andn2_b32 vcc_lo, exec_lo, s10
	s_mov_b32 s11, 0
	s_cbranch_vccnz .LBB29_1144
; %bb.1137:
	s_cmp_gt_i32 s8, 14
	s_mov_b32 s10, -1
	s_cbranch_scc0 .LBB29_1141
; %bb.1138:
	s_cmp_eq_u32 s8, 15
	s_mov_b32 s0, -1
	s_cbranch_scc0 .LBB29_1140
; %bb.1139:
	v_cvt_f32_f16_e32 v0, v3
	v_cmp_o_f16_e32 vcc_lo, v3, v3
	s_mov_b32 s0, 0
	v_bfe_u32 v4, v0, 16, 1
	v_add3_u32 v0, v0, v4, 0x7fff
	v_mov_b32_e32 v4, 0x7fc0
	v_cndmask_b32_sdwa v0, v4, v0, vcc_lo dst_sel:DWORD dst_unused:UNUSED_PAD src0_sel:DWORD src1_sel:WORD_1
	global_store_short v[1:2], v0, off
.LBB29_1140:
	s_mov_b32 s10, 0
.LBB29_1141:
	s_and_b32 vcc_lo, exec_lo, s10
	s_cbranch_vccz .LBB29_1144
; %bb.1142:
	s_cmp_lg_u32 s8, 11
	s_mov_b32 s11, -1
	s_cselect_b32 s8, -1, 0
	s_andn2_b32 s0, s0, exec_lo
	s_and_b32 s8, s8, exec_lo
	s_or_b32 s0, s0, s8
	s_branch .LBB29_1144
.LBB29_1143:
	s_mov_b32 s11, 0
.LBB29_1144:
	s_andn2_b32 s8, s36, exec_lo
	s_and_b32 s0, s0, exec_lo
	s_and_b32 s10, s9, exec_lo
	;; [unrolled: 1-line block ×3, first 2 shown]
	s_or_b32 s36, s8, s0
	s_or_b32 exec_lo, exec_lo, s7
	s_and_saveexec_b32 s0, s36
	s_cbranch_execz .LBB29_1073
.LBB29_1145:
	s_or_b32 s6, s6, exec_lo
	s_andn2_b32 s11, s11, exec_lo
	s_trap 2
	s_or_b32 exec_lo, exec_lo, s0
	s_and_saveexec_b32 s0, s11
	s_xor_b32 s0, exec_lo, s0
	s_cbranch_execnz .LBB29_1074
.LBB29_1146:
	s_or_b32 exec_lo, exec_lo, s0
	s_and_saveexec_b32 s0, s10
	s_xor_b32 s0, exec_lo, s0
	s_cbranch_execz .LBB29_1184
.LBB29_1147:
	s_sext_i32_i16 s8, s1
	s_mov_b32 s7, -1
	s_cmp_lt_i32 s8, 5
	s_cbranch_scc1 .LBB29_1168
; %bb.1148:
	s_cmp_lt_i32 s8, 8
	s_cbranch_scc1 .LBB29_1158
; %bb.1149:
	s_cmp_lt_i32 s8, 9
	s_cbranch_scc1 .LBB29_1155
; %bb.1150:
	s_cmp_gt_i32 s8, 9
	s_cbranch_scc0 .LBB29_1152
; %bb.1151:
	s_waitcnt vmcnt(0)
	v_cvt_f32_f16_e32 v0, v3
	v_mov_b32_e32 v6, 0
	s_mov_b32 s7, 0
	v_cvt_f64_f32_e32 v[4:5], v0
	v_mov_b32_e32 v7, v6
	global_store_dwordx4 v[1:2], v[4:7], off
.LBB29_1152:
	s_andn2_b32 vcc_lo, exec_lo, s7
	s_cbranch_vccnz .LBB29_1154
; %bb.1153:
	s_waitcnt vmcnt(0)
	v_cvt_f32_f16_e32 v4, v3
	v_mov_b32_e32 v5, 0
	global_store_dwordx2 v[1:2], v[4:5], off
.LBB29_1154:
	s_mov_b32 s7, 0
.LBB29_1155:
	s_andn2_b32 vcc_lo, exec_lo, s7
	s_cbranch_vccnz .LBB29_1157
; %bb.1156:
	s_waitcnt vmcnt(0)
	v_and_b32_e32 v0, 0xffff, v3
	global_store_dword v[1:2], v0, off
.LBB29_1157:
	s_mov_b32 s7, 0
.LBB29_1158:
	s_andn2_b32 vcc_lo, exec_lo, s7
	s_cbranch_vccnz .LBB29_1167
; %bb.1159:
	s_sext_i32_i16 s8, s1
	s_mov_b32 s7, -1
	s_cmp_lt_i32 s8, 6
	s_cbranch_scc1 .LBB29_1165
; %bb.1160:
	s_cmp_gt_i32 s8, 6
	s_cbranch_scc0 .LBB29_1162
; %bb.1161:
	s_waitcnt vmcnt(0)
	v_cvt_f32_f16_e32 v0, v3
	s_mov_b32 s7, 0
	v_cvt_f64_f32_e32 v[4:5], v0
	global_store_dwordx2 v[1:2], v[4:5], off
.LBB29_1162:
	s_andn2_b32 vcc_lo, exec_lo, s7
	s_cbranch_vccnz .LBB29_1164
; %bb.1163:
	s_waitcnt vmcnt(0)
	v_cvt_f32_f16_e32 v0, v3
	global_store_dword v[1:2], v0, off
.LBB29_1164:
	s_mov_b32 s7, 0
.LBB29_1165:
	s_andn2_b32 vcc_lo, exec_lo, s7
	s_cbranch_vccnz .LBB29_1167
; %bb.1166:
	s_waitcnt vmcnt(0)
	global_store_short v[1:2], v3, off
.LBB29_1167:
	s_mov_b32 s7, 0
.LBB29_1168:
	s_andn2_b32 vcc_lo, exec_lo, s7
	s_cbranch_vccnz .LBB29_1184
; %bb.1169:
	s_sext_i32_i16 s8, s1
	s_mov_b32 s7, -1
	s_cmp_lt_i32 s8, 2
	s_cbranch_scc1 .LBB29_1179
; %bb.1170:
	s_cmp_lt_i32 s8, 3
	s_cbranch_scc1 .LBB29_1176
; %bb.1171:
	s_cmp_gt_i32 s8, 3
	s_cbranch_scc0 .LBB29_1173
; %bb.1172:
	s_waitcnt vmcnt(0)
	v_cvt_f32_f16_e32 v0, v3
	s_mov_b32 s7, 0
	v_cvt_i32_f32_e32 v4, v0
	v_ashrrev_i32_e32 v5, 31, v4
	global_store_dwordx2 v[1:2], v[4:5], off
.LBB29_1173:
	s_andn2_b32 vcc_lo, exec_lo, s7
	s_cbranch_vccnz .LBB29_1175
; %bb.1174:
	s_waitcnt vmcnt(0)
	v_cvt_f32_f16_e32 v0, v3
	v_cvt_i32_f32_e32 v0, v0
	global_store_dword v[1:2], v0, off
.LBB29_1175:
	s_mov_b32 s7, 0
.LBB29_1176:
	s_andn2_b32 vcc_lo, exec_lo, s7
	s_cbranch_vccnz .LBB29_1178
; %bb.1177:
	s_waitcnt vmcnt(0)
	v_cvt_i16_f16_e32 v0, v3
	global_store_short v[1:2], v0, off
.LBB29_1178:
	s_mov_b32 s7, 0
.LBB29_1179:
	s_andn2_b32 vcc_lo, exec_lo, s7
	s_cbranch_vccnz .LBB29_1184
; %bb.1180:
	s_sext_i32_i16 s1, s1
	s_cmp_gt_i32 s1, 0
	s_mov_b32 s1, -1
	s_cbranch_scc0 .LBB29_1182
; %bb.1181:
	s_waitcnt vmcnt(0)
	v_cvt_i16_f16_e32 v0, v3
	s_mov_b32 s1, 0
	global_store_byte v[1:2], v0, off
.LBB29_1182:
	s_andn2_b32 vcc_lo, exec_lo, s1
	s_cbranch_vccnz .LBB29_1184
; %bb.1183:
	s_waitcnt vmcnt(0)
	v_cvt_f32_f16_e32 v0, v3
	v_cvt_i32_f32_e32 v0, v0
	global_store_byte v[1:2], v0, off
.LBB29_1184:
	s_or_b32 exec_lo, exec_lo, s0
	s_and_b32 s12, s6, exec_lo
                                        ; implicit-def: $vgpr15
                                        ; implicit-def: $vgpr8
.LBB29_1185:
	s_or_saveexec_b32 s13, s28
	s_mov_b32 s0, 0
                                        ; implicit-def: $vgpr0_vgpr1
                                        ; implicit-def: $sgpr1
                                        ; implicit-def: $vgpr7
	s_xor_b32 exec_lo, exec_lo, s13
	s_cbranch_execz .LBB29_1934
; %bb.1186:
	v_cndmask_b32_e64 v0, 0, 1, s27
	s_andn2_b32 vcc_lo, exec_lo, s27
	s_cbranch_vccnz .LBB29_1192
; %bb.1187:
	s_cmp_lg_u32 s24, 0
	s_mov_b32 s8, 0
	s_cbranch_scc0 .LBB29_1193
; %bb.1188:
	s_min_u32 s10, s25, 15
	s_add_i32 s10, s10, 1
	s_cmp_eq_u32 s25, 2
	s_cbranch_scc1 .LBB29_1194
; %bb.1189:
	v_mov_b32_e32 v13, 0
	v_mov_b32_e32 v6, 0
	v_mov_b32_e32 v1, v8
	s_and_b32 s9, s10, 28
	s_add_u32 s0, s2, 0xc4
	s_addc_u32 s1, s3, 0
	s_mov_b32 s11, 0
	s_mov_b64 s[6:7], s[2:3]
.LBB29_1190:                            ; =>This Inner Loop Header: Depth=1
	s_clause 0x1
	s_load_dwordx8 s[16:23], s[6:7], 0x4
	s_load_dwordx4 s[28:31], s[6:7], 0x24
	s_load_dwordx8 s[36:43], s[0:1], 0x0
	s_add_u32 s6, s6, 48
	s_addc_u32 s7, s7, 0
	s_add_i32 s11, s11, 4
	s_add_u32 s0, s0, 32
	s_addc_u32 s1, s1, 0
	s_cmp_lg_u32 s9, s11
	s_waitcnt lgkmcnt(0)
	v_mul_hi_u32 v2, s17, v1
	v_add_nc_u32_e32 v2, v1, v2
	v_lshrrev_b32_e32 v2, s18, v2
	s_waitcnt vmcnt(0)
	v_mul_hi_u32 v3, s20, v2
	v_mul_lo_u32 v5, v2, s16
	v_add_nc_u32_e32 v3, v2, v3
	v_sub_nc_u32_e32 v1, v1, v5
	v_lshrrev_b32_e32 v3, s21, v3
	v_mul_lo_u32 v5, v1, s36
	v_mul_lo_u32 v9, v1, s37
	v_mul_hi_u32 v4, s23, v3
	v_add_nc_u32_e32 v4, v3, v4
	v_lshrrev_b32_e32 v4, s28, v4
	v_mul_hi_u32 v7, s30, v4
	v_mul_lo_u32 v10, v4, s22
	v_add_nc_u32_e32 v1, v4, v7
	v_mul_lo_u32 v7, v3, s19
	v_sub_nc_u32_e32 v3, v3, v10
	v_lshrrev_b32_e32 v1, s31, v1
	v_mul_lo_u32 v10, v3, s40
	v_mul_lo_u32 v3, v3, s41
	v_sub_nc_u32_e32 v2, v2, v7
	v_mul_lo_u32 v11, v1, s29
	v_mul_lo_u32 v7, v2, s38
	;; [unrolled: 1-line block ×3, first 2 shown]
	v_sub_nc_u32_e32 v4, v4, v11
	v_add3_u32 v5, v5, v6, v7
	v_mul_lo_u32 v11, v4, s42
	v_mul_lo_u32 v4, v4, s43
	v_add3_u32 v2, v9, v13, v2
	v_add3_u32 v6, v10, v5, v11
	;; [unrolled: 1-line block ×3, first 2 shown]
	s_cbranch_scc1 .LBB29_1190
; %bb.1191:
	s_and_b32 s10, s10, 3
	s_cmp_eq_u32 s10, 0
	s_cbranch_scc0 .LBB29_1195
	s_branch .LBB29_1197
.LBB29_1192:
	s_mov_b32 s8, -1
                                        ; implicit-def: $vgpr6
                                        ; implicit-def: $vgpr13
	s_branch .LBB29_1197
.LBB29_1193:
	v_mov_b32_e32 v6, 0
	v_mov_b32_e32 v13, 0
	s_branch .LBB29_1197
.LBB29_1194:
	v_mov_b32_e32 v6, 0
	v_mov_b32_e32 v13, 0
	;; [unrolled: 1-line block ×3, first 2 shown]
	s_mov_b32 s9, 0
	s_and_b32 s10, s10, 3
	s_cmp_eq_u32 s10, 0
	s_cbranch_scc1 .LBB29_1197
.LBB29_1195:
	s_lshl_b32 s0, s9, 3
	s_mul_i32 s6, s9, 12
	s_add_u32 s0, s2, s0
	s_addc_u32 s1, s3, 0
	s_add_u32 s0, s0, 0xc4
	s_addc_u32 s1, s1, 0
	s_add_u32 s6, s2, s6
	s_addc_u32 s7, s3, 0
	.p2align	6
.LBB29_1196:                            ; =>This Inner Loop Header: Depth=1
	s_clause 0x1
	s_load_dwordx2 s[14:15], s[6:7], 0x4
	s_load_dword s9, s[6:7], 0xc
	s_load_dwordx2 s[16:17], s[0:1], 0x0
	s_add_u32 s6, s6, 12
	s_addc_u32 s7, s7, 0
	s_add_u32 s0, s0, 8
	s_addc_u32 s1, s1, 0
	s_add_i32 s10, s10, -1
	s_cmp_lg_u32 s10, 0
	s_waitcnt lgkmcnt(0)
	v_mul_hi_u32 v2, s15, v1
	v_add_nc_u32_e32 v2, v1, v2
	v_lshrrev_b32_e32 v2, s9, v2
	s_waitcnt vmcnt(0)
	v_mul_lo_u32 v3, v2, s14
	v_sub_nc_u32_e32 v1, v1, v3
	v_mad_u64_u32 v[6:7], null, v1, s16, v[6:7]
	v_mad_u64_u32 v[13:14], null, v1, s17, v[13:14]
	v_mov_b32_e32 v1, v2
	s_cbranch_scc1 .LBB29_1196
.LBB29_1197:
	s_andn2_b32 vcc_lo, exec_lo, s8
	s_cbranch_vccnz .LBB29_1200
; %bb.1198:
	s_clause 0x1
	s_load_dwordx4 s[8:11], s[2:3], 0x4
	s_load_dwordx2 s[0:1], s[2:3], 0xc4
	s_cmp_lt_u32 s24, 2
	s_waitcnt lgkmcnt(0)
	v_mul_hi_u32 v1, s9, v8
	v_add_nc_u32_e32 v1, v8, v1
	v_lshrrev_b32_e32 v1, s10, v1
	v_mul_lo_u32 v2, v1, s8
	v_sub_nc_u32_e32 v2, v8, v2
	v_mul_lo_u32 v6, v2, s0
	v_mul_lo_u32 v13, v2, s1
	s_cbranch_scc1 .LBB29_1200
; %bb.1199:
	s_clause 0x1
	s_load_dwordx4 s[8:11], s[2:3], 0x10
	s_load_dwordx2 s[0:1], s[2:3], 0xcc
	s_waitcnt lgkmcnt(0)
	v_mul_hi_u32 v2, s9, v1
	v_add_nc_u32_e32 v2, v1, v2
	v_lshrrev_b32_e32 v2, s10, v2
	v_mul_lo_u32 v2, v2, s8
	v_sub_nc_u32_e32 v1, v1, v2
	v_mad_u64_u32 v[6:7], null, v1, s0, v[6:7]
	v_mad_u64_u32 v[13:14], null, v1, s1, v[13:14]
.LBB29_1200:
	v_cmp_ne_u32_e32 vcc_lo, 1, v0
	v_add_nc_u32_e32 v1, 0x80, v8
	s_cbranch_vccnz .LBB29_1206
; %bb.1201:
	s_cmp_lg_u32 s24, 0
	s_mov_b32 s8, 0
	s_cbranch_scc0 .LBB29_1207
; %bb.1202:
	s_min_u32 s10, s25, 15
	s_add_i32 s10, s10, 1
	s_cmp_eq_u32 s25, 2
	s_cbranch_scc1 .LBB29_1208
; %bb.1203:
	v_mov_b32_e32 v11, 0
	s_waitcnt vmcnt(0)
	v_mov_b32_e32 v4, 0
	v_mov_b32_e32 v2, v1
	s_and_b32 s9, s10, 28
	s_add_u32 s0, s2, 0xc4
	s_addc_u32 s1, s3, 0
	s_mov_b32 s11, 0
	s_mov_b64 s[6:7], s[2:3]
.LBB29_1204:                            ; =>This Inner Loop Header: Depth=1
	s_clause 0x1
	s_load_dwordx8 s[16:23], s[6:7], 0x4
	s_load_dwordx4 s[28:31], s[6:7], 0x24
	s_load_dwordx8 s[36:43], s[0:1], 0x0
	s_add_u32 s6, s6, 48
	s_addc_u32 s7, s7, 0
	s_add_i32 s11, s11, 4
	s_add_u32 s0, s0, 32
	s_addc_u32 s1, s1, 0
	s_cmp_lg_u32 s9, s11
	s_waitcnt lgkmcnt(0)
	v_mul_hi_u32 v3, s17, v2
	v_add_nc_u32_e32 v3, v2, v3
	v_lshrrev_b32_e32 v3, s18, v3
	v_mul_hi_u32 v5, s20, v3
	v_mul_lo_u32 v9, v3, s16
	v_add_nc_u32_e32 v5, v3, v5
	v_sub_nc_u32_e32 v2, v2, v9
	v_lshrrev_b32_e32 v5, s21, v5
	v_mul_lo_u32 v9, v2, s36
	v_mul_lo_u32 v12, v2, s37
	v_mul_hi_u32 v7, s23, v5
	v_add_nc_u32_e32 v7, v5, v7
	v_lshrrev_b32_e32 v7, s28, v7
	v_mul_hi_u32 v10, s30, v7
	v_mul_lo_u32 v14, v7, s22
	v_add_nc_u32_e32 v2, v7, v10
	v_mul_lo_u32 v10, v5, s19
	v_sub_nc_u32_e32 v5, v5, v14
	v_lshrrev_b32_e32 v2, s31, v2
	v_mul_lo_u32 v14, v5, s40
	v_mul_lo_u32 v5, v5, s41
	v_sub_nc_u32_e32 v3, v3, v10
	v_mul_lo_u32 v16, v2, s29
	v_mul_lo_u32 v10, v3, s38
	;; [unrolled: 1-line block ×3, first 2 shown]
	v_sub_nc_u32_e32 v7, v7, v16
	v_add3_u32 v4, v9, v4, v10
	v_mul_lo_u32 v16, v7, s42
	v_mul_lo_u32 v7, v7, s43
	v_add3_u32 v3, v12, v11, v3
	v_add3_u32 v4, v14, v4, v16
	;; [unrolled: 1-line block ×3, first 2 shown]
	s_cbranch_scc1 .LBB29_1204
; %bb.1205:
	s_and_b32 s10, s10, 3
	s_cmp_eq_u32 s10, 0
	s_cbranch_scc0 .LBB29_1209
	s_branch .LBB29_1211
.LBB29_1206:
	s_mov_b32 s8, -1
                                        ; implicit-def: $vgpr4
                                        ; implicit-def: $vgpr11
	s_branch .LBB29_1211
.LBB29_1207:
	s_waitcnt vmcnt(0)
	v_mov_b32_e32 v4, 0
	v_mov_b32_e32 v11, 0
	s_branch .LBB29_1211
.LBB29_1208:
	s_waitcnt vmcnt(0)
	v_mov_b32_e32 v4, 0
	v_mov_b32_e32 v11, 0
	;; [unrolled: 1-line block ×3, first 2 shown]
	s_mov_b32 s9, 0
	s_and_b32 s10, s10, 3
	s_cmp_eq_u32 s10, 0
	s_cbranch_scc1 .LBB29_1211
.LBB29_1209:
	s_lshl_b32 s0, s9, 3
	s_mul_i32 s6, s9, 12
	s_add_u32 s0, s2, s0
	s_addc_u32 s1, s3, 0
	s_add_u32 s0, s0, 0xc4
	s_addc_u32 s1, s1, 0
	;; [unrolled: 2-line block ×3, first 2 shown]
	.p2align	6
.LBB29_1210:                            ; =>This Inner Loop Header: Depth=1
	s_clause 0x1
	s_load_dwordx2 s[14:15], s[6:7], 0x4
	s_load_dword s9, s[6:7], 0xc
	s_load_dwordx2 s[16:17], s[0:1], 0x0
	s_add_u32 s6, s6, 12
	s_addc_u32 s7, s7, 0
	s_add_u32 s0, s0, 8
	s_addc_u32 s1, s1, 0
	s_add_i32 s10, s10, -1
	s_cmp_lg_u32 s10, 0
	s_waitcnt lgkmcnt(0)
	v_mul_hi_u32 v3, s15, v2
	v_add_nc_u32_e32 v3, v2, v3
	v_lshrrev_b32_e32 v3, s9, v3
	v_mul_lo_u32 v5, v3, s14
	v_sub_nc_u32_e32 v2, v2, v5
	v_mad_u64_u32 v[4:5], null, v2, s16, v[4:5]
	v_mad_u64_u32 v[11:12], null, v2, s17, v[11:12]
	v_mov_b32_e32 v2, v3
	s_cbranch_scc1 .LBB29_1210
.LBB29_1211:
	s_andn2_b32 vcc_lo, exec_lo, s8
	s_cbranch_vccnz .LBB29_1214
; %bb.1212:
	s_clause 0x1
	s_load_dwordx4 s[8:11], s[2:3], 0x4
	s_load_dwordx2 s[0:1], s[2:3], 0xc4
	s_cmp_lt_u32 s24, 2
	s_waitcnt lgkmcnt(0)
	v_mul_hi_u32 v2, s9, v1
	v_add_nc_u32_e32 v2, v1, v2
	v_lshrrev_b32_e32 v2, s10, v2
	s_waitcnt vmcnt(0)
	v_mul_lo_u32 v3, v2, s8
	v_sub_nc_u32_e32 v1, v1, v3
	v_mul_lo_u32 v4, v1, s0
	v_mul_lo_u32 v11, v1, s1
	s_cbranch_scc1 .LBB29_1214
; %bb.1213:
	s_clause 0x1
	s_load_dwordx4 s[8:11], s[2:3], 0x10
	s_load_dwordx2 s[0:1], s[2:3], 0xcc
	s_waitcnt lgkmcnt(0)
	v_mul_hi_u32 v1, s9, v2
	v_add_nc_u32_e32 v1, v2, v1
	v_lshrrev_b32_e32 v1, s10, v1
	v_mul_lo_u32 v1, v1, s8
	v_sub_nc_u32_e32 v1, v2, v1
	v_mad_u64_u32 v[4:5], null, v1, s0, v[4:5]
	v_mad_u64_u32 v[11:12], null, v1, s1, v[11:12]
.LBB29_1214:
	v_cmp_ne_u32_e32 vcc_lo, 1, v0
	v_add_nc_u32_e32 v1, 0x100, v8
	s_cbranch_vccnz .LBB29_1220
; %bb.1215:
	s_cmp_lg_u32 s24, 0
	s_mov_b32 s8, 0
	s_cbranch_scc0 .LBB29_1221
; %bb.1216:
	s_min_u32 s10, s25, 15
	s_add_i32 s10, s10, 1
	s_cmp_eq_u32 s25, 2
	s_cbranch_scc1 .LBB29_1222
; %bb.1217:
	v_mov_b32_e32 v9, 0
	v_mov_b32_e32 v2, 0
	s_waitcnt vmcnt(0)
	v_mov_b32_e32 v3, v1
	s_and_b32 s9, s10, 28
	s_add_u32 s0, s2, 0xc4
	s_addc_u32 s1, s3, 0
	s_mov_b32 s11, 0
	s_mov_b64 s[6:7], s[2:3]
.LBB29_1218:                            ; =>This Inner Loop Header: Depth=1
	s_clause 0x1
	s_load_dwordx8 s[16:23], s[6:7], 0x4
	s_load_dwordx4 s[28:31], s[6:7], 0x24
	s_load_dwordx8 s[36:43], s[0:1], 0x0
	s_add_u32 s6, s6, 48
	s_addc_u32 s7, s7, 0
	s_add_i32 s11, s11, 4
	s_add_u32 s0, s0, 32
	s_addc_u32 s1, s1, 0
	s_cmp_lg_u32 s9, s11
	s_waitcnt lgkmcnt(0)
	v_mul_hi_u32 v5, s17, v3
	v_add_nc_u32_e32 v5, v3, v5
	v_lshrrev_b32_e32 v5, s18, v5
	v_mul_hi_u32 v7, s20, v5
	v_mul_lo_u32 v10, v5, s16
	v_add_nc_u32_e32 v7, v5, v7
	v_sub_nc_u32_e32 v3, v3, v10
	v_lshrrev_b32_e32 v7, s21, v7
	v_mul_lo_u32 v10, v3, s36
	v_mul_lo_u32 v14, v3, s37
	v_mul_hi_u32 v8, s23, v7
	v_add_nc_u32_e32 v8, v7, v8
	v_lshrrev_b32_e32 v8, s28, v8
	v_mul_hi_u32 v12, s30, v8
	v_mul_lo_u32 v16, v8, s22
	v_add_nc_u32_e32 v3, v8, v12
	v_mul_lo_u32 v12, v7, s19
	v_sub_nc_u32_e32 v7, v7, v16
	v_lshrrev_b32_e32 v3, s31, v3
	v_mul_lo_u32 v16, v7, s40
	v_mul_lo_u32 v7, v7, s41
	v_sub_nc_u32_e32 v5, v5, v12
	v_mul_lo_u32 v17, v3, s29
	v_mul_lo_u32 v12, v5, s38
	;; [unrolled: 1-line block ×3, first 2 shown]
	v_sub_nc_u32_e32 v8, v8, v17
	v_add3_u32 v2, v10, v2, v12
	v_mul_lo_u32 v17, v8, s42
	v_mul_lo_u32 v8, v8, s43
	v_add3_u32 v5, v14, v9, v5
	v_add3_u32 v2, v16, v2, v17
	;; [unrolled: 1-line block ×3, first 2 shown]
	s_cbranch_scc1 .LBB29_1218
; %bb.1219:
	s_and_b32 s10, s10, 3
	s_cmp_eq_u32 s10, 0
	s_cbranch_scc0 .LBB29_1223
	s_branch .LBB29_1225
.LBB29_1220:
	s_mov_b32 s8, -1
                                        ; implicit-def: $vgpr2
                                        ; implicit-def: $vgpr9
	s_branch .LBB29_1225
.LBB29_1221:
	v_mov_b32_e32 v2, 0
	v_mov_b32_e32 v9, 0
	s_branch .LBB29_1225
.LBB29_1222:
	v_mov_b32_e32 v2, 0
	v_mov_b32_e32 v9, 0
	s_waitcnt vmcnt(0)
	v_mov_b32_e32 v3, v1
	s_mov_b32 s9, 0
	s_and_b32 s10, s10, 3
	s_cmp_eq_u32 s10, 0
	s_cbranch_scc1 .LBB29_1225
.LBB29_1223:
	s_lshl_b32 s0, s9, 3
	s_mul_i32 s6, s9, 12
	s_add_u32 s0, s2, s0
	s_addc_u32 s1, s3, 0
	s_add_u32 s0, s0, 0xc4
	s_addc_u32 s1, s1, 0
	;; [unrolled: 2-line block ×3, first 2 shown]
	.p2align	6
.LBB29_1224:                            ; =>This Inner Loop Header: Depth=1
	s_clause 0x1
	s_load_dwordx2 s[14:15], s[6:7], 0x4
	s_load_dword s9, s[6:7], 0xc
	s_load_dwordx2 s[16:17], s[0:1], 0x0
	s_add_u32 s6, s6, 12
	s_addc_u32 s7, s7, 0
	s_add_u32 s0, s0, 8
	s_addc_u32 s1, s1, 0
	s_add_i32 s10, s10, -1
	s_cmp_lg_u32 s10, 0
	s_waitcnt lgkmcnt(0)
	v_mul_hi_u32 v5, s15, v3
	v_add_nc_u32_e32 v5, v3, v5
	v_lshrrev_b32_e32 v5, s9, v5
	v_mul_lo_u32 v7, v5, s14
	v_sub_nc_u32_e32 v7, v3, v7
	v_mad_u64_u32 v[2:3], null, v7, s16, v[2:3]
	v_mad_u64_u32 v[9:10], null, v7, s17, v[9:10]
	v_mov_b32_e32 v3, v5
	s_cbranch_scc1 .LBB29_1224
.LBB29_1225:
	s_andn2_b32 vcc_lo, exec_lo, s8
	s_cbranch_vccnz .LBB29_1228
; %bb.1226:
	s_clause 0x1
	s_load_dwordx4 s[8:11], s[2:3], 0x4
	s_load_dwordx2 s[0:1], s[2:3], 0xc4
	s_cmp_lt_u32 s24, 2
	s_waitcnt lgkmcnt(0)
	v_mul_hi_u32 v2, s9, v1
	v_add_nc_u32_e32 v2, v1, v2
	s_waitcnt vmcnt(0)
	v_lshrrev_b32_e32 v3, s10, v2
	v_mul_lo_u32 v2, v3, s8
	v_sub_nc_u32_e32 v1, v1, v2
	v_mul_lo_u32 v2, v1, s0
	v_mul_lo_u32 v9, v1, s1
	s_cbranch_scc1 .LBB29_1228
; %bb.1227:
	s_clause 0x1
	s_load_dwordx4 s[8:11], s[2:3], 0x10
	s_load_dwordx2 s[0:1], s[2:3], 0xcc
	s_waitcnt lgkmcnt(0)
	v_mul_hi_u32 v1, s9, v3
	v_add_nc_u32_e32 v1, v3, v1
	v_lshrrev_b32_e32 v1, s10, v1
	v_mul_lo_u32 v1, v1, s8
	v_sub_nc_u32_e32 v1, v3, v1
	v_mad_u64_u32 v[2:3], null, v1, s0, v[2:3]
	v_mad_u64_u32 v[9:10], null, v1, s1, v[9:10]
.LBB29_1228:
	v_cmp_ne_u32_e32 vcc_lo, 1, v0
	s_cbranch_vccnz .LBB29_1234
; %bb.1229:
	s_cmp_lg_u32 s24, 0
	s_mov_b32 s8, 0
	s_cbranch_scc0 .LBB29_1235
; %bb.1230:
	s_min_u32 s10, s25, 15
	s_add_i32 s10, s10, 1
	s_cmp_eq_u32 s25, 2
	s_cbranch_scc1 .LBB29_1236
; %bb.1231:
	v_mov_b32_e32 v7, 0
	v_mov_b32_e32 v0, 0
	;; [unrolled: 1-line block ×3, first 2 shown]
	s_and_b32 s9, s10, 28
	s_add_u32 s0, s2, 0xc4
	s_addc_u32 s1, s3, 0
	s_mov_b32 s11, 0
	s_mov_b64 s[6:7], s[2:3]
.LBB29_1232:                            ; =>This Inner Loop Header: Depth=1
	s_clause 0x1
	s_load_dwordx8 s[16:23], s[6:7], 0x4
	s_load_dwordx4 s[28:31], s[6:7], 0x24
	s_load_dwordx8 s[36:43], s[0:1], 0x0
	s_add_u32 s6, s6, 48
	s_addc_u32 s7, s7, 0
	s_add_i32 s11, s11, 4
	s_add_u32 s0, s0, 32
	s_addc_u32 s1, s1, 0
	s_cmp_lg_u32 s9, s11
	s_waitcnt vmcnt(0) lgkmcnt(0)
	v_mul_hi_u32 v3, s17, v1
	v_add_nc_u32_e32 v3, v1, v3
	v_lshrrev_b32_e32 v3, s18, v3
	v_mul_hi_u32 v5, s20, v3
	v_mul_lo_u32 v10, v3, s16
	v_add_nc_u32_e32 v5, v3, v5
	v_sub_nc_u32_e32 v1, v1, v10
	v_lshrrev_b32_e32 v5, s21, v5
	v_mul_lo_u32 v10, v1, s36
	v_mul_lo_u32 v14, v1, s37
	v_mul_hi_u32 v8, s23, v5
	v_add_nc_u32_e32 v8, v5, v8
	v_lshrrev_b32_e32 v8, s28, v8
	v_mul_hi_u32 v12, s30, v8
	v_mul_lo_u32 v16, v8, s22
	v_add_nc_u32_e32 v1, v8, v12
	v_mul_lo_u32 v12, v5, s19
	v_sub_nc_u32_e32 v5, v5, v16
	v_lshrrev_b32_e32 v1, s31, v1
	v_mul_lo_u32 v16, v5, s40
	v_mul_lo_u32 v5, v5, s41
	v_sub_nc_u32_e32 v3, v3, v12
	v_mul_lo_u32 v17, v1, s29
	v_mul_lo_u32 v12, v3, s38
	;; [unrolled: 1-line block ×3, first 2 shown]
	v_sub_nc_u32_e32 v8, v8, v17
	v_add3_u32 v0, v10, v0, v12
	v_mul_lo_u32 v17, v8, s42
	v_mul_lo_u32 v8, v8, s43
	v_add3_u32 v3, v14, v7, v3
	v_add3_u32 v0, v16, v0, v17
	;; [unrolled: 1-line block ×3, first 2 shown]
	s_cbranch_scc1 .LBB29_1232
; %bb.1233:
	s_and_b32 s10, s10, 3
	s_cmp_eq_u32 s10, 0
	s_cbranch_scc0 .LBB29_1237
	s_branch .LBB29_1239
.LBB29_1234:
	s_mov_b32 s8, -1
                                        ; implicit-def: $vgpr0
                                        ; implicit-def: $vgpr7
	s_branch .LBB29_1239
.LBB29_1235:
	v_mov_b32_e32 v0, 0
	v_mov_b32_e32 v7, 0
	s_branch .LBB29_1239
.LBB29_1236:
	v_mov_b32_e32 v0, 0
	v_mov_b32_e32 v7, 0
	;; [unrolled: 1-line block ×3, first 2 shown]
	s_mov_b32 s9, 0
	s_and_b32 s10, s10, 3
	s_cmp_eq_u32 s10, 0
	s_cbranch_scc1 .LBB29_1239
.LBB29_1237:
	s_lshl_b32 s0, s9, 3
	s_mul_i32 s6, s9, 12
	s_add_u32 s0, s2, s0
	s_addc_u32 s1, s3, 0
	s_add_u32 s0, s0, 0xc4
	s_addc_u32 s1, s1, 0
	;; [unrolled: 2-line block ×3, first 2 shown]
	.p2align	6
.LBB29_1238:                            ; =>This Inner Loop Header: Depth=1
	s_clause 0x1
	s_load_dwordx2 s[14:15], s[6:7], 0x4
	s_load_dword s9, s[6:7], 0xc
	s_load_dwordx2 s[16:17], s[0:1], 0x0
	s_add_u32 s6, s6, 12
	s_addc_u32 s7, s7, 0
	s_add_u32 s0, s0, 8
	s_addc_u32 s1, s1, 0
	s_add_i32 s10, s10, -1
	s_cmp_lg_u32 s10, 0
	s_waitcnt vmcnt(0) lgkmcnt(0)
	v_mul_hi_u32 v3, s15, v1
	v_add_nc_u32_e32 v3, v1, v3
	v_lshrrev_b32_e32 v3, s9, v3
	v_mul_lo_u32 v5, v3, s14
	v_sub_nc_u32_e32 v5, v1, v5
	v_mad_u64_u32 v[0:1], null, v5, s16, v[0:1]
	v_mad_u64_u32 v[7:8], null, v5, s17, v[7:8]
	v_mov_b32_e32 v1, v3
	s_cbranch_scc1 .LBB29_1238
.LBB29_1239:
	s_andn2_b32 vcc_lo, exec_lo, s8
	s_cbranch_vccnz .LBB29_1242
; %bb.1240:
	s_clause 0x1
	s_load_dwordx4 s[8:11], s[2:3], 0x4
	s_load_dwordx2 s[0:1], s[2:3], 0xc4
	s_cmp_lt_u32 s24, 2
	s_waitcnt lgkmcnt(0)
	v_mul_hi_u32 v0, s9, v15
	v_add_nc_u32_e32 v0, v15, v0
	v_lshrrev_b32_e32 v1, s10, v0
	v_mul_lo_u32 v0, v1, s8
	s_waitcnt vmcnt(0)
	v_sub_nc_u32_e32 v3, v15, v0
	v_mul_lo_u32 v0, v3, s0
	v_mul_lo_u32 v7, v3, s1
	s_cbranch_scc1 .LBB29_1242
; %bb.1241:
	s_clause 0x1
	s_load_dwordx4 s[8:11], s[2:3], 0x10
	s_load_dwordx2 s[0:1], s[2:3], 0xcc
	s_waitcnt lgkmcnt(0)
	v_mul_hi_u32 v3, s9, v1
	v_add_nc_u32_e32 v3, v1, v3
	v_lshrrev_b32_e32 v3, s10, v3
	v_mul_lo_u32 v3, v3, s8
	v_sub_nc_u32_e32 v3, v1, v3
	v_mad_u64_u32 v[0:1], null, v3, s0, v[0:1]
	v_mad_u64_u32 v[7:8], null, v3, s1, v[7:8]
.LBB29_1242:
	s_clause 0x1
	s_load_dwordx4 s[8:11], s[2:3], 0x148
	s_load_dword s3, s[4:5], 0x160
	s_waitcnt lgkmcnt(0)
	v_add_co_u32 v12, s0, s10, v13
	v_add_co_ci_u32_e64 v13, null, s11, 0, s0
	s_bfe_u32 s0, s3, 0x80010
	s_cmp_lt_i32 s0, 11
	s_cbranch_scc1 .LBB29_1249
; %bb.1243:
	s_and_b32 s1, 0xffff, s0
	s_mov_b32 s4, 0
	s_cmp_gt_i32 s1, 25
	s_cbranch_scc0 .LBB29_1251
; %bb.1244:
	s_cmp_gt_i32 s1, 28
	s_cbranch_scc0 .LBB29_1252
; %bb.1245:
	;; [unrolled: 3-line block ×4, first 2 shown]
	s_cmp_eq_u32 s1, 46
	s_mov_b32 s6, 0
	s_cbranch_scc0 .LBB29_1257
; %bb.1248:
	global_load_dword v1, v[12:13], off
	s_mov_b32 s2, 0
	s_mov_b32 s5, -1
	s_waitcnt vmcnt(0)
	v_lshlrev_b32_e32 v1, 16, v1
	v_cvt_f16_f32_e32 v3, v1
	s_branch .LBB29_1259
.LBB29_1249:
	s_mov_b32 s5, 0
	s_mov_b32 s2, s12
                                        ; implicit-def: $vgpr3
	s_cbranch_execnz .LBB29_1322
.LBB29_1250:
	s_andn2_b32 vcc_lo, exec_lo, s5
	s_cbranch_vccz .LBB29_1367
	s_branch .LBB29_1932
.LBB29_1251:
	s_mov_b32 s5, 0
	s_mov_b32 s2, 0
                                        ; implicit-def: $vgpr3
	s_cbranch_execnz .LBB29_1287
	s_branch .LBB29_1318
.LBB29_1252:
	s_mov_b32 s6, -1
	s_mov_b32 s5, 0
	s_mov_b32 s2, 0
                                        ; implicit-def: $vgpr3
	s_branch .LBB29_1268
.LBB29_1253:
	s_mov_b32 s5, 0
	s_mov_b32 s2, 0
                                        ; implicit-def: $vgpr3
	s_cbranch_execnz .LBB29_1264
	s_branch .LBB29_1267
.LBB29_1254:
	s_mov_b32 s6, -1
	s_mov_b32 s5, 0
	s_mov_b32 s2, 0
	s_branch .LBB29_1258
.LBB29_1255:
	s_andn2_saveexec_b32 s11, s11
	s_cbranch_execz .LBB29_1098
.LBB29_1256:
	v_add_f32_e64 v4, 0x46000000, |v0|
	s_andn2_b32 s10, s10, exec_lo
	v_and_b32_e32 v4, 0xff, v4
	v_cmp_ne_u32_e32 vcc_lo, 0, v4
	s_and_b32 s12, vcc_lo, exec_lo
	s_or_b32 s10, s10, s12
	s_or_b32 exec_lo, exec_lo, s11
	v_mov_b32_e32 v5, 0
	s_and_saveexec_b32 s11, s10
	s_cbranch_execnz .LBB29_1099
	s_branch .LBB29_1100
.LBB29_1257:
	s_mov_b32 s2, -1
	s_mov_b32 s5, 0
.LBB29_1258:
                                        ; implicit-def: $vgpr3
.LBB29_1259:
	s_and_b32 vcc_lo, exec_lo, s6
	s_cbranch_vccz .LBB29_1262
; %bb.1260:
	s_cmp_eq_u32 s1, 44
	s_cbranch_scc0 .LBB29_1263
; %bb.1261:
	global_load_ubyte v1, v[12:13], off
	s_mov_b32 s2, 0
	s_mov_b32 s5, -1
	s_waitcnt vmcnt(0)
	v_lshlrev_b32_e32 v3, 23, v1
	v_cmp_ne_u32_e32 vcc_lo, 0xff, v1
	v_cvt_f16_f32_e32 v3, v3
	v_cndmask_b32_e32 v3, 0x7e00, v3, vcc_lo
	v_cmp_ne_u32_e32 vcc_lo, 0, v1
	v_cndmask_b32_e32 v3, 0, v3, vcc_lo
.LBB29_1262:
	s_branch .LBB29_1267
.LBB29_1263:
	s_mov_b32 s2, -1
                                        ; implicit-def: $vgpr3
	s_branch .LBB29_1267
.LBB29_1264:
	s_cmp_eq_u32 s1, 29
	s_cbranch_scc0 .LBB29_1266
; %bb.1265:
	global_load_dwordx2 v[14:15], v[12:13], off
	s_mov_b32 s2, 0
	s_mov_b32 s5, -1
	s_mov_b32 s6, 0
	s_waitcnt vmcnt(0)
	v_ffbh_u32_e32 v1, v15
	v_min_u32_e32 v1, 32, v1
	v_lshlrev_b64 v[14:15], v1, v[14:15]
	v_sub_nc_u32_e32 v1, 32, v1
	v_min_u32_e32 v3, 1, v14
	v_or_b32_e32 v3, v15, v3
	v_cvt_f32_u32_e32 v3, v3
	v_ldexp_f32 v1, v3, v1
	v_cvt_f16_f32_e32 v3, v1
	s_branch .LBB29_1268
.LBB29_1266:
	s_mov_b32 s2, -1
                                        ; implicit-def: $vgpr3
.LBB29_1267:
	s_mov_b32 s6, 0
.LBB29_1268:
	s_and_b32 vcc_lo, exec_lo, s6
	s_cbranch_vccz .LBB29_1286
; %bb.1269:
	s_cmp_lt_i32 s1, 27
	s_cbranch_scc1 .LBB29_1272
; %bb.1270:
	s_cmp_gt_i32 s1, 27
	s_cbranch_scc0 .LBB29_1273
; %bb.1271:
	global_load_dword v1, v[12:13], off
	s_mov_b32 s5, 0
	s_waitcnt vmcnt(0)
	v_cvt_f32_u32_e32 v1, v1
	v_cvt_f16_f32_e32 v3, v1
	s_branch .LBB29_1274
.LBB29_1272:
	s_mov_b32 s5, -1
                                        ; implicit-def: $vgpr3
	s_branch .LBB29_1277
.LBB29_1273:
	s_mov_b32 s5, -1
                                        ; implicit-def: $vgpr3
.LBB29_1274:
	s_andn2_b32 vcc_lo, exec_lo, s5
	s_cbranch_vccnz .LBB29_1276
; %bb.1275:
	global_load_ushort v1, v[12:13], off
	s_waitcnt vmcnt(0)
	v_cvt_f16_u16_e32 v3, v1
.LBB29_1276:
	s_mov_b32 s5, 0
.LBB29_1277:
	s_andn2_b32 vcc_lo, exec_lo, s5
	s_cbranch_vccnz .LBB29_1285
; %bb.1278:
	global_load_ubyte v1, v[12:13], off
	s_mov_b32 s5, 0
	s_mov_b32 s6, exec_lo
	s_waitcnt vmcnt(0)
	v_cmpx_lt_i16_e32 0x7f, v1
	s_xor_b32 s6, exec_lo, s6
	s_cbranch_execz .LBB29_1298
; %bb.1279:
	s_mov_b32 s5, -1
	s_mov_b32 s7, exec_lo
	v_cmpx_eq_u16_e32 0x80, v1
; %bb.1280:
	s_xor_b32 s5, exec_lo, -1
; %bb.1281:
	s_or_b32 exec_lo, exec_lo, s7
	s_and_b32 s5, s5, exec_lo
	s_or_saveexec_b32 s6, s6
	v_mov_b32_e32 v3, 0x7e00
	s_xor_b32 exec_lo, exec_lo, s6
	s_cbranch_execnz .LBB29_1299
.LBB29_1282:
	s_or_b32 exec_lo, exec_lo, s6
	s_and_saveexec_b32 s6, s5
	s_cbranch_execz .LBB29_1284
.LBB29_1283:
	v_and_b32_e32 v3, 0xffff, v1
	v_lshlrev_b32_e32 v1, 24, v1
	v_and_b32_e32 v5, 7, v3
	v_bfe_u32 v14, v3, 3, 4
	v_and_b32_e32 v1, 0x80000000, v1
	v_ffbh_u32_e32 v8, v5
	v_cmp_eq_u32_e32 vcc_lo, 0, v14
	v_min_u32_e32 v8, 32, v8
	v_subrev_nc_u32_e32 v10, 28, v8
	v_sub_nc_u32_e32 v8, 29, v8
	v_lshlrev_b32_e32 v3, v10, v3
	v_cndmask_b32_e32 v8, v14, v8, vcc_lo
	v_and_b32_e32 v3, 7, v3
	v_cndmask_b32_e32 v3, v5, v3, vcc_lo
	v_lshl_add_u32 v5, v8, 23, 0x3b800000
	v_lshlrev_b32_e32 v3, 20, v3
	v_or3_b32 v1, v1, v5, v3
	v_cvt_f16_f32_e32 v3, v1
.LBB29_1284:
	s_or_b32 exec_lo, exec_lo, s6
.LBB29_1285:
	s_mov_b32 s5, -1
.LBB29_1286:
	s_branch .LBB29_1318
.LBB29_1287:
	s_cmp_gt_i32 s1, 22
	s_cbranch_scc0 .LBB29_1297
; %bb.1288:
	s_cmp_lt_i32 s1, 24
	s_cbranch_scc1 .LBB29_1300
; %bb.1289:
	s_cmp_gt_i32 s1, 24
	s_cbranch_scc0 .LBB29_1301
; %bb.1290:
	global_load_ubyte v1, v[12:13], off
	s_mov_b32 s5, exec_lo
	s_waitcnt vmcnt(0)
	v_cmpx_lt_i16_e32 0x7f, v1
	s_xor_b32 s5, exec_lo, s5
	s_cbranch_execz .LBB29_1312
; %bb.1291:
	s_mov_b32 s4, -1
	s_mov_b32 s6, exec_lo
	v_cmpx_eq_u16_e32 0x80, v1
; %bb.1292:
	s_xor_b32 s4, exec_lo, -1
; %bb.1293:
	s_or_b32 exec_lo, exec_lo, s6
	s_and_b32 s4, s4, exec_lo
	s_or_saveexec_b32 s5, s5
	v_mov_b32_e32 v3, 0x7e00
	s_xor_b32 exec_lo, exec_lo, s5
	s_cbranch_execnz .LBB29_1313
.LBB29_1294:
	s_or_b32 exec_lo, exec_lo, s5
	s_and_saveexec_b32 s5, s4
	s_cbranch_execz .LBB29_1296
.LBB29_1295:
	v_and_b32_e32 v3, 0xffff, v1
	v_lshlrev_b32_e32 v1, 24, v1
	v_and_b32_e32 v5, 3, v3
	v_bfe_u32 v14, v3, 2, 5
	v_and_b32_e32 v1, 0x80000000, v1
	v_ffbh_u32_e32 v8, v5
	v_cmp_eq_u32_e32 vcc_lo, 0, v14
	v_min_u32_e32 v8, 32, v8
	v_subrev_nc_u32_e32 v10, 29, v8
	v_sub_nc_u32_e32 v8, 30, v8
	v_lshlrev_b32_e32 v3, v10, v3
	v_cndmask_b32_e32 v8, v14, v8, vcc_lo
	v_and_b32_e32 v3, 3, v3
	v_cndmask_b32_e32 v3, v5, v3, vcc_lo
	v_lshl_add_u32 v5, v8, 23, 0x37800000
	v_lshlrev_b32_e32 v3, 21, v3
	v_or3_b32 v1, v1, v5, v3
	v_cvt_f16_f32_e32 v3, v1
.LBB29_1296:
	s_or_b32 exec_lo, exec_lo, s5
	s_mov_b32 s4, 0
	s_branch .LBB29_1302
.LBB29_1297:
                                        ; implicit-def: $vgpr3
	s_mov_b32 s4, 0
	s_branch .LBB29_1308
.LBB29_1298:
	s_or_saveexec_b32 s6, s6
	v_mov_b32_e32 v3, 0x7e00
	s_xor_b32 exec_lo, exec_lo, s6
	s_cbranch_execz .LBB29_1282
.LBB29_1299:
	v_cmp_ne_u16_e32 vcc_lo, 0, v1
	v_mov_b32_e32 v3, v1
	s_andn2_b32 s5, s5, exec_lo
	s_and_b32 s7, vcc_lo, exec_lo
	s_or_b32 s5, s5, s7
	s_or_b32 exec_lo, exec_lo, s6
	s_and_saveexec_b32 s6, s5
	s_cbranch_execnz .LBB29_1283
	s_branch .LBB29_1284
.LBB29_1300:
	s_mov_b32 s4, -1
                                        ; implicit-def: $vgpr3
	s_branch .LBB29_1305
.LBB29_1301:
	s_mov_b32 s4, -1
                                        ; implicit-def: $vgpr3
.LBB29_1302:
	s_and_b32 vcc_lo, exec_lo, s4
	s_cbranch_vccz .LBB29_1304
; %bb.1303:
	global_load_ubyte v1, v[12:13], off
	s_waitcnt vmcnt(0)
	v_lshlrev_b32_e32 v1, 24, v1
	v_and_b32_e32 v3, 0x7f000000, v1
	v_ffbh_u32_e32 v5, v3
	v_add_nc_u32_e32 v10, 0x1000000, v3
	v_cmp_ne_u32_e32 vcc_lo, 0, v3
	v_min_u32_e32 v5, 32, v5
	v_sub_nc_u32_e64 v5, v5, 4 clamp
	v_lshlrev_b32_e32 v8, v5, v3
	v_lshlrev_b32_e32 v5, 23, v5
	v_lshrrev_b32_e32 v8, 4, v8
	v_sub_nc_u32_e32 v5, v8, v5
	v_ashrrev_i32_e32 v8, 8, v10
	v_add_nc_u32_e32 v5, 0x3c000000, v5
	v_and_or_b32 v5, 0x7f800000, v8, v5
	v_cndmask_b32_e32 v3, 0, v5, vcc_lo
	v_and_or_b32 v1, 0x80000000, v1, v3
	v_cvt_f16_f32_e32 v3, v1
.LBB29_1304:
	s_mov_b32 s4, 0
.LBB29_1305:
	s_andn2_b32 vcc_lo, exec_lo, s4
	s_cbranch_vccnz .LBB29_1307
; %bb.1306:
	global_load_ubyte v1, v[12:13], off
	s_waitcnt vmcnt(0)
	v_lshlrev_b32_e32 v3, 25, v1
	v_lshlrev_b16 v1, 8, v1
	v_lshrrev_b32_e32 v5, 4, v3
	v_and_or_b32 v8, 0x7f00, v1, 0.5
	v_cmp_gt_u32_e32 vcc_lo, 0x8000000, v3
	v_bfe_i32 v1, v1, 0, 16
	v_or_b32_e32 v5, 0x70000000, v5
	v_add_f32_e32 v8, -0.5, v8
	v_mul_f32_e32 v5, 0x7800000, v5
	v_cndmask_b32_e32 v3, v5, v8, vcc_lo
	v_and_or_b32 v1, 0x80000000, v1, v3
	v_cvt_f16_f32_e32 v3, v1
.LBB29_1307:
	s_mov_b32 s5, -1
	s_mov_b32 s4, 0
	s_cbranch_execnz .LBB29_1318
.LBB29_1308:
	s_cmp_gt_i32 s1, 14
	s_cbranch_scc0 .LBB29_1311
; %bb.1309:
	s_cmp_eq_u32 s1, 15
	s_cbranch_scc0 .LBB29_1314
; %bb.1310:
	global_load_ushort v1, v[12:13], off
	s_mov_b32 s2, 0
	s_mov_b32 s5, -1
	s_waitcnt vmcnt(0)
	v_lshlrev_b32_e32 v1, 16, v1
	v_cvt_f16_f32_e32 v3, v1
	s_branch .LBB29_1316
.LBB29_1311:
	s_mov_b32 s4, -1
	s_branch .LBB29_1315
.LBB29_1312:
	s_or_saveexec_b32 s5, s5
	v_mov_b32_e32 v3, 0x7e00
	s_xor_b32 exec_lo, exec_lo, s5
	s_cbranch_execz .LBB29_1294
.LBB29_1313:
	v_cmp_ne_u16_e32 vcc_lo, 0, v1
	v_mov_b32_e32 v3, v1
	s_andn2_b32 s4, s4, exec_lo
	s_and_b32 s6, vcc_lo, exec_lo
	s_or_b32 s4, s4, s6
	s_or_b32 exec_lo, exec_lo, s5
	s_and_saveexec_b32 s5, s4
	s_cbranch_execnz .LBB29_1295
	s_branch .LBB29_1296
.LBB29_1314:
	s_mov_b32 s2, -1
.LBB29_1315:
                                        ; implicit-def: $vgpr3
.LBB29_1316:
	s_and_b32 vcc_lo, exec_lo, s4
	s_mov_b32 s4, 0
	s_cbranch_vccz .LBB29_1318
; %bb.1317:
	s_cmp_lg_u32 s1, 11
	s_mov_b32 s4, -1
	s_cselect_b32 s2, -1, 0
.LBB29_1318:
	s_and_b32 vcc_lo, exec_lo, s2
	s_mov_b32 s2, s12
	s_cbranch_vccnz .LBB29_1403
; %bb.1319:
	s_andn2_b32 vcc_lo, exec_lo, s4
	s_cbranch_vccnz .LBB29_1321
.LBB29_1320:
	global_load_ubyte v1, v[12:13], off
	s_mov_b32 s5, -1
	s_waitcnt vmcnt(0)
	v_cmp_ne_u16_e32 vcc_lo, 0, v1
	v_cndmask_b32_e64 v3, 0, 0x3c00, vcc_lo
.LBB29_1321:
	s_branch .LBB29_1250
.LBB29_1322:
	s_and_b32 s0, 0xffff, s0
	s_cmp_lt_i32 s0, 5
	s_cbranch_scc1 .LBB29_1327
; %bb.1323:
	s_cmp_lt_i32 s0, 8
	s_cbranch_scc1 .LBB29_1328
; %bb.1324:
	;; [unrolled: 3-line block ×3, first 2 shown]
	s_cmp_gt_i32 s0, 9
	s_cbranch_scc0 .LBB29_1330
; %bb.1326:
	global_load_dwordx2 v[14:15], v[12:13], off
	s_mov_b32 s1, 0
	s_waitcnt vmcnt(0)
	v_and_or_b32 v1, 0x1ff, v15, v14
	v_lshrrev_b32_e32 v3, 8, v15
	v_bfe_u32 v5, v15, 20, 11
	v_cmp_ne_u32_e32 vcc_lo, 0, v1
	v_sub_nc_u32_e32 v8, 0x3f1, v5
	v_add_nc_u32_e32 v5, 0xfffffc10, v5
	v_cndmask_b32_e64 v1, 0, 1, vcc_lo
	v_and_or_b32 v1, 0xffe, v3, v1
	v_med3_i32 v3, v8, 0, 13
	v_or_b32_e32 v8, 0x1000, v1
	v_lshrrev_b32_e32 v10, v3, v8
	v_lshlrev_b32_e32 v3, v3, v10
	v_cmp_ne_u32_e32 vcc_lo, v3, v8
	v_lshl_or_b32 v8, v5, 12, v1
	v_cndmask_b32_e64 v3, 0, 1, vcc_lo
	v_cmp_gt_i32_e32 vcc_lo, 1, v5
	v_or_b32_e32 v3, v10, v3
	v_cndmask_b32_e32 v3, v8, v3, vcc_lo
	v_and_b32_e32 v8, 7, v3
	v_lshrrev_b32_e32 v3, 2, v3
	v_cmp_lt_i32_e32 vcc_lo, 5, v8
	v_cndmask_b32_e64 v10, 0, 1, vcc_lo
	v_cmp_eq_u32_e32 vcc_lo, 3, v8
	v_cndmask_b32_e64 v8, 0, 1, vcc_lo
	v_cmp_ne_u32_e32 vcc_lo, 0, v1
	v_or_b32_e32 v8, v8, v10
	v_mov_b32_e32 v10, 0x7e00
	v_add_nc_u32_e32 v3, v3, v8
	v_cndmask_b32_e32 v1, 0x7c00, v10, vcc_lo
	v_cmp_gt_i32_e32 vcc_lo, 31, v5
	v_cndmask_b32_e32 v3, 0x7c00, v3, vcc_lo
	v_cmp_eq_u32_e32 vcc_lo, 0x40f, v5
	v_cndmask_b32_e32 v1, v3, v1, vcc_lo
	v_lshrrev_b32_e32 v3, 16, v15
	v_and_or_b32 v3, 0x8000, v3, v1
	s_branch .LBB29_1331
.LBB29_1327:
                                        ; implicit-def: $vgpr3
	s_branch .LBB29_1348
.LBB29_1328:
                                        ; implicit-def: $vgpr3
	s_branch .LBB29_1337
.LBB29_1329:
	s_mov_b32 s1, -1
                                        ; implicit-def: $vgpr3
	s_branch .LBB29_1334
.LBB29_1330:
	s_mov_b32 s1, -1
                                        ; implicit-def: $vgpr3
.LBB29_1331:
	s_andn2_b32 vcc_lo, exec_lo, s1
	s_cbranch_vccnz .LBB29_1333
; %bb.1332:
	global_load_dword v1, v[12:13], off
	s_waitcnt vmcnt(0)
	v_cvt_f16_f32_e32 v3, v1
.LBB29_1333:
	s_mov_b32 s1, 0
.LBB29_1334:
	s_andn2_b32 vcc_lo, exec_lo, s1
	s_cbranch_vccnz .LBB29_1336
; %bb.1335:
	global_load_dword v3, v[12:13], off
.LBB29_1336:
	s_cbranch_execnz .LBB29_1347
.LBB29_1337:
	s_cmp_lt_i32 s0, 6
	s_cbranch_scc1 .LBB29_1340
; %bb.1338:
	s_cmp_gt_i32 s0, 6
	s_cbranch_scc0 .LBB29_1341
; %bb.1339:
	global_load_dwordx2 v[14:15], v[12:13], off
	s_mov_b32 s1, 0
	s_waitcnt vmcnt(0)
	v_and_or_b32 v1, 0x1ff, v15, v14
	v_lshrrev_b32_e32 v3, 8, v15
	v_bfe_u32 v5, v15, 20, 11
	v_cmp_ne_u32_e32 vcc_lo, 0, v1
	v_sub_nc_u32_e32 v8, 0x3f1, v5
	v_add_nc_u32_e32 v5, 0xfffffc10, v5
	v_cndmask_b32_e64 v1, 0, 1, vcc_lo
	v_and_or_b32 v1, 0xffe, v3, v1
	v_med3_i32 v3, v8, 0, 13
	v_or_b32_e32 v8, 0x1000, v1
	v_lshrrev_b32_e32 v10, v3, v8
	v_lshlrev_b32_e32 v3, v3, v10
	v_cmp_ne_u32_e32 vcc_lo, v3, v8
	v_lshl_or_b32 v8, v5, 12, v1
	v_cndmask_b32_e64 v3, 0, 1, vcc_lo
	v_cmp_gt_i32_e32 vcc_lo, 1, v5
	v_or_b32_e32 v3, v10, v3
	v_cndmask_b32_e32 v3, v8, v3, vcc_lo
	v_and_b32_e32 v8, 7, v3
	v_lshrrev_b32_e32 v3, 2, v3
	v_cmp_lt_i32_e32 vcc_lo, 5, v8
	v_cndmask_b32_e64 v10, 0, 1, vcc_lo
	v_cmp_eq_u32_e32 vcc_lo, 3, v8
	v_cndmask_b32_e64 v8, 0, 1, vcc_lo
	v_cmp_ne_u32_e32 vcc_lo, 0, v1
	v_or_b32_e32 v8, v8, v10
	v_mov_b32_e32 v10, 0x7e00
	v_add_nc_u32_e32 v3, v3, v8
	v_cndmask_b32_e32 v1, 0x7c00, v10, vcc_lo
	v_cmp_gt_i32_e32 vcc_lo, 31, v5
	v_cndmask_b32_e32 v3, 0x7c00, v3, vcc_lo
	v_cmp_eq_u32_e32 vcc_lo, 0x40f, v5
	v_cndmask_b32_e32 v1, v3, v1, vcc_lo
	v_lshrrev_b32_e32 v3, 16, v15
	v_and_or_b32 v3, 0x8000, v3, v1
	s_branch .LBB29_1342
.LBB29_1340:
	s_mov_b32 s1, -1
                                        ; implicit-def: $vgpr3
	s_branch .LBB29_1345
.LBB29_1341:
	s_mov_b32 s1, -1
                                        ; implicit-def: $vgpr3
.LBB29_1342:
	s_andn2_b32 vcc_lo, exec_lo, s1
	s_cbranch_vccnz .LBB29_1344
; %bb.1343:
	global_load_dword v1, v[12:13], off
	s_waitcnt vmcnt(0)
	v_cvt_f16_f32_e32 v3, v1
.LBB29_1344:
	s_mov_b32 s1, 0
.LBB29_1345:
	s_andn2_b32 vcc_lo, exec_lo, s1
	s_cbranch_vccnz .LBB29_1347
; %bb.1346:
	global_load_ushort v3, v[12:13], off
.LBB29_1347:
	s_cbranch_execnz .LBB29_1366
.LBB29_1348:
	s_cmp_lt_i32 s0, 2
	s_cbranch_scc1 .LBB29_1352
; %bb.1349:
	s_cmp_lt_i32 s0, 3
	s_cbranch_scc1 .LBB29_1353
; %bb.1350:
	s_cmp_gt_i32 s0, 3
	s_cbranch_scc0 .LBB29_1354
; %bb.1351:
	global_load_dwordx2 v[14:15], v[12:13], off
	s_mov_b32 s1, 0
	s_waitcnt vmcnt(0)
	v_xor_b32_e32 v1, v14, v15
	v_ffbh_i32_e32 v3, v15
	v_ashrrev_i32_e32 v1, 31, v1
	v_add_nc_u32_e32 v3, -1, v3
	v_add_nc_u32_e32 v1, 32, v1
	v_min_u32_e32 v1, v3, v1
	v_lshlrev_b64 v[14:15], v1, v[14:15]
	v_sub_nc_u32_e32 v1, 32, v1
	v_min_u32_e32 v3, 1, v14
	v_or_b32_e32 v3, v15, v3
	v_cvt_f32_i32_e32 v3, v3
	v_ldexp_f32 v1, v3, v1
	v_cvt_f16_f32_e32 v3, v1
	s_branch .LBB29_1355
.LBB29_1352:
                                        ; implicit-def: $vgpr3
	s_branch .LBB29_1361
.LBB29_1353:
	s_mov_b32 s1, -1
                                        ; implicit-def: $vgpr3
	s_branch .LBB29_1358
.LBB29_1354:
	s_mov_b32 s1, -1
                                        ; implicit-def: $vgpr3
.LBB29_1355:
	s_andn2_b32 vcc_lo, exec_lo, s1
	s_cbranch_vccnz .LBB29_1357
; %bb.1356:
	global_load_dword v1, v[12:13], off
	s_waitcnt vmcnt(0)
	v_cvt_f32_i32_e32 v1, v1
	v_cvt_f16_f32_e32 v3, v1
.LBB29_1357:
	s_mov_b32 s1, 0
.LBB29_1358:
	s_andn2_b32 vcc_lo, exec_lo, s1
	s_cbranch_vccnz .LBB29_1360
; %bb.1359:
	global_load_ushort v1, v[12:13], off
	s_waitcnt vmcnt(0)
	v_cvt_f16_i16_e32 v3, v1
.LBB29_1360:
	s_cbranch_execnz .LBB29_1366
.LBB29_1361:
	s_cmp_gt_i32 s0, 0
	s_mov_b32 s0, 0
	s_cbranch_scc0 .LBB29_1363
; %bb.1362:
	global_load_sbyte v1, v[12:13], off
	s_waitcnt vmcnt(0)
	v_cvt_f16_i16_e32 v3, v1
	s_branch .LBB29_1364
.LBB29_1363:
	s_mov_b32 s0, -1
                                        ; implicit-def: $vgpr3
.LBB29_1364:
	s_andn2_b32 vcc_lo, exec_lo, s0
	s_cbranch_vccnz .LBB29_1366
; %bb.1365:
	global_load_ubyte v1, v[12:13], off
	s_waitcnt vmcnt(0)
	v_cvt_f16_u16_e32 v3, v1
.LBB29_1366:
.LBB29_1367:
	s_waitcnt vmcnt(0)
	v_cvt_f32_f16_e32 v5, v3
                                        ; implicit-def: $vgpr1
	s_mov_b32 s0, exec_lo
	v_cmpx_neq_f16_e32 0, v3
	s_xor_b32 s4, exec_lo, s0
	s_cbranch_execz .LBB29_1389
; %bb.1368:
	v_mov_b32_e32 v8, 0
	s_mov_b32 s0, -1
	s_mov_b32 s5, exec_lo
	v_cmpx_gt_f16_e32 0, v3
	s_cbranch_execz .LBB29_1376
; %bb.1369:
	v_trunc_f32_e32 v1, v5
	v_mov_b32_e32 v8, 0
	s_mov_b32 s1, 0
	s_mov_b32 s6, exec_lo
	v_cmpx_neq_f32_e32 v1, v5
	s_cbranch_execz .LBB29_1375
; %bb.1370:
	v_cvt_f32_f16_e32 v1, v3
	s_mov_b32 s1, 0xc00921fb
	s_mov_b32 s0, 0x54442d18
	s_mov_b32 s7, exec_lo
                                        ; implicit-def: $vgpr16_vgpr17
	v_cvt_f64_f32_e32 v[12:13], v1
                                        ; implicit-def: $vgpr1
	v_trunc_f64_e32 v[14:15], v[12:13]
	v_cmp_neq_f64_e64 vcc_lo, 0x7ff00000, |v[12:13]|
	v_add_f64 v[14:15], v[12:13], -v[14:15]
	v_mul_f64 v[14:15], |v[14:15]|, s[0:1]
	v_cndmask_b32_e32 v13, 0x80000000, v15, vcc_lo
	v_cndmask_b32_e32 v12, 0, v14, vcc_lo
                                        ; implicit-def: $vgpr14_vgpr15
	v_cmpx_ngt_f64_e64 0x41d00000, |v[12:13]|
	s_xor_b32 s7, exec_lo, s7
	s_cbranch_execz .LBB29_1372
; %bb.1371:
	v_ldexp_f64 v[14:15], |v[12:13]|, 0xffffff80
	v_cmp_le_f64_e64 vcc_lo, 0x7b000000, |v[12:13]|
	v_trig_preop_f64 v[16:17], |v[12:13]|, 0
	v_and_b32_e32 v1, 0x7fffffff, v13
	v_trig_preop_f64 v[18:19], |v[12:13]|, 1
	v_trig_preop_f64 v[28:29], |v[12:13]|, 2
	v_mov_b32_e32 v36, 0
	s_mov_b32 s1, 0x3ff921fb
	s_mov_b32 s14, 0x33145c07
	;; [unrolled: 1-line block ×3, first 2 shown]
	v_cndmask_b32_e32 v15, v1, v15, vcc_lo
	v_cndmask_b32_e32 v14, v12, v14, vcc_lo
	v_mul_f64 v[20:21], v[16:17], v[14:15]
	v_mul_f64 v[22:23], v[18:19], v[14:15]
	;; [unrolled: 1-line block ×3, first 2 shown]
	v_fma_f64 v[16:17], v[16:17], v[14:15], -v[20:21]
	v_fma_f64 v[18:19], v[18:19], v[14:15], -v[22:23]
	;; [unrolled: 1-line block ×3, first 2 shown]
	v_add_f64 v[24:25], v[22:23], v[16:17]
	v_add_f64 v[26:27], v[24:25], -v[22:23]
	v_add_f64 v[32:33], v[20:21], v[24:25]
	v_add_f64 v[30:31], v[24:25], -v[26:27]
	v_add_f64 v[16:17], v[16:17], -v[26:27]
	v_ldexp_f64 v[26:27], v[32:33], -2
	v_add_f64 v[20:21], v[32:33], -v[20:21]
	v_add_f64 v[22:23], v[22:23], -v[30:31]
	v_add_f64 v[30:31], v[34:35], v[18:19]
	v_cmp_neq_f64_e64 vcc_lo, 0x7ff00000, |v[26:27]|
	v_add_f64 v[20:21], v[24:25], -v[20:21]
	v_add_f64 v[16:17], v[16:17], v[22:23]
	v_fract_f64_e32 v[22:23], v[26:27]
	v_add_f64 v[24:25], v[30:31], v[16:17]
	v_ldexp_f64 v[22:23], v[22:23], 2
	v_add_f64 v[26:27], v[20:21], v[24:25]
	v_cndmask_b32_e32 v23, 0, v23, vcc_lo
	v_cndmask_b32_e32 v22, 0, v22, vcc_lo
	v_add_f64 v[32:33], v[26:27], v[22:23]
	v_add_f64 v[20:21], v[26:27], -v[20:21]
	v_cmp_gt_f64_e32 vcc_lo, 0, v[32:33]
	v_add_f64 v[32:33], v[30:31], -v[34:35]
	v_add_f64 v[20:21], v[24:25], -v[20:21]
	v_cndmask_b32_e64 v37, 0, 0x40100000, vcc_lo
	v_add_f64 v[41:42], v[30:31], -v[32:33]
	v_add_f64 v[18:19], v[18:19], -v[32:33]
	v_add_f64 v[22:23], v[22:23], v[36:37]
	v_add_f64 v[37:38], v[24:25], -v[30:31]
	v_add_f64 v[32:33], v[34:35], -v[41:42]
	v_add_f64 v[39:40], v[26:27], v[22:23]
	;; [unrolled: 3-line block ×3, first 2 shown]
	v_cvt_i32_f64_e32 v1, v[39:40]
	v_add_f64 v[30:31], v[30:31], -v[43:44]
	v_cvt_f64_i32_e32 v[37:38], v1
	v_add_f64 v[16:17], v[16:17], v[30:31]
	v_add_f64 v[22:23], v[22:23], -v[37:38]
	v_add_f64 v[16:17], v[18:19], v[16:17]
	v_add_f64 v[18:19], v[26:27], v[22:23]
	;; [unrolled: 1-line block ×3, first 2 shown]
	v_add_f64 v[16:17], v[18:19], -v[22:23]
	v_cmp_le_f64_e32 vcc_lo, 0.5, v[18:19]
	v_add_f64 v[14:15], v[20:21], v[14:15]
	v_add_f64 v[16:17], v[26:27], -v[16:17]
	v_cndmask_b32_e64 v37, 0, 0x3ff00000, vcc_lo
	v_add_co_ci_u32_e64 v1, null, 0, v1, vcc_lo
	v_add_f64 v[14:15], v[14:15], v[16:17]
	v_add_f64 v[16:17], v[18:19], -v[36:37]
	v_add_f64 v[18:19], v[16:17], v[14:15]
	v_mul_f64 v[20:21], v[18:19], s[0:1]
	v_add_f64 v[16:17], v[18:19], -v[16:17]
	v_fma_f64 v[22:23], v[18:19], s[0:1], -v[20:21]
	v_add_f64 v[14:15], v[14:15], -v[16:17]
	v_fma_f64 v[16:17], v[18:19], s[14:15], v[22:23]
	v_fma_f64 v[16:17], v[14:15], s[0:1], v[16:17]
	v_add_f64 v[14:15], v[20:21], v[16:17]
	v_add_f64 v[18:19], v[14:15], -v[20:21]
	v_add_f64 v[16:17], v[16:17], -v[18:19]
.LBB29_1372:
	s_andn2_saveexec_b32 s0, s7
	s_cbranch_execz .LBB29_1374
; %bb.1373:
	s_mov_b32 s14, 0x6dc9c883
	s_mov_b32 s15, 0x3fe45f30
	;; [unrolled: 1-line block ×3, first 2 shown]
	v_mul_f64 v[14:15], |v[12:13]|, s[14:15]
	s_mov_b32 s14, 0x54442d18
	s_mov_b32 s15, 0xbff921fb
	s_mov_b32 s16, 0x33145c00
	v_rndne_f64_e32 v[18:19], v[14:15]
	v_fma_f64 v[14:15], v[18:19], s[14:15], |v[12:13]|
	v_mul_f64 v[16:17], v[18:19], s[16:17]
	s_mov_b32 s14, 0x252049c0
	s_mov_b32 s15, 0xb97b839a
	v_cvt_i32_f64_e32 v1, v[18:19]
	v_fma_f64 v[22:23], v[18:19], s[16:17], v[14:15]
	v_add_f64 v[20:21], v[14:15], v[16:17]
	s_mov_b32 s17, 0x3c91a626
	v_add_f64 v[14:15], v[14:15], -v[20:21]
	v_add_f64 v[20:21], v[20:21], -v[22:23]
	v_add_f64 v[14:15], v[14:15], v[16:17]
	v_fma_f64 v[16:17], v[18:19], s[16:17], v[16:17]
	v_add_f64 v[14:15], v[20:21], v[14:15]
	v_add_f64 v[14:15], v[14:15], -v[16:17]
	v_fma_f64 v[16:17], v[18:19], s[14:15], v[14:15]
	v_add_f64 v[14:15], v[22:23], v[16:17]
	v_add_f64 v[20:21], v[14:15], -v[22:23]
	v_add_f64 v[16:17], v[16:17], -v[20:21]
.LBB29_1374:
	s_or_b32 exec_lo, exec_lo, s0
	v_mul_f64 v[18:19], v[14:15], v[14:15]
	v_add_f64 v[20:21], v[16:17], v[16:17]
	s_mov_b32 s14, 0xa9a29f71
	s_mov_b32 s16, 0xc751c08c
	s_mov_b32 s15, 0xbf078809
	s_mov_b32 s17, 0x3ef5e089
	v_cmp_class_f64_e64 s0, v[12:13], 0x1f8
	v_and_b32_e32 v1, 1, v1
	v_and_b32_e32 v8, 0x80000000, v13
	v_sub_f32_e32 v5, 1.0, v5
	s_mov_b32 s1, exec_lo
	v_cmp_eq_u32_e32 vcc_lo, 0, v1
	v_fma_f64 v[22:23], v[14:15], v[14:15], -v[18:19]
	v_fma_f64 v[20:21], v[14:15], v[20:21], v[22:23]
	v_add_f64 v[18:19], v[18:19], v[20:21]
	v_fma_f64 v[20:21], v[18:19], s[16:17], s[14:15]
	s_mov_b32 s14, 0x90a8aae0
	s_mov_b32 s15, 0x3f17746f
	v_fma_f64 v[20:21], v[18:19], v[20:21], s[14:15]
	s_mov_b32 s14, 0xa6fbf144
	s_mov_b32 s15, 0xbefbb44d
	;; [unrolled: 3-line block ×13, first 2 shown]
	v_mul_f64 v[18:19], v[18:19], v[20:21]
	v_mul_f64 v[20:21], v[14:15], v[18:19]
	v_add_f64 v[22:23], v[14:15], v[20:21]
	v_fma_f64 v[18:19], v[14:15], v[18:19], -v[20:21]
	v_add_f64 v[14:15], v[22:23], -v[14:15]
	v_add_f64 v[16:17], v[16:17], v[18:19]
	v_add_f64 v[14:15], v[20:21], -v[14:15]
	v_add_f64 v[14:15], v[16:17], v[14:15]
	v_add_f64 v[16:17], v[22:23], v[14:15]
	v_rcp_f64_e32 v[18:19], v[16:17]
	v_fma_f64 v[20:21], -v[16:17], v[18:19], 1.0
	v_fma_f64 v[18:19], v[20:21], v[18:19], v[18:19]
	v_fma_f64 v[20:21], -v[16:17], v[18:19], 1.0
	v_fma_f64 v[18:19], v[20:21], v[18:19], v[18:19]
	v_add_f64 v[20:21], v[16:17], -v[22:23]
	v_mul_f64 v[22:23], v[16:17], v[18:19]
	v_add_f64 v[14:15], v[14:15], -v[20:21]
	v_fma_f64 v[20:21], v[18:19], v[16:17], -v[22:23]
	v_fma_f64 v[14:15], v[18:19], v[14:15], v[20:21]
	v_add_f64 v[20:21], v[22:23], v[14:15]
	v_add_f64 v[24:25], -v[20:21], 1.0
	v_add_f64 v[22:23], v[20:21], -v[22:23]
	v_add_f64 v[26:27], -v[24:25], 1.0
	v_add_f64 v[14:15], v[22:23], -v[14:15]
	v_add_f64 v[20:21], v[26:27], -v[20:21]
	v_add_f64 v[14:15], v[14:15], v[20:21]
	v_add_f64 v[14:15], v[24:25], v[14:15]
	v_mul_f64 v[14:15], v[18:19], v[14:15]
	v_add_f64 v[14:15], v[18:19], v[14:15]
	v_xor_b32_e32 v3, 0x80000000, v15
	v_cndmask_b32_e32 v1, v14, v16, vcc_lo
	v_cndmask_b32_e32 v3, v3, v17, vcc_lo
	v_cndmask_b32_e64 v12, 0, v1, s0
	v_xor_b32_e32 v3, v3, v8
	v_cndmask_b32_e64 v13, 0x7ff80000, v3, s0
	v_div_scale_f64 v[14:15], null, v[12:13], v[12:13], s[14:15]
	v_rcp_f64_e32 v[16:17], v[14:15]
	v_fma_f64 v[18:19], -v[14:15], v[16:17], 1.0
	v_fma_f64 v[16:17], v[16:17], v[18:19], v[16:17]
	v_fma_f64 v[18:19], -v[14:15], v[16:17], 1.0
	v_fma_f64 v[16:17], v[16:17], v[18:19], v[16:17]
	v_div_scale_f64 v[18:19], vcc_lo, s[14:15], v[12:13], s[14:15]
	v_mul_f64 v[20:21], v[18:19], v[16:17]
	v_fma_f64 v[14:15], -v[14:15], v[20:21], v[18:19]
	v_div_fmas_f64 v[14:15], v[14:15], v[16:17], v[20:21]
	v_div_fixup_f64 v[12:13], v[14:15], v[12:13], s[14:15]
	v_cvt_f32_f64_e32 v8, v[12:13]
.LBB29_1375:
	s_or_b32 exec_lo, exec_lo, s6
	s_orn2_b32 s0, s1, exec_lo
.LBB29_1376:
	s_or_b32 exec_lo, exec_lo, s5
	v_mov_b32_e32 v1, 0x7e00
	s_and_saveexec_b32 s5, s0
	s_cbranch_execz .LBB29_1388
; %bb.1377:
	s_mov_b32 s0, exec_lo
	v_cmpx_gt_f32_e32 0x41200000, v5
	s_cbranch_execz .LBB29_1381
; %bb.1378:
	s_mov_b32 s1, 0
	.p2align	6
.LBB29_1379:                            ; =>This Inner Loop Header: Depth=1
	v_div_scale_f32 v1, null, v5, v5, 1.0
	v_div_scale_f32 v12, vcc_lo, 1.0, v5, 1.0
	v_rcp_f32_e32 v3, v1
	v_fma_f32 v10, -v1, v3, 1.0
	v_fmac_f32_e32 v3, v10, v3
	v_mul_f32_e32 v10, v12, v3
	v_fma_f32 v13, -v1, v10, v12
	v_fmac_f32_e32 v10, v13, v3
	v_fma_f32 v1, -v1, v10, v12
	v_div_fmas_f32 v1, v1, v3, v10
	v_div_fixup_f32 v1, v1, v5, 1.0
	v_add_f32_e32 v5, 1.0, v5
	v_sub_f32_e32 v8, v8, v1
	v_cmp_ngt_f32_e32 vcc_lo, 0x41200000, v5
	s_or_b32 s1, vcc_lo, s1
	s_andn2_b32 exec_lo, exec_lo, s1
	s_cbranch_execnz .LBB29_1379
; %bb.1380:
	s_or_b32 exec_lo, exec_lo, s1
.LBB29_1381:
	s_or_b32 exec_lo, exec_lo, s0
                                        ; implicit-def: $vgpr1
	s_mov_b32 s0, exec_lo
	v_cmpx_neq_f32_e32 0x41200000, v5
	s_xor_b32 s6, exec_lo, s0
	s_cbranch_execz .LBB29_1385
; %bb.1382:
	v_cvt_f64_f32_e32 v[12:13], v5
	s_mov_b32 s0, 0x85d8a000
	s_mov_b32 s1, 0x43763457
	v_mov_b32_e32 v1, 0
	v_cmp_gt_f64_e32 vcc_lo, s[0:1], v[12:13]
	s_and_saveexec_b32 s0, vcc_lo
	s_cbranch_execz .LBB29_1384
; %bb.1383:
	v_mul_f32_e32 v1, v5, v5
	v_div_scale_f32 v3, null, v1, v1, 1.0
	v_rcp_f32_e32 v10, v3
	v_fma_f32 v12, -v3, v10, 1.0
	v_fmac_f32_e32 v10, v12, v10
	v_div_scale_f32 v12, vcc_lo, 1.0, v1, 1.0
	v_mul_f32_e32 v13, v12, v10
	v_fma_f32 v14, -v3, v13, v12
	v_fmac_f32_e32 v13, v14, v10
	v_fma_f32 v3, -v3, v13, v12
	v_div_fmas_f32 v3, v3, v10, v13
	v_div_fixup_f32 v1, v3, v1, 1.0
	v_fmaak_f32 v3, 0, v1, 0x3daaaaab
	v_fmaak_f32 v3, v1, v3, 0xbcaccacd
	;; [unrolled: 1-line block ×7, first 2 shown]
	v_mul_f32_e32 v1, v1, v3
.LBB29_1384:
	s_or_b32 exec_lo, exec_lo, s0
	v_cmp_gt_f32_e32 vcc_lo, 0x800000, v5
	v_div_scale_f32 v3, null, v5, v5, -0.5
	v_div_scale_f32 v14, s0, -0.5, v5, -0.5
	v_cndmask_b32_e64 v10, 0, 32, vcc_lo
	v_rcp_f32_e32 v12, v3
	v_ldexp_f32 v10, v5, v10
	v_log_f32_e32 v10, v10
	v_fma_f32 v13, -v3, v12, 1.0
	v_fmac_f32_e32 v12, v13, v12
	v_mul_f32_e32 v13, 0x3f317217, v10
	v_mul_f32_e32 v15, v14, v12
	v_cmp_gt_f32_e64 s1, 0x7f800000, |v10|
	v_fma_f32 v13, 0x3f317217, v10, -v13
	v_fma_f32 v16, -v3, v15, v14
	v_fmamk_f32 v13, v10, 0x3377d1cf, v13
	v_fmac_f32_e32 v15, v16, v12
	v_fmac_f32_e32 v13, 0x3f317217, v10
	v_fma_f32 v3, -v3, v15, v14
	v_cndmask_b32_e64 v10, v10, v13, s1
	v_cndmask_b32_e64 v13, 0, 0x41b17218, vcc_lo
	s_mov_b32 vcc_lo, s0
	v_div_fmas_f32 v3, v3, v12, v15
	v_sub_f32_e32 v10, v10, v13
	v_div_fixup_f32 v3, v3, v5, -0.5
	v_add_f32_e32 v3, v10, v3
	v_sub_f32_e32 v1, v3, v1
	v_add_f32_e32 v1, v8, v1
                                        ; implicit-def: $vgpr8
	v_cvt_f16_f32_e32 v1, v1
.LBB29_1385:
	s_andn2_saveexec_b32 s0, s6
; %bb.1386:
	v_add_f32_e32 v1, 0x40101cb7, v8
	v_cvt_f16_f32_e32 v1, v1
; %bb.1387:
	s_or_b32 exec_lo, exec_lo, s0
.LBB29_1388:
	s_or_b32 exec_lo, exec_lo, s5
                                        ; implicit-def: $vgpr5
.LBB29_1389:
	s_andn2_saveexec_b32 s0, s4
; %bb.1390:
	v_xor_b32_e32 v1, 0x80000000, v5
	v_mov_b32_e32 v3, 0xffff8000
	v_and_b32_sdwa v1, v1, v3 dst_sel:DWORD dst_unused:UNUSED_PAD src0_sel:WORD_1 src1_sel:DWORD
	v_or_b32_e32 v1, 0x7c00, v1
; %bb.1391:
	s_or_b32 exec_lo, exec_lo, s0
	v_add_co_u32 v10, s1, s10, v11
	s_lshr_b32 s0, s3, 16
	v_add_co_ci_u32_e64 v11, null, s11, 0, s1
	s_and_b32 s4, s0, 0xff
	s_cmp_lt_i32 s4, 11
	s_cbranch_scc1 .LBB29_1398
; %bb.1392:
	s_and_b32 s0, 0xffff, s4
	s_mov_b32 s5, 0
	s_cmp_gt_i32 s0, 25
	s_cbranch_scc0 .LBB29_1400
; %bb.1393:
	s_cmp_gt_i32 s0, 28
	s_cbranch_scc0 .LBB29_1401
; %bb.1394:
	;; [unrolled: 3-line block ×4, first 2 shown]
	s_cmp_eq_u32 s0, 46
	s_mov_b32 s7, 0
	s_cbranch_scc0 .LBB29_1407
; %bb.1397:
	global_load_dword v3, v[10:11], off
	s_mov_b32 s1, 0
	s_mov_b32 s6, -1
	s_waitcnt vmcnt(0)
	v_lshlrev_b32_e32 v3, 16, v3
	v_cvt_f16_f32_e32 v3, v3
	s_branch .LBB29_1409
.LBB29_1398:
	s_mov_b32 s6, 0
                                        ; implicit-def: $vgpr3
	s_cbranch_execnz .LBB29_1474
.LBB29_1399:
	s_andn2_b32 vcc_lo, exec_lo, s6
	s_cbranch_vccnz .LBB29_1932
	s_branch .LBB29_1521
.LBB29_1400:
	s_mov_b32 s6, 0
	s_mov_b32 s1, 0
                                        ; implicit-def: $vgpr3
	s_cbranch_execnz .LBB29_1438
	s_branch .LBB29_1470
.LBB29_1401:
	s_mov_b32 s7, -1
	s_mov_b32 s6, 0
	s_mov_b32 s1, 0
                                        ; implicit-def: $vgpr3
	s_branch .LBB29_1419
.LBB29_1402:
	s_mov_b32 s7, -1
	s_mov_b32 s6, 0
	s_mov_b32 s1, 0
                                        ; implicit-def: $vgpr3
	s_branch .LBB29_1414
.LBB29_1403:
	s_or_b32 s2, s12, exec_lo
	s_trap 2
	s_cbranch_execz .LBB29_1320
	s_branch .LBB29_1321
.LBB29_1404:
	s_mov_b32 s7, -1
	s_mov_b32 s6, 0
	s_mov_b32 s1, 0
	s_branch .LBB29_1408
.LBB29_1405:
	s_andn2_saveexec_b32 s12, s12
	s_cbranch_execz .LBB29_1110
.LBB29_1406:
	v_add_f32_e64 v4, 0x42800000, |v0|
	s_andn2_b32 s11, s11, exec_lo
	v_and_b32_e32 v4, 0xff, v4
	v_cmp_ne_u32_e32 vcc_lo, 0, v4
	s_and_b32 s13, vcc_lo, exec_lo
	s_or_b32 s11, s11, s13
	s_or_b32 exec_lo, exec_lo, s12
	v_mov_b32_e32 v5, 0
	s_and_saveexec_b32 s12, s11
	s_cbranch_execnz .LBB29_1111
	s_branch .LBB29_1112
.LBB29_1407:
	s_mov_b32 s1, -1
	s_mov_b32 s6, 0
.LBB29_1408:
                                        ; implicit-def: $vgpr3
.LBB29_1409:
	s_and_b32 vcc_lo, exec_lo, s7
	s_cbranch_vccz .LBB29_1413
; %bb.1410:
	s_cmp_eq_u32 s0, 44
	s_cbranch_scc0 .LBB29_1412
; %bb.1411:
	global_load_ubyte v3, v[10:11], off
	s_mov_b32 s1, 0
	s_mov_b32 s6, -1
	s_waitcnt vmcnt(0)
	v_lshlrev_b32_e32 v5, 23, v3
	v_cmp_ne_u32_e32 vcc_lo, 0xff, v3
	v_cvt_f16_f32_e32 v5, v5
	v_cndmask_b32_e32 v5, 0x7e00, v5, vcc_lo
	v_cmp_ne_u32_e32 vcc_lo, 0, v3
	v_cndmask_b32_e32 v3, 0, v5, vcc_lo
	s_branch .LBB29_1413
.LBB29_1412:
	s_mov_b32 s1, -1
                                        ; implicit-def: $vgpr3
.LBB29_1413:
	s_mov_b32 s7, 0
.LBB29_1414:
	s_and_b32 vcc_lo, exec_lo, s7
	s_cbranch_vccz .LBB29_1418
; %bb.1415:
	s_cmp_eq_u32 s0, 29
	s_cbranch_scc0 .LBB29_1417
; %bb.1416:
	global_load_dwordx2 v[12:13], v[10:11], off
	s_mov_b32 s1, 0
	s_mov_b32 s6, -1
	s_mov_b32 s7, 0
	s_waitcnt vmcnt(0)
	v_ffbh_u32_e32 v3, v13
	v_min_u32_e32 v3, 32, v3
	v_lshlrev_b64 v[12:13], v3, v[12:13]
	v_sub_nc_u32_e32 v3, 32, v3
	v_min_u32_e32 v5, 1, v12
	v_or_b32_e32 v5, v13, v5
	v_cvt_f32_u32_e32 v5, v5
	v_ldexp_f32 v3, v5, v3
	v_cvt_f16_f32_e32 v3, v3
	s_branch .LBB29_1419
.LBB29_1417:
	s_mov_b32 s1, -1
                                        ; implicit-def: $vgpr3
.LBB29_1418:
	s_mov_b32 s7, 0
.LBB29_1419:
	s_and_b32 vcc_lo, exec_lo, s7
	s_cbranch_vccz .LBB29_1437
; %bb.1420:
	s_cmp_lt_i32 s0, 27
	s_cbranch_scc1 .LBB29_1423
; %bb.1421:
	s_cmp_gt_i32 s0, 27
	s_cbranch_scc0 .LBB29_1424
; %bb.1422:
	global_load_dword v3, v[10:11], off
	s_mov_b32 s6, 0
	s_waitcnt vmcnt(0)
	v_cvt_f32_u32_e32 v3, v3
	v_cvt_f16_f32_e32 v3, v3
	s_branch .LBB29_1425
.LBB29_1423:
	s_mov_b32 s6, -1
                                        ; implicit-def: $vgpr3
	s_branch .LBB29_1428
.LBB29_1424:
	s_mov_b32 s6, -1
                                        ; implicit-def: $vgpr3
.LBB29_1425:
	s_andn2_b32 vcc_lo, exec_lo, s6
	s_cbranch_vccnz .LBB29_1427
; %bb.1426:
	global_load_ushort v3, v[10:11], off
	s_waitcnt vmcnt(0)
	v_cvt_f16_u16_e32 v3, v3
.LBB29_1427:
	s_mov_b32 s6, 0
.LBB29_1428:
	s_andn2_b32 vcc_lo, exec_lo, s6
	s_cbranch_vccnz .LBB29_1436
; %bb.1429:
	global_load_ubyte v5, v[10:11], off
	s_mov_b32 s6, 0
	s_mov_b32 s7, exec_lo
	s_waitcnt vmcnt(0)
	v_cmpx_lt_i16_e32 0x7f, v5
	s_xor_b32 s7, exec_lo, s7
	s_cbranch_execz .LBB29_1449
; %bb.1430:
	s_mov_b32 s6, -1
	s_mov_b32 s14, exec_lo
	v_cmpx_eq_u16_e32 0x80, v5
; %bb.1431:
	s_xor_b32 s6, exec_lo, -1
; %bb.1432:
	s_or_b32 exec_lo, exec_lo, s14
	s_and_b32 s6, s6, exec_lo
	s_or_saveexec_b32 s7, s7
	v_mov_b32_e32 v3, 0x7e00
	s_xor_b32 exec_lo, exec_lo, s7
	s_cbranch_execnz .LBB29_1450
.LBB29_1433:
	s_or_b32 exec_lo, exec_lo, s7
	s_and_saveexec_b32 s7, s6
	s_cbranch_execz .LBB29_1435
.LBB29_1434:
	v_and_b32_e32 v3, 0xffff, v5
	v_lshlrev_b32_e32 v5, 24, v5
	v_and_b32_e32 v8, 7, v3
	v_bfe_u32 v14, v3, 3, 4
	v_and_b32_e32 v5, 0x80000000, v5
	v_ffbh_u32_e32 v12, v8
	v_cmp_eq_u32_e32 vcc_lo, 0, v14
	v_min_u32_e32 v12, 32, v12
	v_subrev_nc_u32_e32 v13, 28, v12
	v_sub_nc_u32_e32 v12, 29, v12
	v_lshlrev_b32_e32 v3, v13, v3
	v_cndmask_b32_e32 v12, v14, v12, vcc_lo
	v_and_b32_e32 v3, 7, v3
	v_cndmask_b32_e32 v3, v8, v3, vcc_lo
	v_lshl_add_u32 v8, v12, 23, 0x3b800000
	v_lshlrev_b32_e32 v3, 20, v3
	v_or3_b32 v3, v5, v8, v3
	v_cvt_f16_f32_e32 v3, v3
.LBB29_1435:
	s_or_b32 exec_lo, exec_lo, s7
.LBB29_1436:
	s_mov_b32 s6, -1
.LBB29_1437:
	s_branch .LBB29_1470
.LBB29_1438:
	s_cmp_gt_i32 s0, 22
	s_cbranch_scc0 .LBB29_1448
; %bb.1439:
	s_cmp_lt_i32 s0, 24
	s_cbranch_scc1 .LBB29_1451
; %bb.1440:
	s_cmp_gt_i32 s0, 24
	s_cbranch_scc0 .LBB29_1452
; %bb.1441:
	global_load_ubyte v5, v[10:11], off
	s_mov_b32 s6, exec_lo
	s_waitcnt vmcnt(0)
	v_cmpx_lt_i16_e32 0x7f, v5
	s_xor_b32 s6, exec_lo, s6
	s_cbranch_execz .LBB29_1464
; %bb.1442:
	s_mov_b32 s5, -1
	s_mov_b32 s7, exec_lo
	v_cmpx_eq_u16_e32 0x80, v5
; %bb.1443:
	s_xor_b32 s5, exec_lo, -1
; %bb.1444:
	s_or_b32 exec_lo, exec_lo, s7
	s_and_b32 s5, s5, exec_lo
	s_or_saveexec_b32 s6, s6
	v_mov_b32_e32 v3, 0x7e00
	s_xor_b32 exec_lo, exec_lo, s6
	s_cbranch_execnz .LBB29_1465
.LBB29_1445:
	s_or_b32 exec_lo, exec_lo, s6
	s_and_saveexec_b32 s6, s5
	s_cbranch_execz .LBB29_1447
.LBB29_1446:
	v_and_b32_e32 v3, 0xffff, v5
	v_lshlrev_b32_e32 v5, 24, v5
	v_and_b32_e32 v8, 3, v3
	v_bfe_u32 v14, v3, 2, 5
	v_and_b32_e32 v5, 0x80000000, v5
	v_ffbh_u32_e32 v12, v8
	v_cmp_eq_u32_e32 vcc_lo, 0, v14
	v_min_u32_e32 v12, 32, v12
	v_subrev_nc_u32_e32 v13, 29, v12
	v_sub_nc_u32_e32 v12, 30, v12
	v_lshlrev_b32_e32 v3, v13, v3
	v_cndmask_b32_e32 v12, v14, v12, vcc_lo
	v_and_b32_e32 v3, 3, v3
	v_cndmask_b32_e32 v3, v8, v3, vcc_lo
	v_lshl_add_u32 v8, v12, 23, 0x37800000
	v_lshlrev_b32_e32 v3, 21, v3
	v_or3_b32 v3, v5, v8, v3
	v_cvt_f16_f32_e32 v3, v3
.LBB29_1447:
	s_or_b32 exec_lo, exec_lo, s6
	s_mov_b32 s5, 0
	s_branch .LBB29_1453
.LBB29_1448:
	s_mov_b32 s5, -1
                                        ; implicit-def: $vgpr3
	s_branch .LBB29_1459
.LBB29_1449:
	s_or_saveexec_b32 s7, s7
	v_mov_b32_e32 v3, 0x7e00
	s_xor_b32 exec_lo, exec_lo, s7
	s_cbranch_execz .LBB29_1433
.LBB29_1450:
	v_cmp_ne_u16_e32 vcc_lo, 0, v5
	v_mov_b32_e32 v3, v5
	s_andn2_b32 s6, s6, exec_lo
	s_and_b32 s14, vcc_lo, exec_lo
	s_or_b32 s6, s6, s14
	s_or_b32 exec_lo, exec_lo, s7
	s_and_saveexec_b32 s7, s6
	s_cbranch_execnz .LBB29_1434
	s_branch .LBB29_1435
.LBB29_1451:
	s_mov_b32 s5, -1
                                        ; implicit-def: $vgpr3
	s_branch .LBB29_1456
.LBB29_1452:
	s_mov_b32 s5, -1
                                        ; implicit-def: $vgpr3
.LBB29_1453:
	s_and_b32 vcc_lo, exec_lo, s5
	s_cbranch_vccz .LBB29_1455
; %bb.1454:
	global_load_ubyte v3, v[10:11], off
	s_waitcnt vmcnt(0)
	v_lshlrev_b32_e32 v3, 24, v3
	v_and_b32_e32 v5, 0x7f000000, v3
	v_ffbh_u32_e32 v8, v5
	v_add_nc_u32_e32 v13, 0x1000000, v5
	v_cmp_ne_u32_e32 vcc_lo, 0, v5
	v_min_u32_e32 v8, 32, v8
	v_sub_nc_u32_e64 v8, v8, 4 clamp
	v_lshlrev_b32_e32 v12, v8, v5
	v_lshlrev_b32_e32 v8, 23, v8
	v_lshrrev_b32_e32 v12, 4, v12
	v_sub_nc_u32_e32 v8, v12, v8
	v_ashrrev_i32_e32 v12, 8, v13
	v_add_nc_u32_e32 v8, 0x3c000000, v8
	v_and_or_b32 v8, 0x7f800000, v12, v8
	v_cndmask_b32_e32 v5, 0, v8, vcc_lo
	v_and_or_b32 v3, 0x80000000, v3, v5
	v_cvt_f16_f32_e32 v3, v3
.LBB29_1455:
	s_mov_b32 s5, 0
.LBB29_1456:
	s_andn2_b32 vcc_lo, exec_lo, s5
	s_cbranch_vccnz .LBB29_1458
; %bb.1457:
	global_load_ubyte v3, v[10:11], off
	s_waitcnt vmcnt(0)
	v_lshlrev_b32_e32 v5, 25, v3
	v_lshlrev_b16 v3, 8, v3
	v_lshrrev_b32_e32 v8, 4, v5
	v_and_or_b32 v12, 0x7f00, v3, 0.5
	v_cmp_gt_u32_e32 vcc_lo, 0x8000000, v5
	v_bfe_i32 v3, v3, 0, 16
	v_or_b32_e32 v8, 0x70000000, v8
	v_add_f32_e32 v12, -0.5, v12
	v_mul_f32_e32 v8, 0x7800000, v8
	v_cndmask_b32_e32 v5, v8, v12, vcc_lo
	v_and_or_b32 v3, 0x80000000, v3, v5
	v_cvt_f16_f32_e32 v3, v3
.LBB29_1458:
	s_mov_b32 s5, 0
	s_mov_b32 s6, -1
.LBB29_1459:
	s_andn2_b32 vcc_lo, exec_lo, s5
	s_mov_b32 s5, 0
	s_cbranch_vccnz .LBB29_1470
; %bb.1460:
	s_cmp_gt_i32 s0, 14
	s_cbranch_scc0 .LBB29_1463
; %bb.1461:
	s_cmp_eq_u32 s0, 15
	s_cbranch_scc0 .LBB29_1466
; %bb.1462:
	global_load_ushort v3, v[10:11], off
	s_mov_b32 s1, 0
	s_mov_b32 s6, -1
	s_waitcnt vmcnt(0)
	v_lshlrev_b32_e32 v3, 16, v3
	v_cvt_f16_f32_e32 v3, v3
	s_branch .LBB29_1468
.LBB29_1463:
	s_mov_b32 s5, -1
	s_branch .LBB29_1467
.LBB29_1464:
	s_or_saveexec_b32 s6, s6
	v_mov_b32_e32 v3, 0x7e00
	s_xor_b32 exec_lo, exec_lo, s6
	s_cbranch_execz .LBB29_1445
.LBB29_1465:
	v_cmp_ne_u16_e32 vcc_lo, 0, v5
	v_mov_b32_e32 v3, v5
	s_andn2_b32 s5, s5, exec_lo
	s_and_b32 s7, vcc_lo, exec_lo
	s_or_b32 s5, s5, s7
	s_or_b32 exec_lo, exec_lo, s6
	s_and_saveexec_b32 s6, s5
	s_cbranch_execnz .LBB29_1446
	s_branch .LBB29_1447
.LBB29_1466:
	s_mov_b32 s1, -1
.LBB29_1467:
                                        ; implicit-def: $vgpr3
.LBB29_1468:
	s_and_b32 vcc_lo, exec_lo, s5
	s_mov_b32 s5, 0
	s_cbranch_vccz .LBB29_1470
; %bb.1469:
	s_cmp_lg_u32 s0, 11
	s_mov_b32 s5, -1
	s_cselect_b32 s1, -1, 0
.LBB29_1470:
	s_and_b32 vcc_lo, exec_lo, s1
	s_cbranch_vccnz .LBB29_1557
; %bb.1471:
	s_andn2_b32 vcc_lo, exec_lo, s5
	s_cbranch_vccnz .LBB29_1473
.LBB29_1472:
	global_load_ubyte v3, v[10:11], off
	s_mov_b32 s6, -1
	s_waitcnt vmcnt(0)
	v_cmp_ne_u16_e32 vcc_lo, 0, v3
	v_cndmask_b32_e64 v3, 0, 0x3c00, vcc_lo
.LBB29_1473:
	s_branch .LBB29_1399
.LBB29_1474:
	s_and_b32 s0, 0xffff, s4
	s_cmp_lt_i32 s0, 5
	s_cbranch_scc1 .LBB29_1479
; %bb.1475:
	s_cmp_lt_i32 s0, 8
	s_cbranch_scc1 .LBB29_1480
; %bb.1476:
	;; [unrolled: 3-line block ×3, first 2 shown]
	s_cmp_gt_i32 s0, 9
	s_cbranch_scc0 .LBB29_1482
; %bb.1478:
	global_load_dwordx2 v[12:13], v[10:11], off
	s_mov_b32 s1, 0
	s_waitcnt vmcnt(0)
	v_and_or_b32 v3, 0x1ff, v13, v12
	v_lshrrev_b32_e32 v5, 8, v13
	v_bfe_u32 v8, v13, 20, 11
	v_cmp_ne_u32_e32 vcc_lo, 0, v3
	v_sub_nc_u32_e32 v12, 0x3f1, v8
	v_add_nc_u32_e32 v8, 0xfffffc10, v8
	v_cndmask_b32_e64 v3, 0, 1, vcc_lo
	v_and_or_b32 v3, 0xffe, v5, v3
	v_med3_i32 v5, v12, 0, 13
	v_or_b32_e32 v12, 0x1000, v3
	v_lshrrev_b32_e32 v14, v5, v12
	v_lshlrev_b32_e32 v5, v5, v14
	v_cmp_ne_u32_e32 vcc_lo, v5, v12
	v_lshl_or_b32 v12, v8, 12, v3
	v_cndmask_b32_e64 v5, 0, 1, vcc_lo
	v_cmp_gt_i32_e32 vcc_lo, 1, v8
	v_or_b32_e32 v5, v14, v5
	v_cndmask_b32_e32 v5, v12, v5, vcc_lo
	v_and_b32_e32 v12, 7, v5
	v_lshrrev_b32_e32 v5, 2, v5
	v_cmp_lt_i32_e32 vcc_lo, 5, v12
	v_cndmask_b32_e64 v14, 0, 1, vcc_lo
	v_cmp_eq_u32_e32 vcc_lo, 3, v12
	v_cndmask_b32_e64 v12, 0, 1, vcc_lo
	v_cmp_ne_u32_e32 vcc_lo, 0, v3
	v_or_b32_e32 v12, v12, v14
	v_mov_b32_e32 v14, 0x7e00
	v_add_nc_u32_e32 v5, v5, v12
	v_cndmask_b32_e32 v3, 0x7c00, v14, vcc_lo
	v_cmp_gt_i32_e32 vcc_lo, 31, v8
	v_cndmask_b32_e32 v5, 0x7c00, v5, vcc_lo
	v_cmp_eq_u32_e32 vcc_lo, 0x40f, v8
	v_cndmask_b32_e32 v3, v5, v3, vcc_lo
	v_lshrrev_b32_e32 v5, 16, v13
	v_and_or_b32 v3, 0x8000, v5, v3
	s_branch .LBB29_1483
.LBB29_1479:
                                        ; implicit-def: $vgpr3
	s_branch .LBB29_1501
.LBB29_1480:
	s_mov_b32 s1, -1
                                        ; implicit-def: $vgpr3
	s_branch .LBB29_1489
.LBB29_1481:
	s_mov_b32 s1, -1
                                        ; implicit-def: $vgpr3
	s_branch .LBB29_1486
.LBB29_1482:
	s_mov_b32 s1, -1
                                        ; implicit-def: $vgpr3
.LBB29_1483:
	s_andn2_b32 vcc_lo, exec_lo, s1
	s_cbranch_vccnz .LBB29_1485
; %bb.1484:
	global_load_dword v3, v[10:11], off
	s_waitcnt vmcnt(0)
	v_cvt_f16_f32_e32 v3, v3
.LBB29_1485:
	s_mov_b32 s1, 0
.LBB29_1486:
	s_andn2_b32 vcc_lo, exec_lo, s1
	s_cbranch_vccnz .LBB29_1488
; %bb.1487:
	global_load_dword v3, v[10:11], off
.LBB29_1488:
	s_mov_b32 s1, 0
.LBB29_1489:
	s_andn2_b32 vcc_lo, exec_lo, s1
	s_cbranch_vccnz .LBB29_1500
; %bb.1490:
	s_cmp_lt_i32 s0, 6
	s_cbranch_scc1 .LBB29_1493
; %bb.1491:
	s_cmp_gt_i32 s0, 6
	s_cbranch_scc0 .LBB29_1494
; %bb.1492:
	global_load_dwordx2 v[12:13], v[10:11], off
	s_mov_b32 s1, 0
	s_waitcnt vmcnt(0)
	v_and_or_b32 v3, 0x1ff, v13, v12
	v_lshrrev_b32_e32 v5, 8, v13
	v_bfe_u32 v8, v13, 20, 11
	v_cmp_ne_u32_e32 vcc_lo, 0, v3
	v_sub_nc_u32_e32 v12, 0x3f1, v8
	v_add_nc_u32_e32 v8, 0xfffffc10, v8
	v_cndmask_b32_e64 v3, 0, 1, vcc_lo
	v_and_or_b32 v3, 0xffe, v5, v3
	v_med3_i32 v5, v12, 0, 13
	v_or_b32_e32 v12, 0x1000, v3
	v_lshrrev_b32_e32 v14, v5, v12
	v_lshlrev_b32_e32 v5, v5, v14
	v_cmp_ne_u32_e32 vcc_lo, v5, v12
	v_lshl_or_b32 v12, v8, 12, v3
	v_cndmask_b32_e64 v5, 0, 1, vcc_lo
	v_cmp_gt_i32_e32 vcc_lo, 1, v8
	v_or_b32_e32 v5, v14, v5
	v_cndmask_b32_e32 v5, v12, v5, vcc_lo
	v_and_b32_e32 v12, 7, v5
	v_lshrrev_b32_e32 v5, 2, v5
	v_cmp_lt_i32_e32 vcc_lo, 5, v12
	v_cndmask_b32_e64 v14, 0, 1, vcc_lo
	v_cmp_eq_u32_e32 vcc_lo, 3, v12
	v_cndmask_b32_e64 v12, 0, 1, vcc_lo
	v_cmp_ne_u32_e32 vcc_lo, 0, v3
	v_or_b32_e32 v12, v12, v14
	v_mov_b32_e32 v14, 0x7e00
	v_add_nc_u32_e32 v5, v5, v12
	v_cndmask_b32_e32 v3, 0x7c00, v14, vcc_lo
	v_cmp_gt_i32_e32 vcc_lo, 31, v8
	v_cndmask_b32_e32 v5, 0x7c00, v5, vcc_lo
	v_cmp_eq_u32_e32 vcc_lo, 0x40f, v8
	v_cndmask_b32_e32 v3, v5, v3, vcc_lo
	v_lshrrev_b32_e32 v5, 16, v13
	v_and_or_b32 v3, 0x8000, v5, v3
	s_branch .LBB29_1495
.LBB29_1493:
	s_mov_b32 s1, -1
                                        ; implicit-def: $vgpr3
	s_branch .LBB29_1498
.LBB29_1494:
	s_mov_b32 s1, -1
                                        ; implicit-def: $vgpr3
.LBB29_1495:
	s_andn2_b32 vcc_lo, exec_lo, s1
	s_cbranch_vccnz .LBB29_1497
; %bb.1496:
	global_load_dword v3, v[10:11], off
	s_waitcnt vmcnt(0)
	v_cvt_f16_f32_e32 v3, v3
.LBB29_1497:
	s_mov_b32 s1, 0
.LBB29_1498:
	s_andn2_b32 vcc_lo, exec_lo, s1
	s_cbranch_vccnz .LBB29_1500
; %bb.1499:
	global_load_ushort v3, v[10:11], off
.LBB29_1500:
	s_cbranch_execnz .LBB29_1520
.LBB29_1501:
	s_cmp_lt_i32 s0, 2
	s_cbranch_scc1 .LBB29_1505
; %bb.1502:
	s_cmp_lt_i32 s0, 3
	s_cbranch_scc1 .LBB29_1506
; %bb.1503:
	s_cmp_gt_i32 s0, 3
	s_cbranch_scc0 .LBB29_1507
; %bb.1504:
	global_load_dwordx2 v[12:13], v[10:11], off
	s_mov_b32 s1, 0
	s_waitcnt vmcnt(0)
	v_xor_b32_e32 v3, v12, v13
	v_ffbh_i32_e32 v5, v13
	v_ashrrev_i32_e32 v3, 31, v3
	v_add_nc_u32_e32 v5, -1, v5
	v_add_nc_u32_e32 v3, 32, v3
	v_min_u32_e32 v3, v5, v3
	v_lshlrev_b64 v[12:13], v3, v[12:13]
	v_sub_nc_u32_e32 v3, 32, v3
	v_min_u32_e32 v5, 1, v12
	v_or_b32_e32 v5, v13, v5
	v_cvt_f32_i32_e32 v5, v5
	v_ldexp_f32 v3, v5, v3
	v_cvt_f16_f32_e32 v3, v3
	s_branch .LBB29_1508
.LBB29_1505:
	s_mov_b32 s1, -1
                                        ; implicit-def: $vgpr3
	s_branch .LBB29_1514
.LBB29_1506:
	s_mov_b32 s1, -1
                                        ; implicit-def: $vgpr3
	s_branch .LBB29_1511
.LBB29_1507:
	s_mov_b32 s1, -1
                                        ; implicit-def: $vgpr3
.LBB29_1508:
	s_andn2_b32 vcc_lo, exec_lo, s1
	s_cbranch_vccnz .LBB29_1510
; %bb.1509:
	global_load_dword v3, v[10:11], off
	s_waitcnt vmcnt(0)
	v_cvt_f32_i32_e32 v3, v3
	v_cvt_f16_f32_e32 v3, v3
.LBB29_1510:
	s_mov_b32 s1, 0
.LBB29_1511:
	s_andn2_b32 vcc_lo, exec_lo, s1
	s_cbranch_vccnz .LBB29_1513
; %bb.1512:
	global_load_ushort v3, v[10:11], off
	s_waitcnt vmcnt(0)
	v_cvt_f16_i16_e32 v3, v3
.LBB29_1513:
	s_mov_b32 s1, 0
.LBB29_1514:
	s_andn2_b32 vcc_lo, exec_lo, s1
	s_cbranch_vccnz .LBB29_1520
; %bb.1515:
	s_cmp_gt_i32 s0, 0
	s_mov_b32 s0, 0
	s_cbranch_scc0 .LBB29_1517
; %bb.1516:
	global_load_sbyte v3, v[10:11], off
	s_waitcnt vmcnt(0)
	v_cvt_f16_i16_e32 v3, v3
	s_branch .LBB29_1518
.LBB29_1517:
	s_mov_b32 s0, -1
                                        ; implicit-def: $vgpr3
.LBB29_1518:
	s_andn2_b32 vcc_lo, exec_lo, s0
	s_cbranch_vccnz .LBB29_1520
; %bb.1519:
	global_load_ubyte v3, v[10:11], off
	s_waitcnt vmcnt(0)
	v_cvt_f16_u16_e32 v3, v3
.LBB29_1520:
.LBB29_1521:
	s_waitcnt vmcnt(0)
	v_cvt_f32_f16_e32 v5, v3
                                        ; implicit-def: $vgpr14
	s_mov_b32 s0, exec_lo
	v_cmpx_neq_f16_e32 0, v3
	s_xor_b32 s5, exec_lo, s0
	s_cbranch_execz .LBB29_1543
; %bb.1522:
	v_mov_b32_e32 v8, 0
	s_mov_b32 s0, -1
	s_mov_b32 s6, exec_lo
	v_cmpx_gt_f16_e32 0, v3
	s_cbranch_execz .LBB29_1530
; %bb.1523:
	v_trunc_f32_e32 v8, v5
	s_mov_b32 s1, 0
	v_cmp_neq_f32_e32 vcc_lo, v8, v5
	v_mov_b32_e32 v8, 0
	s_and_saveexec_b32 s7, vcc_lo
	s_cbranch_execz .LBB29_1529
; %bb.1524:
	v_cvt_f32_f16_e32 v3, v3
	s_mov_b32 s1, 0xc00921fb
	s_mov_b32 s0, 0x54442d18
	s_mov_b32 s14, exec_lo
                                        ; implicit-def: $vgpr14_vgpr15
	v_cvt_f64_f32_e32 v[10:11], v3
                                        ; implicit-def: $vgpr3
	v_trunc_f64_e32 v[12:13], v[10:11]
	v_cmp_neq_f64_e64 vcc_lo, 0x7ff00000, |v[10:11]|
	v_add_f64 v[12:13], v[10:11], -v[12:13]
	v_mul_f64 v[12:13], |v[12:13]|, s[0:1]
	v_cndmask_b32_e32 v11, 0x80000000, v13, vcc_lo
	v_cndmask_b32_e32 v10, 0, v12, vcc_lo
                                        ; implicit-def: $vgpr12_vgpr13
	v_cmpx_ngt_f64_e64 0x41d00000, |v[10:11]|
	s_xor_b32 s14, exec_lo, s14
	s_cbranch_execz .LBB29_1526
; %bb.1525:
	v_ldexp_f64 v[12:13], |v[10:11]|, 0xffffff80
	v_cmp_le_f64_e64 vcc_lo, 0x7b000000, |v[10:11]|
	v_trig_preop_f64 v[14:15], |v[10:11]|, 0
	v_and_b32_e32 v3, 0x7fffffff, v11
	v_trig_preop_f64 v[16:17], |v[10:11]|, 1
	v_trig_preop_f64 v[26:27], |v[10:11]|, 2
	v_mov_b32_e32 v34, 0
	s_mov_b32 s1, 0x3ff921fb
	s_mov_b32 s16, 0x33145c07
	;; [unrolled: 1-line block ×3, first 2 shown]
	v_cndmask_b32_e32 v13, v3, v13, vcc_lo
	v_cndmask_b32_e32 v12, v10, v12, vcc_lo
	v_mul_f64 v[18:19], v[14:15], v[12:13]
	v_mul_f64 v[20:21], v[16:17], v[12:13]
	;; [unrolled: 1-line block ×3, first 2 shown]
	v_fma_f64 v[14:15], v[14:15], v[12:13], -v[18:19]
	v_fma_f64 v[16:17], v[16:17], v[12:13], -v[20:21]
	;; [unrolled: 1-line block ×3, first 2 shown]
	v_add_f64 v[22:23], v[20:21], v[14:15]
	v_add_f64 v[24:25], v[22:23], -v[20:21]
	v_add_f64 v[30:31], v[18:19], v[22:23]
	v_add_f64 v[28:29], v[22:23], -v[24:25]
	v_add_f64 v[14:15], v[14:15], -v[24:25]
	v_ldexp_f64 v[24:25], v[30:31], -2
	v_add_f64 v[18:19], v[30:31], -v[18:19]
	v_add_f64 v[20:21], v[20:21], -v[28:29]
	v_add_f64 v[28:29], v[32:33], v[16:17]
	v_cmp_neq_f64_e64 vcc_lo, 0x7ff00000, |v[24:25]|
	v_add_f64 v[18:19], v[22:23], -v[18:19]
	v_add_f64 v[14:15], v[14:15], v[20:21]
	v_fract_f64_e32 v[20:21], v[24:25]
	v_add_f64 v[22:23], v[28:29], v[14:15]
	v_ldexp_f64 v[20:21], v[20:21], 2
	v_add_f64 v[24:25], v[18:19], v[22:23]
	v_cndmask_b32_e32 v21, 0, v21, vcc_lo
	v_cndmask_b32_e32 v20, 0, v20, vcc_lo
	v_add_f64 v[30:31], v[24:25], v[20:21]
	v_add_f64 v[18:19], v[24:25], -v[18:19]
	v_cmp_gt_f64_e32 vcc_lo, 0, v[30:31]
	v_add_f64 v[30:31], v[28:29], -v[32:33]
	v_add_f64 v[18:19], v[22:23], -v[18:19]
	v_cndmask_b32_e64 v35, 0, 0x40100000, vcc_lo
	v_add_f64 v[39:40], v[28:29], -v[30:31]
	v_add_f64 v[16:17], v[16:17], -v[30:31]
	v_add_f64 v[20:21], v[20:21], v[34:35]
	v_add_f64 v[35:36], v[22:23], -v[28:29]
	v_add_f64 v[30:31], v[32:33], -v[39:40]
	v_add_f64 v[37:38], v[24:25], v[20:21]
	;; [unrolled: 3-line block ×3, first 2 shown]
	v_cvt_i32_f64_e32 v3, v[37:38]
	v_add_f64 v[28:29], v[28:29], -v[41:42]
	v_cvt_f64_i32_e32 v[35:36], v3
	v_add_f64 v[14:15], v[14:15], v[28:29]
	v_add_f64 v[20:21], v[20:21], -v[35:36]
	v_add_f64 v[14:15], v[16:17], v[14:15]
	v_add_f64 v[16:17], v[24:25], v[20:21]
	v_add_f64 v[12:13], v[12:13], v[14:15]
	v_add_f64 v[14:15], v[16:17], -v[20:21]
	v_cmp_le_f64_e32 vcc_lo, 0.5, v[16:17]
	v_add_f64 v[12:13], v[18:19], v[12:13]
	v_add_f64 v[14:15], v[24:25], -v[14:15]
	v_cndmask_b32_e64 v35, 0, 0x3ff00000, vcc_lo
	v_add_co_ci_u32_e64 v3, null, 0, v3, vcc_lo
	v_add_f64 v[12:13], v[12:13], v[14:15]
	v_add_f64 v[14:15], v[16:17], -v[34:35]
	v_add_f64 v[16:17], v[14:15], v[12:13]
	v_mul_f64 v[18:19], v[16:17], s[0:1]
	v_add_f64 v[14:15], v[16:17], -v[14:15]
	v_fma_f64 v[20:21], v[16:17], s[0:1], -v[18:19]
	v_add_f64 v[12:13], v[12:13], -v[14:15]
	v_fma_f64 v[14:15], v[16:17], s[16:17], v[20:21]
	v_fma_f64 v[14:15], v[12:13], s[0:1], v[14:15]
	v_add_f64 v[12:13], v[18:19], v[14:15]
	v_add_f64 v[16:17], v[12:13], -v[18:19]
	v_add_f64 v[14:15], v[14:15], -v[16:17]
.LBB29_1526:
	s_andn2_saveexec_b32 s0, s14
	s_cbranch_execz .LBB29_1528
; %bb.1527:
	s_mov_b32 s14, 0x6dc9c883
	s_mov_b32 s15, 0x3fe45f30
	;; [unrolled: 1-line block ×3, first 2 shown]
	v_mul_f64 v[12:13], |v[10:11]|, s[14:15]
	s_mov_b32 s14, 0x54442d18
	s_mov_b32 s15, 0xbff921fb
	;; [unrolled: 1-line block ×3, first 2 shown]
	v_rndne_f64_e32 v[16:17], v[12:13]
	v_fma_f64 v[12:13], v[16:17], s[14:15], |v[10:11]|
	v_mul_f64 v[14:15], v[16:17], s[16:17]
	s_mov_b32 s14, 0x252049c0
	s_mov_b32 s15, 0xb97b839a
	v_cvt_i32_f64_e32 v3, v[16:17]
	v_fma_f64 v[20:21], v[16:17], s[16:17], v[12:13]
	v_add_f64 v[18:19], v[12:13], v[14:15]
	s_mov_b32 s17, 0x3c91a626
	v_add_f64 v[12:13], v[12:13], -v[18:19]
	v_add_f64 v[18:19], v[18:19], -v[20:21]
	v_add_f64 v[12:13], v[12:13], v[14:15]
	v_fma_f64 v[14:15], v[16:17], s[16:17], v[14:15]
	v_add_f64 v[12:13], v[18:19], v[12:13]
	v_add_f64 v[12:13], v[12:13], -v[14:15]
	v_fma_f64 v[14:15], v[16:17], s[14:15], v[12:13]
	v_add_f64 v[12:13], v[20:21], v[14:15]
	v_add_f64 v[18:19], v[12:13], -v[20:21]
	v_add_f64 v[14:15], v[14:15], -v[18:19]
.LBB29_1528:
	s_or_b32 exec_lo, exec_lo, s0
	v_mul_f64 v[16:17], v[12:13], v[12:13]
	v_add_f64 v[18:19], v[14:15], v[14:15]
	s_mov_b32 s14, 0xa9a29f71
	s_mov_b32 s16, 0xc751c08c
	;; [unrolled: 1-line block ×4, first 2 shown]
	v_cmp_class_f64_e64 s0, v[10:11], 0x1f8
	v_and_b32_e32 v3, 1, v3
	v_and_b32_e32 v10, 0x80000000, v11
	v_sub_f32_e32 v5, 1.0, v5
	s_mov_b32 s1, exec_lo
	v_cmp_eq_u32_e32 vcc_lo, 0, v3
	v_fma_f64 v[20:21], v[12:13], v[12:13], -v[16:17]
	v_fma_f64 v[18:19], v[12:13], v[18:19], v[20:21]
	v_add_f64 v[16:17], v[16:17], v[18:19]
	v_fma_f64 v[18:19], v[16:17], s[16:17], s[14:15]
	s_mov_b32 s14, 0x90a8aae0
	s_mov_b32 s15, 0x3f17746f
	v_fma_f64 v[18:19], v[16:17], v[18:19], s[14:15]
	s_mov_b32 s14, 0xa6fbf144
	s_mov_b32 s15, 0xbefbb44d
	;; [unrolled: 3-line block ×13, first 2 shown]
	v_mul_f64 v[16:17], v[16:17], v[18:19]
	v_mul_f64 v[18:19], v[12:13], v[16:17]
	v_add_f64 v[20:21], v[12:13], v[18:19]
	v_fma_f64 v[16:17], v[12:13], v[16:17], -v[18:19]
	v_add_f64 v[12:13], v[20:21], -v[12:13]
	v_add_f64 v[14:15], v[14:15], v[16:17]
	v_add_f64 v[12:13], v[18:19], -v[12:13]
	v_add_f64 v[12:13], v[14:15], v[12:13]
	v_add_f64 v[14:15], v[20:21], v[12:13]
	v_rcp_f64_e32 v[16:17], v[14:15]
	v_fma_f64 v[18:19], -v[14:15], v[16:17], 1.0
	v_fma_f64 v[16:17], v[18:19], v[16:17], v[16:17]
	v_fma_f64 v[18:19], -v[14:15], v[16:17], 1.0
	v_fma_f64 v[16:17], v[18:19], v[16:17], v[16:17]
	v_add_f64 v[18:19], v[14:15], -v[20:21]
	v_mul_f64 v[20:21], v[14:15], v[16:17]
	v_add_f64 v[12:13], v[12:13], -v[18:19]
	v_fma_f64 v[18:19], v[16:17], v[14:15], -v[20:21]
	v_fma_f64 v[12:13], v[16:17], v[12:13], v[18:19]
	v_add_f64 v[18:19], v[20:21], v[12:13]
	v_add_f64 v[22:23], -v[18:19], 1.0
	v_add_f64 v[20:21], v[18:19], -v[20:21]
	v_add_f64 v[24:25], -v[22:23], 1.0
	v_add_f64 v[12:13], v[20:21], -v[12:13]
	v_add_f64 v[18:19], v[24:25], -v[18:19]
	v_add_f64 v[12:13], v[12:13], v[18:19]
	v_add_f64 v[12:13], v[22:23], v[12:13]
	v_mul_f64 v[12:13], v[16:17], v[12:13]
	v_add_f64 v[12:13], v[16:17], v[12:13]
	v_xor_b32_e32 v8, 0x80000000, v13
	v_cndmask_b32_e32 v3, v12, v14, vcc_lo
	v_cndmask_b32_e32 v8, v8, v15, vcc_lo
	v_xor_b32_e32 v8, v8, v10
	v_cndmask_b32_e64 v10, 0, v3, s0
	v_cndmask_b32_e64 v11, 0x7ff80000, v8, s0
	v_div_scale_f64 v[12:13], null, v[10:11], v[10:11], s[14:15]
	v_rcp_f64_e32 v[14:15], v[12:13]
	v_fma_f64 v[16:17], -v[12:13], v[14:15], 1.0
	v_fma_f64 v[14:15], v[14:15], v[16:17], v[14:15]
	v_fma_f64 v[16:17], -v[12:13], v[14:15], 1.0
	v_fma_f64 v[14:15], v[14:15], v[16:17], v[14:15]
	v_div_scale_f64 v[16:17], vcc_lo, s[14:15], v[10:11], s[14:15]
	v_mul_f64 v[18:19], v[16:17], v[14:15]
	v_fma_f64 v[12:13], -v[12:13], v[18:19], v[16:17]
	v_div_fmas_f64 v[12:13], v[12:13], v[14:15], v[18:19]
	v_div_fixup_f64 v[10:11], v[12:13], v[10:11], s[14:15]
	v_cvt_f32_f64_e32 v8, v[10:11]
.LBB29_1529:
	s_or_b32 exec_lo, exec_lo, s7
	s_orn2_b32 s0, s1, exec_lo
.LBB29_1530:
	s_or_b32 exec_lo, exec_lo, s6
	v_mov_b32_e32 v14, 0x7e00
	s_and_saveexec_b32 s6, s0
	s_cbranch_execz .LBB29_1542
; %bb.1531:
	s_mov_b32 s0, exec_lo
	v_cmpx_gt_f32_e32 0x41200000, v5
	s_cbranch_execz .LBB29_1535
; %bb.1532:
	s_mov_b32 s1, 0
	.p2align	6
.LBB29_1533:                            ; =>This Inner Loop Header: Depth=1
	v_div_scale_f32 v3, null, v5, v5, 1.0
	v_div_scale_f32 v12, vcc_lo, 1.0, v5, 1.0
	v_rcp_f32_e32 v10, v3
	v_fma_f32 v11, -v3, v10, 1.0
	v_fmac_f32_e32 v10, v11, v10
	v_mul_f32_e32 v11, v12, v10
	v_fma_f32 v13, -v3, v11, v12
	v_fmac_f32_e32 v11, v13, v10
	v_fma_f32 v3, -v3, v11, v12
	v_div_fmas_f32 v3, v3, v10, v11
	v_div_fixup_f32 v3, v3, v5, 1.0
	v_add_f32_e32 v5, 1.0, v5
	v_sub_f32_e32 v8, v8, v3
	v_cmp_ngt_f32_e32 vcc_lo, 0x41200000, v5
	s_or_b32 s1, vcc_lo, s1
	s_andn2_b32 exec_lo, exec_lo, s1
	s_cbranch_execnz .LBB29_1533
; %bb.1534:
	s_or_b32 exec_lo, exec_lo, s1
.LBB29_1535:
	s_or_b32 exec_lo, exec_lo, s0
                                        ; implicit-def: $vgpr14
	s_mov_b32 s0, exec_lo
	v_cmpx_neq_f32_e32 0x41200000, v5
	s_xor_b32 s7, exec_lo, s0
	s_cbranch_execz .LBB29_1539
; %bb.1536:
	v_cvt_f64_f32_e32 v[10:11], v5
	s_mov_b32 s0, 0x85d8a000
	s_mov_b32 s1, 0x43763457
	v_mov_b32_e32 v3, 0
	v_cmp_gt_f64_e32 vcc_lo, s[0:1], v[10:11]
	s_and_saveexec_b32 s0, vcc_lo
	s_cbranch_execz .LBB29_1538
; %bb.1537:
	v_mul_f32_e32 v3, v5, v5
	v_div_scale_f32 v10, null, v3, v3, 1.0
	v_rcp_f32_e32 v11, v10
	v_fma_f32 v12, -v10, v11, 1.0
	v_fmac_f32_e32 v11, v12, v11
	v_div_scale_f32 v12, vcc_lo, 1.0, v3, 1.0
	v_mul_f32_e32 v13, v12, v11
	v_fma_f32 v14, -v10, v13, v12
	v_fmac_f32_e32 v13, v14, v11
	v_fma_f32 v10, -v10, v13, v12
	v_div_fmas_f32 v10, v10, v11, v13
	v_div_fixup_f32 v3, v10, v3, 1.0
	v_fmaak_f32 v10, 0, v3, 0x3daaaaab
	v_fmaak_f32 v10, v3, v10, 0xbcaccacd
	;; [unrolled: 1-line block ×7, first 2 shown]
	v_mul_f32_e32 v3, v3, v10
.LBB29_1538:
	s_or_b32 exec_lo, exec_lo, s0
	v_cmp_gt_f32_e32 vcc_lo, 0x800000, v5
	v_div_scale_f32 v10, null, v5, v5, -0.5
	v_div_scale_f32 v14, s0, -0.5, v5, -0.5
	v_cndmask_b32_e64 v11, 0, 32, vcc_lo
	v_rcp_f32_e32 v12, v10
	v_ldexp_f32 v11, v5, v11
	v_log_f32_e32 v11, v11
	v_fma_f32 v13, -v10, v12, 1.0
	v_fmac_f32_e32 v12, v13, v12
	v_mul_f32_e32 v13, 0x3f317217, v11
	v_mul_f32_e32 v15, v14, v12
	v_cmp_gt_f32_e64 s1, 0x7f800000, |v11|
	v_fma_f32 v13, 0x3f317217, v11, -v13
	v_fma_f32 v16, -v10, v15, v14
	v_fmamk_f32 v13, v11, 0x3377d1cf, v13
	v_fmac_f32_e32 v15, v16, v12
	v_fmac_f32_e32 v13, 0x3f317217, v11
	v_fma_f32 v10, -v10, v15, v14
	v_cndmask_b32_e64 v11, v11, v13, s1
	v_cndmask_b32_e64 v13, 0, 0x41b17218, vcc_lo
	s_mov_b32 vcc_lo, s0
	v_div_fmas_f32 v10, v10, v12, v15
	v_sub_f32_e32 v11, v11, v13
	v_div_fixup_f32 v5, v10, v5, -0.5
	v_add_f32_e32 v5, v11, v5
	v_sub_f32_e32 v3, v5, v3
	v_add_f32_e32 v3, v8, v3
                                        ; implicit-def: $vgpr8
	v_cvt_f16_f32_e32 v14, v3
.LBB29_1539:
	s_andn2_saveexec_b32 s0, s7
; %bb.1540:
	v_add_f32_e32 v3, 0x40101cb7, v8
	v_cvt_f16_f32_e32 v14, v3
; %bb.1541:
	s_or_b32 exec_lo, exec_lo, s0
.LBB29_1542:
	s_or_b32 exec_lo, exec_lo, s6
                                        ; implicit-def: $vgpr5
.LBB29_1543:
	s_andn2_saveexec_b32 s0, s5
; %bb.1544:
	v_xor_b32_e32 v3, 0x80000000, v5
	v_mov_b32_e32 v5, 0xffff8000
	v_and_b32_sdwa v3, v3, v5 dst_sel:DWORD dst_unused:UNUSED_PAD src0_sel:WORD_1 src1_sel:DWORD
	v_or_b32_e32 v14, 0x7c00, v3
; %bb.1545:
	s_or_b32 exec_lo, exec_lo, s0
	v_add_co_u32 v8, s0, s10, v9
	v_add_co_ci_u32_e64 v9, null, s11, 0, s0
	s_cmp_lt_i32 s4, 11
	s_cbranch_scc1 .LBB29_1552
; %bb.1546:
	s_and_b32 s0, 0xffff, s4
	s_mov_b32 s5, 0
	s_cmp_gt_i32 s0, 25
	s_cbranch_scc0 .LBB29_1554
; %bb.1547:
	s_cmp_gt_i32 s0, 28
	s_cbranch_scc0 .LBB29_1555
; %bb.1548:
	;; [unrolled: 3-line block ×4, first 2 shown]
	s_cmp_eq_u32 s0, 46
	s_mov_b32 s7, 0
	s_cbranch_scc0 .LBB29_1559
; %bb.1551:
	global_load_dword v3, v[8:9], off
	s_mov_b32 s1, 0
	s_mov_b32 s6, -1
	s_waitcnt vmcnt(0)
	v_lshlrev_b32_e32 v3, 16, v3
	v_cvt_f16_f32_e32 v3, v3
	s_branch .LBB29_1561
.LBB29_1552:
	s_mov_b32 s6, 0
                                        ; implicit-def: $vgpr3
	s_cbranch_execnz .LBB29_1627
.LBB29_1553:
	s_andn2_b32 vcc_lo, exec_lo, s6
	s_cbranch_vccnz .LBB29_1932
	s_branch .LBB29_1675
.LBB29_1554:
	s_mov_b32 s7, -1
	s_mov_b32 s6, 0
	s_mov_b32 s1, 0
                                        ; implicit-def: $vgpr3
	s_branch .LBB29_1590
.LBB29_1555:
	s_mov_b32 s7, -1
	s_mov_b32 s6, 0
	s_mov_b32 s1, 0
                                        ; implicit-def: $vgpr3
	s_branch .LBB29_1571
.LBB29_1556:
	s_mov_b32 s7, -1
	s_mov_b32 s6, 0
	s_mov_b32 s1, 0
                                        ; implicit-def: $vgpr3
	s_branch .LBB29_1566
.LBB29_1557:
	s_or_b32 s2, s2, exec_lo
	s_trap 2
	s_cbranch_execz .LBB29_1472
	s_branch .LBB29_1473
.LBB29_1558:
	s_mov_b32 s7, -1
	s_mov_b32 s6, 0
	s_mov_b32 s1, 0
	s_branch .LBB29_1560
.LBB29_1559:
	s_mov_b32 s1, -1
	s_mov_b32 s6, 0
.LBB29_1560:
                                        ; implicit-def: $vgpr3
.LBB29_1561:
	s_and_b32 vcc_lo, exec_lo, s7
	s_cbranch_vccz .LBB29_1565
; %bb.1562:
	s_cmp_eq_u32 s0, 44
	s_cbranch_scc0 .LBB29_1564
; %bb.1563:
	global_load_ubyte v3, v[8:9], off
	s_mov_b32 s1, 0
	s_mov_b32 s6, -1
	s_waitcnt vmcnt(0)
	v_lshlrev_b32_e32 v5, 23, v3
	v_cmp_ne_u32_e32 vcc_lo, 0xff, v3
	v_cvt_f16_f32_e32 v5, v5
	v_cndmask_b32_e32 v5, 0x7e00, v5, vcc_lo
	v_cmp_ne_u32_e32 vcc_lo, 0, v3
	v_cndmask_b32_e32 v3, 0, v5, vcc_lo
	s_branch .LBB29_1565
.LBB29_1564:
	s_mov_b32 s1, -1
                                        ; implicit-def: $vgpr3
.LBB29_1565:
	s_mov_b32 s7, 0
.LBB29_1566:
	s_and_b32 vcc_lo, exec_lo, s7
	s_cbranch_vccz .LBB29_1570
; %bb.1567:
	s_cmp_eq_u32 s0, 29
	s_cbranch_scc0 .LBB29_1569
; %bb.1568:
	global_load_dwordx2 v[10:11], v[8:9], off
	s_mov_b32 s1, 0
	s_mov_b32 s6, -1
	s_mov_b32 s7, 0
	s_waitcnt vmcnt(0)
	v_ffbh_u32_e32 v3, v11
	v_min_u32_e32 v3, 32, v3
	v_lshlrev_b64 v[10:11], v3, v[10:11]
	v_sub_nc_u32_e32 v3, 32, v3
	v_min_u32_e32 v5, 1, v10
	v_or_b32_e32 v5, v11, v5
	v_cvt_f32_u32_e32 v5, v5
	v_ldexp_f32 v3, v5, v3
	v_cvt_f16_f32_e32 v3, v3
	s_branch .LBB29_1571
.LBB29_1569:
	s_mov_b32 s1, -1
                                        ; implicit-def: $vgpr3
.LBB29_1570:
	s_mov_b32 s7, 0
.LBB29_1571:
	s_and_b32 vcc_lo, exec_lo, s7
	s_cbranch_vccz .LBB29_1589
; %bb.1572:
	s_cmp_lt_i32 s0, 27
	s_cbranch_scc1 .LBB29_1575
; %bb.1573:
	s_cmp_gt_i32 s0, 27
	s_cbranch_scc0 .LBB29_1576
; %bb.1574:
	global_load_dword v3, v[8:9], off
	s_mov_b32 s6, 0
	s_waitcnt vmcnt(0)
	v_cvt_f32_u32_e32 v3, v3
	v_cvt_f16_f32_e32 v3, v3
	s_branch .LBB29_1577
.LBB29_1575:
	s_mov_b32 s6, -1
                                        ; implicit-def: $vgpr3
	s_branch .LBB29_1580
.LBB29_1576:
	s_mov_b32 s6, -1
                                        ; implicit-def: $vgpr3
.LBB29_1577:
	s_andn2_b32 vcc_lo, exec_lo, s6
	s_cbranch_vccnz .LBB29_1579
; %bb.1578:
	global_load_ushort v3, v[8:9], off
	s_waitcnt vmcnt(0)
	v_cvt_f16_u16_e32 v3, v3
.LBB29_1579:
	s_mov_b32 s6, 0
.LBB29_1580:
	s_andn2_b32 vcc_lo, exec_lo, s6
	s_cbranch_vccnz .LBB29_1588
; %bb.1581:
	global_load_ubyte v5, v[8:9], off
	s_mov_b32 s6, 0
	s_mov_b32 s7, exec_lo
	s_waitcnt vmcnt(0)
	v_cmpx_lt_i16_e32 0x7f, v5
	s_xor_b32 s7, exec_lo, s7
	s_cbranch_execz .LBB29_1602
; %bb.1582:
	s_mov_b32 s6, -1
	s_mov_b32 s14, exec_lo
	v_cmpx_eq_u16_e32 0x80, v5
; %bb.1583:
	s_xor_b32 s6, exec_lo, -1
; %bb.1584:
	s_or_b32 exec_lo, exec_lo, s14
	s_and_b32 s6, s6, exec_lo
	s_or_saveexec_b32 s7, s7
	v_mov_b32_e32 v3, 0x7e00
	s_xor_b32 exec_lo, exec_lo, s7
	s_cbranch_execnz .LBB29_1603
.LBB29_1585:
	s_or_b32 exec_lo, exec_lo, s7
	s_and_saveexec_b32 s7, s6
	s_cbranch_execz .LBB29_1587
.LBB29_1586:
	v_and_b32_e32 v3, 0xffff, v5
	v_lshlrev_b32_e32 v5, 24, v5
	v_and_b32_e32 v10, 7, v3
	v_bfe_u32 v13, v3, 3, 4
	v_and_b32_e32 v5, 0x80000000, v5
	v_ffbh_u32_e32 v11, v10
	v_cmp_eq_u32_e32 vcc_lo, 0, v13
	v_min_u32_e32 v11, 32, v11
	v_subrev_nc_u32_e32 v12, 28, v11
	v_sub_nc_u32_e32 v11, 29, v11
	v_lshlrev_b32_e32 v3, v12, v3
	v_cndmask_b32_e32 v11, v13, v11, vcc_lo
	v_and_b32_e32 v3, 7, v3
	v_cndmask_b32_e32 v3, v10, v3, vcc_lo
	v_lshl_add_u32 v10, v11, 23, 0x3b800000
	v_lshlrev_b32_e32 v3, 20, v3
	v_or3_b32 v3, v5, v10, v3
	v_cvt_f16_f32_e32 v3, v3
.LBB29_1587:
	s_or_b32 exec_lo, exec_lo, s7
.LBB29_1588:
	s_mov_b32 s6, -1
.LBB29_1589:
	s_mov_b32 s7, 0
.LBB29_1590:
	s_and_b32 vcc_lo, exec_lo, s7
	s_cbranch_vccz .LBB29_1623
; %bb.1591:
	s_cmp_gt_i32 s0, 22
	s_cbranch_scc0 .LBB29_1601
; %bb.1592:
	s_cmp_lt_i32 s0, 24
	s_cbranch_scc1 .LBB29_1604
; %bb.1593:
	s_cmp_gt_i32 s0, 24
	s_cbranch_scc0 .LBB29_1605
; %bb.1594:
	global_load_ubyte v5, v[8:9], off
	s_mov_b32 s6, exec_lo
	s_waitcnt vmcnt(0)
	v_cmpx_lt_i16_e32 0x7f, v5
	s_xor_b32 s6, exec_lo, s6
	s_cbranch_execz .LBB29_1617
; %bb.1595:
	s_mov_b32 s5, -1
	s_mov_b32 s7, exec_lo
	v_cmpx_eq_u16_e32 0x80, v5
; %bb.1596:
	s_xor_b32 s5, exec_lo, -1
; %bb.1597:
	s_or_b32 exec_lo, exec_lo, s7
	s_and_b32 s5, s5, exec_lo
	s_or_saveexec_b32 s6, s6
	v_mov_b32_e32 v3, 0x7e00
	s_xor_b32 exec_lo, exec_lo, s6
	s_cbranch_execnz .LBB29_1618
.LBB29_1598:
	s_or_b32 exec_lo, exec_lo, s6
	s_and_saveexec_b32 s6, s5
	s_cbranch_execz .LBB29_1600
.LBB29_1599:
	v_and_b32_e32 v3, 0xffff, v5
	v_lshlrev_b32_e32 v5, 24, v5
	v_and_b32_e32 v10, 3, v3
	v_bfe_u32 v13, v3, 2, 5
	v_and_b32_e32 v5, 0x80000000, v5
	v_ffbh_u32_e32 v11, v10
	v_cmp_eq_u32_e32 vcc_lo, 0, v13
	v_min_u32_e32 v11, 32, v11
	v_subrev_nc_u32_e32 v12, 29, v11
	v_sub_nc_u32_e32 v11, 30, v11
	v_lshlrev_b32_e32 v3, v12, v3
	v_cndmask_b32_e32 v11, v13, v11, vcc_lo
	v_and_b32_e32 v3, 3, v3
	v_cndmask_b32_e32 v3, v10, v3, vcc_lo
	v_lshl_add_u32 v10, v11, 23, 0x37800000
	v_lshlrev_b32_e32 v3, 21, v3
	v_or3_b32 v3, v5, v10, v3
	v_cvt_f16_f32_e32 v3, v3
.LBB29_1600:
	s_or_b32 exec_lo, exec_lo, s6
	s_mov_b32 s5, 0
	s_branch .LBB29_1606
.LBB29_1601:
	s_mov_b32 s5, -1
                                        ; implicit-def: $vgpr3
	s_branch .LBB29_1612
.LBB29_1602:
	s_or_saveexec_b32 s7, s7
	v_mov_b32_e32 v3, 0x7e00
	s_xor_b32 exec_lo, exec_lo, s7
	s_cbranch_execz .LBB29_1585
.LBB29_1603:
	v_cmp_ne_u16_e32 vcc_lo, 0, v5
	v_mov_b32_e32 v3, v5
	s_andn2_b32 s6, s6, exec_lo
	s_and_b32 s14, vcc_lo, exec_lo
	s_or_b32 s6, s6, s14
	s_or_b32 exec_lo, exec_lo, s7
	s_and_saveexec_b32 s7, s6
	s_cbranch_execnz .LBB29_1586
	s_branch .LBB29_1587
.LBB29_1604:
	s_mov_b32 s5, -1
                                        ; implicit-def: $vgpr3
	s_branch .LBB29_1609
.LBB29_1605:
	s_mov_b32 s5, -1
                                        ; implicit-def: $vgpr3
.LBB29_1606:
	s_and_b32 vcc_lo, exec_lo, s5
	s_cbranch_vccz .LBB29_1608
; %bb.1607:
	global_load_ubyte v3, v[8:9], off
	s_waitcnt vmcnt(0)
	v_lshlrev_b32_e32 v3, 24, v3
	v_and_b32_e32 v5, 0x7f000000, v3
	v_ffbh_u32_e32 v10, v5
	v_add_nc_u32_e32 v12, 0x1000000, v5
	v_cmp_ne_u32_e32 vcc_lo, 0, v5
	v_min_u32_e32 v10, 32, v10
	v_sub_nc_u32_e64 v10, v10, 4 clamp
	v_lshlrev_b32_e32 v11, v10, v5
	v_lshlrev_b32_e32 v10, 23, v10
	v_lshrrev_b32_e32 v11, 4, v11
	v_sub_nc_u32_e32 v10, v11, v10
	v_ashrrev_i32_e32 v11, 8, v12
	v_add_nc_u32_e32 v10, 0x3c000000, v10
	v_and_or_b32 v10, 0x7f800000, v11, v10
	v_cndmask_b32_e32 v5, 0, v10, vcc_lo
	v_and_or_b32 v3, 0x80000000, v3, v5
	v_cvt_f16_f32_e32 v3, v3
.LBB29_1608:
	s_mov_b32 s5, 0
.LBB29_1609:
	s_andn2_b32 vcc_lo, exec_lo, s5
	s_cbranch_vccnz .LBB29_1611
; %bb.1610:
	global_load_ubyte v3, v[8:9], off
	s_waitcnt vmcnt(0)
	v_lshlrev_b32_e32 v5, 25, v3
	v_lshlrev_b16 v3, 8, v3
	v_lshrrev_b32_e32 v10, 4, v5
	v_and_or_b32 v11, 0x7f00, v3, 0.5
	v_cmp_gt_u32_e32 vcc_lo, 0x8000000, v5
	v_bfe_i32 v3, v3, 0, 16
	v_or_b32_e32 v10, 0x70000000, v10
	v_add_f32_e32 v11, -0.5, v11
	v_mul_f32_e32 v10, 0x7800000, v10
	v_cndmask_b32_e32 v5, v10, v11, vcc_lo
	v_and_or_b32 v3, 0x80000000, v3, v5
	v_cvt_f16_f32_e32 v3, v3
.LBB29_1611:
	s_mov_b32 s5, 0
	s_mov_b32 s6, -1
.LBB29_1612:
	s_andn2_b32 vcc_lo, exec_lo, s5
	s_mov_b32 s5, 0
	s_cbranch_vccnz .LBB29_1623
; %bb.1613:
	s_cmp_gt_i32 s0, 14
	s_cbranch_scc0 .LBB29_1616
; %bb.1614:
	s_cmp_eq_u32 s0, 15
	s_cbranch_scc0 .LBB29_1619
; %bb.1615:
	global_load_ushort v3, v[8:9], off
	s_mov_b32 s1, 0
	s_mov_b32 s6, -1
	s_waitcnt vmcnt(0)
	v_lshlrev_b32_e32 v3, 16, v3
	v_cvt_f16_f32_e32 v3, v3
	s_branch .LBB29_1621
.LBB29_1616:
	s_mov_b32 s5, -1
	s_branch .LBB29_1620
.LBB29_1617:
	s_or_saveexec_b32 s6, s6
	v_mov_b32_e32 v3, 0x7e00
	s_xor_b32 exec_lo, exec_lo, s6
	s_cbranch_execz .LBB29_1598
.LBB29_1618:
	v_cmp_ne_u16_e32 vcc_lo, 0, v5
	v_mov_b32_e32 v3, v5
	s_andn2_b32 s5, s5, exec_lo
	s_and_b32 s7, vcc_lo, exec_lo
	s_or_b32 s5, s5, s7
	s_or_b32 exec_lo, exec_lo, s6
	s_and_saveexec_b32 s6, s5
	s_cbranch_execnz .LBB29_1599
	s_branch .LBB29_1600
.LBB29_1619:
	s_mov_b32 s1, -1
.LBB29_1620:
                                        ; implicit-def: $vgpr3
.LBB29_1621:
	s_and_b32 vcc_lo, exec_lo, s5
	s_mov_b32 s5, 0
	s_cbranch_vccz .LBB29_1623
; %bb.1622:
	s_cmp_lg_u32 s0, 11
	s_mov_b32 s5, -1
	s_cselect_b32 s1, -1, 0
.LBB29_1623:
	s_and_b32 vcc_lo, exec_lo, s1
	s_cbranch_vccnz .LBB29_1710
; %bb.1624:
	s_andn2_b32 vcc_lo, exec_lo, s5
	s_cbranch_vccnz .LBB29_1626
.LBB29_1625:
	global_load_ubyte v3, v[8:9], off
	s_mov_b32 s6, -1
	s_waitcnt vmcnt(0)
	v_cmp_ne_u16_e32 vcc_lo, 0, v3
	v_cndmask_b32_e64 v3, 0, 0x3c00, vcc_lo
.LBB29_1626:
	s_branch .LBB29_1553
.LBB29_1627:
	s_and_b32 s0, 0xffff, s4
	s_cmp_lt_i32 s0, 5
	s_cbranch_scc1 .LBB29_1632
; %bb.1628:
	s_cmp_lt_i32 s0, 8
	s_cbranch_scc1 .LBB29_1633
; %bb.1629:
	;; [unrolled: 3-line block ×3, first 2 shown]
	s_cmp_gt_i32 s0, 9
	s_cbranch_scc0 .LBB29_1635
; %bb.1631:
	global_load_dwordx2 v[10:11], v[8:9], off
	s_mov_b32 s1, 0
	s_waitcnt vmcnt(0)
	v_and_or_b32 v3, 0x1ff, v11, v10
	v_lshrrev_b32_e32 v5, 8, v11
	v_bfe_u32 v10, v11, 20, 11
	v_cmp_ne_u32_e32 vcc_lo, 0, v3
	v_sub_nc_u32_e32 v12, 0x3f1, v10
	v_add_nc_u32_e32 v10, 0xfffffc10, v10
	v_cndmask_b32_e64 v3, 0, 1, vcc_lo
	v_and_or_b32 v3, 0xffe, v5, v3
	v_med3_i32 v5, v12, 0, 13
	v_or_b32_e32 v12, 0x1000, v3
	v_lshrrev_b32_e32 v13, v5, v12
	v_lshlrev_b32_e32 v5, v5, v13
	v_cmp_ne_u32_e32 vcc_lo, v5, v12
	v_lshl_or_b32 v12, v10, 12, v3
	v_cndmask_b32_e64 v5, 0, 1, vcc_lo
	v_cmp_gt_i32_e32 vcc_lo, 1, v10
	v_or_b32_e32 v5, v13, v5
	v_cndmask_b32_e32 v5, v12, v5, vcc_lo
	v_and_b32_e32 v12, 7, v5
	v_lshrrev_b32_e32 v5, 2, v5
	v_cmp_lt_i32_e32 vcc_lo, 5, v12
	v_cndmask_b32_e64 v13, 0, 1, vcc_lo
	v_cmp_eq_u32_e32 vcc_lo, 3, v12
	v_cndmask_b32_e64 v12, 0, 1, vcc_lo
	v_cmp_ne_u32_e32 vcc_lo, 0, v3
	v_or_b32_e32 v12, v12, v13
	v_mov_b32_e32 v13, 0x7e00
	v_add_nc_u32_e32 v5, v5, v12
	v_cndmask_b32_e32 v3, 0x7c00, v13, vcc_lo
	v_cmp_gt_i32_e32 vcc_lo, 31, v10
	v_cndmask_b32_e32 v5, 0x7c00, v5, vcc_lo
	v_cmp_eq_u32_e32 vcc_lo, 0x40f, v10
	v_cndmask_b32_e32 v3, v5, v3, vcc_lo
	v_lshrrev_b32_e32 v5, 16, v11
	v_and_or_b32 v3, 0x8000, v5, v3
	s_branch .LBB29_1636
.LBB29_1632:
	s_mov_b32 s1, -1
                                        ; implicit-def: $vgpr3
	s_branch .LBB29_1654
.LBB29_1633:
	s_mov_b32 s1, -1
                                        ; implicit-def: $vgpr3
	s_branch .LBB29_1642
.LBB29_1634:
	s_mov_b32 s1, -1
                                        ; implicit-def: $vgpr3
	s_branch .LBB29_1639
.LBB29_1635:
	s_mov_b32 s1, -1
                                        ; implicit-def: $vgpr3
.LBB29_1636:
	s_andn2_b32 vcc_lo, exec_lo, s1
	s_cbranch_vccnz .LBB29_1638
; %bb.1637:
	global_load_dword v3, v[8:9], off
	s_waitcnt vmcnt(0)
	v_cvt_f16_f32_e32 v3, v3
.LBB29_1638:
	s_mov_b32 s1, 0
.LBB29_1639:
	s_andn2_b32 vcc_lo, exec_lo, s1
	s_cbranch_vccnz .LBB29_1641
; %bb.1640:
	global_load_dword v3, v[8:9], off
.LBB29_1641:
	s_mov_b32 s1, 0
.LBB29_1642:
	s_andn2_b32 vcc_lo, exec_lo, s1
	s_cbranch_vccnz .LBB29_1653
; %bb.1643:
	s_cmp_lt_i32 s0, 6
	s_cbranch_scc1 .LBB29_1646
; %bb.1644:
	s_cmp_gt_i32 s0, 6
	s_cbranch_scc0 .LBB29_1647
; %bb.1645:
	global_load_dwordx2 v[10:11], v[8:9], off
	s_mov_b32 s1, 0
	s_waitcnt vmcnt(0)
	v_and_or_b32 v3, 0x1ff, v11, v10
	v_lshrrev_b32_e32 v5, 8, v11
	v_bfe_u32 v10, v11, 20, 11
	v_cmp_ne_u32_e32 vcc_lo, 0, v3
	v_sub_nc_u32_e32 v12, 0x3f1, v10
	v_add_nc_u32_e32 v10, 0xfffffc10, v10
	v_cndmask_b32_e64 v3, 0, 1, vcc_lo
	v_and_or_b32 v3, 0xffe, v5, v3
	v_med3_i32 v5, v12, 0, 13
	v_or_b32_e32 v12, 0x1000, v3
	v_lshrrev_b32_e32 v13, v5, v12
	v_lshlrev_b32_e32 v5, v5, v13
	v_cmp_ne_u32_e32 vcc_lo, v5, v12
	v_lshl_or_b32 v12, v10, 12, v3
	v_cndmask_b32_e64 v5, 0, 1, vcc_lo
	v_cmp_gt_i32_e32 vcc_lo, 1, v10
	v_or_b32_e32 v5, v13, v5
	v_cndmask_b32_e32 v5, v12, v5, vcc_lo
	v_and_b32_e32 v12, 7, v5
	v_lshrrev_b32_e32 v5, 2, v5
	v_cmp_lt_i32_e32 vcc_lo, 5, v12
	v_cndmask_b32_e64 v13, 0, 1, vcc_lo
	v_cmp_eq_u32_e32 vcc_lo, 3, v12
	v_cndmask_b32_e64 v12, 0, 1, vcc_lo
	v_cmp_ne_u32_e32 vcc_lo, 0, v3
	v_or_b32_e32 v12, v12, v13
	v_mov_b32_e32 v13, 0x7e00
	v_add_nc_u32_e32 v5, v5, v12
	v_cndmask_b32_e32 v3, 0x7c00, v13, vcc_lo
	v_cmp_gt_i32_e32 vcc_lo, 31, v10
	v_cndmask_b32_e32 v5, 0x7c00, v5, vcc_lo
	v_cmp_eq_u32_e32 vcc_lo, 0x40f, v10
	v_cndmask_b32_e32 v3, v5, v3, vcc_lo
	v_lshrrev_b32_e32 v5, 16, v11
	v_and_or_b32 v3, 0x8000, v5, v3
	s_branch .LBB29_1648
.LBB29_1646:
	s_mov_b32 s1, -1
                                        ; implicit-def: $vgpr3
	s_branch .LBB29_1651
.LBB29_1647:
	s_mov_b32 s1, -1
                                        ; implicit-def: $vgpr3
.LBB29_1648:
	s_andn2_b32 vcc_lo, exec_lo, s1
	s_cbranch_vccnz .LBB29_1650
; %bb.1649:
	global_load_dword v3, v[8:9], off
	s_waitcnt vmcnt(0)
	v_cvt_f16_f32_e32 v3, v3
.LBB29_1650:
	s_mov_b32 s1, 0
.LBB29_1651:
	s_andn2_b32 vcc_lo, exec_lo, s1
	s_cbranch_vccnz .LBB29_1653
; %bb.1652:
	global_load_ushort v3, v[8:9], off
.LBB29_1653:
	s_mov_b32 s1, 0
.LBB29_1654:
	s_andn2_b32 vcc_lo, exec_lo, s1
	s_cbranch_vccnz .LBB29_1674
; %bb.1655:
	s_cmp_lt_i32 s0, 2
	s_cbranch_scc1 .LBB29_1659
; %bb.1656:
	s_cmp_lt_i32 s0, 3
	s_cbranch_scc1 .LBB29_1660
; %bb.1657:
	s_cmp_gt_i32 s0, 3
	s_cbranch_scc0 .LBB29_1661
; %bb.1658:
	global_load_dwordx2 v[10:11], v[8:9], off
	s_mov_b32 s1, 0
	s_waitcnt vmcnt(0)
	v_xor_b32_e32 v3, v10, v11
	v_ffbh_i32_e32 v5, v11
	v_ashrrev_i32_e32 v3, 31, v3
	v_add_nc_u32_e32 v5, -1, v5
	v_add_nc_u32_e32 v3, 32, v3
	v_min_u32_e32 v3, v5, v3
	v_lshlrev_b64 v[10:11], v3, v[10:11]
	v_sub_nc_u32_e32 v3, 32, v3
	v_min_u32_e32 v5, 1, v10
	v_or_b32_e32 v5, v11, v5
	v_cvt_f32_i32_e32 v5, v5
	v_ldexp_f32 v3, v5, v3
	v_cvt_f16_f32_e32 v3, v3
	s_branch .LBB29_1662
.LBB29_1659:
	s_mov_b32 s1, -1
                                        ; implicit-def: $vgpr3
	s_branch .LBB29_1668
.LBB29_1660:
	s_mov_b32 s1, -1
                                        ; implicit-def: $vgpr3
	s_branch .LBB29_1665
.LBB29_1661:
	s_mov_b32 s1, -1
                                        ; implicit-def: $vgpr3
.LBB29_1662:
	s_andn2_b32 vcc_lo, exec_lo, s1
	s_cbranch_vccnz .LBB29_1664
; %bb.1663:
	global_load_dword v3, v[8:9], off
	s_waitcnt vmcnt(0)
	v_cvt_f32_i32_e32 v3, v3
	v_cvt_f16_f32_e32 v3, v3
.LBB29_1664:
	s_mov_b32 s1, 0
.LBB29_1665:
	s_andn2_b32 vcc_lo, exec_lo, s1
	s_cbranch_vccnz .LBB29_1667
; %bb.1666:
	global_load_ushort v3, v[8:9], off
	s_waitcnt vmcnt(0)
	v_cvt_f16_i16_e32 v3, v3
.LBB29_1667:
	s_mov_b32 s1, 0
.LBB29_1668:
	s_andn2_b32 vcc_lo, exec_lo, s1
	s_cbranch_vccnz .LBB29_1674
; %bb.1669:
	s_cmp_gt_i32 s0, 0
	s_mov_b32 s0, 0
	s_cbranch_scc0 .LBB29_1671
; %bb.1670:
	global_load_sbyte v3, v[8:9], off
	s_waitcnt vmcnt(0)
	v_cvt_f16_i16_e32 v3, v3
	s_branch .LBB29_1672
.LBB29_1671:
	s_mov_b32 s0, -1
                                        ; implicit-def: $vgpr3
.LBB29_1672:
	s_andn2_b32 vcc_lo, exec_lo, s0
	s_cbranch_vccnz .LBB29_1674
; %bb.1673:
	global_load_ubyte v3, v[8:9], off
	s_waitcnt vmcnt(0)
	v_cvt_f16_u16_e32 v3, v3
.LBB29_1674:
.LBB29_1675:
	s_waitcnt vmcnt(0)
	v_cvt_f32_f16_e32 v5, v3
                                        ; implicit-def: $vgpr13
	s_mov_b32 s0, exec_lo
	v_cmpx_neq_f16_e32 0, v3
	s_xor_b32 s5, exec_lo, s0
	s_cbranch_execz .LBB29_1697
; %bb.1676:
	v_mov_b32_e32 v8, 0
	s_mov_b32 s0, -1
	s_mov_b32 s6, exec_lo
	v_cmpx_gt_f16_e32 0, v3
	s_cbranch_execz .LBB29_1684
; %bb.1677:
	v_trunc_f32_e32 v8, v5
	s_mov_b32 s1, 0
	v_cmp_neq_f32_e32 vcc_lo, v8, v5
	v_mov_b32_e32 v8, 0
	s_and_saveexec_b32 s7, vcc_lo
	s_cbranch_execz .LBB29_1683
; %bb.1678:
	v_cvt_f32_f16_e32 v3, v3
	s_mov_b32 s1, 0xc00921fb
	s_mov_b32 s0, 0x54442d18
	s_mov_b32 s14, exec_lo
                                        ; implicit-def: $vgpr12_vgpr13
	v_cvt_f64_f32_e32 v[8:9], v3
                                        ; implicit-def: $vgpr3
	v_trunc_f64_e32 v[10:11], v[8:9]
	v_cmp_neq_f64_e64 vcc_lo, 0x7ff00000, |v[8:9]|
	v_add_f64 v[10:11], v[8:9], -v[10:11]
	v_mul_f64 v[10:11], |v[10:11]|, s[0:1]
	v_cndmask_b32_e32 v9, 0x80000000, v11, vcc_lo
	v_cndmask_b32_e32 v8, 0, v10, vcc_lo
                                        ; implicit-def: $vgpr10_vgpr11
	v_cmpx_ngt_f64_e64 0x41d00000, |v[8:9]|
	s_xor_b32 s14, exec_lo, s14
	s_cbranch_execz .LBB29_1680
; %bb.1679:
	v_ldexp_f64 v[10:11], |v[8:9]|, 0xffffff80
	v_cmp_le_f64_e64 vcc_lo, 0x7b000000, |v[8:9]|
	v_trig_preop_f64 v[12:13], |v[8:9]|, 0
	v_and_b32_e32 v3, 0x7fffffff, v9
	v_trig_preop_f64 v[15:16], |v[8:9]|, 1
	v_trig_preop_f64 v[25:26], |v[8:9]|, 2
	v_mov_b32_e32 v33, 0
	s_mov_b32 s1, 0x3ff921fb
	s_mov_b32 s16, 0x33145c07
	;; [unrolled: 1-line block ×3, first 2 shown]
	v_cndmask_b32_e32 v11, v3, v11, vcc_lo
	v_cndmask_b32_e32 v10, v8, v10, vcc_lo
	v_mul_f64 v[17:18], v[12:13], v[10:11]
	v_mul_f64 v[19:20], v[15:16], v[10:11]
	;; [unrolled: 1-line block ×3, first 2 shown]
	v_fma_f64 v[12:13], v[12:13], v[10:11], -v[17:18]
	v_fma_f64 v[15:16], v[15:16], v[10:11], -v[19:20]
	;; [unrolled: 1-line block ×3, first 2 shown]
	v_add_f64 v[21:22], v[19:20], v[12:13]
	v_add_f64 v[23:24], v[21:22], -v[19:20]
	v_add_f64 v[29:30], v[17:18], v[21:22]
	v_add_f64 v[27:28], v[21:22], -v[23:24]
	v_add_f64 v[12:13], v[12:13], -v[23:24]
	v_ldexp_f64 v[23:24], v[29:30], -2
	v_add_f64 v[17:18], v[29:30], -v[17:18]
	v_add_f64 v[19:20], v[19:20], -v[27:28]
	v_add_f64 v[27:28], v[31:32], v[15:16]
	v_cmp_neq_f64_e64 vcc_lo, 0x7ff00000, |v[23:24]|
	v_add_f64 v[17:18], v[21:22], -v[17:18]
	v_add_f64 v[12:13], v[12:13], v[19:20]
	v_fract_f64_e32 v[19:20], v[23:24]
	v_add_f64 v[21:22], v[27:28], v[12:13]
	v_ldexp_f64 v[19:20], v[19:20], 2
	v_add_f64 v[23:24], v[17:18], v[21:22]
	v_cndmask_b32_e32 v20, 0, v20, vcc_lo
	v_cndmask_b32_e32 v19, 0, v19, vcc_lo
	v_add_f64 v[29:30], v[23:24], v[19:20]
	v_add_f64 v[17:18], v[23:24], -v[17:18]
	v_cmp_gt_f64_e32 vcc_lo, 0, v[29:30]
	v_add_f64 v[29:30], v[27:28], -v[31:32]
	v_add_f64 v[17:18], v[21:22], -v[17:18]
	v_cndmask_b32_e64 v34, 0, 0x40100000, vcc_lo
	v_add_f64 v[38:39], v[27:28], -v[29:30]
	v_add_f64 v[15:16], v[15:16], -v[29:30]
	v_add_f64 v[19:20], v[19:20], v[33:34]
	v_add_f64 v[34:35], v[21:22], -v[27:28]
	v_add_f64 v[29:30], v[31:32], -v[38:39]
	v_add_f64 v[36:37], v[23:24], v[19:20]
	;; [unrolled: 3-line block ×3, first 2 shown]
	v_cvt_i32_f64_e32 v3, v[36:37]
	v_add_f64 v[27:28], v[27:28], -v[40:41]
	v_cvt_f64_i32_e32 v[34:35], v3
	v_add_f64 v[12:13], v[12:13], v[27:28]
	v_add_f64 v[19:20], v[19:20], -v[34:35]
	v_add_f64 v[12:13], v[15:16], v[12:13]
	v_add_f64 v[15:16], v[23:24], v[19:20]
	;; [unrolled: 1-line block ×3, first 2 shown]
	v_add_f64 v[12:13], v[15:16], -v[19:20]
	v_cmp_le_f64_e32 vcc_lo, 0.5, v[15:16]
	v_add_f64 v[10:11], v[17:18], v[10:11]
	v_add_f64 v[12:13], v[23:24], -v[12:13]
	v_cndmask_b32_e64 v34, 0, 0x3ff00000, vcc_lo
	v_add_co_ci_u32_e64 v3, null, 0, v3, vcc_lo
	v_add_f64 v[10:11], v[10:11], v[12:13]
	v_add_f64 v[12:13], v[15:16], -v[33:34]
	v_add_f64 v[15:16], v[12:13], v[10:11]
	v_mul_f64 v[17:18], v[15:16], s[0:1]
	v_add_f64 v[12:13], v[15:16], -v[12:13]
	v_fma_f64 v[19:20], v[15:16], s[0:1], -v[17:18]
	v_add_f64 v[10:11], v[10:11], -v[12:13]
	v_fma_f64 v[12:13], v[15:16], s[16:17], v[19:20]
	v_fma_f64 v[12:13], v[10:11], s[0:1], v[12:13]
	v_add_f64 v[10:11], v[17:18], v[12:13]
	v_add_f64 v[15:16], v[10:11], -v[17:18]
	v_add_f64 v[12:13], v[12:13], -v[15:16]
.LBB29_1680:
	s_andn2_saveexec_b32 s0, s14
	s_cbranch_execz .LBB29_1682
; %bb.1681:
	s_mov_b32 s14, 0x6dc9c883
	s_mov_b32 s15, 0x3fe45f30
	;; [unrolled: 1-line block ×3, first 2 shown]
	v_mul_f64 v[10:11], |v[8:9]|, s[14:15]
	s_mov_b32 s14, 0x54442d18
	s_mov_b32 s15, 0xbff921fb
	;; [unrolled: 1-line block ×3, first 2 shown]
	v_rndne_f64_e32 v[15:16], v[10:11]
	v_fma_f64 v[10:11], v[15:16], s[14:15], |v[8:9]|
	v_mul_f64 v[12:13], v[15:16], s[16:17]
	s_mov_b32 s14, 0x252049c0
	s_mov_b32 s15, 0xb97b839a
	v_cvt_i32_f64_e32 v3, v[15:16]
	v_fma_f64 v[19:20], v[15:16], s[16:17], v[10:11]
	v_add_f64 v[17:18], v[10:11], v[12:13]
	s_mov_b32 s17, 0x3c91a626
	v_add_f64 v[10:11], v[10:11], -v[17:18]
	v_add_f64 v[17:18], v[17:18], -v[19:20]
	v_add_f64 v[10:11], v[10:11], v[12:13]
	v_fma_f64 v[12:13], v[15:16], s[16:17], v[12:13]
	v_add_f64 v[10:11], v[17:18], v[10:11]
	v_add_f64 v[10:11], v[10:11], -v[12:13]
	v_fma_f64 v[12:13], v[15:16], s[14:15], v[10:11]
	v_add_f64 v[10:11], v[19:20], v[12:13]
	v_add_f64 v[17:18], v[10:11], -v[19:20]
	v_add_f64 v[12:13], v[12:13], -v[17:18]
.LBB29_1682:
	s_or_b32 exec_lo, exec_lo, s0
	v_mul_f64 v[15:16], v[10:11], v[10:11]
	v_add_f64 v[17:18], v[12:13], v[12:13]
	s_mov_b32 s14, 0xa9a29f71
	s_mov_b32 s16, 0xc751c08c
	;; [unrolled: 1-line block ×4, first 2 shown]
	v_cmp_class_f64_e64 s0, v[8:9], 0x1f8
	v_and_b32_e32 v3, 1, v3
	v_and_b32_e32 v9, 0x80000000, v9
	v_sub_f32_e32 v5, 1.0, v5
	s_mov_b32 s1, exec_lo
	v_cmp_eq_u32_e32 vcc_lo, 0, v3
	v_fma_f64 v[19:20], v[10:11], v[10:11], -v[15:16]
	v_fma_f64 v[17:18], v[10:11], v[17:18], v[19:20]
	v_add_f64 v[15:16], v[15:16], v[17:18]
	v_fma_f64 v[17:18], v[15:16], s[16:17], s[14:15]
	s_mov_b32 s14, 0x90a8aae0
	s_mov_b32 s15, 0x3f17746f
	v_fma_f64 v[17:18], v[15:16], v[17:18], s[14:15]
	s_mov_b32 s14, 0xa6fbf144
	s_mov_b32 s15, 0xbefbb44d
	;; [unrolled: 3-line block ×13, first 2 shown]
	v_mul_f64 v[15:16], v[15:16], v[17:18]
	v_mul_f64 v[17:18], v[10:11], v[15:16]
	v_add_f64 v[19:20], v[10:11], v[17:18]
	v_fma_f64 v[15:16], v[10:11], v[15:16], -v[17:18]
	v_add_f64 v[10:11], v[19:20], -v[10:11]
	v_add_f64 v[12:13], v[12:13], v[15:16]
	v_add_f64 v[10:11], v[17:18], -v[10:11]
	v_add_f64 v[10:11], v[12:13], v[10:11]
	v_add_f64 v[12:13], v[19:20], v[10:11]
	v_rcp_f64_e32 v[15:16], v[12:13]
	v_fma_f64 v[17:18], -v[12:13], v[15:16], 1.0
	v_fma_f64 v[15:16], v[17:18], v[15:16], v[15:16]
	v_fma_f64 v[17:18], -v[12:13], v[15:16], 1.0
	v_fma_f64 v[15:16], v[17:18], v[15:16], v[15:16]
	v_add_f64 v[17:18], v[12:13], -v[19:20]
	v_mul_f64 v[19:20], v[12:13], v[15:16]
	v_add_f64 v[10:11], v[10:11], -v[17:18]
	v_fma_f64 v[17:18], v[15:16], v[12:13], -v[19:20]
	v_fma_f64 v[10:11], v[15:16], v[10:11], v[17:18]
	v_add_f64 v[17:18], v[19:20], v[10:11]
	v_add_f64 v[21:22], -v[17:18], 1.0
	v_add_f64 v[19:20], v[17:18], -v[19:20]
	v_add_f64 v[23:24], -v[21:22], 1.0
	v_add_f64 v[10:11], v[19:20], -v[10:11]
	v_add_f64 v[17:18], v[23:24], -v[17:18]
	v_add_f64 v[10:11], v[10:11], v[17:18]
	v_add_f64 v[10:11], v[21:22], v[10:11]
	v_mul_f64 v[10:11], v[15:16], v[10:11]
	v_add_f64 v[10:11], v[15:16], v[10:11]
	v_xor_b32_e32 v8, 0x80000000, v11
	v_cndmask_b32_e32 v3, v10, v12, vcc_lo
	v_cndmask_b32_e32 v8, v8, v13, vcc_lo
	v_xor_b32_e32 v9, v8, v9
	v_cndmask_b32_e64 v8, 0, v3, s0
	v_cndmask_b32_e64 v9, 0x7ff80000, v9, s0
	v_div_scale_f64 v[10:11], null, v[8:9], v[8:9], s[14:15]
	v_rcp_f64_e32 v[12:13], v[10:11]
	v_fma_f64 v[15:16], -v[10:11], v[12:13], 1.0
	v_fma_f64 v[12:13], v[12:13], v[15:16], v[12:13]
	v_fma_f64 v[15:16], -v[10:11], v[12:13], 1.0
	v_fma_f64 v[12:13], v[12:13], v[15:16], v[12:13]
	v_div_scale_f64 v[15:16], vcc_lo, s[14:15], v[8:9], s[14:15]
	v_mul_f64 v[17:18], v[15:16], v[12:13]
	v_fma_f64 v[10:11], -v[10:11], v[17:18], v[15:16]
	v_div_fmas_f64 v[10:11], v[10:11], v[12:13], v[17:18]
	v_div_fixup_f64 v[8:9], v[10:11], v[8:9], s[14:15]
	v_cvt_f32_f64_e32 v8, v[8:9]
.LBB29_1683:
	s_or_b32 exec_lo, exec_lo, s7
	s_orn2_b32 s0, s1, exec_lo
.LBB29_1684:
	s_or_b32 exec_lo, exec_lo, s6
	v_mov_b32_e32 v13, 0x7e00
	s_and_saveexec_b32 s6, s0
	s_cbranch_execz .LBB29_1696
; %bb.1685:
	s_mov_b32 s0, exec_lo
	v_cmpx_gt_f32_e32 0x41200000, v5
	s_cbranch_execz .LBB29_1689
; %bb.1686:
	s_mov_b32 s1, 0
	.p2align	6
.LBB29_1687:                            ; =>This Inner Loop Header: Depth=1
	v_div_scale_f32 v3, null, v5, v5, 1.0
	v_div_scale_f32 v11, vcc_lo, 1.0, v5, 1.0
	v_rcp_f32_e32 v9, v3
	v_fma_f32 v10, -v3, v9, 1.0
	v_fmac_f32_e32 v9, v10, v9
	v_mul_f32_e32 v10, v11, v9
	v_fma_f32 v12, -v3, v10, v11
	v_fmac_f32_e32 v10, v12, v9
	v_fma_f32 v3, -v3, v10, v11
	v_div_fmas_f32 v3, v3, v9, v10
	v_div_fixup_f32 v3, v3, v5, 1.0
	v_add_f32_e32 v5, 1.0, v5
	v_sub_f32_e32 v8, v8, v3
	v_cmp_ngt_f32_e32 vcc_lo, 0x41200000, v5
	s_or_b32 s1, vcc_lo, s1
	s_andn2_b32 exec_lo, exec_lo, s1
	s_cbranch_execnz .LBB29_1687
; %bb.1688:
	s_or_b32 exec_lo, exec_lo, s1
.LBB29_1689:
	s_or_b32 exec_lo, exec_lo, s0
                                        ; implicit-def: $vgpr13
	s_mov_b32 s0, exec_lo
	v_cmpx_neq_f32_e32 0x41200000, v5
	s_xor_b32 s7, exec_lo, s0
	s_cbranch_execz .LBB29_1693
; %bb.1690:
	v_cvt_f64_f32_e32 v[9:10], v5
	s_mov_b32 s0, 0x85d8a000
	s_mov_b32 s1, 0x43763457
	v_mov_b32_e32 v3, 0
	v_cmp_gt_f64_e32 vcc_lo, s[0:1], v[9:10]
	s_and_saveexec_b32 s0, vcc_lo
	s_cbranch_execz .LBB29_1692
; %bb.1691:
	v_mul_f32_e32 v3, v5, v5
	v_div_scale_f32 v9, null, v3, v3, 1.0
	v_rcp_f32_e32 v10, v9
	v_fma_f32 v11, -v9, v10, 1.0
	v_fmac_f32_e32 v10, v11, v10
	v_div_scale_f32 v11, vcc_lo, 1.0, v3, 1.0
	v_mul_f32_e32 v12, v11, v10
	v_fma_f32 v13, -v9, v12, v11
	v_fmac_f32_e32 v12, v13, v10
	v_fma_f32 v9, -v9, v12, v11
	v_div_fmas_f32 v9, v9, v10, v12
	v_div_fixup_f32 v3, v9, v3, 1.0
	v_fmaak_f32 v9, 0, v3, 0x3daaaaab
	v_fmaak_f32 v9, v3, v9, 0xbcaccacd
	;; [unrolled: 1-line block ×7, first 2 shown]
	v_mul_f32_e32 v3, v3, v9
.LBB29_1692:
	s_or_b32 exec_lo, exec_lo, s0
	v_cmp_gt_f32_e32 vcc_lo, 0x800000, v5
	v_div_scale_f32 v9, null, v5, v5, -0.5
	v_div_scale_f32 v13, s0, -0.5, v5, -0.5
	v_cndmask_b32_e64 v10, 0, 32, vcc_lo
	v_rcp_f32_e32 v11, v9
	v_ldexp_f32 v10, v5, v10
	v_log_f32_e32 v10, v10
	v_fma_f32 v12, -v9, v11, 1.0
	v_fmac_f32_e32 v11, v12, v11
	v_mul_f32_e32 v12, 0x3f317217, v10
	v_mul_f32_e32 v15, v13, v11
	v_cmp_gt_f32_e64 s1, 0x7f800000, |v10|
	v_fma_f32 v12, 0x3f317217, v10, -v12
	v_fma_f32 v16, -v9, v15, v13
	v_fmamk_f32 v12, v10, 0x3377d1cf, v12
	v_fmac_f32_e32 v15, v16, v11
	v_fmac_f32_e32 v12, 0x3f317217, v10
	v_fma_f32 v9, -v9, v15, v13
	v_cndmask_b32_e64 v10, v10, v12, s1
	v_cndmask_b32_e64 v12, 0, 0x41b17218, vcc_lo
	s_mov_b32 vcc_lo, s0
	v_div_fmas_f32 v9, v9, v11, v15
	v_sub_f32_e32 v10, v10, v12
	v_div_fixup_f32 v5, v9, v5, -0.5
	v_add_f32_e32 v5, v10, v5
	v_sub_f32_e32 v3, v5, v3
	v_add_f32_e32 v3, v8, v3
                                        ; implicit-def: $vgpr8
	v_cvt_f16_f32_e32 v13, v3
.LBB29_1693:
	s_andn2_saveexec_b32 s0, s7
; %bb.1694:
	v_add_f32_e32 v3, 0x40101cb7, v8
	v_cvt_f16_f32_e32 v13, v3
; %bb.1695:
	s_or_b32 exec_lo, exec_lo, s0
.LBB29_1696:
	s_or_b32 exec_lo, exec_lo, s6
                                        ; implicit-def: $vgpr5
.LBB29_1697:
	s_andn2_saveexec_b32 s0, s5
; %bb.1698:
	v_xor_b32_e32 v3, 0x80000000, v5
	v_mov_b32_e32 v5, 0xffff8000
	v_and_b32_sdwa v3, v3, v5 dst_sel:DWORD dst_unused:UNUSED_PAD src0_sel:WORD_1 src1_sel:DWORD
	v_or_b32_e32 v13, 0x7c00, v3
; %bb.1699:
	s_or_b32 exec_lo, exec_lo, s0
	v_add_co_u32 v7, s0, s10, v7
	v_add_co_ci_u32_e64 v8, null, s11, 0, s0
	s_cmp_lt_i32 s4, 11
	s_cbranch_scc1 .LBB29_1706
; %bb.1700:
	s_and_b32 s0, 0xffff, s4
	s_mov_b32 s5, 0
	s_cmp_gt_i32 s0, 25
	s_cbranch_scc0 .LBB29_1707
; %bb.1701:
	s_cmp_gt_i32 s0, 28
	s_cbranch_scc0 .LBB29_1708
; %bb.1702:
	;; [unrolled: 3-line block ×4, first 2 shown]
	s_cmp_eq_u32 s0, 46
	s_mov_b32 s7, 0
	s_cbranch_scc0 .LBB29_1712
; %bb.1705:
	global_load_dword v3, v[7:8], off
	s_mov_b32 s1, 0
	s_mov_b32 s6, -1
	s_waitcnt vmcnt(0)
	v_lshlrev_b32_e32 v3, 16, v3
	v_cvt_f16_f32_e32 v3, v3
	s_branch .LBB29_1714
.LBB29_1706:
	s_mov_b32 s0, -1
	s_mov_b32 s6, 0
                                        ; implicit-def: $vgpr3
	s_branch .LBB29_1780
.LBB29_1707:
	s_mov_b32 s7, -1
	s_mov_b32 s6, 0
	s_mov_b32 s1, 0
                                        ; implicit-def: $vgpr3
	s_branch .LBB29_1743
.LBB29_1708:
	s_mov_b32 s7, -1
	s_mov_b32 s6, 0
	s_mov_b32 s1, 0
                                        ; implicit-def: $vgpr3
	s_branch .LBB29_1724
.LBB29_1709:
	s_mov_b32 s7, -1
	s_mov_b32 s6, 0
	s_mov_b32 s1, 0
                                        ; implicit-def: $vgpr3
	s_branch .LBB29_1719
.LBB29_1710:
	s_or_b32 s2, s2, exec_lo
	s_trap 2
	s_cbranch_execz .LBB29_1625
	s_branch .LBB29_1626
.LBB29_1711:
	s_mov_b32 s7, -1
	s_mov_b32 s6, 0
	s_mov_b32 s1, 0
	s_branch .LBB29_1713
.LBB29_1712:
	s_mov_b32 s1, -1
	s_mov_b32 s6, 0
.LBB29_1713:
                                        ; implicit-def: $vgpr3
.LBB29_1714:
	s_and_b32 vcc_lo, exec_lo, s7
	s_cbranch_vccz .LBB29_1718
; %bb.1715:
	s_cmp_eq_u32 s0, 44
	s_cbranch_scc0 .LBB29_1717
; %bb.1716:
	global_load_ubyte v3, v[7:8], off
	s_mov_b32 s1, 0
	s_mov_b32 s6, -1
	s_waitcnt vmcnt(0)
	v_lshlrev_b32_e32 v5, 23, v3
	v_cmp_ne_u32_e32 vcc_lo, 0xff, v3
	v_cvt_f16_f32_e32 v5, v5
	v_cndmask_b32_e32 v5, 0x7e00, v5, vcc_lo
	v_cmp_ne_u32_e32 vcc_lo, 0, v3
	v_cndmask_b32_e32 v3, 0, v5, vcc_lo
	s_branch .LBB29_1718
.LBB29_1717:
	s_mov_b32 s1, -1
                                        ; implicit-def: $vgpr3
.LBB29_1718:
	s_mov_b32 s7, 0
.LBB29_1719:
	s_and_b32 vcc_lo, exec_lo, s7
	s_cbranch_vccz .LBB29_1723
; %bb.1720:
	s_cmp_eq_u32 s0, 29
	s_cbranch_scc0 .LBB29_1722
; %bb.1721:
	global_load_dwordx2 v[9:10], v[7:8], off
	s_mov_b32 s1, 0
	s_mov_b32 s6, -1
	s_mov_b32 s7, 0
	s_waitcnt vmcnt(0)
	v_ffbh_u32_e32 v3, v10
	v_min_u32_e32 v3, 32, v3
	v_lshlrev_b64 v[9:10], v3, v[9:10]
	v_sub_nc_u32_e32 v3, 32, v3
	v_min_u32_e32 v5, 1, v9
	v_or_b32_e32 v5, v10, v5
	v_cvt_f32_u32_e32 v5, v5
	v_ldexp_f32 v3, v5, v3
	v_cvt_f16_f32_e32 v3, v3
	s_branch .LBB29_1724
.LBB29_1722:
	s_mov_b32 s1, -1
                                        ; implicit-def: $vgpr3
.LBB29_1723:
	s_mov_b32 s7, 0
.LBB29_1724:
	s_and_b32 vcc_lo, exec_lo, s7
	s_cbranch_vccz .LBB29_1742
; %bb.1725:
	s_cmp_lt_i32 s0, 27
	s_cbranch_scc1 .LBB29_1728
; %bb.1726:
	s_cmp_gt_i32 s0, 27
	s_cbranch_scc0 .LBB29_1729
; %bb.1727:
	global_load_dword v3, v[7:8], off
	s_mov_b32 s6, 0
	s_waitcnt vmcnt(0)
	v_cvt_f32_u32_e32 v3, v3
	v_cvt_f16_f32_e32 v3, v3
	s_branch .LBB29_1730
.LBB29_1728:
	s_mov_b32 s6, -1
                                        ; implicit-def: $vgpr3
	s_branch .LBB29_1733
.LBB29_1729:
	s_mov_b32 s6, -1
                                        ; implicit-def: $vgpr3
.LBB29_1730:
	s_andn2_b32 vcc_lo, exec_lo, s6
	s_cbranch_vccnz .LBB29_1732
; %bb.1731:
	global_load_ushort v3, v[7:8], off
	s_waitcnt vmcnt(0)
	v_cvt_f16_u16_e32 v3, v3
.LBB29_1732:
	s_mov_b32 s6, 0
.LBB29_1733:
	s_andn2_b32 vcc_lo, exec_lo, s6
	s_cbranch_vccnz .LBB29_1741
; %bb.1734:
	global_load_ubyte v5, v[7:8], off
	s_mov_b32 s6, 0
	s_mov_b32 s7, exec_lo
	s_waitcnt vmcnt(0)
	v_cmpx_lt_i16_e32 0x7f, v5
	s_xor_b32 s7, exec_lo, s7
	s_cbranch_execz .LBB29_1755
; %bb.1735:
	s_mov_b32 s6, -1
	s_mov_b32 s10, exec_lo
	v_cmpx_eq_u16_e32 0x80, v5
; %bb.1736:
	s_xor_b32 s6, exec_lo, -1
; %bb.1737:
	s_or_b32 exec_lo, exec_lo, s10
	s_and_b32 s6, s6, exec_lo
	s_or_saveexec_b32 s7, s7
	v_mov_b32_e32 v3, 0x7e00
	s_xor_b32 exec_lo, exec_lo, s7
	s_cbranch_execnz .LBB29_1756
.LBB29_1738:
	s_or_b32 exec_lo, exec_lo, s7
	s_and_saveexec_b32 s7, s6
	s_cbranch_execz .LBB29_1740
.LBB29_1739:
	v_and_b32_e32 v3, 0xffff, v5
	v_lshlrev_b32_e32 v5, 24, v5
	v_and_b32_e32 v9, 7, v3
	v_bfe_u32 v12, v3, 3, 4
	v_and_b32_e32 v5, 0x80000000, v5
	v_ffbh_u32_e32 v10, v9
	v_cmp_eq_u32_e32 vcc_lo, 0, v12
	v_min_u32_e32 v10, 32, v10
	v_subrev_nc_u32_e32 v11, 28, v10
	v_sub_nc_u32_e32 v10, 29, v10
	v_lshlrev_b32_e32 v3, v11, v3
	v_cndmask_b32_e32 v10, v12, v10, vcc_lo
	v_and_b32_e32 v3, 7, v3
	v_cndmask_b32_e32 v3, v9, v3, vcc_lo
	v_lshl_add_u32 v9, v10, 23, 0x3b800000
	v_lshlrev_b32_e32 v3, 20, v3
	v_or3_b32 v3, v5, v9, v3
	v_cvt_f16_f32_e32 v3, v3
.LBB29_1740:
	s_or_b32 exec_lo, exec_lo, s7
.LBB29_1741:
	s_mov_b32 s6, -1
.LBB29_1742:
	s_mov_b32 s7, 0
.LBB29_1743:
	s_and_b32 vcc_lo, exec_lo, s7
	s_cbranch_vccz .LBB29_1776
; %bb.1744:
	s_cmp_gt_i32 s0, 22
	s_cbranch_scc0 .LBB29_1754
; %bb.1745:
	s_cmp_lt_i32 s0, 24
	s_cbranch_scc1 .LBB29_1757
; %bb.1746:
	s_cmp_gt_i32 s0, 24
	s_cbranch_scc0 .LBB29_1758
; %bb.1747:
	global_load_ubyte v5, v[7:8], off
	s_mov_b32 s6, exec_lo
	s_waitcnt vmcnt(0)
	v_cmpx_lt_i16_e32 0x7f, v5
	s_xor_b32 s6, exec_lo, s6
	s_cbranch_execz .LBB29_1770
; %bb.1748:
	s_mov_b32 s5, -1
	s_mov_b32 s7, exec_lo
	v_cmpx_eq_u16_e32 0x80, v5
; %bb.1749:
	s_xor_b32 s5, exec_lo, -1
; %bb.1750:
	s_or_b32 exec_lo, exec_lo, s7
	s_and_b32 s5, s5, exec_lo
	s_or_saveexec_b32 s6, s6
	v_mov_b32_e32 v3, 0x7e00
	s_xor_b32 exec_lo, exec_lo, s6
	s_cbranch_execnz .LBB29_1771
.LBB29_1751:
	s_or_b32 exec_lo, exec_lo, s6
	s_and_saveexec_b32 s6, s5
	s_cbranch_execz .LBB29_1753
.LBB29_1752:
	v_and_b32_e32 v3, 0xffff, v5
	v_lshlrev_b32_e32 v5, 24, v5
	v_and_b32_e32 v9, 3, v3
	v_bfe_u32 v12, v3, 2, 5
	v_and_b32_e32 v5, 0x80000000, v5
	v_ffbh_u32_e32 v10, v9
	v_cmp_eq_u32_e32 vcc_lo, 0, v12
	v_min_u32_e32 v10, 32, v10
	v_subrev_nc_u32_e32 v11, 29, v10
	v_sub_nc_u32_e32 v10, 30, v10
	v_lshlrev_b32_e32 v3, v11, v3
	v_cndmask_b32_e32 v10, v12, v10, vcc_lo
	v_and_b32_e32 v3, 3, v3
	v_cndmask_b32_e32 v3, v9, v3, vcc_lo
	v_lshl_add_u32 v9, v10, 23, 0x37800000
	v_lshlrev_b32_e32 v3, 21, v3
	v_or3_b32 v3, v5, v9, v3
	v_cvt_f16_f32_e32 v3, v3
.LBB29_1753:
	s_or_b32 exec_lo, exec_lo, s6
	s_mov_b32 s5, 0
	s_branch .LBB29_1759
.LBB29_1754:
	s_mov_b32 s5, -1
                                        ; implicit-def: $vgpr3
	s_branch .LBB29_1765
.LBB29_1755:
	s_or_saveexec_b32 s7, s7
	v_mov_b32_e32 v3, 0x7e00
	s_xor_b32 exec_lo, exec_lo, s7
	s_cbranch_execz .LBB29_1738
.LBB29_1756:
	v_cmp_ne_u16_e32 vcc_lo, 0, v5
	v_mov_b32_e32 v3, v5
	s_andn2_b32 s6, s6, exec_lo
	s_and_b32 s10, vcc_lo, exec_lo
	s_or_b32 s6, s6, s10
	s_or_b32 exec_lo, exec_lo, s7
	s_and_saveexec_b32 s7, s6
	s_cbranch_execnz .LBB29_1739
	s_branch .LBB29_1740
.LBB29_1757:
	s_mov_b32 s5, -1
                                        ; implicit-def: $vgpr3
	s_branch .LBB29_1762
.LBB29_1758:
	s_mov_b32 s5, -1
                                        ; implicit-def: $vgpr3
.LBB29_1759:
	s_and_b32 vcc_lo, exec_lo, s5
	s_cbranch_vccz .LBB29_1761
; %bb.1760:
	global_load_ubyte v3, v[7:8], off
	s_waitcnt vmcnt(0)
	v_lshlrev_b32_e32 v3, 24, v3
	v_and_b32_e32 v5, 0x7f000000, v3
	v_ffbh_u32_e32 v9, v5
	v_add_nc_u32_e32 v11, 0x1000000, v5
	v_cmp_ne_u32_e32 vcc_lo, 0, v5
	v_min_u32_e32 v9, 32, v9
	v_sub_nc_u32_e64 v9, v9, 4 clamp
	v_lshlrev_b32_e32 v10, v9, v5
	v_lshlrev_b32_e32 v9, 23, v9
	v_lshrrev_b32_e32 v10, 4, v10
	v_sub_nc_u32_e32 v9, v10, v9
	v_ashrrev_i32_e32 v10, 8, v11
	v_add_nc_u32_e32 v9, 0x3c000000, v9
	v_and_or_b32 v9, 0x7f800000, v10, v9
	v_cndmask_b32_e32 v5, 0, v9, vcc_lo
	v_and_or_b32 v3, 0x80000000, v3, v5
	v_cvt_f16_f32_e32 v3, v3
.LBB29_1761:
	s_mov_b32 s5, 0
.LBB29_1762:
	s_andn2_b32 vcc_lo, exec_lo, s5
	s_cbranch_vccnz .LBB29_1764
; %bb.1763:
	global_load_ubyte v3, v[7:8], off
	s_waitcnt vmcnt(0)
	v_lshlrev_b32_e32 v5, 25, v3
	v_lshlrev_b16 v3, 8, v3
	v_lshrrev_b32_e32 v9, 4, v5
	v_and_or_b32 v10, 0x7f00, v3, 0.5
	v_cmp_gt_u32_e32 vcc_lo, 0x8000000, v5
	v_bfe_i32 v3, v3, 0, 16
	v_or_b32_e32 v9, 0x70000000, v9
	v_add_f32_e32 v10, -0.5, v10
	v_mul_f32_e32 v9, 0x7800000, v9
	v_cndmask_b32_e32 v5, v9, v10, vcc_lo
	v_and_or_b32 v3, 0x80000000, v3, v5
	v_cvt_f16_f32_e32 v3, v3
.LBB29_1764:
	s_mov_b32 s5, 0
	s_mov_b32 s6, -1
.LBB29_1765:
	s_andn2_b32 vcc_lo, exec_lo, s5
	s_mov_b32 s5, 0
	s_cbranch_vccnz .LBB29_1776
; %bb.1766:
	s_cmp_gt_i32 s0, 14
	s_cbranch_scc0 .LBB29_1769
; %bb.1767:
	s_cmp_eq_u32 s0, 15
	s_cbranch_scc0 .LBB29_1772
; %bb.1768:
	global_load_ushort v3, v[7:8], off
	s_mov_b32 s1, 0
	s_mov_b32 s6, -1
	s_waitcnt vmcnt(0)
	v_lshlrev_b32_e32 v3, 16, v3
	v_cvt_f16_f32_e32 v3, v3
	s_branch .LBB29_1774
.LBB29_1769:
	s_mov_b32 s5, -1
	s_branch .LBB29_1773
.LBB29_1770:
	s_or_saveexec_b32 s6, s6
	v_mov_b32_e32 v3, 0x7e00
	s_xor_b32 exec_lo, exec_lo, s6
	s_cbranch_execz .LBB29_1751
.LBB29_1771:
	v_cmp_ne_u16_e32 vcc_lo, 0, v5
	v_mov_b32_e32 v3, v5
	s_andn2_b32 s5, s5, exec_lo
	s_and_b32 s7, vcc_lo, exec_lo
	s_or_b32 s5, s5, s7
	s_or_b32 exec_lo, exec_lo, s6
	s_and_saveexec_b32 s6, s5
	s_cbranch_execnz .LBB29_1752
	s_branch .LBB29_1753
.LBB29_1772:
	s_mov_b32 s1, -1
.LBB29_1773:
                                        ; implicit-def: $vgpr3
.LBB29_1774:
	s_and_b32 vcc_lo, exec_lo, s5
	s_mov_b32 s5, 0
	s_cbranch_vccz .LBB29_1776
; %bb.1775:
	s_cmp_lg_u32 s0, 11
	s_mov_b32 s5, -1
	s_cselect_b32 s1, -1, 0
.LBB29_1776:
	s_and_b32 vcc_lo, exec_lo, s1
	s_cbranch_vccnz .LBB29_2334
; %bb.1777:
	s_andn2_b32 vcc_lo, exec_lo, s5
	s_cbranch_vccnz .LBB29_1779
.LBB29_1778:
	global_load_ubyte v3, v[7:8], off
	s_mov_b32 s6, -1
	s_waitcnt vmcnt(0)
	v_cmp_ne_u16_e32 vcc_lo, 0, v3
	v_cndmask_b32_e64 v3, 0, 0x3c00, vcc_lo
.LBB29_1779:
	s_mov_b32 s0, 0
.LBB29_1780:
	s_and_b32 vcc_lo, exec_lo, s0
	s_cbranch_vccz .LBB29_1829
; %bb.1781:
	s_and_b32 s0, 0xffff, s4
	s_cmp_lt_i32 s0, 5
	s_cbranch_scc1 .LBB29_1786
; %bb.1782:
	s_cmp_lt_i32 s0, 8
	s_cbranch_scc1 .LBB29_1787
; %bb.1783:
	;; [unrolled: 3-line block ×3, first 2 shown]
	s_cmp_gt_i32 s0, 9
	s_cbranch_scc0 .LBB29_1789
; %bb.1785:
	global_load_dwordx2 v[9:10], v[7:8], off
	s_mov_b32 s1, 0
	s_waitcnt vmcnt(0)
	v_and_or_b32 v3, 0x1ff, v10, v9
	v_lshrrev_b32_e32 v5, 8, v10
	v_bfe_u32 v9, v10, 20, 11
	v_cmp_ne_u32_e32 vcc_lo, 0, v3
	v_sub_nc_u32_e32 v11, 0x3f1, v9
	v_add_nc_u32_e32 v9, 0xfffffc10, v9
	v_cndmask_b32_e64 v3, 0, 1, vcc_lo
	v_and_or_b32 v3, 0xffe, v5, v3
	v_med3_i32 v5, v11, 0, 13
	v_or_b32_e32 v11, 0x1000, v3
	v_lshrrev_b32_e32 v12, v5, v11
	v_lshlrev_b32_e32 v5, v5, v12
	v_cmp_ne_u32_e32 vcc_lo, v5, v11
	v_lshl_or_b32 v11, v9, 12, v3
	v_cndmask_b32_e64 v5, 0, 1, vcc_lo
	v_cmp_gt_i32_e32 vcc_lo, 1, v9
	v_or_b32_e32 v5, v12, v5
	v_cndmask_b32_e32 v5, v11, v5, vcc_lo
	v_and_b32_e32 v11, 7, v5
	v_lshrrev_b32_e32 v5, 2, v5
	v_cmp_lt_i32_e32 vcc_lo, 5, v11
	v_cndmask_b32_e64 v12, 0, 1, vcc_lo
	v_cmp_eq_u32_e32 vcc_lo, 3, v11
	v_cndmask_b32_e64 v11, 0, 1, vcc_lo
	v_cmp_ne_u32_e32 vcc_lo, 0, v3
	v_or_b32_e32 v11, v11, v12
	v_mov_b32_e32 v12, 0x7e00
	v_add_nc_u32_e32 v5, v5, v11
	v_cndmask_b32_e32 v3, 0x7c00, v12, vcc_lo
	v_cmp_gt_i32_e32 vcc_lo, 31, v9
	v_cndmask_b32_e32 v5, 0x7c00, v5, vcc_lo
	v_cmp_eq_u32_e32 vcc_lo, 0x40f, v9
	v_cndmask_b32_e32 v3, v5, v3, vcc_lo
	v_lshrrev_b32_e32 v5, 16, v10
	v_and_or_b32 v3, 0x8000, v5, v3
	s_branch .LBB29_1790
.LBB29_1786:
	s_mov_b32 s1, -1
                                        ; implicit-def: $vgpr3
	s_branch .LBB29_1808
.LBB29_1787:
	s_mov_b32 s1, -1
                                        ; implicit-def: $vgpr3
	s_branch .LBB29_1796
.LBB29_1788:
	s_mov_b32 s1, -1
                                        ; implicit-def: $vgpr3
	s_branch .LBB29_1793
.LBB29_1789:
	s_mov_b32 s1, -1
                                        ; implicit-def: $vgpr3
.LBB29_1790:
	s_andn2_b32 vcc_lo, exec_lo, s1
	s_cbranch_vccnz .LBB29_1792
; %bb.1791:
	global_load_dword v3, v[7:8], off
	s_waitcnt vmcnt(0)
	v_cvt_f16_f32_e32 v3, v3
.LBB29_1792:
	s_mov_b32 s1, 0
.LBB29_1793:
	s_andn2_b32 vcc_lo, exec_lo, s1
	s_cbranch_vccnz .LBB29_1795
; %bb.1794:
	global_load_dword v3, v[7:8], off
.LBB29_1795:
	s_mov_b32 s1, 0
.LBB29_1796:
	s_andn2_b32 vcc_lo, exec_lo, s1
	s_cbranch_vccnz .LBB29_1807
; %bb.1797:
	s_cmp_lt_i32 s0, 6
	s_cbranch_scc1 .LBB29_1800
; %bb.1798:
	s_cmp_gt_i32 s0, 6
	s_cbranch_scc0 .LBB29_1801
; %bb.1799:
	global_load_dwordx2 v[9:10], v[7:8], off
	s_mov_b32 s1, 0
	s_waitcnt vmcnt(0)
	v_and_or_b32 v3, 0x1ff, v10, v9
	v_lshrrev_b32_e32 v5, 8, v10
	v_bfe_u32 v9, v10, 20, 11
	v_cmp_ne_u32_e32 vcc_lo, 0, v3
	v_sub_nc_u32_e32 v11, 0x3f1, v9
	v_add_nc_u32_e32 v9, 0xfffffc10, v9
	v_cndmask_b32_e64 v3, 0, 1, vcc_lo
	v_and_or_b32 v3, 0xffe, v5, v3
	v_med3_i32 v5, v11, 0, 13
	v_or_b32_e32 v11, 0x1000, v3
	v_lshrrev_b32_e32 v12, v5, v11
	v_lshlrev_b32_e32 v5, v5, v12
	v_cmp_ne_u32_e32 vcc_lo, v5, v11
	v_lshl_or_b32 v11, v9, 12, v3
	v_cndmask_b32_e64 v5, 0, 1, vcc_lo
	v_cmp_gt_i32_e32 vcc_lo, 1, v9
	v_or_b32_e32 v5, v12, v5
	v_cndmask_b32_e32 v5, v11, v5, vcc_lo
	v_and_b32_e32 v11, 7, v5
	v_lshrrev_b32_e32 v5, 2, v5
	v_cmp_lt_i32_e32 vcc_lo, 5, v11
	v_cndmask_b32_e64 v12, 0, 1, vcc_lo
	v_cmp_eq_u32_e32 vcc_lo, 3, v11
	v_cndmask_b32_e64 v11, 0, 1, vcc_lo
	v_cmp_ne_u32_e32 vcc_lo, 0, v3
	v_or_b32_e32 v11, v11, v12
	v_mov_b32_e32 v12, 0x7e00
	v_add_nc_u32_e32 v5, v5, v11
	v_cndmask_b32_e32 v3, 0x7c00, v12, vcc_lo
	v_cmp_gt_i32_e32 vcc_lo, 31, v9
	v_cndmask_b32_e32 v5, 0x7c00, v5, vcc_lo
	v_cmp_eq_u32_e32 vcc_lo, 0x40f, v9
	v_cndmask_b32_e32 v3, v5, v3, vcc_lo
	v_lshrrev_b32_e32 v5, 16, v10
	v_and_or_b32 v3, 0x8000, v5, v3
	s_branch .LBB29_1802
.LBB29_1800:
	s_mov_b32 s1, -1
                                        ; implicit-def: $vgpr3
	s_branch .LBB29_1805
.LBB29_1801:
	s_mov_b32 s1, -1
                                        ; implicit-def: $vgpr3
.LBB29_1802:
	s_andn2_b32 vcc_lo, exec_lo, s1
	s_cbranch_vccnz .LBB29_1804
; %bb.1803:
	global_load_dword v3, v[7:8], off
	s_waitcnt vmcnt(0)
	v_cvt_f16_f32_e32 v3, v3
.LBB29_1804:
	s_mov_b32 s1, 0
.LBB29_1805:
	s_andn2_b32 vcc_lo, exec_lo, s1
	s_cbranch_vccnz .LBB29_1807
; %bb.1806:
	global_load_ushort v3, v[7:8], off
.LBB29_1807:
	s_mov_b32 s1, 0
.LBB29_1808:
	s_andn2_b32 vcc_lo, exec_lo, s1
	s_cbranch_vccnz .LBB29_1828
; %bb.1809:
	s_cmp_lt_i32 s0, 2
	s_cbranch_scc1 .LBB29_1813
; %bb.1810:
	s_cmp_lt_i32 s0, 3
	s_cbranch_scc1 .LBB29_1814
; %bb.1811:
	s_cmp_gt_i32 s0, 3
	s_cbranch_scc0 .LBB29_1815
; %bb.1812:
	global_load_dwordx2 v[9:10], v[7:8], off
	s_mov_b32 s1, 0
	s_waitcnt vmcnt(0)
	v_xor_b32_e32 v3, v9, v10
	v_ffbh_i32_e32 v5, v10
	v_ashrrev_i32_e32 v3, 31, v3
	v_add_nc_u32_e32 v5, -1, v5
	v_add_nc_u32_e32 v3, 32, v3
	v_min_u32_e32 v3, v5, v3
	v_lshlrev_b64 v[9:10], v3, v[9:10]
	v_sub_nc_u32_e32 v3, 32, v3
	v_min_u32_e32 v5, 1, v9
	v_or_b32_e32 v5, v10, v5
	v_cvt_f32_i32_e32 v5, v5
	v_ldexp_f32 v3, v5, v3
	v_cvt_f16_f32_e32 v3, v3
	s_branch .LBB29_1816
.LBB29_1813:
	s_mov_b32 s1, -1
                                        ; implicit-def: $vgpr3
	s_branch .LBB29_1822
.LBB29_1814:
	s_mov_b32 s1, -1
                                        ; implicit-def: $vgpr3
	s_branch .LBB29_1819
.LBB29_1815:
	s_mov_b32 s1, -1
                                        ; implicit-def: $vgpr3
.LBB29_1816:
	s_andn2_b32 vcc_lo, exec_lo, s1
	s_cbranch_vccnz .LBB29_1818
; %bb.1817:
	global_load_dword v3, v[7:8], off
	s_waitcnt vmcnt(0)
	v_cvt_f32_i32_e32 v3, v3
	v_cvt_f16_f32_e32 v3, v3
.LBB29_1818:
	s_mov_b32 s1, 0
.LBB29_1819:
	s_andn2_b32 vcc_lo, exec_lo, s1
	s_cbranch_vccnz .LBB29_1821
; %bb.1820:
	global_load_ushort v3, v[7:8], off
	s_waitcnt vmcnt(0)
	v_cvt_f16_i16_e32 v3, v3
.LBB29_1821:
	s_mov_b32 s1, 0
.LBB29_1822:
	s_andn2_b32 vcc_lo, exec_lo, s1
	s_cbranch_vccnz .LBB29_1828
; %bb.1823:
	s_cmp_gt_i32 s0, 0
	s_mov_b32 s0, 0
	s_cbranch_scc0 .LBB29_1825
; %bb.1824:
	global_load_sbyte v3, v[7:8], off
	s_waitcnt vmcnt(0)
	v_cvt_f16_i16_e32 v3, v3
	s_branch .LBB29_1826
.LBB29_1825:
	s_mov_b32 s0, -1
                                        ; implicit-def: $vgpr3
.LBB29_1826:
	s_andn2_b32 vcc_lo, exec_lo, s0
	s_cbranch_vccnz .LBB29_1828
; %bb.1827:
	global_load_ubyte v3, v[7:8], off
	s_waitcnt vmcnt(0)
	v_cvt_f16_u16_e32 v3, v3
.LBB29_1828:
	s_mov_b32 s6, -1
.LBB29_1829:
	s_andn2_b32 vcc_lo, exec_lo, s6
	s_cbranch_vccnz .LBB29_1932
; %bb.1830:
	s_waitcnt vmcnt(0)
	v_cvt_f32_f16_e32 v5, v3
                                        ; implicit-def: $vgpr7
	s_mov_b32 s0, exec_lo
	v_cmpx_neq_f16_e32 0, v3
	s_xor_b32 s4, exec_lo, s0
	s_cbranch_execz .LBB29_1852
; %bb.1831:
	v_mov_b32_e32 v8, 0
	s_mov_b32 s0, -1
	s_mov_b32 s5, exec_lo
	v_cmpx_gt_f16_e32 0, v3
	s_cbranch_execz .LBB29_1839
; %bb.1832:
	v_trunc_f32_e32 v7, v5
	v_mov_b32_e32 v8, 0
	s_mov_b32 s1, 0
	s_mov_b32 s6, exec_lo
	v_cmpx_neq_f32_e32 v7, v5
	s_cbranch_execz .LBB29_1838
; %bb.1833:
	v_cvt_f32_f16_e32 v3, v3
	s_mov_b32 s1, 0xc00921fb
	s_mov_b32 s0, 0x54442d18
	s_mov_b32 s7, exec_lo
                                        ; implicit-def: $vgpr11_vgpr12
	v_cvt_f64_f32_e32 v[7:8], v3
                                        ; implicit-def: $vgpr3
	v_trunc_f64_e32 v[9:10], v[7:8]
	v_cmp_neq_f64_e64 vcc_lo, 0x7ff00000, |v[7:8]|
	v_add_f64 v[9:10], v[7:8], -v[9:10]
	v_mul_f64 v[9:10], |v[9:10]|, s[0:1]
	v_cndmask_b32_e32 v8, 0x80000000, v10, vcc_lo
	v_cndmask_b32_e32 v7, 0, v9, vcc_lo
                                        ; implicit-def: $vgpr9_vgpr10
	v_cmpx_ngt_f64_e64 0x41d00000, |v[7:8]|
	s_xor_b32 s7, exec_lo, s7
	s_cbranch_execz .LBB29_1835
; %bb.1834:
	v_ldexp_f64 v[9:10], |v[7:8]|, 0xffffff80
	v_cmp_le_f64_e64 vcc_lo, 0x7b000000, |v[7:8]|
	v_trig_preop_f64 v[11:12], |v[7:8]|, 0
	v_and_b32_e32 v3, 0x7fffffff, v8
	v_trig_preop_f64 v[15:16], |v[7:8]|, 1
	v_trig_preop_f64 v[25:26], |v[7:8]|, 2
	v_mov_b32_e32 v33, 0
	s_mov_b32 s1, 0x3ff921fb
	s_mov_b32 s10, 0x33145c07
	;; [unrolled: 1-line block ×3, first 2 shown]
	v_cndmask_b32_e32 v10, v3, v10, vcc_lo
	v_cndmask_b32_e32 v9, v7, v9, vcc_lo
	v_mul_f64 v[17:18], v[11:12], v[9:10]
	v_mul_f64 v[19:20], v[15:16], v[9:10]
	;; [unrolled: 1-line block ×3, first 2 shown]
	v_fma_f64 v[11:12], v[11:12], v[9:10], -v[17:18]
	v_fma_f64 v[15:16], v[15:16], v[9:10], -v[19:20]
	;; [unrolled: 1-line block ×3, first 2 shown]
	v_add_f64 v[21:22], v[19:20], v[11:12]
	v_add_f64 v[23:24], v[21:22], -v[19:20]
	v_add_f64 v[29:30], v[17:18], v[21:22]
	v_add_f64 v[27:28], v[21:22], -v[23:24]
	v_add_f64 v[11:12], v[11:12], -v[23:24]
	v_ldexp_f64 v[23:24], v[29:30], -2
	v_add_f64 v[17:18], v[29:30], -v[17:18]
	v_add_f64 v[19:20], v[19:20], -v[27:28]
	v_add_f64 v[27:28], v[31:32], v[15:16]
	v_cmp_neq_f64_e64 vcc_lo, 0x7ff00000, |v[23:24]|
	v_add_f64 v[17:18], v[21:22], -v[17:18]
	v_add_f64 v[11:12], v[11:12], v[19:20]
	v_fract_f64_e32 v[19:20], v[23:24]
	v_add_f64 v[21:22], v[27:28], v[11:12]
	v_ldexp_f64 v[19:20], v[19:20], 2
	v_add_f64 v[23:24], v[17:18], v[21:22]
	v_cndmask_b32_e32 v20, 0, v20, vcc_lo
	v_cndmask_b32_e32 v19, 0, v19, vcc_lo
	v_add_f64 v[29:30], v[23:24], v[19:20]
	v_add_f64 v[17:18], v[23:24], -v[17:18]
	v_cmp_gt_f64_e32 vcc_lo, 0, v[29:30]
	v_add_f64 v[29:30], v[27:28], -v[31:32]
	v_add_f64 v[17:18], v[21:22], -v[17:18]
	v_cndmask_b32_e64 v34, 0, 0x40100000, vcc_lo
	v_add_f64 v[38:39], v[27:28], -v[29:30]
	v_add_f64 v[15:16], v[15:16], -v[29:30]
	v_add_f64 v[19:20], v[19:20], v[33:34]
	v_add_f64 v[34:35], v[21:22], -v[27:28]
	v_add_f64 v[29:30], v[31:32], -v[38:39]
	v_add_f64 v[36:37], v[23:24], v[19:20]
	;; [unrolled: 3-line block ×3, first 2 shown]
	v_cvt_i32_f64_e32 v3, v[36:37]
	v_add_f64 v[27:28], v[27:28], -v[40:41]
	v_cvt_f64_i32_e32 v[34:35], v3
	v_add_f64 v[11:12], v[11:12], v[27:28]
	v_add_f64 v[19:20], v[19:20], -v[34:35]
	v_add_f64 v[11:12], v[15:16], v[11:12]
	v_add_f64 v[15:16], v[23:24], v[19:20]
	;; [unrolled: 1-line block ×3, first 2 shown]
	v_add_f64 v[11:12], v[15:16], -v[19:20]
	v_cmp_le_f64_e32 vcc_lo, 0.5, v[15:16]
	v_add_f64 v[9:10], v[17:18], v[9:10]
	v_add_f64 v[11:12], v[23:24], -v[11:12]
	v_cndmask_b32_e64 v34, 0, 0x3ff00000, vcc_lo
	v_add_co_ci_u32_e64 v3, null, 0, v3, vcc_lo
	v_add_f64 v[9:10], v[9:10], v[11:12]
	v_add_f64 v[11:12], v[15:16], -v[33:34]
	v_add_f64 v[15:16], v[11:12], v[9:10]
	v_mul_f64 v[17:18], v[15:16], s[0:1]
	v_add_f64 v[11:12], v[15:16], -v[11:12]
	v_fma_f64 v[19:20], v[15:16], s[0:1], -v[17:18]
	v_add_f64 v[9:10], v[9:10], -v[11:12]
	v_fma_f64 v[11:12], v[15:16], s[10:11], v[19:20]
	v_fma_f64 v[11:12], v[9:10], s[0:1], v[11:12]
	v_add_f64 v[9:10], v[17:18], v[11:12]
	v_add_f64 v[15:16], v[9:10], -v[17:18]
	v_add_f64 v[11:12], v[11:12], -v[15:16]
.LBB29_1835:
	s_andn2_saveexec_b32 s0, s7
	s_cbranch_execz .LBB29_1837
; %bb.1836:
	s_mov_b32 s10, 0x6dc9c883
	s_mov_b32 s11, 0x3fe45f30
	;; [unrolled: 1-line block ×3, first 2 shown]
	v_mul_f64 v[9:10], |v[7:8]|, s[10:11]
	s_mov_b32 s10, 0x54442d18
	s_mov_b32 s11, 0xbff921fb
	s_mov_b32 s14, 0x33145c00
	v_rndne_f64_e32 v[15:16], v[9:10]
	v_fma_f64 v[9:10], v[15:16], s[10:11], |v[7:8]|
	v_mul_f64 v[11:12], v[15:16], s[14:15]
	s_mov_b32 s10, 0x252049c0
	s_mov_b32 s11, 0xb97b839a
	v_cvt_i32_f64_e32 v3, v[15:16]
	v_fma_f64 v[19:20], v[15:16], s[14:15], v[9:10]
	v_add_f64 v[17:18], v[9:10], v[11:12]
	s_mov_b32 s15, 0x3c91a626
	v_add_f64 v[9:10], v[9:10], -v[17:18]
	v_add_f64 v[17:18], v[17:18], -v[19:20]
	v_add_f64 v[9:10], v[9:10], v[11:12]
	v_fma_f64 v[11:12], v[15:16], s[14:15], v[11:12]
	v_add_f64 v[9:10], v[17:18], v[9:10]
	v_add_f64 v[9:10], v[9:10], -v[11:12]
	v_fma_f64 v[11:12], v[15:16], s[10:11], v[9:10]
	v_add_f64 v[9:10], v[19:20], v[11:12]
	v_add_f64 v[17:18], v[9:10], -v[19:20]
	v_add_f64 v[11:12], v[11:12], -v[17:18]
.LBB29_1837:
	s_or_b32 exec_lo, exec_lo, s0
	v_mul_f64 v[15:16], v[9:10], v[9:10]
	v_add_f64 v[17:18], v[11:12], v[11:12]
	s_mov_b32 s10, 0xa9a29f71
	s_mov_b32 s14, 0xc751c08c
	;; [unrolled: 1-line block ×4, first 2 shown]
	v_cmp_class_f64_e64 s0, v[7:8], 0x1f8
	v_and_b32_e32 v3, 1, v3
	v_and_b32_e32 v8, 0x80000000, v8
	v_sub_f32_e32 v5, 1.0, v5
	s_mov_b32 s1, exec_lo
	v_cmp_eq_u32_e32 vcc_lo, 0, v3
	v_fma_f64 v[19:20], v[9:10], v[9:10], -v[15:16]
	v_fma_f64 v[17:18], v[9:10], v[17:18], v[19:20]
	v_add_f64 v[15:16], v[15:16], v[17:18]
	v_fma_f64 v[17:18], v[15:16], s[14:15], s[10:11]
	s_mov_b32 s10, 0x90a8aae0
	s_mov_b32 s11, 0x3f17746f
	v_fma_f64 v[17:18], v[15:16], v[17:18], s[10:11]
	s_mov_b32 s10, 0xa6fbf144
	s_mov_b32 s11, 0xbefbb44d
	;; [unrolled: 3-line block ×13, first 2 shown]
	v_mul_f64 v[15:16], v[15:16], v[17:18]
	v_mul_f64 v[17:18], v[9:10], v[15:16]
	v_add_f64 v[19:20], v[9:10], v[17:18]
	v_fma_f64 v[15:16], v[9:10], v[15:16], -v[17:18]
	v_add_f64 v[9:10], v[19:20], -v[9:10]
	v_add_f64 v[11:12], v[11:12], v[15:16]
	v_add_f64 v[9:10], v[17:18], -v[9:10]
	v_add_f64 v[9:10], v[11:12], v[9:10]
	v_add_f64 v[11:12], v[19:20], v[9:10]
	v_rcp_f64_e32 v[15:16], v[11:12]
	v_fma_f64 v[17:18], -v[11:12], v[15:16], 1.0
	v_fma_f64 v[15:16], v[17:18], v[15:16], v[15:16]
	v_fma_f64 v[17:18], -v[11:12], v[15:16], 1.0
	v_fma_f64 v[15:16], v[17:18], v[15:16], v[15:16]
	v_add_f64 v[17:18], v[11:12], -v[19:20]
	v_mul_f64 v[19:20], v[11:12], v[15:16]
	v_add_f64 v[9:10], v[9:10], -v[17:18]
	v_fma_f64 v[17:18], v[15:16], v[11:12], -v[19:20]
	v_fma_f64 v[9:10], v[15:16], v[9:10], v[17:18]
	v_add_f64 v[17:18], v[19:20], v[9:10]
	v_add_f64 v[21:22], -v[17:18], 1.0
	v_add_f64 v[19:20], v[17:18], -v[19:20]
	v_add_f64 v[23:24], -v[21:22], 1.0
	v_add_f64 v[9:10], v[19:20], -v[9:10]
	v_add_f64 v[17:18], v[23:24], -v[17:18]
	v_add_f64 v[9:10], v[9:10], v[17:18]
	v_add_f64 v[9:10], v[21:22], v[9:10]
	v_mul_f64 v[9:10], v[15:16], v[9:10]
	v_add_f64 v[9:10], v[15:16], v[9:10]
	v_xor_b32_e32 v7, 0x80000000, v10
	v_cndmask_b32_e32 v3, v9, v11, vcc_lo
	v_cndmask_b32_e32 v7, v7, v12, vcc_lo
	v_xor_b32_e32 v8, v7, v8
	v_cndmask_b32_e64 v7, 0, v3, s0
	v_cndmask_b32_e64 v8, 0x7ff80000, v8, s0
	v_div_scale_f64 v[9:10], null, v[7:8], v[7:8], s[10:11]
	v_rcp_f64_e32 v[11:12], v[9:10]
	v_fma_f64 v[15:16], -v[9:10], v[11:12], 1.0
	v_fma_f64 v[11:12], v[11:12], v[15:16], v[11:12]
	v_fma_f64 v[15:16], -v[9:10], v[11:12], 1.0
	v_fma_f64 v[11:12], v[11:12], v[15:16], v[11:12]
	v_div_scale_f64 v[15:16], vcc_lo, s[10:11], v[7:8], s[10:11]
	v_mul_f64 v[17:18], v[15:16], v[11:12]
	v_fma_f64 v[9:10], -v[9:10], v[17:18], v[15:16]
	v_div_fmas_f64 v[9:10], v[9:10], v[11:12], v[17:18]
	v_div_fixup_f64 v[7:8], v[9:10], v[7:8], s[10:11]
	v_cvt_f32_f64_e32 v8, v[7:8]
.LBB29_1838:
	s_or_b32 exec_lo, exec_lo, s6
	s_orn2_b32 s0, s1, exec_lo
.LBB29_1839:
	s_or_b32 exec_lo, exec_lo, s5
	v_mov_b32_e32 v7, 0x7e00
	s_and_saveexec_b32 s5, s0
	s_cbranch_execz .LBB29_1851
; %bb.1840:
	s_mov_b32 s0, exec_lo
	v_cmpx_gt_f32_e32 0x41200000, v5
	s_cbranch_execz .LBB29_1844
; %bb.1841:
	s_mov_b32 s1, 0
.LBB29_1842:                            ; =>This Inner Loop Header: Depth=1
	v_div_scale_f32 v3, null, v5, v5, 1.0
	v_div_scale_f32 v10, vcc_lo, 1.0, v5, 1.0
	v_rcp_f32_e32 v7, v3
	v_fma_f32 v9, -v3, v7, 1.0
	v_fmac_f32_e32 v7, v9, v7
	v_mul_f32_e32 v9, v10, v7
	v_fma_f32 v11, -v3, v9, v10
	v_fmac_f32_e32 v9, v11, v7
	v_fma_f32 v3, -v3, v9, v10
	v_div_fmas_f32 v3, v3, v7, v9
	v_div_fixup_f32 v3, v3, v5, 1.0
	v_add_f32_e32 v5, 1.0, v5
	v_sub_f32_e32 v8, v8, v3
	v_cmp_ngt_f32_e32 vcc_lo, 0x41200000, v5
	s_or_b32 s1, vcc_lo, s1
	s_andn2_b32 exec_lo, exec_lo, s1
	s_cbranch_execnz .LBB29_1842
; %bb.1843:
	s_or_b32 exec_lo, exec_lo, s1
.LBB29_1844:
	s_or_b32 exec_lo, exec_lo, s0
                                        ; implicit-def: $vgpr7
	s_mov_b32 s0, exec_lo
	v_cmpx_neq_f32_e32 0x41200000, v5
	s_xor_b32 s6, exec_lo, s0
	s_cbranch_execz .LBB29_1848
; %bb.1845:
	v_cvt_f64_f32_e32 v[9:10], v5
	s_mov_b32 s0, 0x85d8a000
	s_mov_b32 s1, 0x43763457
	v_mov_b32_e32 v3, 0
	v_cmp_gt_f64_e32 vcc_lo, s[0:1], v[9:10]
	s_and_saveexec_b32 s0, vcc_lo
	s_cbranch_execz .LBB29_1847
; %bb.1846:
	v_mul_f32_e32 v3, v5, v5
	v_div_scale_f32 v7, null, v3, v3, 1.0
	v_rcp_f32_e32 v9, v7
	v_fma_f32 v10, -v7, v9, 1.0
	v_fmac_f32_e32 v9, v10, v9
	v_div_scale_f32 v10, vcc_lo, 1.0, v3, 1.0
	v_mul_f32_e32 v11, v10, v9
	v_fma_f32 v12, -v7, v11, v10
	v_fmac_f32_e32 v11, v12, v9
	v_fma_f32 v7, -v7, v11, v10
	v_div_fmas_f32 v7, v7, v9, v11
	v_div_fixup_f32 v3, v7, v3, 1.0
	v_fmaak_f32 v7, 0, v3, 0x3daaaaab
	v_fmaak_f32 v7, v3, v7, 0xbcaccacd
	;; [unrolled: 1-line block ×7, first 2 shown]
	v_mul_f32_e32 v3, v3, v7
.LBB29_1847:
	s_or_b32 exec_lo, exec_lo, s0
	v_cmp_gt_f32_e32 vcc_lo, 0x800000, v5
	v_div_scale_f32 v7, null, v5, v5, -0.5
	v_div_scale_f32 v12, s0, -0.5, v5, -0.5
	v_cndmask_b32_e64 v9, 0, 32, vcc_lo
	v_rcp_f32_e32 v10, v7
	v_ldexp_f32 v9, v5, v9
	v_log_f32_e32 v9, v9
	v_fma_f32 v11, -v7, v10, 1.0
	v_fmac_f32_e32 v10, v11, v10
	v_mul_f32_e32 v11, 0x3f317217, v9
	v_mul_f32_e32 v15, v12, v10
	v_cmp_gt_f32_e64 s1, 0x7f800000, |v9|
	v_fma_f32 v11, 0x3f317217, v9, -v11
	v_fma_f32 v16, -v7, v15, v12
	v_fmamk_f32 v11, v9, 0x3377d1cf, v11
	v_fmac_f32_e32 v15, v16, v10
	v_fmac_f32_e32 v11, 0x3f317217, v9
	v_fma_f32 v7, -v7, v15, v12
	v_cndmask_b32_e64 v9, v9, v11, s1
	v_cndmask_b32_e64 v11, 0, 0x41b17218, vcc_lo
	s_mov_b32 vcc_lo, s0
	v_div_fmas_f32 v7, v7, v10, v15
	v_sub_f32_e32 v9, v9, v11
	v_div_fixup_f32 v5, v7, v5, -0.5
	v_add_f32_e32 v5, v9, v5
	v_sub_f32_e32 v3, v5, v3
	v_add_f32_e32 v3, v8, v3
                                        ; implicit-def: $vgpr8
	v_cvt_f16_f32_e32 v7, v3
.LBB29_1848:
	s_andn2_saveexec_b32 s0, s6
; %bb.1849:
	v_add_f32_e32 v3, 0x40101cb7, v8
	v_cvt_f16_f32_e32 v7, v3
; %bb.1850:
	s_or_b32 exec_lo, exec_lo, s0
.LBB29_1851:
	s_or_b32 exec_lo, exec_lo, s5
                                        ; implicit-def: $vgpr5
.LBB29_1852:
	s_andn2_saveexec_b32 s0, s4
; %bb.1853:
	v_xor_b32_e32 v3, 0x80000000, v5
	v_mov_b32_e32 v5, 0xffff8000
	v_and_b32_sdwa v3, v3, v5 dst_sel:DWORD dst_unused:UNUSED_PAD src0_sel:WORD_1 src1_sel:DWORD
	v_or_b32_e32 v7, 0x7c00, v3
; %bb.1854:
	s_or_b32 exec_lo, exec_lo, s0
	v_add_co_u32 v5, s0, s8, v6
	v_add_co_ci_u32_e64 v6, null, s9, 0, s0
	s_bfe_u32 s1, s3, 0x80008
	s_cmp_lt_i32 s1, 11
	s_cbranch_scc1 .LBB29_1977
; %bb.1855:
	s_and_b32 s4, 0xffff, s1
	s_mov_b32 s7, -1
	s_mov_b32 s5, 0
	s_cmp_gt_i32 s4, 25
	s_mov_b32 s6, 0
	s_mov_b32 s0, 0
	s_cbranch_scc0 .LBB29_1888
; %bb.1856:
	s_cmp_gt_i32 s4, 28
	s_cbranch_scc0 .LBB29_1871
; %bb.1857:
	s_cmp_gt_i32 s4, 43
	;; [unrolled: 3-line block ×3, first 2 shown]
	s_cbranch_scc0 .LBB29_1861
; %bb.1859:
	s_mov_b32 s0, -1
	s_mov_b32 s7, 0
	s_cmp_eq_u32 s4, 46
	s_cbranch_scc0 .LBB29_1861
; %bb.1860:
	v_cvt_f32_f16_e32 v3, v1
	v_cmp_o_f16_e32 vcc_lo, v1, v1
	s_mov_b32 s0, 0
	s_mov_b32 s6, -1
	v_bfe_u32 v8, v3, 16, 1
	v_add3_u32 v3, v3, v8, 0x7fff
	v_mov_b32_e32 v8, 0x7fc0
	v_cndmask_b32_sdwa v3, v8, v3, vcc_lo dst_sel:DWORD dst_unused:UNUSED_PAD src0_sel:DWORD src1_sel:WORD_1
	global_store_dword v[5:6], v3, off
.LBB29_1861:
	s_and_b32 vcc_lo, exec_lo, s7
	s_cbranch_vccz .LBB29_1866
; %bb.1862:
	s_cmp_eq_u32 s4, 44
	s_mov_b32 s0, -1
	s_cbranch_scc0 .LBB29_1866
; %bb.1863:
	v_cvt_f32_f16_e32 v3, v1
	v_mov_b32_e32 v8, 0xff
	s_mov_b32 s6, exec_lo
	v_bfe_u32 v9, v3, 23, 8
	v_cmpx_ne_u32_e32 0xff, v9
	s_cbranch_execz .LBB29_1865
; %bb.1864:
	v_and_b32_e32 v8, 0x400000, v3
	v_and_or_b32 v9, 0x3fffff, v3, v9
	v_lshrrev_b32_e32 v3, 23, v3
	v_cmp_ne_u32_e32 vcc_lo, 0, v8
	v_cmp_ne_u32_e64 s0, 0, v9
	s_and_b32 s0, vcc_lo, s0
	v_cndmask_b32_e64 v8, 0, 1, s0
	v_add_nc_u32_e32 v8, v3, v8
.LBB29_1865:
	s_or_b32 exec_lo, exec_lo, s6
	s_mov_b32 s0, 0
	s_mov_b32 s6, -1
	global_store_byte v[5:6], v8, off
.LBB29_1866:
	s_mov_b32 s7, 0
.LBB29_1867:
	s_and_b32 vcc_lo, exec_lo, s7
	s_cbranch_vccz .LBB29_1870
; %bb.1868:
	s_cmp_eq_u32 s4, 29
	s_mov_b32 s0, -1
	s_cbranch_scc0 .LBB29_1870
; %bb.1869:
	v_cvt_f32_f16_e32 v3, v1
	v_mov_b32_e32 v9, 0
	s_mov_b32 s0, 0
	s_mov_b32 s6, -1
	v_cvt_u32_f32_e32 v8, v3
	global_store_dwordx2 v[5:6], v[8:9], off
.LBB29_1870:
	s_mov_b32 s7, 0
.LBB29_1871:
	s_and_b32 vcc_lo, exec_lo, s7
	s_cbranch_vccz .LBB29_1887
; %bb.1872:
	s_cmp_lt_i32 s4, 27
	s_mov_b32 s6, -1
	s_cbranch_scc1 .LBB29_1878
; %bb.1873:
	s_cmp_gt_i32 s4, 27
	s_cbranch_scc0 .LBB29_1875
; %bb.1874:
	v_cvt_f32_f16_e32 v3, v1
	s_mov_b32 s6, 0
	v_cvt_u32_f32_e32 v3, v3
	global_store_dword v[5:6], v3, off
.LBB29_1875:
	s_andn2_b32 vcc_lo, exec_lo, s6
	s_cbranch_vccnz .LBB29_1877
; %bb.1876:
	v_cvt_u16_f16_e32 v3, v1
	global_store_short v[5:6], v3, off
.LBB29_1877:
	s_mov_b32 s6, 0
.LBB29_1878:
	s_andn2_b32 vcc_lo, exec_lo, s6
	s_cbranch_vccnz .LBB29_1886
; %bb.1879:
	v_cvt_f32_f16_e32 v3, v1
	v_mov_b32_e32 v9, 0x80
	s_mov_b32 s6, exec_lo
	v_and_b32_e32 v8, 0x7fffffff, v3
	v_cmpx_gt_u32_e32 0x43800000, v8
	s_cbranch_execz .LBB29_1885
; %bb.1880:
	v_cmp_lt_u32_e32 vcc_lo, 0x3bffffff, v8
	s_mov_b32 s7, 0
                                        ; implicit-def: $vgpr8
	s_and_saveexec_b32 s10, vcc_lo
	s_xor_b32 s10, exec_lo, s10
	s_cbranch_execz .LBB29_2335
; %bb.1881:
	v_bfe_u32 v8, v3, 20, 1
	s_mov_b32 s7, exec_lo
	v_add3_u32 v8, v3, v8, 0x487ffff
	v_lshrrev_b32_e32 v8, 20, v8
	s_andn2_saveexec_b32 s10, s10
	s_cbranch_execnz .LBB29_2336
.LBB29_1882:
	s_or_b32 exec_lo, exec_lo, s10
	v_mov_b32_e32 v9, 0
	s_and_saveexec_b32 s10, s7
.LBB29_1883:
	v_lshrrev_b32_e32 v3, 24, v3
	v_and_or_b32 v9, 0x80, v3, v8
.LBB29_1884:
	s_or_b32 exec_lo, exec_lo, s10
.LBB29_1885:
	s_or_b32 exec_lo, exec_lo, s6
	global_store_byte v[5:6], v9, off
.LBB29_1886:
	s_mov_b32 s6, -1
.LBB29_1887:
	s_mov_b32 s7, 0
.LBB29_1888:
	s_and_b32 vcc_lo, exec_lo, s7
	s_cbranch_vccz .LBB29_1928
; %bb.1889:
	s_cmp_gt_i32 s4, 22
	s_mov_b32 s5, -1
	s_cbranch_scc0 .LBB29_1921
; %bb.1890:
	s_cmp_lt_i32 s4, 24
	s_cbranch_scc1 .LBB29_1910
; %bb.1891:
	s_cmp_gt_i32 s4, 24
	s_cbranch_scc0 .LBB29_1899
; %bb.1892:
	v_cvt_f32_f16_e32 v3, v1
	v_mov_b32_e32 v9, 0x80
	s_mov_b32 s5, exec_lo
	v_and_b32_e32 v8, 0x7fffffff, v3
	v_cmpx_gt_u32_e32 0x47800000, v8
	s_cbranch_execz .LBB29_1898
; %bb.1893:
	v_cmp_lt_u32_e32 vcc_lo, 0x37ffffff, v8
	s_mov_b32 s6, 0
                                        ; implicit-def: $vgpr8
	s_and_saveexec_b32 s7, vcc_lo
	s_xor_b32 s7, exec_lo, s7
	s_cbranch_execz .LBB29_2338
; %bb.1894:
	v_bfe_u32 v8, v3, 21, 1
	s_mov_b32 s6, exec_lo
	v_add3_u32 v8, v3, v8, 0x88fffff
	v_lshrrev_b32_e32 v8, 21, v8
	s_andn2_saveexec_b32 s7, s7
	s_cbranch_execnz .LBB29_2339
.LBB29_1895:
	s_or_b32 exec_lo, exec_lo, s7
	v_mov_b32_e32 v9, 0
	s_and_saveexec_b32 s7, s6
.LBB29_1896:
	v_lshrrev_b32_e32 v3, 24, v3
	v_and_or_b32 v9, 0x80, v3, v8
.LBB29_1897:
	s_or_b32 exec_lo, exec_lo, s7
.LBB29_1898:
	s_or_b32 exec_lo, exec_lo, s5
	s_mov_b32 s5, 0
	global_store_byte v[5:6], v9, off
.LBB29_1899:
	s_and_b32 vcc_lo, exec_lo, s5
	s_cbranch_vccz .LBB29_1909
; %bb.1900:
	v_cvt_f32_f16_e32 v3, v1
	s_mov_b32 s5, exec_lo
                                        ; implicit-def: $vgpr8
	v_and_b32_e32 v9, 0x7fffffff, v3
	v_cmpx_gt_u32_e32 0x43f00000, v9
	s_xor_b32 s5, exec_lo, s5
	s_cbranch_execz .LBB29_1906
; %bb.1901:
	s_mov_b32 s6, exec_lo
                                        ; implicit-def: $vgpr8
	v_cmpx_lt_u32_e32 0x3c7fffff, v9
	s_xor_b32 s6, exec_lo, s6
; %bb.1902:
	v_bfe_u32 v8, v3, 20, 1
	v_add3_u32 v8, v3, v8, 0x407ffff
	v_and_b32_e32 v9, 0xff00000, v8
	v_lshrrev_b32_e32 v8, 20, v8
	v_cmp_ne_u32_e32 vcc_lo, 0x7f00000, v9
	v_cndmask_b32_e32 v8, 0x7e, v8, vcc_lo
; %bb.1903:
	s_andn2_saveexec_b32 s6, s6
; %bb.1904:
	v_add_f32_e64 v8, 0x46800000, |v3|
; %bb.1905:
	s_or_b32 exec_lo, exec_lo, s6
                                        ; implicit-def: $vgpr9
.LBB29_1906:
	s_andn2_saveexec_b32 s5, s5
; %bb.1907:
	v_mov_b32_e32 v8, 0x7f
	v_cmp_lt_u32_e32 vcc_lo, 0x7f800000, v9
	v_cndmask_b32_e32 v8, 0x7e, v8, vcc_lo
; %bb.1908:
	s_or_b32 exec_lo, exec_lo, s5
	v_lshrrev_b32_e32 v3, 24, v3
	v_and_or_b32 v3, 0x80, v3, v8
	global_store_byte v[5:6], v3, off
.LBB29_1909:
	s_mov_b32 s5, 0
.LBB29_1910:
	s_andn2_b32 vcc_lo, exec_lo, s5
	s_cbranch_vccnz .LBB29_1920
; %bb.1911:
	v_cvt_f32_f16_e32 v3, v1
	s_mov_b32 s5, exec_lo
                                        ; implicit-def: $vgpr8
	v_and_b32_e32 v9, 0x7fffffff, v3
	v_cmpx_gt_u32_e32 0x47800000, v9
	s_xor_b32 s5, exec_lo, s5
	s_cbranch_execz .LBB29_1917
; %bb.1912:
	s_mov_b32 s6, exec_lo
                                        ; implicit-def: $vgpr8
	v_cmpx_lt_u32_e32 0x387fffff, v9
	s_xor_b32 s6, exec_lo, s6
; %bb.1913:
	v_bfe_u32 v8, v3, 21, 1
	v_add3_u32 v8, v3, v8, 0x80fffff
	v_lshrrev_b32_e32 v8, 21, v8
; %bb.1914:
	s_andn2_saveexec_b32 s6, s6
; %bb.1915:
	v_add_f32_e64 v8, 0x43000000, |v3|
; %bb.1916:
	s_or_b32 exec_lo, exec_lo, s6
                                        ; implicit-def: $vgpr9
.LBB29_1917:
	s_andn2_saveexec_b32 s5, s5
; %bb.1918:
	v_mov_b32_e32 v8, 0x7f
	v_cmp_lt_u32_e32 vcc_lo, 0x7f800000, v9
	v_cndmask_b32_e32 v8, 0x7c, v8, vcc_lo
; %bb.1919:
	s_or_b32 exec_lo, exec_lo, s5
	v_lshrrev_b32_e32 v3, 24, v3
	v_and_or_b32 v3, 0x80, v3, v8
	global_store_byte v[5:6], v3, off
.LBB29_1920:
	s_mov_b32 s5, 0
	s_mov_b32 s6, -1
.LBB29_1921:
	s_andn2_b32 vcc_lo, exec_lo, s5
	s_mov_b32 s5, 0
	s_cbranch_vccnz .LBB29_1928
; %bb.1922:
	s_cmp_gt_i32 s4, 14
	s_mov_b32 s5, -1
	s_cbranch_scc0 .LBB29_1926
; %bb.1923:
	s_cmp_eq_u32 s4, 15
	s_mov_b32 s0, -1
	s_cbranch_scc0 .LBB29_1925
; %bb.1924:
	v_cvt_f32_f16_e32 v3, v1
	v_cmp_o_f16_e32 vcc_lo, v1, v1
	s_mov_b32 s0, 0
	s_mov_b32 s6, -1
	v_bfe_u32 v8, v3, 16, 1
	v_add3_u32 v3, v3, v8, 0x7fff
	v_mov_b32_e32 v8, 0x7fc0
	v_cndmask_b32_sdwa v3, v8, v3, vcc_lo dst_sel:DWORD dst_unused:UNUSED_PAD src0_sel:DWORD src1_sel:WORD_1
	global_store_short v[5:6], v3, off
.LBB29_1925:
	s_mov_b32 s5, 0
.LBB29_1926:
	s_and_b32 vcc_lo, exec_lo, s5
	s_mov_b32 s5, 0
	s_cbranch_vccz .LBB29_1928
; %bb.1927:
	s_cmp_lg_u32 s4, 11
	s_mov_b32 s5, -1
	s_cselect_b32 s0, -1, 0
.LBB29_1928:
	s_and_b32 vcc_lo, exec_lo, s0
	s_cbranch_vccnz .LBB29_2337
; %bb.1929:
	s_andn2_b32 vcc_lo, exec_lo, s5
	s_cbranch_vccnz .LBB29_1931
.LBB29_1930:
	v_and_b32_e32 v3, 0x7fff, v1
	s_mov_b32 s6, -1
	v_cmp_ne_u16_e32 vcc_lo, 0, v3
	v_cndmask_b32_e64 v3, 0, 1, vcc_lo
	global_store_byte v[5:6], v3, off
.LBB29_1931:
	s_mov_b32 s0, 0
	s_branch .LBB29_1978
.LBB29_1932:
	s_mov_b32 s0, 0
	s_mov_b32 s4, 0
                                        ; implicit-def: $vgpr0_vgpr1
                                        ; implicit-def: $sgpr1
                                        ; implicit-def: $vgpr7
.LBB29_1933:
	s_andn2_b32 s3, s12, exec_lo
	s_and_b32 s2, s2, exec_lo
	s_and_b32 s0, s0, exec_lo
	;; [unrolled: 1-line block ×3, first 2 shown]
	s_or_b32 s12, s3, s2
.LBB29_1934:
	s_or_b32 exec_lo, exec_lo, s13
	s_and_saveexec_b32 s2, s12
	s_cbranch_execz .LBB29_1937
; %bb.1935:
	; divergent unreachable
	s_or_b32 exec_lo, exec_lo, s2
	s_and_saveexec_b32 s2, s26
	s_xor_b32 s2, exec_lo, s2
	s_cbranch_execnz .LBB29_1938
.LBB29_1936:
	s_or_b32 exec_lo, exec_lo, s2
	s_and_saveexec_b32 s2, s0
	s_cbranch_execnz .LBB29_1939
	s_branch .LBB29_1976
.LBB29_1937:
	s_or_b32 exec_lo, exec_lo, s2
	s_and_saveexec_b32 s2, s26
	s_xor_b32 s2, exec_lo, s2
	s_cbranch_execz .LBB29_1936
.LBB29_1938:
	v_and_b32_e32 v2, 0x7fff, v7
	v_cmp_ne_u16_e32 vcc_lo, 0, v2
	v_cndmask_b32_e64 v2, 0, 1, vcc_lo
	global_store_byte v[0:1], v2, off
	s_or_b32 exec_lo, exec_lo, s2
	s_and_saveexec_b32 s2, s0
	s_cbranch_execz .LBB29_1976
.LBB29_1939:
	s_sext_i32_i16 s2, s1
	s_mov_b32 s0, -1
	s_cmp_lt_i32 s2, 5
	s_cbranch_scc1 .LBB29_1960
; %bb.1940:
	s_cmp_lt_i32 s2, 8
	s_cbranch_scc1 .LBB29_1950
; %bb.1941:
	;; [unrolled: 3-line block ×3, first 2 shown]
	s_cmp_gt_i32 s2, 9
	s_cbranch_scc0 .LBB29_1944
; %bb.1943:
	v_cvt_f32_f16_e32 v2, v7
	s_waitcnt vmcnt(0)
	v_mov_b32_e32 v4, 0
	s_mov_b32 s0, 0
	v_cvt_f64_f32_e32 v[2:3], v2
	v_mov_b32_e32 v5, v4
	global_store_dwordx4 v[0:1], v[2:5], off
.LBB29_1944:
	s_andn2_b32 vcc_lo, exec_lo, s0
	s_cbranch_vccnz .LBB29_1946
; %bb.1945:
	v_cvt_f32_f16_e32 v2, v7
	s_waitcnt vmcnt(0)
	v_mov_b32_e32 v3, 0
	global_store_dwordx2 v[0:1], v[2:3], off
.LBB29_1946:
	s_mov_b32 s0, 0
.LBB29_1947:
	s_andn2_b32 vcc_lo, exec_lo, s0
	s_cbranch_vccnz .LBB29_1949
; %bb.1948:
	v_and_b32_e32 v2, 0xffff, v7
	global_store_dword v[0:1], v2, off
.LBB29_1949:
	s_mov_b32 s0, 0
.LBB29_1950:
	s_andn2_b32 vcc_lo, exec_lo, s0
	s_cbranch_vccnz .LBB29_1959
; %bb.1951:
	s_sext_i32_i16 s2, s1
	s_mov_b32 s0, -1
	s_cmp_lt_i32 s2, 6
	s_cbranch_scc1 .LBB29_1957
; %bb.1952:
	s_cmp_gt_i32 s2, 6
	s_cbranch_scc0 .LBB29_1954
; %bb.1953:
	v_cvt_f32_f16_e32 v2, v7
	s_mov_b32 s0, 0
	s_waitcnt vmcnt(0)
	v_cvt_f64_f32_e32 v[2:3], v2
	global_store_dwordx2 v[0:1], v[2:3], off
.LBB29_1954:
	s_andn2_b32 vcc_lo, exec_lo, s0
	s_cbranch_vccnz .LBB29_1956
; %bb.1955:
	v_cvt_f32_f16_e32 v2, v7
	global_store_dword v[0:1], v2, off
.LBB29_1956:
	s_mov_b32 s0, 0
.LBB29_1957:
	s_andn2_b32 vcc_lo, exec_lo, s0
	s_cbranch_vccnz .LBB29_1959
; %bb.1958:
	global_store_short v[0:1], v7, off
.LBB29_1959:
	s_mov_b32 s0, 0
.LBB29_1960:
	s_andn2_b32 vcc_lo, exec_lo, s0
	s_cbranch_vccnz .LBB29_1976
; %bb.1961:
	s_sext_i32_i16 s2, s1
	s_mov_b32 s0, -1
	s_cmp_lt_i32 s2, 2
	s_cbranch_scc1 .LBB29_1971
; %bb.1962:
	s_cmp_lt_i32 s2, 3
	s_cbranch_scc1 .LBB29_1968
; %bb.1963:
	s_cmp_gt_i32 s2, 3
	s_cbranch_scc0 .LBB29_1965
; %bb.1964:
	v_cvt_f32_f16_e32 v2, v7
	s_mov_b32 s0, 0
	v_cvt_i32_f32_e32 v2, v2
	s_waitcnt vmcnt(0)
	v_ashrrev_i32_e32 v3, 31, v2
	global_store_dwordx2 v[0:1], v[2:3], off
.LBB29_1965:
	s_andn2_b32 vcc_lo, exec_lo, s0
	s_cbranch_vccnz .LBB29_1967
; %bb.1966:
	v_cvt_f32_f16_e32 v2, v7
	v_cvt_i32_f32_e32 v2, v2
	global_store_dword v[0:1], v2, off
.LBB29_1967:
	s_mov_b32 s0, 0
.LBB29_1968:
	s_andn2_b32 vcc_lo, exec_lo, s0
	s_cbranch_vccnz .LBB29_1970
; %bb.1969:
	v_cvt_i16_f16_e32 v2, v7
	global_store_short v[0:1], v2, off
.LBB29_1970:
	s_mov_b32 s0, 0
.LBB29_1971:
	s_andn2_b32 vcc_lo, exec_lo, s0
	s_cbranch_vccnz .LBB29_1976
; %bb.1972:
	s_sext_i32_i16 s0, s1
	s_cmp_gt_i32 s0, 0
	s_mov_b32 s0, -1
	s_cbranch_scc0 .LBB29_1974
; %bb.1973:
	v_cvt_i16_f16_e32 v2, v7
	s_mov_b32 s0, 0
	global_store_byte v[0:1], v2, off
.LBB29_1974:
	s_andn2_b32 vcc_lo, exec_lo, s0
	s_cbranch_vccnz .LBB29_1976
; %bb.1975:
	v_cvt_f32_f16_e32 v2, v7
	v_cvt_i32_f32_e32 v2, v2
	global_store_byte v[0:1], v2, off
	s_endpgm
.LBB29_1976:
	s_endpgm
.LBB29_1977:
	s_mov_b32 s0, -1
	s_mov_b32 s6, 0
.LBB29_1978:
	s_and_b32 vcc_lo, exec_lo, s0
	s_cbranch_vccz .LBB29_2017
; %bb.1979:
	s_and_b32 s0, 0xffff, s1
	s_mov_b32 s1, -1
	s_cmp_lt_i32 s0, 5
	s_cbranch_scc1 .LBB29_2000
; %bb.1980:
	s_cmp_lt_i32 s0, 8
	s_cbranch_scc1 .LBB29_1990
; %bb.1981:
	;; [unrolled: 3-line block ×3, first 2 shown]
	s_cmp_gt_i32 s0, 9
	s_cbranch_scc0 .LBB29_1984
; %bb.1983:
	v_cvt_f32_f16_e32 v3, v1
	v_mov_b32_e32 v10, 0
	s_mov_b32 s1, 0
	v_cvt_f64_f32_e32 v[8:9], v3
	v_mov_b32_e32 v11, v10
	global_store_dwordx4 v[5:6], v[8:11], off
.LBB29_1984:
	s_andn2_b32 vcc_lo, exec_lo, s1
	s_cbranch_vccnz .LBB29_1986
; %bb.1985:
	v_cvt_f32_f16_e32 v8, v1
	v_mov_b32_e32 v9, 0
	global_store_dwordx2 v[5:6], v[8:9], off
.LBB29_1986:
	s_mov_b32 s1, 0
.LBB29_1987:
	s_andn2_b32 vcc_lo, exec_lo, s1
	s_cbranch_vccnz .LBB29_1989
; %bb.1988:
	v_and_b32_e32 v3, 0xffff, v1
	global_store_dword v[5:6], v3, off
.LBB29_1989:
	s_mov_b32 s1, 0
.LBB29_1990:
	s_andn2_b32 vcc_lo, exec_lo, s1
	s_cbranch_vccnz .LBB29_1999
; %bb.1991:
	s_cmp_lt_i32 s0, 6
	s_mov_b32 s1, -1
	s_cbranch_scc1 .LBB29_1997
; %bb.1992:
	s_cmp_gt_i32 s0, 6
	s_cbranch_scc0 .LBB29_1994
; %bb.1993:
	v_cvt_f32_f16_e32 v3, v1
	s_mov_b32 s1, 0
	v_cvt_f64_f32_e32 v[8:9], v3
	global_store_dwordx2 v[5:6], v[8:9], off
.LBB29_1994:
	s_andn2_b32 vcc_lo, exec_lo, s1
	s_cbranch_vccnz .LBB29_1996
; %bb.1995:
	v_cvt_f32_f16_e32 v3, v1
	global_store_dword v[5:6], v3, off
.LBB29_1996:
	s_mov_b32 s1, 0
.LBB29_1997:
	s_andn2_b32 vcc_lo, exec_lo, s1
	s_cbranch_vccnz .LBB29_1999
; %bb.1998:
	global_store_short v[5:6], v1, off
.LBB29_1999:
	s_mov_b32 s1, 0
.LBB29_2000:
	s_andn2_b32 vcc_lo, exec_lo, s1
	s_cbranch_vccnz .LBB29_2016
; %bb.2001:
	s_cmp_lt_i32 s0, 2
	s_mov_b32 s1, -1
	s_cbranch_scc1 .LBB29_2011
; %bb.2002:
	s_cmp_lt_i32 s0, 3
	s_cbranch_scc1 .LBB29_2008
; %bb.2003:
	s_cmp_gt_i32 s0, 3
	s_cbranch_scc0 .LBB29_2005
; %bb.2004:
	v_cvt_f32_f16_e32 v3, v1
	s_mov_b32 s1, 0
	v_cvt_i32_f32_e32 v8, v3
	v_ashrrev_i32_e32 v9, 31, v8
	global_store_dwordx2 v[5:6], v[8:9], off
.LBB29_2005:
	s_andn2_b32 vcc_lo, exec_lo, s1
	s_cbranch_vccnz .LBB29_2007
; %bb.2006:
	v_cvt_f32_f16_e32 v3, v1
	v_cvt_i32_f32_e32 v3, v3
	global_store_dword v[5:6], v3, off
.LBB29_2007:
	s_mov_b32 s1, 0
.LBB29_2008:
	s_andn2_b32 vcc_lo, exec_lo, s1
	s_cbranch_vccnz .LBB29_2010
; %bb.2009:
	v_cvt_i16_f16_e32 v3, v1
	global_store_short v[5:6], v3, off
.LBB29_2010:
	s_mov_b32 s1, 0
.LBB29_2011:
	s_andn2_b32 vcc_lo, exec_lo, s1
	s_cbranch_vccnz .LBB29_2016
; %bb.2012:
	s_cmp_gt_i32 s0, 0
	s_mov_b32 s0, -1
	s_cbranch_scc0 .LBB29_2014
; %bb.2013:
	v_cvt_i16_f16_e32 v3, v1
	s_mov_b32 s0, 0
	global_store_byte v[5:6], v3, off
.LBB29_2014:
	s_andn2_b32 vcc_lo, exec_lo, s0
	s_cbranch_vccnz .LBB29_2016
; %bb.2015:
	v_cvt_f32_f16_e32 v1, v1
	v_cvt_i32_f32_e32 v1, v1
	global_store_byte v[5:6], v1, off
.LBB29_2016:
	s_mov_b32 s6, -1
.LBB29_2017:
	s_andn2_b32 vcc_lo, exec_lo, s6
	s_cbranch_vccnz .LBB29_2332
; %bb.2018:
	s_lshr_b32 s0, s3, 8
	s_and_b32 s1, s0, 0xff
	v_add_co_u32 v3, s0, s8, v4
	v_add_co_ci_u32_e64 v4, null, s9, 0, s0
	s_cmp_lt_i32 s1, 11
	s_cbranch_scc1 .LBB29_2096
; %bb.2019:
	s_and_b32 s3, 0xffff, s1
	s_mov_b32 s6, -1
	s_mov_b32 s4, 0
	s_cmp_gt_i32 s3, 25
	s_mov_b32 s5, 0
	s_mov_b32 s0, 0
	s_cbranch_scc0 .LBB29_2052
; %bb.2020:
	s_cmp_gt_i32 s3, 28
	s_cbranch_scc0 .LBB29_2035
; %bb.2021:
	s_cmp_gt_i32 s3, 43
	;; [unrolled: 3-line block ×3, first 2 shown]
	s_cbranch_scc0 .LBB29_2025
; %bb.2023:
	s_mov_b32 s0, -1
	s_mov_b32 s6, 0
	s_cmp_eq_u32 s3, 46
	s_cbranch_scc0 .LBB29_2025
; %bb.2024:
	v_cvt_f32_f16_e32 v1, v14
	v_cmp_o_f16_e32 vcc_lo, v14, v14
	s_mov_b32 s0, 0
	s_mov_b32 s5, -1
	v_bfe_u32 v5, v1, 16, 1
	v_add3_u32 v1, v1, v5, 0x7fff
	v_mov_b32_e32 v5, 0x7fc0
	v_cndmask_b32_sdwa v1, v5, v1, vcc_lo dst_sel:DWORD dst_unused:UNUSED_PAD src0_sel:DWORD src1_sel:WORD_1
	global_store_dword v[3:4], v1, off
.LBB29_2025:
	s_and_b32 vcc_lo, exec_lo, s6
	s_cbranch_vccz .LBB29_2030
; %bb.2026:
	s_cmp_eq_u32 s3, 44
	s_mov_b32 s0, -1
	s_cbranch_scc0 .LBB29_2030
; %bb.2027:
	v_cvt_f32_f16_e32 v1, v14
	v_mov_b32_e32 v5, 0xff
	s_mov_b32 s5, exec_lo
	v_bfe_u32 v6, v1, 23, 8
	v_cmpx_ne_u32_e32 0xff, v6
	s_cbranch_execz .LBB29_2029
; %bb.2028:
	v_and_b32_e32 v5, 0x400000, v1
	v_and_or_b32 v6, 0x3fffff, v1, v6
	v_lshrrev_b32_e32 v1, 23, v1
	v_cmp_ne_u32_e32 vcc_lo, 0, v5
	v_cmp_ne_u32_e64 s0, 0, v6
	s_and_b32 s0, vcc_lo, s0
	v_cndmask_b32_e64 v5, 0, 1, s0
	v_add_nc_u32_e32 v5, v1, v5
.LBB29_2029:
	s_or_b32 exec_lo, exec_lo, s5
	s_mov_b32 s0, 0
	s_mov_b32 s5, -1
	global_store_byte v[3:4], v5, off
.LBB29_2030:
	s_mov_b32 s6, 0
.LBB29_2031:
	s_and_b32 vcc_lo, exec_lo, s6
	s_cbranch_vccz .LBB29_2034
; %bb.2032:
	s_cmp_eq_u32 s3, 29
	s_mov_b32 s0, -1
	s_cbranch_scc0 .LBB29_2034
; %bb.2033:
	v_cvt_f32_f16_e32 v1, v14
	v_mov_b32_e32 v6, 0
	s_mov_b32 s0, 0
	s_mov_b32 s5, -1
	v_cvt_u32_f32_e32 v5, v1
	global_store_dwordx2 v[3:4], v[5:6], off
.LBB29_2034:
	s_mov_b32 s6, 0
.LBB29_2035:
	s_and_b32 vcc_lo, exec_lo, s6
	s_cbranch_vccz .LBB29_2051
; %bb.2036:
	s_cmp_lt_i32 s3, 27
	s_mov_b32 s5, -1
	s_cbranch_scc1 .LBB29_2042
; %bb.2037:
	s_cmp_gt_i32 s3, 27
	s_cbranch_scc0 .LBB29_2039
; %bb.2038:
	v_cvt_f32_f16_e32 v1, v14
	s_mov_b32 s5, 0
	v_cvt_u32_f32_e32 v1, v1
	global_store_dword v[3:4], v1, off
.LBB29_2039:
	s_andn2_b32 vcc_lo, exec_lo, s5
	s_cbranch_vccnz .LBB29_2041
; %bb.2040:
	v_cvt_u16_f16_e32 v1, v14
	global_store_short v[3:4], v1, off
.LBB29_2041:
	s_mov_b32 s5, 0
.LBB29_2042:
	s_andn2_b32 vcc_lo, exec_lo, s5
	s_cbranch_vccnz .LBB29_2050
; %bb.2043:
	v_cvt_f32_f16_e32 v1, v14
	v_mov_b32_e32 v6, 0x80
	s_mov_b32 s5, exec_lo
	v_and_b32_e32 v5, 0x7fffffff, v1
	v_cmpx_gt_u32_e32 0x43800000, v5
	s_cbranch_execz .LBB29_2049
; %bb.2044:
	v_cmp_lt_u32_e32 vcc_lo, 0x3bffffff, v5
	s_mov_b32 s6, 0
                                        ; implicit-def: $vgpr5
	s_and_saveexec_b32 s7, vcc_lo
	s_xor_b32 s7, exec_lo, s7
	s_cbranch_execz .LBB29_2340
; %bb.2045:
	v_bfe_u32 v5, v1, 20, 1
	s_mov_b32 s6, exec_lo
	v_add3_u32 v5, v1, v5, 0x487ffff
	v_lshrrev_b32_e32 v5, 20, v5
	s_andn2_saveexec_b32 s7, s7
	s_cbranch_execnz .LBB29_2341
.LBB29_2046:
	s_or_b32 exec_lo, exec_lo, s7
	v_mov_b32_e32 v6, 0
	s_and_saveexec_b32 s7, s6
.LBB29_2047:
	v_lshrrev_b32_e32 v1, 24, v1
	v_and_or_b32 v6, 0x80, v1, v5
.LBB29_2048:
	s_or_b32 exec_lo, exec_lo, s7
.LBB29_2049:
	s_or_b32 exec_lo, exec_lo, s5
	global_store_byte v[3:4], v6, off
.LBB29_2050:
	s_mov_b32 s5, -1
.LBB29_2051:
	s_mov_b32 s6, 0
.LBB29_2052:
	s_and_b32 vcc_lo, exec_lo, s6
	s_cbranch_vccz .LBB29_2092
; %bb.2053:
	s_cmp_gt_i32 s3, 22
	s_mov_b32 s4, -1
	s_cbranch_scc0 .LBB29_2085
; %bb.2054:
	s_cmp_lt_i32 s3, 24
	s_cbranch_scc1 .LBB29_2074
; %bb.2055:
	s_cmp_gt_i32 s3, 24
	s_cbranch_scc0 .LBB29_2063
; %bb.2056:
	v_cvt_f32_f16_e32 v1, v14
	v_mov_b32_e32 v6, 0x80
	s_mov_b32 s4, exec_lo
	v_and_b32_e32 v5, 0x7fffffff, v1
	v_cmpx_gt_u32_e32 0x47800000, v5
	s_cbranch_execz .LBB29_2062
; %bb.2057:
	v_cmp_lt_u32_e32 vcc_lo, 0x37ffffff, v5
	s_mov_b32 s5, 0
                                        ; implicit-def: $vgpr5
	s_and_saveexec_b32 s6, vcc_lo
	s_xor_b32 s6, exec_lo, s6
	s_cbranch_execz .LBB29_2343
; %bb.2058:
	v_bfe_u32 v5, v1, 21, 1
	s_mov_b32 s5, exec_lo
	v_add3_u32 v5, v1, v5, 0x88fffff
	v_lshrrev_b32_e32 v5, 21, v5
	s_andn2_saveexec_b32 s6, s6
	s_cbranch_execnz .LBB29_2344
.LBB29_2059:
	s_or_b32 exec_lo, exec_lo, s6
	v_mov_b32_e32 v6, 0
	s_and_saveexec_b32 s6, s5
.LBB29_2060:
	v_lshrrev_b32_e32 v1, 24, v1
	v_and_or_b32 v6, 0x80, v1, v5
.LBB29_2061:
	s_or_b32 exec_lo, exec_lo, s6
.LBB29_2062:
	s_or_b32 exec_lo, exec_lo, s4
	s_mov_b32 s4, 0
	global_store_byte v[3:4], v6, off
.LBB29_2063:
	s_and_b32 vcc_lo, exec_lo, s4
	s_cbranch_vccz .LBB29_2073
; %bb.2064:
	v_cvt_f32_f16_e32 v1, v14
	s_mov_b32 s4, exec_lo
                                        ; implicit-def: $vgpr5
	v_and_b32_e32 v6, 0x7fffffff, v1
	v_cmpx_gt_u32_e32 0x43f00000, v6
	s_xor_b32 s4, exec_lo, s4
	s_cbranch_execz .LBB29_2070
; %bb.2065:
	s_mov_b32 s5, exec_lo
                                        ; implicit-def: $vgpr5
	v_cmpx_lt_u32_e32 0x3c7fffff, v6
	s_xor_b32 s5, exec_lo, s5
; %bb.2066:
	v_bfe_u32 v5, v1, 20, 1
	v_add3_u32 v5, v1, v5, 0x407ffff
	v_and_b32_e32 v6, 0xff00000, v5
	v_lshrrev_b32_e32 v5, 20, v5
	v_cmp_ne_u32_e32 vcc_lo, 0x7f00000, v6
	v_cndmask_b32_e32 v5, 0x7e, v5, vcc_lo
; %bb.2067:
	s_andn2_saveexec_b32 s5, s5
; %bb.2068:
	v_add_f32_e64 v5, 0x46800000, |v1|
; %bb.2069:
	s_or_b32 exec_lo, exec_lo, s5
                                        ; implicit-def: $vgpr6
.LBB29_2070:
	s_andn2_saveexec_b32 s4, s4
; %bb.2071:
	v_mov_b32_e32 v5, 0x7f
	v_cmp_lt_u32_e32 vcc_lo, 0x7f800000, v6
	v_cndmask_b32_e32 v5, 0x7e, v5, vcc_lo
; %bb.2072:
	s_or_b32 exec_lo, exec_lo, s4
	v_lshrrev_b32_e32 v1, 24, v1
	v_and_or_b32 v1, 0x80, v1, v5
	global_store_byte v[3:4], v1, off
.LBB29_2073:
	s_mov_b32 s4, 0
.LBB29_2074:
	s_andn2_b32 vcc_lo, exec_lo, s4
	s_cbranch_vccnz .LBB29_2084
; %bb.2075:
	v_cvt_f32_f16_e32 v1, v14
	s_mov_b32 s4, exec_lo
                                        ; implicit-def: $vgpr5
	v_and_b32_e32 v6, 0x7fffffff, v1
	v_cmpx_gt_u32_e32 0x47800000, v6
	s_xor_b32 s4, exec_lo, s4
	s_cbranch_execz .LBB29_2081
; %bb.2076:
	s_mov_b32 s5, exec_lo
                                        ; implicit-def: $vgpr5
	v_cmpx_lt_u32_e32 0x387fffff, v6
	s_xor_b32 s5, exec_lo, s5
; %bb.2077:
	v_bfe_u32 v5, v1, 21, 1
	v_add3_u32 v5, v1, v5, 0x80fffff
	v_lshrrev_b32_e32 v5, 21, v5
; %bb.2078:
	s_andn2_saveexec_b32 s5, s5
; %bb.2079:
	v_add_f32_e64 v5, 0x43000000, |v1|
; %bb.2080:
	s_or_b32 exec_lo, exec_lo, s5
                                        ; implicit-def: $vgpr6
.LBB29_2081:
	s_andn2_saveexec_b32 s4, s4
; %bb.2082:
	v_mov_b32_e32 v5, 0x7f
	v_cmp_lt_u32_e32 vcc_lo, 0x7f800000, v6
	v_cndmask_b32_e32 v5, 0x7c, v5, vcc_lo
; %bb.2083:
	s_or_b32 exec_lo, exec_lo, s4
	v_lshrrev_b32_e32 v1, 24, v1
	v_and_or_b32 v1, 0x80, v1, v5
	global_store_byte v[3:4], v1, off
.LBB29_2084:
	s_mov_b32 s4, 0
	s_mov_b32 s5, -1
.LBB29_2085:
	s_andn2_b32 vcc_lo, exec_lo, s4
	s_mov_b32 s4, 0
	s_cbranch_vccnz .LBB29_2092
; %bb.2086:
	s_cmp_gt_i32 s3, 14
	s_mov_b32 s4, -1
	s_cbranch_scc0 .LBB29_2090
; %bb.2087:
	s_cmp_eq_u32 s3, 15
	s_mov_b32 s0, -1
	s_cbranch_scc0 .LBB29_2089
; %bb.2088:
	v_cvt_f32_f16_e32 v1, v14
	v_cmp_o_f16_e32 vcc_lo, v14, v14
	s_mov_b32 s0, 0
	s_mov_b32 s5, -1
	v_bfe_u32 v5, v1, 16, 1
	v_add3_u32 v1, v1, v5, 0x7fff
	v_mov_b32_e32 v5, 0x7fc0
	v_cndmask_b32_sdwa v1, v5, v1, vcc_lo dst_sel:DWORD dst_unused:UNUSED_PAD src0_sel:DWORD src1_sel:WORD_1
	global_store_short v[3:4], v1, off
.LBB29_2089:
	s_mov_b32 s4, 0
.LBB29_2090:
	s_and_b32 vcc_lo, exec_lo, s4
	s_mov_b32 s4, 0
	s_cbranch_vccz .LBB29_2092
; %bb.2091:
	s_cmp_lg_u32 s3, 11
	s_mov_b32 s4, -1
	s_cselect_b32 s0, -1, 0
.LBB29_2092:
	s_and_b32 vcc_lo, exec_lo, s0
	s_cbranch_vccnz .LBB29_2342
; %bb.2093:
	s_andn2_b32 vcc_lo, exec_lo, s4
	s_cbranch_vccnz .LBB29_2095
.LBB29_2094:
	v_and_b32_e32 v1, 0x7fff, v14
	s_mov_b32 s5, -1
	v_cmp_ne_u16_e32 vcc_lo, 0, v1
	v_cndmask_b32_e64 v1, 0, 1, vcc_lo
	global_store_byte v[3:4], v1, off
.LBB29_2095:
	s_mov_b32 s0, 0
	s_branch .LBB29_2097
.LBB29_2096:
	s_mov_b32 s0, -1
	s_mov_b32 s5, 0
.LBB29_2097:
	s_and_b32 vcc_lo, exec_lo, s0
	s_cbranch_vccz .LBB29_2136
; %bb.2098:
	s_and_b32 s0, 0xffff, s1
	s_mov_b32 s3, -1
	s_cmp_lt_i32 s0, 5
	s_cbranch_scc1 .LBB29_2119
; %bb.2099:
	s_cmp_lt_i32 s0, 8
	s_cbranch_scc1 .LBB29_2109
; %bb.2100:
	;; [unrolled: 3-line block ×3, first 2 shown]
	s_cmp_gt_i32 s0, 9
	s_cbranch_scc0 .LBB29_2103
; %bb.2102:
	v_cvt_f32_f16_e32 v1, v14
	v_mov_b32_e32 v10, 0
	s_mov_b32 s3, 0
	v_cvt_f64_f32_e32 v[8:9], v1
	v_mov_b32_e32 v11, v10
	global_store_dwordx4 v[3:4], v[8:11], off
.LBB29_2103:
	s_andn2_b32 vcc_lo, exec_lo, s3
	s_cbranch_vccnz .LBB29_2105
; %bb.2104:
	v_cvt_f32_f16_e32 v5, v14
	v_mov_b32_e32 v6, 0
	global_store_dwordx2 v[3:4], v[5:6], off
.LBB29_2105:
	s_mov_b32 s3, 0
.LBB29_2106:
	s_andn2_b32 vcc_lo, exec_lo, s3
	s_cbranch_vccnz .LBB29_2108
; %bb.2107:
	v_and_b32_e32 v1, 0xffff, v14
	global_store_dword v[3:4], v1, off
.LBB29_2108:
	s_mov_b32 s3, 0
.LBB29_2109:
	s_andn2_b32 vcc_lo, exec_lo, s3
	s_cbranch_vccnz .LBB29_2118
; %bb.2110:
	s_cmp_lt_i32 s0, 6
	s_mov_b32 s3, -1
	s_cbranch_scc1 .LBB29_2116
; %bb.2111:
	s_cmp_gt_i32 s0, 6
	s_cbranch_scc0 .LBB29_2113
; %bb.2112:
	v_cvt_f32_f16_e32 v1, v14
	s_mov_b32 s3, 0
	v_cvt_f64_f32_e32 v[5:6], v1
	global_store_dwordx2 v[3:4], v[5:6], off
.LBB29_2113:
	s_andn2_b32 vcc_lo, exec_lo, s3
	s_cbranch_vccnz .LBB29_2115
; %bb.2114:
	v_cvt_f32_f16_e32 v1, v14
	global_store_dword v[3:4], v1, off
.LBB29_2115:
	s_mov_b32 s3, 0
.LBB29_2116:
	s_andn2_b32 vcc_lo, exec_lo, s3
	s_cbranch_vccnz .LBB29_2118
; %bb.2117:
	global_store_short v[3:4], v14, off
.LBB29_2118:
	s_mov_b32 s3, 0
.LBB29_2119:
	s_andn2_b32 vcc_lo, exec_lo, s3
	s_cbranch_vccnz .LBB29_2135
; %bb.2120:
	s_cmp_lt_i32 s0, 2
	s_mov_b32 s3, -1
	s_cbranch_scc1 .LBB29_2130
; %bb.2121:
	s_cmp_lt_i32 s0, 3
	s_cbranch_scc1 .LBB29_2127
; %bb.2122:
	s_cmp_gt_i32 s0, 3
	s_cbranch_scc0 .LBB29_2124
; %bb.2123:
	v_cvt_f32_f16_e32 v1, v14
	s_mov_b32 s3, 0
	v_cvt_i32_f32_e32 v5, v1
	v_ashrrev_i32_e32 v6, 31, v5
	global_store_dwordx2 v[3:4], v[5:6], off
.LBB29_2124:
	s_andn2_b32 vcc_lo, exec_lo, s3
	s_cbranch_vccnz .LBB29_2126
; %bb.2125:
	v_cvt_f32_f16_e32 v1, v14
	v_cvt_i32_f32_e32 v1, v1
	global_store_dword v[3:4], v1, off
.LBB29_2126:
	s_mov_b32 s3, 0
.LBB29_2127:
	s_andn2_b32 vcc_lo, exec_lo, s3
	s_cbranch_vccnz .LBB29_2129
; %bb.2128:
	v_cvt_i16_f16_e32 v1, v14
	global_store_short v[3:4], v1, off
.LBB29_2129:
	s_mov_b32 s3, 0
.LBB29_2130:
	s_andn2_b32 vcc_lo, exec_lo, s3
	s_cbranch_vccnz .LBB29_2135
; %bb.2131:
	s_cmp_gt_i32 s0, 0
	s_mov_b32 s0, -1
	s_cbranch_scc0 .LBB29_2133
; %bb.2132:
	v_cvt_i16_f16_e32 v1, v14
	s_mov_b32 s0, 0
	global_store_byte v[3:4], v1, off
.LBB29_2133:
	s_andn2_b32 vcc_lo, exec_lo, s0
	s_cbranch_vccnz .LBB29_2135
; %bb.2134:
	v_cvt_f32_f16_e32 v1, v14
	v_cvt_i32_f32_e32 v1, v1
	global_store_byte v[3:4], v1, off
.LBB29_2135:
	s_mov_b32 s5, -1
.LBB29_2136:
	s_andn2_b32 vcc_lo, exec_lo, s5
	s_cbranch_vccnz .LBB29_2332
; %bb.2137:
	v_add_co_u32 v1, s0, s8, v2
	v_add_co_ci_u32_e64 v2, null, s9, 0, s0
	s_cmp_lt_i32 s1, 11
	s_cbranch_scc1 .LBB29_2215
; %bb.2138:
	s_and_b32 s3, 0xffff, s1
	s_mov_b32 s6, -1
	s_mov_b32 s4, 0
	s_cmp_gt_i32 s3, 25
	s_mov_b32 s5, 0
	s_mov_b32 s0, 0
	s_cbranch_scc0 .LBB29_2171
; %bb.2139:
	s_cmp_gt_i32 s3, 28
	s_cbranch_scc0 .LBB29_2154
; %bb.2140:
	s_cmp_gt_i32 s3, 43
	;; [unrolled: 3-line block ×3, first 2 shown]
	s_cbranch_scc0 .LBB29_2144
; %bb.2142:
	s_mov_b32 s0, -1
	s_mov_b32 s6, 0
	s_cmp_eq_u32 s3, 46
	s_cbranch_scc0 .LBB29_2144
; %bb.2143:
	v_cvt_f32_f16_e32 v3, v13
	v_cmp_o_f16_e32 vcc_lo, v13, v13
	s_mov_b32 s0, 0
	s_mov_b32 s5, -1
	v_bfe_u32 v4, v3, 16, 1
	v_add3_u32 v3, v3, v4, 0x7fff
	v_mov_b32_e32 v4, 0x7fc0
	v_cndmask_b32_sdwa v3, v4, v3, vcc_lo dst_sel:DWORD dst_unused:UNUSED_PAD src0_sel:DWORD src1_sel:WORD_1
	global_store_dword v[1:2], v3, off
.LBB29_2144:
	s_and_b32 vcc_lo, exec_lo, s6
	s_cbranch_vccz .LBB29_2149
; %bb.2145:
	s_cmp_eq_u32 s3, 44
	s_mov_b32 s0, -1
	s_cbranch_scc0 .LBB29_2149
; %bb.2146:
	v_cvt_f32_f16_e32 v3, v13
	v_mov_b32_e32 v4, 0xff
	s_mov_b32 s5, exec_lo
	v_bfe_u32 v5, v3, 23, 8
	v_cmpx_ne_u32_e32 0xff, v5
	s_cbranch_execz .LBB29_2148
; %bb.2147:
	v_and_b32_e32 v4, 0x400000, v3
	v_and_or_b32 v5, 0x3fffff, v3, v5
	v_lshrrev_b32_e32 v3, 23, v3
	v_cmp_ne_u32_e32 vcc_lo, 0, v4
	v_cmp_ne_u32_e64 s0, 0, v5
	s_and_b32 s0, vcc_lo, s0
	v_cndmask_b32_e64 v4, 0, 1, s0
	v_add_nc_u32_e32 v4, v3, v4
.LBB29_2148:
	s_or_b32 exec_lo, exec_lo, s5
	s_mov_b32 s0, 0
	s_mov_b32 s5, -1
	global_store_byte v[1:2], v4, off
.LBB29_2149:
	s_mov_b32 s6, 0
.LBB29_2150:
	s_and_b32 vcc_lo, exec_lo, s6
	s_cbranch_vccz .LBB29_2153
; %bb.2151:
	s_cmp_eq_u32 s3, 29
	s_mov_b32 s0, -1
	s_cbranch_scc0 .LBB29_2153
; %bb.2152:
	v_cvt_f32_f16_e32 v3, v13
	v_mov_b32_e32 v4, 0
	s_mov_b32 s0, 0
	s_mov_b32 s5, -1
	v_cvt_u32_f32_e32 v3, v3
	global_store_dwordx2 v[1:2], v[3:4], off
.LBB29_2153:
	s_mov_b32 s6, 0
.LBB29_2154:
	s_and_b32 vcc_lo, exec_lo, s6
	s_cbranch_vccz .LBB29_2170
; %bb.2155:
	s_cmp_lt_i32 s3, 27
	s_mov_b32 s5, -1
	s_cbranch_scc1 .LBB29_2161
; %bb.2156:
	s_cmp_gt_i32 s3, 27
	s_cbranch_scc0 .LBB29_2158
; %bb.2157:
	v_cvt_f32_f16_e32 v3, v13
	s_mov_b32 s5, 0
	v_cvt_u32_f32_e32 v3, v3
	global_store_dword v[1:2], v3, off
.LBB29_2158:
	s_andn2_b32 vcc_lo, exec_lo, s5
	s_cbranch_vccnz .LBB29_2160
; %bb.2159:
	v_cvt_u16_f16_e32 v3, v13
	global_store_short v[1:2], v3, off
.LBB29_2160:
	s_mov_b32 s5, 0
.LBB29_2161:
	s_andn2_b32 vcc_lo, exec_lo, s5
	s_cbranch_vccnz .LBB29_2169
; %bb.2162:
	v_cvt_f32_f16_e32 v3, v13
	v_mov_b32_e32 v5, 0x80
	s_mov_b32 s5, exec_lo
	v_and_b32_e32 v4, 0x7fffffff, v3
	v_cmpx_gt_u32_e32 0x43800000, v4
	s_cbranch_execz .LBB29_2168
; %bb.2163:
	v_cmp_lt_u32_e32 vcc_lo, 0x3bffffff, v4
	s_mov_b32 s6, 0
                                        ; implicit-def: $vgpr4
	s_and_saveexec_b32 s7, vcc_lo
	s_xor_b32 s7, exec_lo, s7
	s_cbranch_execz .LBB29_2345
; %bb.2164:
	v_bfe_u32 v4, v3, 20, 1
	s_mov_b32 s6, exec_lo
	v_add3_u32 v4, v3, v4, 0x487ffff
	v_lshrrev_b32_e32 v4, 20, v4
	s_andn2_saveexec_b32 s7, s7
	s_cbranch_execnz .LBB29_2346
.LBB29_2165:
	s_or_b32 exec_lo, exec_lo, s7
	v_mov_b32_e32 v5, 0
	s_and_saveexec_b32 s7, s6
.LBB29_2166:
	v_lshrrev_b32_e32 v3, 24, v3
	v_and_or_b32 v5, 0x80, v3, v4
.LBB29_2167:
	s_or_b32 exec_lo, exec_lo, s7
.LBB29_2168:
	s_or_b32 exec_lo, exec_lo, s5
	global_store_byte v[1:2], v5, off
.LBB29_2169:
	s_mov_b32 s5, -1
.LBB29_2170:
	s_mov_b32 s6, 0
.LBB29_2171:
	s_and_b32 vcc_lo, exec_lo, s6
	s_cbranch_vccz .LBB29_2211
; %bb.2172:
	s_cmp_gt_i32 s3, 22
	s_mov_b32 s4, -1
	s_cbranch_scc0 .LBB29_2204
; %bb.2173:
	s_cmp_lt_i32 s3, 24
	s_cbranch_scc1 .LBB29_2193
; %bb.2174:
	s_cmp_gt_i32 s3, 24
	s_cbranch_scc0 .LBB29_2182
; %bb.2175:
	v_cvt_f32_f16_e32 v3, v13
	v_mov_b32_e32 v5, 0x80
	s_mov_b32 s4, exec_lo
	v_and_b32_e32 v4, 0x7fffffff, v3
	v_cmpx_gt_u32_e32 0x47800000, v4
	s_cbranch_execz .LBB29_2181
; %bb.2176:
	v_cmp_lt_u32_e32 vcc_lo, 0x37ffffff, v4
	s_mov_b32 s5, 0
                                        ; implicit-def: $vgpr4
	s_and_saveexec_b32 s6, vcc_lo
	s_xor_b32 s6, exec_lo, s6
	s_cbranch_execz .LBB29_2348
; %bb.2177:
	v_bfe_u32 v4, v3, 21, 1
	s_mov_b32 s5, exec_lo
	v_add3_u32 v4, v3, v4, 0x88fffff
	v_lshrrev_b32_e32 v4, 21, v4
	s_andn2_saveexec_b32 s6, s6
	s_cbranch_execnz .LBB29_2349
.LBB29_2178:
	s_or_b32 exec_lo, exec_lo, s6
	v_mov_b32_e32 v5, 0
	s_and_saveexec_b32 s6, s5
.LBB29_2179:
	v_lshrrev_b32_e32 v3, 24, v3
	v_and_or_b32 v5, 0x80, v3, v4
.LBB29_2180:
	s_or_b32 exec_lo, exec_lo, s6
.LBB29_2181:
	s_or_b32 exec_lo, exec_lo, s4
	s_mov_b32 s4, 0
	global_store_byte v[1:2], v5, off
.LBB29_2182:
	s_and_b32 vcc_lo, exec_lo, s4
	s_cbranch_vccz .LBB29_2192
; %bb.2183:
	v_cvt_f32_f16_e32 v3, v13
	s_mov_b32 s4, exec_lo
                                        ; implicit-def: $vgpr4
	v_and_b32_e32 v5, 0x7fffffff, v3
	v_cmpx_gt_u32_e32 0x43f00000, v5
	s_xor_b32 s4, exec_lo, s4
	s_cbranch_execz .LBB29_2189
; %bb.2184:
	s_mov_b32 s5, exec_lo
                                        ; implicit-def: $vgpr4
	v_cmpx_lt_u32_e32 0x3c7fffff, v5
	s_xor_b32 s5, exec_lo, s5
; %bb.2185:
	v_bfe_u32 v4, v3, 20, 1
	v_add3_u32 v4, v3, v4, 0x407ffff
	v_and_b32_e32 v5, 0xff00000, v4
	v_lshrrev_b32_e32 v4, 20, v4
	v_cmp_ne_u32_e32 vcc_lo, 0x7f00000, v5
	v_cndmask_b32_e32 v4, 0x7e, v4, vcc_lo
; %bb.2186:
	s_andn2_saveexec_b32 s5, s5
; %bb.2187:
	v_add_f32_e64 v4, 0x46800000, |v3|
; %bb.2188:
	s_or_b32 exec_lo, exec_lo, s5
                                        ; implicit-def: $vgpr5
.LBB29_2189:
	s_andn2_saveexec_b32 s4, s4
; %bb.2190:
	v_mov_b32_e32 v4, 0x7f
	v_cmp_lt_u32_e32 vcc_lo, 0x7f800000, v5
	v_cndmask_b32_e32 v4, 0x7e, v4, vcc_lo
; %bb.2191:
	s_or_b32 exec_lo, exec_lo, s4
	v_lshrrev_b32_e32 v3, 24, v3
	v_and_or_b32 v3, 0x80, v3, v4
	global_store_byte v[1:2], v3, off
.LBB29_2192:
	s_mov_b32 s4, 0
.LBB29_2193:
	s_andn2_b32 vcc_lo, exec_lo, s4
	s_cbranch_vccnz .LBB29_2203
; %bb.2194:
	v_cvt_f32_f16_e32 v3, v13
	s_mov_b32 s4, exec_lo
                                        ; implicit-def: $vgpr4
	v_and_b32_e32 v5, 0x7fffffff, v3
	v_cmpx_gt_u32_e32 0x47800000, v5
	s_xor_b32 s4, exec_lo, s4
	s_cbranch_execz .LBB29_2200
; %bb.2195:
	s_mov_b32 s5, exec_lo
                                        ; implicit-def: $vgpr4
	v_cmpx_lt_u32_e32 0x387fffff, v5
	s_xor_b32 s5, exec_lo, s5
; %bb.2196:
	v_bfe_u32 v4, v3, 21, 1
	v_add3_u32 v4, v3, v4, 0x80fffff
	v_lshrrev_b32_e32 v4, 21, v4
; %bb.2197:
	s_andn2_saveexec_b32 s5, s5
; %bb.2198:
	v_add_f32_e64 v4, 0x43000000, |v3|
; %bb.2199:
	s_or_b32 exec_lo, exec_lo, s5
                                        ; implicit-def: $vgpr5
.LBB29_2200:
	s_andn2_saveexec_b32 s4, s4
; %bb.2201:
	v_mov_b32_e32 v4, 0x7f
	v_cmp_lt_u32_e32 vcc_lo, 0x7f800000, v5
	v_cndmask_b32_e32 v4, 0x7c, v4, vcc_lo
; %bb.2202:
	s_or_b32 exec_lo, exec_lo, s4
	v_lshrrev_b32_e32 v3, 24, v3
	v_and_or_b32 v3, 0x80, v3, v4
	global_store_byte v[1:2], v3, off
.LBB29_2203:
	s_mov_b32 s4, 0
	s_mov_b32 s5, -1
.LBB29_2204:
	s_andn2_b32 vcc_lo, exec_lo, s4
	s_mov_b32 s4, 0
	s_cbranch_vccnz .LBB29_2211
; %bb.2205:
	s_cmp_gt_i32 s3, 14
	s_mov_b32 s4, -1
	s_cbranch_scc0 .LBB29_2209
; %bb.2206:
	s_cmp_eq_u32 s3, 15
	s_mov_b32 s0, -1
	s_cbranch_scc0 .LBB29_2208
; %bb.2207:
	v_cvt_f32_f16_e32 v3, v13
	v_cmp_o_f16_e32 vcc_lo, v13, v13
	s_mov_b32 s0, 0
	s_mov_b32 s5, -1
	v_bfe_u32 v4, v3, 16, 1
	v_add3_u32 v3, v3, v4, 0x7fff
	v_mov_b32_e32 v4, 0x7fc0
	v_cndmask_b32_sdwa v3, v4, v3, vcc_lo dst_sel:DWORD dst_unused:UNUSED_PAD src0_sel:DWORD src1_sel:WORD_1
	global_store_short v[1:2], v3, off
.LBB29_2208:
	s_mov_b32 s4, 0
.LBB29_2209:
	s_and_b32 vcc_lo, exec_lo, s4
	s_mov_b32 s4, 0
	s_cbranch_vccz .LBB29_2211
; %bb.2210:
	s_cmp_lg_u32 s3, 11
	s_mov_b32 s4, -1
	s_cselect_b32 s0, -1, 0
.LBB29_2211:
	s_and_b32 vcc_lo, exec_lo, s0
	s_cbranch_vccnz .LBB29_2347
; %bb.2212:
	s_andn2_b32 vcc_lo, exec_lo, s4
	s_cbranch_vccnz .LBB29_2214
.LBB29_2213:
	v_and_b32_e32 v3, 0x7fff, v13
	s_mov_b32 s5, -1
	v_cmp_ne_u16_e32 vcc_lo, 0, v3
	v_cndmask_b32_e64 v3, 0, 1, vcc_lo
	global_store_byte v[1:2], v3, off
.LBB29_2214:
	s_mov_b32 s0, 0
	s_branch .LBB29_2216
.LBB29_2215:
	s_mov_b32 s0, -1
	s_mov_b32 s5, 0
.LBB29_2216:
	s_and_b32 vcc_lo, exec_lo, s0
	s_cbranch_vccz .LBB29_2255
; %bb.2217:
	s_and_b32 s0, 0xffff, s1
	s_mov_b32 s3, -1
	s_cmp_lt_i32 s0, 5
	s_cbranch_scc1 .LBB29_2238
; %bb.2218:
	s_cmp_lt_i32 s0, 8
	s_cbranch_scc1 .LBB29_2228
; %bb.2219:
	s_cmp_lt_i32 s0, 9
	s_cbranch_scc1 .LBB29_2225
; %bb.2220:
	s_cmp_gt_i32 s0, 9
	s_cbranch_scc0 .LBB29_2222
; %bb.2221:
	v_cvt_f32_f16_e32 v3, v13
	v_mov_b32_e32 v5, 0
	s_mov_b32 s3, 0
	v_cvt_f64_f32_e32 v[3:4], v3
	v_mov_b32_e32 v6, v5
	global_store_dwordx4 v[1:2], v[3:6], off
.LBB29_2222:
	s_andn2_b32 vcc_lo, exec_lo, s3
	s_cbranch_vccnz .LBB29_2224
; %bb.2223:
	v_cvt_f32_f16_e32 v3, v13
	v_mov_b32_e32 v4, 0
	global_store_dwordx2 v[1:2], v[3:4], off
.LBB29_2224:
	s_mov_b32 s3, 0
.LBB29_2225:
	s_andn2_b32 vcc_lo, exec_lo, s3
	s_cbranch_vccnz .LBB29_2227
; %bb.2226:
	v_and_b32_e32 v3, 0xffff, v13
	global_store_dword v[1:2], v3, off
.LBB29_2227:
	s_mov_b32 s3, 0
.LBB29_2228:
	s_andn2_b32 vcc_lo, exec_lo, s3
	s_cbranch_vccnz .LBB29_2237
; %bb.2229:
	s_cmp_lt_i32 s0, 6
	s_mov_b32 s3, -1
	s_cbranch_scc1 .LBB29_2235
; %bb.2230:
	s_cmp_gt_i32 s0, 6
	s_cbranch_scc0 .LBB29_2232
; %bb.2231:
	v_cvt_f32_f16_e32 v3, v13
	s_mov_b32 s3, 0
	v_cvt_f64_f32_e32 v[3:4], v3
	global_store_dwordx2 v[1:2], v[3:4], off
.LBB29_2232:
	s_andn2_b32 vcc_lo, exec_lo, s3
	s_cbranch_vccnz .LBB29_2234
; %bb.2233:
	v_cvt_f32_f16_e32 v3, v13
	global_store_dword v[1:2], v3, off
.LBB29_2234:
	s_mov_b32 s3, 0
.LBB29_2235:
	s_andn2_b32 vcc_lo, exec_lo, s3
	s_cbranch_vccnz .LBB29_2237
; %bb.2236:
	global_store_short v[1:2], v13, off
.LBB29_2237:
	s_mov_b32 s3, 0
.LBB29_2238:
	s_andn2_b32 vcc_lo, exec_lo, s3
	s_cbranch_vccnz .LBB29_2254
; %bb.2239:
	s_cmp_lt_i32 s0, 2
	s_mov_b32 s3, -1
	s_cbranch_scc1 .LBB29_2249
; %bb.2240:
	s_cmp_lt_i32 s0, 3
	s_cbranch_scc1 .LBB29_2246
; %bb.2241:
	s_cmp_gt_i32 s0, 3
	s_cbranch_scc0 .LBB29_2243
; %bb.2242:
	v_cvt_f32_f16_e32 v3, v13
	s_mov_b32 s3, 0
	v_cvt_i32_f32_e32 v3, v3
	v_ashrrev_i32_e32 v4, 31, v3
	global_store_dwordx2 v[1:2], v[3:4], off
.LBB29_2243:
	s_andn2_b32 vcc_lo, exec_lo, s3
	s_cbranch_vccnz .LBB29_2245
; %bb.2244:
	v_cvt_f32_f16_e32 v3, v13
	v_cvt_i32_f32_e32 v3, v3
	global_store_dword v[1:2], v3, off
.LBB29_2245:
	s_mov_b32 s3, 0
.LBB29_2246:
	s_andn2_b32 vcc_lo, exec_lo, s3
	s_cbranch_vccnz .LBB29_2248
; %bb.2247:
	v_cvt_i16_f16_e32 v3, v13
	global_store_short v[1:2], v3, off
.LBB29_2248:
	s_mov_b32 s3, 0
.LBB29_2249:
	s_andn2_b32 vcc_lo, exec_lo, s3
	s_cbranch_vccnz .LBB29_2254
; %bb.2250:
	s_cmp_gt_i32 s0, 0
	s_mov_b32 s0, -1
	s_cbranch_scc0 .LBB29_2252
; %bb.2251:
	v_cvt_i16_f16_e32 v3, v13
	s_mov_b32 s0, 0
	global_store_byte v[1:2], v3, off
.LBB29_2252:
	s_andn2_b32 vcc_lo, exec_lo, s0
	s_cbranch_vccnz .LBB29_2254
; %bb.2253:
	v_cvt_f32_f16_e32 v3, v13
	v_cvt_i32_f32_e32 v3, v3
	global_store_byte v[1:2], v3, off
.LBB29_2254:
	s_mov_b32 s5, -1
.LBB29_2255:
	s_andn2_b32 vcc_lo, exec_lo, s5
	s_cbranch_vccnz .LBB29_2332
; %bb.2256:
	v_add_co_u32 v0, s0, s8, v0
	v_add_co_ci_u32_e64 v1, null, s9, 0, s0
	s_cmp_lt_i32 s1, 11
	s_cbranch_scc1 .LBB29_2333
; %bb.2257:
	s_and_b32 s3, 0xffff, s1
	s_mov_b32 s5, -1
	s_mov_b32 s4, 0
	s_cmp_gt_i32 s3, 25
	s_mov_b32 s0, 0
	s_cbranch_scc0 .LBB29_2290
; %bb.2258:
	s_cmp_gt_i32 s3, 28
	s_cbranch_scc0 .LBB29_2274
; %bb.2259:
	s_cmp_gt_i32 s3, 43
	;; [unrolled: 3-line block ×3, first 2 shown]
	s_cbranch_scc0 .LBB29_2264
; %bb.2261:
	s_cmp_eq_u32 s3, 46
	s_mov_b32 s0, -1
	s_cbranch_scc0 .LBB29_2263
; %bb.2262:
	v_cvt_f32_f16_e32 v2, v7
	v_cmp_o_f16_e32 vcc_lo, v7, v7
	s_mov_b32 s0, 0
	v_bfe_u32 v3, v2, 16, 1
	v_add3_u32 v2, v2, v3, 0x7fff
	v_mov_b32_e32 v3, 0x7fc0
	v_cndmask_b32_sdwa v2, v3, v2, vcc_lo dst_sel:DWORD dst_unused:UNUSED_PAD src0_sel:DWORD src1_sel:WORD_1
	global_store_dword v[0:1], v2, off
.LBB29_2263:
	s_mov_b32 s5, 0
.LBB29_2264:
	s_and_b32 vcc_lo, exec_lo, s5
	s_cbranch_vccz .LBB29_2269
; %bb.2265:
	s_cmp_eq_u32 s3, 44
	s_mov_b32 s0, -1
	s_cbranch_scc0 .LBB29_2269
; %bb.2266:
	v_cvt_f32_f16_e32 v2, v7
	v_mov_b32_e32 v3, 0xff
	s_mov_b32 s5, exec_lo
	v_bfe_u32 v4, v2, 23, 8
	v_cmpx_ne_u32_e32 0xff, v4
	s_cbranch_execz .LBB29_2268
; %bb.2267:
	v_and_b32_e32 v3, 0x400000, v2
	v_and_or_b32 v4, 0x3fffff, v2, v4
	v_lshrrev_b32_e32 v2, 23, v2
	v_cmp_ne_u32_e32 vcc_lo, 0, v3
	v_cmp_ne_u32_e64 s0, 0, v4
	s_and_b32 s0, vcc_lo, s0
	v_cndmask_b32_e64 v3, 0, 1, s0
	v_add_nc_u32_e32 v3, v2, v3
.LBB29_2268:
	s_or_b32 exec_lo, exec_lo, s5
	s_mov_b32 s0, 0
	global_store_byte v[0:1], v3, off
.LBB29_2269:
	s_mov_b32 s5, 0
.LBB29_2270:
	s_and_b32 vcc_lo, exec_lo, s5
	s_cbranch_vccz .LBB29_2273
; %bb.2271:
	s_cmp_eq_u32 s3, 29
	s_mov_b32 s0, -1
	s_cbranch_scc0 .LBB29_2273
; %bb.2272:
	v_cvt_f32_f16_e32 v2, v7
	v_mov_b32_e32 v3, 0
	s_mov_b32 s0, 0
	v_cvt_u32_f32_e32 v2, v2
	global_store_dwordx2 v[0:1], v[2:3], off
.LBB29_2273:
	s_mov_b32 s5, 0
.LBB29_2274:
	s_and_b32 vcc_lo, exec_lo, s5
	s_cbranch_vccz .LBB29_2289
; %bb.2275:
	s_cmp_lt_i32 s3, 27
	s_mov_b32 s5, -1
	s_cbranch_scc1 .LBB29_2281
; %bb.2276:
	s_cmp_gt_i32 s3, 27
	s_cbranch_scc0 .LBB29_2278
; %bb.2277:
	v_cvt_f32_f16_e32 v2, v7
	s_mov_b32 s5, 0
	v_cvt_u32_f32_e32 v2, v2
	global_store_dword v[0:1], v2, off
.LBB29_2278:
	s_andn2_b32 vcc_lo, exec_lo, s5
	s_cbranch_vccnz .LBB29_2280
; %bb.2279:
	v_cvt_u16_f16_e32 v2, v7
	global_store_short v[0:1], v2, off
.LBB29_2280:
	s_mov_b32 s5, 0
.LBB29_2281:
	s_andn2_b32 vcc_lo, exec_lo, s5
	s_cbranch_vccnz .LBB29_2289
; %bb.2282:
	v_cvt_f32_f16_e32 v2, v7
	v_mov_b32_e32 v4, 0x80
	s_mov_b32 s5, exec_lo
	v_and_b32_e32 v3, 0x7fffffff, v2
	v_cmpx_gt_u32_e32 0x43800000, v3
	s_cbranch_execz .LBB29_2288
; %bb.2283:
	v_cmp_lt_u32_e32 vcc_lo, 0x3bffffff, v3
	s_mov_b32 s6, 0
                                        ; implicit-def: $vgpr3
	s_and_saveexec_b32 s7, vcc_lo
	s_xor_b32 s7, exec_lo, s7
	s_cbranch_execz .LBB29_2350
; %bb.2284:
	v_bfe_u32 v3, v2, 20, 1
	s_mov_b32 s6, exec_lo
	v_add3_u32 v3, v2, v3, 0x487ffff
	v_lshrrev_b32_e32 v3, 20, v3
	s_andn2_saveexec_b32 s7, s7
	s_cbranch_execnz .LBB29_2351
.LBB29_2285:
	s_or_b32 exec_lo, exec_lo, s7
	v_mov_b32_e32 v4, 0
	s_and_saveexec_b32 s7, s6
.LBB29_2286:
	v_lshrrev_b32_e32 v2, 24, v2
	v_and_or_b32 v4, 0x80, v2, v3
.LBB29_2287:
	s_or_b32 exec_lo, exec_lo, s7
.LBB29_2288:
	s_or_b32 exec_lo, exec_lo, s5
	global_store_byte v[0:1], v4, off
.LBB29_2289:
	s_mov_b32 s5, 0
.LBB29_2290:
	s_and_b32 vcc_lo, exec_lo, s5
	s_cbranch_vccz .LBB29_2330
; %bb.2291:
	s_cmp_gt_i32 s3, 22
	s_mov_b32 s4, -1
	s_cbranch_scc0 .LBB29_2323
; %bb.2292:
	s_cmp_lt_i32 s3, 24
	s_cbranch_scc1 .LBB29_2312
; %bb.2293:
	s_cmp_gt_i32 s3, 24
	s_cbranch_scc0 .LBB29_2301
; %bb.2294:
	v_cvt_f32_f16_e32 v2, v7
	v_mov_b32_e32 v4, 0x80
	s_mov_b32 s4, exec_lo
	v_and_b32_e32 v3, 0x7fffffff, v2
	v_cmpx_gt_u32_e32 0x47800000, v3
	s_cbranch_execz .LBB29_2300
; %bb.2295:
	v_cmp_lt_u32_e32 vcc_lo, 0x37ffffff, v3
	s_mov_b32 s5, 0
                                        ; implicit-def: $vgpr3
	s_and_saveexec_b32 s6, vcc_lo
	s_xor_b32 s6, exec_lo, s6
	s_cbranch_execz .LBB29_2353
; %bb.2296:
	v_bfe_u32 v3, v2, 21, 1
	s_mov_b32 s5, exec_lo
	v_add3_u32 v3, v2, v3, 0x88fffff
	v_lshrrev_b32_e32 v3, 21, v3
	s_andn2_saveexec_b32 s6, s6
	s_cbranch_execnz .LBB29_2354
.LBB29_2297:
	s_or_b32 exec_lo, exec_lo, s6
	v_mov_b32_e32 v4, 0
	s_and_saveexec_b32 s6, s5
.LBB29_2298:
	v_lshrrev_b32_e32 v2, 24, v2
	v_and_or_b32 v4, 0x80, v2, v3
.LBB29_2299:
	s_or_b32 exec_lo, exec_lo, s6
.LBB29_2300:
	s_or_b32 exec_lo, exec_lo, s4
	s_mov_b32 s4, 0
	global_store_byte v[0:1], v4, off
.LBB29_2301:
	s_and_b32 vcc_lo, exec_lo, s4
	s_cbranch_vccz .LBB29_2311
; %bb.2302:
	v_cvt_f32_f16_e32 v2, v7
	s_mov_b32 s4, exec_lo
                                        ; implicit-def: $vgpr3
	v_and_b32_e32 v4, 0x7fffffff, v2
	v_cmpx_gt_u32_e32 0x43f00000, v4
	s_xor_b32 s4, exec_lo, s4
	s_cbranch_execz .LBB29_2308
; %bb.2303:
	s_mov_b32 s5, exec_lo
                                        ; implicit-def: $vgpr3
	v_cmpx_lt_u32_e32 0x3c7fffff, v4
	s_xor_b32 s5, exec_lo, s5
; %bb.2304:
	v_bfe_u32 v3, v2, 20, 1
	v_add3_u32 v3, v2, v3, 0x407ffff
	v_and_b32_e32 v4, 0xff00000, v3
	v_lshrrev_b32_e32 v3, 20, v3
	v_cmp_ne_u32_e32 vcc_lo, 0x7f00000, v4
	v_cndmask_b32_e32 v3, 0x7e, v3, vcc_lo
; %bb.2305:
	s_andn2_saveexec_b32 s5, s5
; %bb.2306:
	v_add_f32_e64 v3, 0x46800000, |v2|
; %bb.2307:
	s_or_b32 exec_lo, exec_lo, s5
                                        ; implicit-def: $vgpr4
.LBB29_2308:
	s_andn2_saveexec_b32 s4, s4
; %bb.2309:
	v_mov_b32_e32 v3, 0x7f
	v_cmp_lt_u32_e32 vcc_lo, 0x7f800000, v4
	v_cndmask_b32_e32 v3, 0x7e, v3, vcc_lo
; %bb.2310:
	s_or_b32 exec_lo, exec_lo, s4
	v_lshrrev_b32_e32 v2, 24, v2
	v_and_or_b32 v2, 0x80, v2, v3
	global_store_byte v[0:1], v2, off
.LBB29_2311:
	s_mov_b32 s4, 0
.LBB29_2312:
	s_andn2_b32 vcc_lo, exec_lo, s4
	s_cbranch_vccnz .LBB29_2322
; %bb.2313:
	v_cvt_f32_f16_e32 v2, v7
	s_mov_b32 s4, exec_lo
                                        ; implicit-def: $vgpr3
	v_and_b32_e32 v4, 0x7fffffff, v2
	v_cmpx_gt_u32_e32 0x47800000, v4
	s_xor_b32 s4, exec_lo, s4
	s_cbranch_execz .LBB29_2319
; %bb.2314:
	s_mov_b32 s5, exec_lo
                                        ; implicit-def: $vgpr3
	v_cmpx_lt_u32_e32 0x387fffff, v4
	s_xor_b32 s5, exec_lo, s5
; %bb.2315:
	v_bfe_u32 v3, v2, 21, 1
	v_add3_u32 v3, v2, v3, 0x80fffff
	v_lshrrev_b32_e32 v3, 21, v3
; %bb.2316:
	s_andn2_saveexec_b32 s5, s5
; %bb.2317:
	v_add_f32_e64 v3, 0x43000000, |v2|
; %bb.2318:
	s_or_b32 exec_lo, exec_lo, s5
                                        ; implicit-def: $vgpr4
.LBB29_2319:
	s_andn2_saveexec_b32 s4, s4
; %bb.2320:
	v_mov_b32_e32 v3, 0x7f
	v_cmp_lt_u32_e32 vcc_lo, 0x7f800000, v4
	v_cndmask_b32_e32 v3, 0x7c, v3, vcc_lo
; %bb.2321:
	s_or_b32 exec_lo, exec_lo, s4
	v_lshrrev_b32_e32 v2, 24, v2
	v_and_or_b32 v2, 0x80, v2, v3
	global_store_byte v[0:1], v2, off
.LBB29_2322:
	s_mov_b32 s4, 0
.LBB29_2323:
	s_andn2_b32 vcc_lo, exec_lo, s4
	s_mov_b32 s4, 0
	s_cbranch_vccnz .LBB29_2330
; %bb.2324:
	s_cmp_gt_i32 s3, 14
	s_mov_b32 s4, -1
	s_cbranch_scc0 .LBB29_2328
; %bb.2325:
	s_cmp_eq_u32 s3, 15
	s_mov_b32 s0, -1
	s_cbranch_scc0 .LBB29_2327
; %bb.2326:
	v_cvt_f32_f16_e32 v2, v7
	v_cmp_o_f16_e32 vcc_lo, v7, v7
	s_mov_b32 s0, 0
	v_bfe_u32 v3, v2, 16, 1
	v_add3_u32 v2, v2, v3, 0x7fff
	v_mov_b32_e32 v3, 0x7fc0
	v_cndmask_b32_sdwa v2, v3, v2, vcc_lo dst_sel:DWORD dst_unused:UNUSED_PAD src0_sel:DWORD src1_sel:WORD_1
	global_store_short v[0:1], v2, off
.LBB29_2327:
	s_mov_b32 s4, 0
.LBB29_2328:
	s_and_b32 vcc_lo, exec_lo, s4
	s_mov_b32 s4, 0
	s_cbranch_vccz .LBB29_2330
; %bb.2329:
	s_cmp_lg_u32 s3, 11
	s_mov_b32 s4, -1
	s_cselect_b32 s0, -1, 0
.LBB29_2330:
	s_and_b32 vcc_lo, exec_lo, s0
	s_cbranch_vccnz .LBB29_2352
.LBB29_2331:
	s_mov_b32 s0, 0
	s_branch .LBB29_1933
.LBB29_2332:
	s_mov_b32 s0, 0
	s_mov_b32 s4, 0
                                        ; implicit-def: $vgpr0_vgpr1
                                        ; implicit-def: $sgpr1
	s_branch .LBB29_1933
.LBB29_2333:
	s_mov_b32 s4, 0
	s_mov_b32 s0, -1
	s_branch .LBB29_1933
.LBB29_2334:
	s_or_b32 s2, s2, exec_lo
	s_trap 2
	s_cbranch_execz .LBB29_1778
	s_branch .LBB29_1779
.LBB29_2335:
	s_andn2_saveexec_b32 s10, s10
	s_cbranch_execz .LBB29_1882
.LBB29_2336:
	v_add_f32_e64 v8, 0x46000000, |v3|
	s_andn2_b32 s7, s7, exec_lo
	v_and_b32_e32 v8, 0xff, v8
	v_cmp_ne_u32_e32 vcc_lo, 0, v8
	s_and_b32 s11, vcc_lo, exec_lo
	s_or_b32 s7, s7, s11
	s_or_b32 exec_lo, exec_lo, s10
	v_mov_b32_e32 v9, 0
	s_and_saveexec_b32 s10, s7
	s_cbranch_execnz .LBB29_1883
	s_branch .LBB29_1884
.LBB29_2337:
	s_or_b32 s2, s2, exec_lo
	s_trap 2
	s_cbranch_execz .LBB29_1930
	s_branch .LBB29_1931
.LBB29_2338:
	s_andn2_saveexec_b32 s7, s7
	s_cbranch_execz .LBB29_1895
.LBB29_2339:
	v_add_f32_e64 v8, 0x42800000, |v3|
	s_andn2_b32 s6, s6, exec_lo
	v_and_b32_e32 v8, 0xff, v8
	v_cmp_ne_u32_e32 vcc_lo, 0, v8
	s_and_b32 s10, vcc_lo, exec_lo
	s_or_b32 s6, s6, s10
	s_or_b32 exec_lo, exec_lo, s7
	v_mov_b32_e32 v9, 0
	s_and_saveexec_b32 s7, s6
	s_cbranch_execnz .LBB29_1896
	s_branch .LBB29_1897
.LBB29_2340:
	s_andn2_saveexec_b32 s7, s7
	s_cbranch_execz .LBB29_2046
.LBB29_2341:
	v_add_f32_e64 v5, 0x46000000, |v1|
	s_andn2_b32 s6, s6, exec_lo
	v_and_b32_e32 v5, 0xff, v5
	v_cmp_ne_u32_e32 vcc_lo, 0, v5
	s_and_b32 s10, vcc_lo, exec_lo
	s_or_b32 s6, s6, s10
	s_or_b32 exec_lo, exec_lo, s7
	v_mov_b32_e32 v6, 0
	s_and_saveexec_b32 s7, s6
	s_cbranch_execnz .LBB29_2047
	s_branch .LBB29_2048
.LBB29_2342:
	s_or_b32 s2, s2, exec_lo
	s_trap 2
	s_cbranch_execz .LBB29_2094
	s_branch .LBB29_2095
.LBB29_2343:
	s_andn2_saveexec_b32 s6, s6
	s_cbranch_execz .LBB29_2059
.LBB29_2344:
	v_add_f32_e64 v5, 0x42800000, |v1|
	s_andn2_b32 s5, s5, exec_lo
	v_and_b32_e32 v5, 0xff, v5
	v_cmp_ne_u32_e32 vcc_lo, 0, v5
	s_and_b32 s7, vcc_lo, exec_lo
	s_or_b32 s5, s5, s7
	s_or_b32 exec_lo, exec_lo, s6
	v_mov_b32_e32 v6, 0
	s_and_saveexec_b32 s6, s5
	s_cbranch_execnz .LBB29_2060
	s_branch .LBB29_2061
.LBB29_2345:
	s_andn2_saveexec_b32 s7, s7
	s_cbranch_execz .LBB29_2165
.LBB29_2346:
	v_add_f32_e64 v4, 0x46000000, |v3|
	s_andn2_b32 s6, s6, exec_lo
	v_and_b32_e32 v4, 0xff, v4
	v_cmp_ne_u32_e32 vcc_lo, 0, v4
	s_and_b32 s10, vcc_lo, exec_lo
	s_or_b32 s6, s6, s10
	s_or_b32 exec_lo, exec_lo, s7
	v_mov_b32_e32 v5, 0
	s_and_saveexec_b32 s7, s6
	s_cbranch_execnz .LBB29_2166
	s_branch .LBB29_2167
.LBB29_2347:
	s_or_b32 s2, s2, exec_lo
	s_trap 2
	s_cbranch_execz .LBB29_2213
	s_branch .LBB29_2214
.LBB29_2348:
	s_andn2_saveexec_b32 s6, s6
	s_cbranch_execz .LBB29_2178
.LBB29_2349:
	v_add_f32_e64 v4, 0x42800000, |v3|
	s_andn2_b32 s5, s5, exec_lo
	v_and_b32_e32 v4, 0xff, v4
	v_cmp_ne_u32_e32 vcc_lo, 0, v4
	s_and_b32 s7, vcc_lo, exec_lo
	s_or_b32 s5, s5, s7
	s_or_b32 exec_lo, exec_lo, s6
	v_mov_b32_e32 v5, 0
	s_and_saveexec_b32 s6, s5
	s_cbranch_execnz .LBB29_2179
	s_branch .LBB29_2180
.LBB29_2350:
	s_andn2_saveexec_b32 s7, s7
	s_cbranch_execz .LBB29_2285
.LBB29_2351:
	v_add_f32_e64 v3, 0x46000000, |v2|
	s_andn2_b32 s6, s6, exec_lo
	v_and_b32_e32 v3, 0xff, v3
	v_cmp_ne_u32_e32 vcc_lo, 0, v3
	s_and_b32 s8, vcc_lo, exec_lo
	s_or_b32 s6, s6, s8
	s_or_b32 exec_lo, exec_lo, s7
	v_mov_b32_e32 v4, 0
	s_and_saveexec_b32 s7, s6
	s_cbranch_execnz .LBB29_2286
	s_branch .LBB29_2287
.LBB29_2352:
	s_mov_b32 s4, 0
	s_or_b32 s2, s2, exec_lo
	s_trap 2
	s_branch .LBB29_2331
.LBB29_2353:
	s_andn2_saveexec_b32 s6, s6
	s_cbranch_execz .LBB29_2297
.LBB29_2354:
	v_add_f32_e64 v3, 0x42800000, |v2|
	s_andn2_b32 s5, s5, exec_lo
	v_and_b32_e32 v3, 0xff, v3
	v_cmp_ne_u32_e32 vcc_lo, 0, v3
	s_and_b32 s7, vcc_lo, exec_lo
	s_or_b32 s5, s5, s7
	s_or_b32 exec_lo, exec_lo, s6
	v_mov_b32_e32 v4, 0
	s_and_saveexec_b32 s6, s5
	s_cbranch_execnz .LBB29_2298
	s_branch .LBB29_2299
	.section	.rodata,"a",@progbits
	.p2align	6, 0x0
	.amdhsa_kernel _ZN2at6native32elementwise_kernel_manual_unrollILi128ELi4EZNS0_15gpu_kernel_implIZZZNS0_19digamma_kernel_cudaERNS_18TensorIteratorBaseEENKUlvE_clEvENKUlvE1_clEvEUlN3c104HalfEE_EEvS4_RKT_EUlibE0_EEviT1_
		.amdhsa_group_segment_fixed_size 0
		.amdhsa_private_segment_fixed_size 0
		.amdhsa_kernarg_size 360
		.amdhsa_user_sgpr_count 6
		.amdhsa_user_sgpr_private_segment_buffer 1
		.amdhsa_user_sgpr_dispatch_ptr 0
		.amdhsa_user_sgpr_queue_ptr 0
		.amdhsa_user_sgpr_kernarg_segment_ptr 1
		.amdhsa_user_sgpr_dispatch_id 0
		.amdhsa_user_sgpr_flat_scratch_init 0
		.amdhsa_user_sgpr_private_segment_size 0
		.amdhsa_wavefront_size32 1
		.amdhsa_uses_dynamic_stack 0
		.amdhsa_system_sgpr_private_segment_wavefront_offset 0
		.amdhsa_system_sgpr_workgroup_id_x 1
		.amdhsa_system_sgpr_workgroup_id_y 0
		.amdhsa_system_sgpr_workgroup_id_z 0
		.amdhsa_system_sgpr_workgroup_info 0
		.amdhsa_system_vgpr_workitem_id 0
		.amdhsa_next_free_vgpr 45
		.amdhsa_next_free_sgpr 68
		.amdhsa_reserve_vcc 1
		.amdhsa_reserve_flat_scratch 0
		.amdhsa_float_round_mode_32 0
		.amdhsa_float_round_mode_16_64 0
		.amdhsa_float_denorm_mode_32 3
		.amdhsa_float_denorm_mode_16_64 3
		.amdhsa_dx10_clamp 1
		.amdhsa_ieee_mode 1
		.amdhsa_fp16_overflow 0
		.amdhsa_workgroup_processor_mode 1
		.amdhsa_memory_ordered 1
		.amdhsa_forward_progress 1
		.amdhsa_shared_vgpr_count 0
		.amdhsa_exception_fp_ieee_invalid_op 0
		.amdhsa_exception_fp_denorm_src 0
		.amdhsa_exception_fp_ieee_div_zero 0
		.amdhsa_exception_fp_ieee_overflow 0
		.amdhsa_exception_fp_ieee_underflow 0
		.amdhsa_exception_fp_ieee_inexact 0
		.amdhsa_exception_int_div_zero 0
	.end_amdhsa_kernel
	.section	.text._ZN2at6native32elementwise_kernel_manual_unrollILi128ELi4EZNS0_15gpu_kernel_implIZZZNS0_19digamma_kernel_cudaERNS_18TensorIteratorBaseEENKUlvE_clEvENKUlvE1_clEvEUlN3c104HalfEE_EEvS4_RKT_EUlibE0_EEviT1_,"axG",@progbits,_ZN2at6native32elementwise_kernel_manual_unrollILi128ELi4EZNS0_15gpu_kernel_implIZZZNS0_19digamma_kernel_cudaERNS_18TensorIteratorBaseEENKUlvE_clEvENKUlvE1_clEvEUlN3c104HalfEE_EEvS4_RKT_EUlibE0_EEviT1_,comdat
.Lfunc_end29:
	.size	_ZN2at6native32elementwise_kernel_manual_unrollILi128ELi4EZNS0_15gpu_kernel_implIZZZNS0_19digamma_kernel_cudaERNS_18TensorIteratorBaseEENKUlvE_clEvENKUlvE1_clEvEUlN3c104HalfEE_EEvS4_RKT_EUlibE0_EEviT1_, .Lfunc_end29-_ZN2at6native32elementwise_kernel_manual_unrollILi128ELi4EZNS0_15gpu_kernel_implIZZZNS0_19digamma_kernel_cudaERNS_18TensorIteratorBaseEENKUlvE_clEvENKUlvE1_clEvEUlN3c104HalfEE_EEvS4_RKT_EUlibE0_EEviT1_
                                        ; -- End function
	.set _ZN2at6native32elementwise_kernel_manual_unrollILi128ELi4EZNS0_15gpu_kernel_implIZZZNS0_19digamma_kernel_cudaERNS_18TensorIteratorBaseEENKUlvE_clEvENKUlvE1_clEvEUlN3c104HalfEE_EEvS4_RKT_EUlibE0_EEviT1_.num_vgpr, 45
	.set _ZN2at6native32elementwise_kernel_manual_unrollILi128ELi4EZNS0_15gpu_kernel_implIZZZNS0_19digamma_kernel_cudaERNS_18TensorIteratorBaseEENKUlvE_clEvENKUlvE1_clEvEUlN3c104HalfEE_EEvS4_RKT_EUlibE0_EEviT1_.num_agpr, 0
	.set _ZN2at6native32elementwise_kernel_manual_unrollILi128ELi4EZNS0_15gpu_kernel_implIZZZNS0_19digamma_kernel_cudaERNS_18TensorIteratorBaseEENKUlvE_clEvENKUlvE1_clEvEUlN3c104HalfEE_EEvS4_RKT_EUlibE0_EEviT1_.numbered_sgpr, 68
	.set _ZN2at6native32elementwise_kernel_manual_unrollILi128ELi4EZNS0_15gpu_kernel_implIZZZNS0_19digamma_kernel_cudaERNS_18TensorIteratorBaseEENKUlvE_clEvENKUlvE1_clEvEUlN3c104HalfEE_EEvS4_RKT_EUlibE0_EEviT1_.num_named_barrier, 0
	.set _ZN2at6native32elementwise_kernel_manual_unrollILi128ELi4EZNS0_15gpu_kernel_implIZZZNS0_19digamma_kernel_cudaERNS_18TensorIteratorBaseEENKUlvE_clEvENKUlvE1_clEvEUlN3c104HalfEE_EEvS4_RKT_EUlibE0_EEviT1_.private_seg_size, 0
	.set _ZN2at6native32elementwise_kernel_manual_unrollILi128ELi4EZNS0_15gpu_kernel_implIZZZNS0_19digamma_kernel_cudaERNS_18TensorIteratorBaseEENKUlvE_clEvENKUlvE1_clEvEUlN3c104HalfEE_EEvS4_RKT_EUlibE0_EEviT1_.uses_vcc, 1
	.set _ZN2at6native32elementwise_kernel_manual_unrollILi128ELi4EZNS0_15gpu_kernel_implIZZZNS0_19digamma_kernel_cudaERNS_18TensorIteratorBaseEENKUlvE_clEvENKUlvE1_clEvEUlN3c104HalfEE_EEvS4_RKT_EUlibE0_EEviT1_.uses_flat_scratch, 0
	.set _ZN2at6native32elementwise_kernel_manual_unrollILi128ELi4EZNS0_15gpu_kernel_implIZZZNS0_19digamma_kernel_cudaERNS_18TensorIteratorBaseEENKUlvE_clEvENKUlvE1_clEvEUlN3c104HalfEE_EEvS4_RKT_EUlibE0_EEviT1_.has_dyn_sized_stack, 0
	.set _ZN2at6native32elementwise_kernel_manual_unrollILi128ELi4EZNS0_15gpu_kernel_implIZZZNS0_19digamma_kernel_cudaERNS_18TensorIteratorBaseEENKUlvE_clEvENKUlvE1_clEvEUlN3c104HalfEE_EEvS4_RKT_EUlibE0_EEviT1_.has_recursion, 0
	.set _ZN2at6native32elementwise_kernel_manual_unrollILi128ELi4EZNS0_15gpu_kernel_implIZZZNS0_19digamma_kernel_cudaERNS_18TensorIteratorBaseEENKUlvE_clEvENKUlvE1_clEvEUlN3c104HalfEE_EEvS4_RKT_EUlibE0_EEviT1_.has_indirect_call, 0
	.section	.AMDGPU.csdata,"",@progbits
; Kernel info:
; codeLenInByte = 59452
; TotalNumSgprs: 70
; NumVgprs: 45
; ScratchSize: 0
; MemoryBound: 0
; FloatMode: 240
; IeeeMode: 1
; LDSByteSize: 0 bytes/workgroup (compile time only)
; SGPRBlocks: 0
; VGPRBlocks: 5
; NumSGPRsForWavesPerEU: 70
; NumVGPRsForWavesPerEU: 45
; Occupancy: 16
; WaveLimiterHint : 1
; COMPUTE_PGM_RSRC2:SCRATCH_EN: 0
; COMPUTE_PGM_RSRC2:USER_SGPR: 6
; COMPUTE_PGM_RSRC2:TRAP_HANDLER: 0
; COMPUTE_PGM_RSRC2:TGID_X_EN: 1
; COMPUTE_PGM_RSRC2:TGID_Y_EN: 0
; COMPUTE_PGM_RSRC2:TGID_Z_EN: 0
; COMPUTE_PGM_RSRC2:TIDIG_COMP_CNT: 0
	.text
	.p2align	2                               ; -- Begin function _ZN2at6native25elementwise_kernel_helperILb0EZZZNS0_19digamma_kernel_cudaERNS_18TensorIteratorBaseEENKUlvE_clEvENKUlvE2_clEvEUlN3c108BFloat16EE_NS0_6memory8policies11unroll_baseILi256ESt5arrayIPcLm2EE23TrivialOffsetCalculatorILi1EjESG_NS9_15LoadWithoutCastENS9_16StoreWithoutCastELi8ELi1EEEEEvT0_T1_
	.type	_ZN2at6native25elementwise_kernel_helperILb0EZZZNS0_19digamma_kernel_cudaERNS_18TensorIteratorBaseEENKUlvE_clEvENKUlvE2_clEvEUlN3c108BFloat16EE_NS0_6memory8policies11unroll_baseILi256ESt5arrayIPcLm2EE23TrivialOffsetCalculatorILi1EjESG_NS9_15LoadWithoutCastENS9_16StoreWithoutCastELi8ELi1EEEEEvT0_T1_,@function
_ZN2at6native25elementwise_kernel_helperILb0EZZZNS0_19digamma_kernel_cudaERNS_18TensorIteratorBaseEENKUlvE_clEvENKUlvE2_clEvEUlN3c108BFloat16EE_NS0_6memory8policies11unroll_baseILi256ESt5arrayIPcLm2EE23TrivialOffsetCalculatorILi1EjESG_NS9_15LoadWithoutCastENS9_16StoreWithoutCastELi8ELi1EEEEEvT0_T1_: ; @_ZN2at6native25elementwise_kernel_helperILb0EZZZNS0_19digamma_kernel_cudaERNS_18TensorIteratorBaseEENKUlvE_clEvENKUlvE2_clEvEUlN3c108BFloat16EE_NS0_6memory8policies11unroll_baseILi256ESt5arrayIPcLm2EE23TrivialOffsetCalculatorILi1EjESG_NS9_15LoadWithoutCastENS9_16StoreWithoutCastELi8ELi1EEEEEvT0_T1_
; %bb.0:
	s_waitcnt vmcnt(0) expcnt(0) lgkmcnt(0)
	v_and_b32_e32 v10, 0x3ff, v31
	s_lshl_b32 s8, s12, 11
	v_mov_b32_e32 v17, 0
	v_mov_b32_e32 v15, 0
	v_cmp_lt_i32_e64 s4, v10, v4
	v_or_b32_e32 v5, s8, v10
	v_add_nc_u32_e32 v11, 0x100, v10
	v_mov_b32_e32 v6, v10
	s_and_saveexec_b32 s5, s4
	s_cbranch_execz .LBB30_2
; %bb.1:
	v_mov_b32_e32 v6, 0
	v_lshlrev_b64 v[6:7], 1, v[5:6]
	v_add_co_u32 v6, vcc_lo, v2, v6
	v_add_co_ci_u32_e64 v7, null, v3, v7, vcc_lo
	flat_load_ushort v7, v[6:7]
	v_add_nc_u32_e32 v6, 0x100, v10
	s_waitcnt vmcnt(0) lgkmcnt(0)
	v_lshlrev_b32_e32 v15, 16, v7
.LBB30_2:
	s_or_b32 exec_lo, exec_lo, s5
	s_mov_b32 s5, exec_lo
	v_cmpx_lt_i32_e64 v6, v4
	s_cbranch_execz .LBB30_4
; %bb.3:
	v_add_nc_u32_e32 v7, s8, v6
	v_mov_b32_e32 v8, 0
	v_add_nc_u32_e32 v6, 0x100, v6
	v_lshlrev_b64 v[7:8], 1, v[7:8]
	v_add_co_u32 v7, vcc_lo, v2, v7
	v_add_co_ci_u32_e64 v8, null, v3, v8, vcc_lo
	flat_load_ushort v7, v[7:8]
	s_waitcnt vmcnt(0) lgkmcnt(0)
	v_lshlrev_b32_e32 v17, 16, v7
.LBB30_4:
	s_or_b32 exec_lo, exec_lo, s5
	v_mov_b32_e32 v20, 0
	v_mov_b32_e32 v19, 0
	s_mov_b32 s5, exec_lo
	v_cmpx_lt_i32_e64 v6, v4
	s_cbranch_execz .LBB30_6
; %bb.5:
	v_add_nc_u32_e32 v7, s8, v6
	v_mov_b32_e32 v8, 0
	v_add_nc_u32_e32 v6, 0x100, v6
	v_lshlrev_b64 v[7:8], 1, v[7:8]
	v_add_co_u32 v7, vcc_lo, v2, v7
	v_add_co_ci_u32_e64 v8, null, v3, v8, vcc_lo
	flat_load_ushort v7, v[7:8]
	s_waitcnt vmcnt(0) lgkmcnt(0)
	v_lshlrev_b32_e32 v19, 16, v7
.LBB30_6:
	s_or_b32 exec_lo, exec_lo, s5
	s_mov_b32 s5, exec_lo
	v_cmpx_lt_i32_e64 v6, v4
	s_cbranch_execz .LBB30_8
; %bb.7:
	v_add_nc_u32_e32 v7, s8, v6
	v_mov_b32_e32 v8, 0
	v_add_nc_u32_e32 v6, 0x100, v6
	v_lshlrev_b64 v[7:8], 1, v[7:8]
	v_add_co_u32 v7, vcc_lo, v2, v7
	v_add_co_ci_u32_e64 v8, null, v3, v8, vcc_lo
	flat_load_ushort v7, v[7:8]
	s_waitcnt vmcnt(0) lgkmcnt(0)
	v_lshlrev_b32_e32 v20, 16, v7
.LBB30_8:
	s_or_b32 exec_lo, exec_lo, s5
	v_mov_b32_e32 v16, 0
	v_mov_b32_e32 v18, 0
	s_mov_b32 s5, exec_lo
	v_cmpx_lt_i32_e64 v6, v4
	s_cbranch_execz .LBB30_10
; %bb.9:
	v_add_nc_u32_e32 v7, s8, v6
	v_mov_b32_e32 v8, 0
	v_add_nc_u32_e32 v6, 0x100, v6
	v_lshlrev_b64 v[7:8], 1, v[7:8]
	v_add_co_u32 v7, vcc_lo, v2, v7
	v_add_co_ci_u32_e64 v8, null, v3, v8, vcc_lo
	flat_load_ushort v7, v[7:8]
	s_waitcnt vmcnt(0) lgkmcnt(0)
	v_lshlrev_b32_e32 v18, 16, v7
.LBB30_10:
	s_or_b32 exec_lo, exec_lo, s5
	s_mov_b32 s5, exec_lo
	v_cmpx_lt_i32_e64 v6, v4
	s_cbranch_execz .LBB30_12
; %bb.11:
	v_add_nc_u32_e32 v7, s8, v6
	v_mov_b32_e32 v8, 0
	v_add_nc_u32_e32 v6, 0x100, v6
	v_lshlrev_b64 v[7:8], 1, v[7:8]
	v_add_co_u32 v7, vcc_lo, v2, v7
	v_add_co_ci_u32_e64 v8, null, v3, v8, vcc_lo
	flat_load_ushort v7, v[7:8]
	s_waitcnt vmcnt(0) lgkmcnt(0)
	v_lshlrev_b32_e32 v16, 16, v7
.LBB30_12:
	s_or_b32 exec_lo, exec_lo, s5
	v_mov_b32_e32 v12, 0
	v_mov_b32_e32 v14, 0
	s_mov_b32 s5, exec_lo
	v_cmpx_lt_i32_e64 v6, v4
	s_cbranch_execz .LBB30_16
; %bb.13:
	v_add_nc_u32_e32 v7, s8, v6
	v_mov_b32_e32 v8, 0
	v_add_nc_u32_e32 v6, 0x100, v6
	v_lshlrev_b64 v[7:8], 1, v[7:8]
	v_add_co_u32 v7, vcc_lo, v2, v7
	v_add_co_ci_u32_e64 v8, null, v3, v8, vcc_lo
	flat_load_ushort v7, v[7:8]
	s_waitcnt vmcnt(0) lgkmcnt(0)
	v_lshlrev_b32_e32 v14, 16, v7
	s_or_b32 exec_lo, exec_lo, s5
	s_mov_b32 s5, exec_lo
	v_cmpx_lt_i32_e64 v6, v4
	s_cbranch_execnz .LBB30_17
.LBB30_14:
	s_or_b32 exec_lo, exec_lo, s5
                                        ; implicit-def: $vgpr13
	s_and_saveexec_b32 s9, s4
	s_cbranch_execnz .LBB30_18
.LBB30_15:
	s_or_b32 exec_lo, exec_lo, s9
	s_mov_b32 s9, exec_lo
                                        ; implicit-def: $vgpr15
	v_cmpx_lt_i32_e64 v11, v4
	s_cbranch_execz .LBB30_68
	s_branch .LBB30_43
.LBB30_16:
	s_or_b32 exec_lo, exec_lo, s5
	s_mov_b32 s5, exec_lo
	v_cmpx_lt_i32_e64 v6, v4
	s_cbranch_execz .LBB30_14
.LBB30_17:
	v_add_nc_u32_e32 v6, s8, v6
	v_mov_b32_e32 v7, 0
	v_lshlrev_b64 v[6:7], 1, v[6:7]
	v_add_co_u32 v2, vcc_lo, v2, v6
	v_add_co_ci_u32_e64 v3, null, v3, v7, vcc_lo
	flat_load_ushort v2, v[2:3]
	s_waitcnt vmcnt(0) lgkmcnt(0)
	v_lshlrev_b32_e32 v12, 16, v2
	s_or_b32 exec_lo, exec_lo, s5
                                        ; implicit-def: $vgpr13
	s_and_saveexec_b32 s9, s4
	s_cbranch_execz .LBB30_15
.LBB30_18:
                                        ; implicit-def: $vgpr13
	s_mov_b32 s5, exec_lo
	v_cmpx_neq_f32_e32 0, v15
	s_xor_b32 s10, exec_lo, s5
	s_cbranch_execz .LBB30_40
; %bb.19:
	v_mov_b32_e32 v2, 0
	s_mov_b32 s5, -1
	s_mov_b32 s11, exec_lo
	v_cmpx_gt_f32_e32 0, v15
	s_cbranch_execz .LBB30_27
; %bb.20:
	v_trunc_f32_e32 v2, v15
	s_mov_b32 s6, 0
	v_cmp_neq_f32_e32 vcc_lo, v2, v15
	v_mov_b32_e32 v2, 0
	s_and_saveexec_b32 s12, vcc_lo
	s_cbranch_execz .LBB30_26
; %bb.21:
	v_cvt_f64_f32_e32 v[2:3], v15
	s_mov_b32 s7, 0xc00921fb
	s_mov_b32 s6, 0x54442d18
                                        ; implicit-def: $vgpr13
                                        ; implicit-def: $vgpr8_vgpr9
	v_trunc_f64_e32 v[6:7], v[2:3]
	v_cmp_neq_f64_e64 vcc_lo, 0x7ff00000, |v[2:3]|
	v_add_f64 v[6:7], v[2:3], -v[6:7]
	v_mul_f64 v[6:7], |v[6:7]|, s[6:7]
	v_cndmask_b32_e32 v3, 0x80000000, v7, vcc_lo
	v_cndmask_b32_e32 v2, 0, v6, vcc_lo
                                        ; implicit-def: $vgpr6_vgpr7
	v_cmp_ngt_f64_e64 s5, 0x41d00000, |v[2:3]|
	s_and_saveexec_b32 s7, s5
	s_xor_b32 s5, exec_lo, s7
	s_cbranch_execz .LBB30_23
; %bb.22:
	v_ldexp_f64 v[6:7], |v[2:3]|, 0xffffff80
	v_cmp_le_f64_e64 vcc_lo, 0x7b000000, |v[2:3]|
	v_trig_preop_f64 v[8:9], |v[2:3]|, 0
	v_and_b32_e32 v13, 0x7fffffff, v3
	v_trig_preop_f64 v[21:22], |v[2:3]|, 1
	v_trig_preop_f64 v[31:32], |v[2:3]|, 2
	v_mov_b32_e32 v48, 0
	s_mov_b32 s7, 0x3ff921fb
	s_mov_b32 s14, 0x33145c07
	;; [unrolled: 1-line block ×3, first 2 shown]
	v_cndmask_b32_e32 v7, v13, v7, vcc_lo
	v_cndmask_b32_e32 v6, v2, v6, vcc_lo
	v_mul_f64 v[23:24], v[8:9], v[6:7]
	v_mul_f64 v[25:26], v[21:22], v[6:7]
	;; [unrolled: 1-line block ×3, first 2 shown]
	v_fma_f64 v[8:9], v[8:9], v[6:7], -v[23:24]
	v_fma_f64 v[21:22], v[21:22], v[6:7], -v[25:26]
	;; [unrolled: 1-line block ×3, first 2 shown]
	v_add_f64 v[27:28], v[25:26], v[8:9]
	v_add_f64 v[29:30], v[27:28], -v[25:26]
	v_add_f64 v[35:36], v[23:24], v[27:28]
	v_add_f64 v[33:34], v[27:28], -v[29:30]
	v_add_f64 v[8:9], v[8:9], -v[29:30]
	v_ldexp_f64 v[29:30], v[35:36], -2
	v_add_f64 v[23:24], v[35:36], -v[23:24]
	v_add_f64 v[25:26], v[25:26], -v[33:34]
	v_add_f64 v[33:34], v[37:38], v[21:22]
	v_cmp_neq_f64_e64 vcc_lo, 0x7ff00000, |v[29:30]|
	v_add_f64 v[23:24], v[27:28], -v[23:24]
	v_add_f64 v[8:9], v[8:9], v[25:26]
	v_fract_f64_e32 v[25:26], v[29:30]
	v_add_f64 v[27:28], v[33:34], v[8:9]
	v_ldexp_f64 v[25:26], v[25:26], 2
	v_add_f64 v[29:30], v[23:24], v[27:28]
	v_cndmask_b32_e32 v26, 0, v26, vcc_lo
	v_cndmask_b32_e32 v25, 0, v25, vcc_lo
	v_add_f64 v[35:36], v[29:30], v[25:26]
	v_add_f64 v[23:24], v[29:30], -v[23:24]
	v_cmp_gt_f64_e32 vcc_lo, 0, v[35:36]
	v_add_f64 v[35:36], v[33:34], -v[37:38]
	v_add_f64 v[23:24], v[27:28], -v[23:24]
	v_cndmask_b32_e64 v49, 0, 0x40100000, vcc_lo
	v_add_f64 v[53:54], v[33:34], -v[35:36]
	v_add_f64 v[21:22], v[21:22], -v[35:36]
	v_add_f64 v[25:26], v[25:26], v[48:49]
	v_add_f64 v[49:50], v[27:28], -v[33:34]
	v_add_f64 v[35:36], v[37:38], -v[53:54]
	v_add_f64 v[51:52], v[29:30], v[25:26]
	;; [unrolled: 3-line block ×3, first 2 shown]
	v_cvt_i32_f64_e32 v13, v[51:52]
	v_add_f64 v[33:34], v[33:34], -v[64:65]
	v_cvt_f64_i32_e32 v[49:50], v13
	v_add_f64 v[8:9], v[8:9], v[33:34]
	v_add_f64 v[25:26], v[25:26], -v[49:50]
	v_add_f64 v[8:9], v[21:22], v[8:9]
	v_add_f64 v[21:22], v[29:30], v[25:26]
	;; [unrolled: 1-line block ×3, first 2 shown]
	v_add_f64 v[8:9], v[21:22], -v[25:26]
	v_cmp_le_f64_e32 vcc_lo, 0.5, v[21:22]
	v_add_f64 v[6:7], v[23:24], v[6:7]
	v_add_f64 v[8:9], v[29:30], -v[8:9]
	v_cndmask_b32_e64 v49, 0, 0x3ff00000, vcc_lo
	v_add_co_ci_u32_e64 v13, null, 0, v13, vcc_lo
	v_add_f64 v[6:7], v[6:7], v[8:9]
	v_add_f64 v[8:9], v[21:22], -v[48:49]
	v_add_f64 v[21:22], v[8:9], v[6:7]
	v_mul_f64 v[23:24], v[21:22], s[6:7]
	v_add_f64 v[8:9], v[21:22], -v[8:9]
	v_fma_f64 v[25:26], v[21:22], s[6:7], -v[23:24]
	v_add_f64 v[6:7], v[6:7], -v[8:9]
	v_fma_f64 v[8:9], v[21:22], s[14:15], v[25:26]
	v_fma_f64 v[8:9], v[6:7], s[6:7], v[8:9]
	v_add_f64 v[6:7], v[23:24], v[8:9]
	v_add_f64 v[21:22], v[6:7], -v[23:24]
	v_add_f64 v[8:9], v[8:9], -v[21:22]
.LBB30_23:
	s_andn2_saveexec_b32 s5, s5
	s_cbranch_execz .LBB30_25
; %bb.24:
	s_mov_b32 s6, 0x6dc9c883
	s_mov_b32 s7, 0x3fe45f30
	;; [unrolled: 1-line block ×3, first 2 shown]
	v_mul_f64 v[6:7], |v[2:3]|, s[6:7]
	s_mov_b32 s6, 0x54442d18
	s_mov_b32 s7, 0xbff921fb
	;; [unrolled: 1-line block ×3, first 2 shown]
	v_rndne_f64_e32 v[21:22], v[6:7]
	v_fma_f64 v[6:7], v[21:22], s[6:7], |v[2:3]|
	v_mul_f64 v[8:9], v[21:22], s[14:15]
	s_mov_b32 s6, 0x252049c0
	s_mov_b32 s7, 0xb97b839a
	v_cvt_i32_f64_e32 v13, v[21:22]
	v_fma_f64 v[25:26], v[21:22], s[14:15], v[6:7]
	v_add_f64 v[23:24], v[6:7], v[8:9]
	s_mov_b32 s15, 0x3c91a626
	v_add_f64 v[6:7], v[6:7], -v[23:24]
	v_add_f64 v[23:24], v[23:24], -v[25:26]
	v_add_f64 v[6:7], v[6:7], v[8:9]
	v_fma_f64 v[8:9], v[21:22], s[14:15], v[8:9]
	v_add_f64 v[6:7], v[23:24], v[6:7]
	v_add_f64 v[6:7], v[6:7], -v[8:9]
	v_fma_f64 v[8:9], v[21:22], s[6:7], v[6:7]
	v_add_f64 v[6:7], v[25:26], v[8:9]
	v_add_f64 v[23:24], v[6:7], -v[25:26]
	v_add_f64 v[8:9], v[8:9], -v[23:24]
.LBB30_25:
	s_or_b32 exec_lo, exec_lo, s5
	v_mul_f64 v[21:22], v[6:7], v[6:7]
	v_add_f64 v[23:24], v[8:9], v[8:9]
	s_mov_b32 s14, 0xa9a29f71
	s_mov_b32 s16, 0xc751c08c
	;; [unrolled: 1-line block ×4, first 2 shown]
	v_cmp_class_f64_e64 s5, v[2:3], 0x1f8
	v_and_b32_e32 v13, 1, v13
	v_and_b32_e32 v3, 0x80000000, v3
	v_sub_f32_e32 v15, 1.0, v15
	s_mov_b32 s6, exec_lo
	v_cmp_eq_u32_e32 vcc_lo, 0, v13
	v_fma_f64 v[25:26], v[6:7], v[6:7], -v[21:22]
	v_fma_f64 v[23:24], v[6:7], v[23:24], v[25:26]
	v_add_f64 v[21:22], v[21:22], v[23:24]
	v_fma_f64 v[23:24], v[21:22], s[16:17], s[14:15]
	s_mov_b32 s14, 0x90a8aae0
	s_mov_b32 s15, 0x3f17746f
	v_fma_f64 v[23:24], v[21:22], v[23:24], s[14:15]
	s_mov_b32 s14, 0xa6fbf144
	s_mov_b32 s15, 0xbefbb44d
	;; [unrolled: 3-line block ×13, first 2 shown]
	v_mul_f64 v[21:22], v[21:22], v[23:24]
	v_mul_f64 v[23:24], v[6:7], v[21:22]
	v_add_f64 v[25:26], v[6:7], v[23:24]
	v_fma_f64 v[21:22], v[6:7], v[21:22], -v[23:24]
	v_add_f64 v[6:7], v[25:26], -v[6:7]
	v_add_f64 v[8:9], v[8:9], v[21:22]
	v_add_f64 v[6:7], v[23:24], -v[6:7]
	v_add_f64 v[6:7], v[8:9], v[6:7]
	v_add_f64 v[8:9], v[25:26], v[6:7]
	v_rcp_f64_e32 v[21:22], v[8:9]
	v_fma_f64 v[23:24], -v[8:9], v[21:22], 1.0
	v_fma_f64 v[21:22], v[23:24], v[21:22], v[21:22]
	v_fma_f64 v[23:24], -v[8:9], v[21:22], 1.0
	v_fma_f64 v[21:22], v[23:24], v[21:22], v[21:22]
	v_add_f64 v[23:24], v[8:9], -v[25:26]
	v_mul_f64 v[25:26], v[8:9], v[21:22]
	v_add_f64 v[6:7], v[6:7], -v[23:24]
	v_fma_f64 v[23:24], v[21:22], v[8:9], -v[25:26]
	v_fma_f64 v[6:7], v[21:22], v[6:7], v[23:24]
	v_add_f64 v[23:24], v[25:26], v[6:7]
	v_add_f64 v[27:28], -v[23:24], 1.0
	v_add_f64 v[25:26], v[23:24], -v[25:26]
	v_add_f64 v[29:30], -v[27:28], 1.0
	v_add_f64 v[6:7], v[25:26], -v[6:7]
	v_add_f64 v[23:24], v[29:30], -v[23:24]
	v_add_f64 v[6:7], v[6:7], v[23:24]
	v_add_f64 v[6:7], v[27:28], v[6:7]
	v_mul_f64 v[6:7], v[21:22], v[6:7]
	v_add_f64 v[6:7], v[21:22], v[6:7]
	v_xor_b32_e32 v2, 0x80000000, v7
	v_cndmask_b32_e32 v6, v6, v8, vcc_lo
	v_cndmask_b32_e32 v2, v2, v9, vcc_lo
	v_xor_b32_e32 v3, v2, v3
	v_cndmask_b32_e64 v2, 0, v6, s5
	v_cndmask_b32_e64 v3, 0x7ff80000, v3, s5
	v_div_scale_f64 v[6:7], null, v[2:3], v[2:3], s[14:15]
	v_rcp_f64_e32 v[8:9], v[6:7]
	v_fma_f64 v[21:22], -v[6:7], v[8:9], 1.0
	v_fma_f64 v[8:9], v[8:9], v[21:22], v[8:9]
	v_fma_f64 v[21:22], -v[6:7], v[8:9], 1.0
	v_fma_f64 v[8:9], v[8:9], v[21:22], v[8:9]
	v_div_scale_f64 v[21:22], vcc_lo, s[14:15], v[2:3], s[14:15]
	v_mul_f64 v[23:24], v[21:22], v[8:9]
	v_fma_f64 v[6:7], -v[6:7], v[23:24], v[21:22]
	v_div_fmas_f64 v[6:7], v[6:7], v[8:9], v[23:24]
	v_div_fixup_f64 v[2:3], v[6:7], v[2:3], s[14:15]
	v_cvt_f32_f64_e32 v2, v[2:3]
.LBB30_26:
	s_or_b32 exec_lo, exec_lo, s12
	s_orn2_b32 s5, s6, exec_lo
.LBB30_27:
	s_or_b32 exec_lo, exec_lo, s11
	v_mov_b32_e32 v13, 0x7fc0
	s_and_saveexec_b32 s6, s5
	s_cbranch_execz .LBB30_39
; %bb.28:
	s_mov_b32 s5, exec_lo
	v_cmpx_gt_f32_e32 0x41200000, v15
	s_cbranch_execz .LBB30_32
; %bb.29:
	s_mov_b32 s7, 0
	.p2align	6
.LBB30_30:                              ; =>This Inner Loop Header: Depth=1
	v_div_scale_f32 v3, null, v15, v15, 1.0
	v_div_scale_f32 v8, vcc_lo, 1.0, v15, 1.0
	v_rcp_f32_e32 v6, v3
	v_fma_f32 v7, -v3, v6, 1.0
	v_fmac_f32_e32 v6, v7, v6
	v_mul_f32_e32 v7, v8, v6
	v_fma_f32 v9, -v3, v7, v8
	v_fmac_f32_e32 v7, v9, v6
	v_fma_f32 v3, -v3, v7, v8
	v_div_fmas_f32 v3, v3, v6, v7
	v_div_fixup_f32 v3, v3, v15, 1.0
	v_add_f32_e32 v15, 1.0, v15
	v_sub_f32_e32 v2, v2, v3
	v_cmp_ngt_f32_e32 vcc_lo, 0x41200000, v15
	s_or_b32 s7, vcc_lo, s7
	s_andn2_b32 exec_lo, exec_lo, s7
	s_cbranch_execnz .LBB30_30
; %bb.31:
	s_or_b32 exec_lo, exec_lo, s7
.LBB30_32:
	s_or_b32 exec_lo, exec_lo, s5
                                        ; implicit-def: $vgpr13
	s_mov_b32 s5, exec_lo
	v_cmpx_neq_f32_e32 0x41200000, v15
	s_xor_b32 s7, exec_lo, s5
	s_cbranch_execz .LBB30_36
; %bb.33:
	v_cvt_f64_f32_e32 v[6:7], v15
	v_mov_b32_e32 v3, 0
	s_mov_b32 s12, 0x85d8a000
	s_mov_b32 s13, 0x43763457
	s_mov_b32 s5, exec_lo
	v_cmpx_gt_f64_e32 s[12:13], v[6:7]
	s_cbranch_execz .LBB30_35
; %bb.34:
	v_mul_f32_e32 v3, v15, v15
	v_div_scale_f32 v6, null, v3, v3, 1.0
	v_rcp_f32_e32 v7, v6
	v_fma_f32 v8, -v6, v7, 1.0
	v_fmac_f32_e32 v7, v8, v7
	v_div_scale_f32 v8, vcc_lo, 1.0, v3, 1.0
	v_mul_f32_e32 v9, v8, v7
	v_fma_f32 v13, -v6, v9, v8
	v_fmac_f32_e32 v9, v13, v7
	v_fma_f32 v6, -v6, v9, v8
	v_div_fmas_f32 v6, v6, v7, v9
	v_div_fixup_f32 v3, v6, v3, 1.0
	v_fmaak_f32 v6, 0, v3, 0x3daaaaab
	v_fmaak_f32 v6, v3, v6, 0xbcaccacd
	;; [unrolled: 1-line block ×7, first 2 shown]
	v_mul_f32_e32 v3, v3, v6
.LBB30_35:
	s_or_b32 exec_lo, exec_lo, s5
	v_cmp_gt_f32_e32 vcc_lo, 0x800000, v15
	v_div_scale_f32 v6, null, v15, v15, -0.5
	v_div_scale_f32 v13, s5, -0.5, v15, -0.5
	v_cndmask_b32_e64 v7, 0, 32, vcc_lo
	v_rcp_f32_e32 v8, v6
	v_ldexp_f32 v7, v15, v7
	v_log_f32_e32 v7, v7
	v_fma_f32 v9, -v6, v8, 1.0
	v_fmac_f32_e32 v8, v9, v8
	v_mul_f32_e32 v9, 0x3f317217, v7
	v_mul_f32_e32 v21, v13, v8
	v_fma_f32 v9, 0x3f317217, v7, -v9
	v_fma_f32 v22, -v6, v21, v13
	v_fmamk_f32 v9, v7, 0x3377d1cf, v9
	v_fmac_f32_e32 v21, v22, v8
	v_cndmask_b32_e64 v22, 0, 0x41b17218, vcc_lo
	v_cmp_gt_f32_e64 vcc_lo, 0x7f800000, |v7|
	v_fmac_f32_e32 v9, 0x3f317217, v7
	v_fma_f32 v6, -v6, v21, v13
	v_cndmask_b32_e32 v7, v7, v9, vcc_lo
	s_mov_b32 vcc_lo, s5
	v_div_fmas_f32 v6, v6, v8, v21
	v_sub_f32_e32 v7, v7, v22
	v_div_fixup_f32 v6, v6, v15, -0.5
	v_add_f32_e32 v6, v7, v6
	v_sub_f32_e32 v3, v6, v3
	v_add_f32_e32 v2, v2, v3
	v_bfe_u32 v3, v2, 16, 1
	v_cmp_o_f32_e32 vcc_lo, v2, v2
	v_add3_u32 v2, v2, v3, 0x7fff
	v_mov_b32_e32 v3, 0x7fc0
	v_cndmask_b32_sdwa v13, v3, v2, vcc_lo dst_sel:DWORD dst_unused:UNUSED_PAD src0_sel:DWORD src1_sel:WORD_1
                                        ; implicit-def: $vgpr2
.LBB30_36:
	s_andn2_saveexec_b32 s5, s7
; %bb.37:
	v_add_f32_e32 v2, 0x40101cb7, v2
	v_bfe_u32 v3, v2, 16, 1
	v_cmp_o_f32_e32 vcc_lo, v2, v2
	v_add3_u32 v2, v2, v3, 0x7fff
	v_mov_b32_e32 v3, 0x7fc0
	v_cndmask_b32_sdwa v13, v3, v2, vcc_lo dst_sel:DWORD dst_unused:UNUSED_PAD src0_sel:DWORD src1_sel:WORD_1
; %bb.38:
	s_or_b32 exec_lo, exec_lo, s5
.LBB30_39:
	s_or_b32 exec_lo, exec_lo, s6
                                        ; implicit-def: $vgpr15
.LBB30_40:
	s_andn2_saveexec_b32 s5, s10
; %bb.41:
	v_xor_b32_e32 v2, 0x80000000, v15
	s_mov_b32 s6, 0x7f800000
	v_and_or_b32 v2, 0x80000000, v2, s6
	v_lshrrev_b32_e32 v13, 16, v2
; %bb.42:
	s_or_b32 exec_lo, exec_lo, s5
	s_or_b32 exec_lo, exec_lo, s9
	s_mov_b32 s9, exec_lo
                                        ; implicit-def: $vgpr15
	v_cmpx_lt_i32_e64 v11, v4
	s_cbranch_execz .LBB30_68
.LBB30_43:
                                        ; implicit-def: $vgpr15
	s_mov_b32 s5, exec_lo
	v_cmpx_neq_f32_e32 0, v17
	s_xor_b32 s10, exec_lo, s5
	s_cbranch_execz .LBB30_65
; %bb.44:
	v_mov_b32_e32 v2, 0
	s_mov_b32 s5, -1
	s_mov_b32 s11, exec_lo
	v_cmpx_gt_f32_e32 0, v17
	s_cbranch_execz .LBB30_52
; %bb.45:
	v_trunc_f32_e32 v2, v17
	s_mov_b32 s6, 0
	v_cmp_neq_f32_e32 vcc_lo, v2, v17
	v_mov_b32_e32 v2, 0
	s_and_saveexec_b32 s12, vcc_lo
	s_cbranch_execz .LBB30_51
; %bb.46:
	v_cvt_f64_f32_e32 v[2:3], v17
	s_mov_b32 s7, 0xc00921fb
	s_mov_b32 s6, 0x54442d18
                                        ; implicit-def: $vgpr15
                                        ; implicit-def: $vgpr8_vgpr9
	v_trunc_f64_e32 v[6:7], v[2:3]
	v_cmp_neq_f64_e64 vcc_lo, 0x7ff00000, |v[2:3]|
	v_add_f64 v[6:7], v[2:3], -v[6:7]
	v_mul_f64 v[6:7], |v[6:7]|, s[6:7]
	v_cndmask_b32_e32 v3, 0x80000000, v7, vcc_lo
	v_cndmask_b32_e32 v2, 0, v6, vcc_lo
                                        ; implicit-def: $vgpr6_vgpr7
	v_cmp_ngt_f64_e64 s5, 0x41d00000, |v[2:3]|
	s_and_saveexec_b32 s7, s5
	s_xor_b32 s5, exec_lo, s7
	s_cbranch_execz .LBB30_48
; %bb.47:
	v_ldexp_f64 v[6:7], |v[2:3]|, 0xffffff80
	v_cmp_le_f64_e64 vcc_lo, 0x7b000000, |v[2:3]|
	v_trig_preop_f64 v[8:9], |v[2:3]|, 0
	v_and_b32_e32 v15, 0x7fffffff, v3
	v_trig_preop_f64 v[21:22], |v[2:3]|, 1
	v_trig_preop_f64 v[31:32], |v[2:3]|, 2
	v_mov_b32_e32 v48, 0
	s_mov_b32 s7, 0x3ff921fb
	s_mov_b32 s14, 0x33145c07
	s_mov_b32 s15, 0x3c91a626
	v_cndmask_b32_e32 v7, v15, v7, vcc_lo
	v_cndmask_b32_e32 v6, v2, v6, vcc_lo
	v_mul_f64 v[23:24], v[8:9], v[6:7]
	v_mul_f64 v[25:26], v[21:22], v[6:7]
	v_mul_f64 v[37:38], v[31:32], v[6:7]
	v_fma_f64 v[8:9], v[8:9], v[6:7], -v[23:24]
	v_fma_f64 v[21:22], v[21:22], v[6:7], -v[25:26]
	;; [unrolled: 1-line block ×3, first 2 shown]
	v_add_f64 v[27:28], v[25:26], v[8:9]
	v_add_f64 v[29:30], v[27:28], -v[25:26]
	v_add_f64 v[35:36], v[23:24], v[27:28]
	v_add_f64 v[33:34], v[27:28], -v[29:30]
	v_add_f64 v[8:9], v[8:9], -v[29:30]
	v_ldexp_f64 v[29:30], v[35:36], -2
	v_add_f64 v[23:24], v[35:36], -v[23:24]
	v_add_f64 v[25:26], v[25:26], -v[33:34]
	v_add_f64 v[33:34], v[37:38], v[21:22]
	v_cmp_neq_f64_e64 vcc_lo, 0x7ff00000, |v[29:30]|
	v_add_f64 v[23:24], v[27:28], -v[23:24]
	v_add_f64 v[8:9], v[8:9], v[25:26]
	v_fract_f64_e32 v[25:26], v[29:30]
	v_add_f64 v[27:28], v[33:34], v[8:9]
	v_ldexp_f64 v[25:26], v[25:26], 2
	v_add_f64 v[29:30], v[23:24], v[27:28]
	v_cndmask_b32_e32 v26, 0, v26, vcc_lo
	v_cndmask_b32_e32 v25, 0, v25, vcc_lo
	v_add_f64 v[35:36], v[29:30], v[25:26]
	v_add_f64 v[23:24], v[29:30], -v[23:24]
	v_cmp_gt_f64_e32 vcc_lo, 0, v[35:36]
	v_add_f64 v[35:36], v[33:34], -v[37:38]
	v_add_f64 v[23:24], v[27:28], -v[23:24]
	v_cndmask_b32_e64 v49, 0, 0x40100000, vcc_lo
	v_add_f64 v[53:54], v[33:34], -v[35:36]
	v_add_f64 v[21:22], v[21:22], -v[35:36]
	v_add_f64 v[25:26], v[25:26], v[48:49]
	v_add_f64 v[49:50], v[27:28], -v[33:34]
	v_add_f64 v[35:36], v[37:38], -v[53:54]
	v_add_f64 v[51:52], v[29:30], v[25:26]
	;; [unrolled: 3-line block ×3, first 2 shown]
	v_cvt_i32_f64_e32 v15, v[51:52]
	v_add_f64 v[33:34], v[33:34], -v[64:65]
	v_cvt_f64_i32_e32 v[49:50], v15
	v_add_f64 v[8:9], v[8:9], v[33:34]
	v_add_f64 v[25:26], v[25:26], -v[49:50]
	v_add_f64 v[8:9], v[21:22], v[8:9]
	v_add_f64 v[21:22], v[29:30], v[25:26]
	v_add_f64 v[6:7], v[6:7], v[8:9]
	v_add_f64 v[8:9], v[21:22], -v[25:26]
	v_cmp_le_f64_e32 vcc_lo, 0.5, v[21:22]
	v_add_f64 v[6:7], v[23:24], v[6:7]
	v_add_f64 v[8:9], v[29:30], -v[8:9]
	v_cndmask_b32_e64 v49, 0, 0x3ff00000, vcc_lo
	v_add_co_ci_u32_e64 v15, null, 0, v15, vcc_lo
	v_add_f64 v[6:7], v[6:7], v[8:9]
	v_add_f64 v[8:9], v[21:22], -v[48:49]
	v_add_f64 v[21:22], v[8:9], v[6:7]
	v_mul_f64 v[23:24], v[21:22], s[6:7]
	v_add_f64 v[8:9], v[21:22], -v[8:9]
	v_fma_f64 v[25:26], v[21:22], s[6:7], -v[23:24]
	v_add_f64 v[6:7], v[6:7], -v[8:9]
	v_fma_f64 v[8:9], v[21:22], s[14:15], v[25:26]
	v_fma_f64 v[8:9], v[6:7], s[6:7], v[8:9]
	v_add_f64 v[6:7], v[23:24], v[8:9]
	v_add_f64 v[21:22], v[6:7], -v[23:24]
	v_add_f64 v[8:9], v[8:9], -v[21:22]
.LBB30_48:
	s_andn2_saveexec_b32 s5, s5
	s_cbranch_execz .LBB30_50
; %bb.49:
	s_mov_b32 s6, 0x6dc9c883
	s_mov_b32 s7, 0x3fe45f30
	;; [unrolled: 1-line block ×3, first 2 shown]
	v_mul_f64 v[6:7], |v[2:3]|, s[6:7]
	s_mov_b32 s6, 0x54442d18
	s_mov_b32 s7, 0xbff921fb
	;; [unrolled: 1-line block ×3, first 2 shown]
	v_rndne_f64_e32 v[21:22], v[6:7]
	v_fma_f64 v[6:7], v[21:22], s[6:7], |v[2:3]|
	v_mul_f64 v[8:9], v[21:22], s[14:15]
	s_mov_b32 s6, 0x252049c0
	s_mov_b32 s7, 0xb97b839a
	v_cvt_i32_f64_e32 v15, v[21:22]
	v_fma_f64 v[25:26], v[21:22], s[14:15], v[6:7]
	v_add_f64 v[23:24], v[6:7], v[8:9]
	s_mov_b32 s15, 0x3c91a626
	v_add_f64 v[6:7], v[6:7], -v[23:24]
	v_add_f64 v[23:24], v[23:24], -v[25:26]
	v_add_f64 v[6:7], v[6:7], v[8:9]
	v_fma_f64 v[8:9], v[21:22], s[14:15], v[8:9]
	v_add_f64 v[6:7], v[23:24], v[6:7]
	v_add_f64 v[6:7], v[6:7], -v[8:9]
	v_fma_f64 v[8:9], v[21:22], s[6:7], v[6:7]
	v_add_f64 v[6:7], v[25:26], v[8:9]
	v_add_f64 v[23:24], v[6:7], -v[25:26]
	v_add_f64 v[8:9], v[8:9], -v[23:24]
.LBB30_50:
	s_or_b32 exec_lo, exec_lo, s5
	v_mul_f64 v[21:22], v[6:7], v[6:7]
	v_add_f64 v[23:24], v[8:9], v[8:9]
	s_mov_b32 s14, 0xa9a29f71
	s_mov_b32 s16, 0xc751c08c
	;; [unrolled: 1-line block ×4, first 2 shown]
	v_cmp_class_f64_e64 s5, v[2:3], 0x1f8
	v_and_b32_e32 v15, 1, v15
	v_and_b32_e32 v3, 0x80000000, v3
	v_sub_f32_e32 v17, 1.0, v17
	s_mov_b32 s6, exec_lo
	v_cmp_eq_u32_e32 vcc_lo, 0, v15
	v_fma_f64 v[25:26], v[6:7], v[6:7], -v[21:22]
	v_fma_f64 v[23:24], v[6:7], v[23:24], v[25:26]
	v_add_f64 v[21:22], v[21:22], v[23:24]
	v_fma_f64 v[23:24], v[21:22], s[16:17], s[14:15]
	s_mov_b32 s14, 0x90a8aae0
	s_mov_b32 s15, 0x3f17746f
	v_fma_f64 v[23:24], v[21:22], v[23:24], s[14:15]
	s_mov_b32 s14, 0xa6fbf144
	s_mov_b32 s15, 0xbefbb44d
	v_fma_f64 v[23:24], v[21:22], v[23:24], s[14:15]
	s_mov_b32 s14, 0xa7943acf
	s_mov_b32 s15, 0x3f21e634
	v_fma_f64 v[23:24], v[21:22], v[23:24], s[14:15]
	s_mov_b32 s14, 0xdeb68feb
	s_mov_b32 s15, 0x3f2d250f
	v_fma_f64 v[23:24], v[21:22], v[23:24], s[14:15]
	s_mov_b32 s14, 0xb58c4d95
	s_mov_b32 s15, 0x3f437fd9
	v_fma_f64 v[23:24], v[21:22], v[23:24], s[14:15]
	s_mov_b32 s14, 0x15120e2c
	s_mov_b32 s15, 0x3f57d5af
	v_fma_f64 v[23:24], v[21:22], v[23:24], s[14:15]
	s_mov_b32 s14, 0xe09491df
	s_mov_b32 s15, 0x3f6d6d93
	v_fma_f64 v[23:24], v[21:22], v[23:24], s[14:15]
	s_mov_b32 s14, 0x2033784d
	s_mov_b32 s15, 0x3f8226e1
	v_fma_f64 v[23:24], v[21:22], v[23:24], s[14:15]
	s_mov_b32 s14, 0x9ac36ae2
	s_mov_b32 s15, 0x3f9664f4
	v_fma_f64 v[23:24], v[21:22], v[23:24], s[14:15]
	s_mov_b32 s14, 0x1b451c21
	s_mov_b32 s15, 0x3faba1ba
	v_fma_f64 v[23:24], v[21:22], v[23:24], s[14:15]
	s_mov_b32 s14, 0x111185b7
	s_mov_b32 s15, 0x3fc11111
	v_fma_f64 v[23:24], v[21:22], v[23:24], s[14:15]
	s_mov_b32 s14, 0x555554ee
	s_mov_b32 s15, 0x3fd55555
	v_fma_f64 v[23:24], v[21:22], v[23:24], s[14:15]
	s_mov_b32 s14, 0x54442d18
	s_mov_b32 s15, 0xc00921fb
	v_mul_f64 v[21:22], v[21:22], v[23:24]
	v_mul_f64 v[23:24], v[6:7], v[21:22]
	v_add_f64 v[25:26], v[6:7], v[23:24]
	v_fma_f64 v[21:22], v[6:7], v[21:22], -v[23:24]
	v_add_f64 v[6:7], v[25:26], -v[6:7]
	v_add_f64 v[8:9], v[8:9], v[21:22]
	v_add_f64 v[6:7], v[23:24], -v[6:7]
	v_add_f64 v[6:7], v[8:9], v[6:7]
	v_add_f64 v[8:9], v[25:26], v[6:7]
	v_rcp_f64_e32 v[21:22], v[8:9]
	v_fma_f64 v[23:24], -v[8:9], v[21:22], 1.0
	v_fma_f64 v[21:22], v[23:24], v[21:22], v[21:22]
	v_fma_f64 v[23:24], -v[8:9], v[21:22], 1.0
	v_fma_f64 v[21:22], v[23:24], v[21:22], v[21:22]
	v_add_f64 v[23:24], v[8:9], -v[25:26]
	v_mul_f64 v[25:26], v[8:9], v[21:22]
	v_add_f64 v[6:7], v[6:7], -v[23:24]
	v_fma_f64 v[23:24], v[21:22], v[8:9], -v[25:26]
	v_fma_f64 v[6:7], v[21:22], v[6:7], v[23:24]
	v_add_f64 v[23:24], v[25:26], v[6:7]
	v_add_f64 v[27:28], -v[23:24], 1.0
	v_add_f64 v[25:26], v[23:24], -v[25:26]
	v_add_f64 v[29:30], -v[27:28], 1.0
	v_add_f64 v[6:7], v[25:26], -v[6:7]
	v_add_f64 v[23:24], v[29:30], -v[23:24]
	v_add_f64 v[6:7], v[6:7], v[23:24]
	v_add_f64 v[6:7], v[27:28], v[6:7]
	v_mul_f64 v[6:7], v[21:22], v[6:7]
	v_add_f64 v[6:7], v[21:22], v[6:7]
	v_xor_b32_e32 v2, 0x80000000, v7
	v_cndmask_b32_e32 v6, v6, v8, vcc_lo
	v_cndmask_b32_e32 v2, v2, v9, vcc_lo
	v_xor_b32_e32 v3, v2, v3
	v_cndmask_b32_e64 v2, 0, v6, s5
	v_cndmask_b32_e64 v3, 0x7ff80000, v3, s5
	v_div_scale_f64 v[6:7], null, v[2:3], v[2:3], s[14:15]
	v_rcp_f64_e32 v[8:9], v[6:7]
	v_fma_f64 v[21:22], -v[6:7], v[8:9], 1.0
	v_fma_f64 v[8:9], v[8:9], v[21:22], v[8:9]
	v_fma_f64 v[21:22], -v[6:7], v[8:9], 1.0
	v_fma_f64 v[8:9], v[8:9], v[21:22], v[8:9]
	v_div_scale_f64 v[21:22], vcc_lo, s[14:15], v[2:3], s[14:15]
	v_mul_f64 v[23:24], v[21:22], v[8:9]
	v_fma_f64 v[6:7], -v[6:7], v[23:24], v[21:22]
	v_div_fmas_f64 v[6:7], v[6:7], v[8:9], v[23:24]
	v_div_fixup_f64 v[2:3], v[6:7], v[2:3], s[14:15]
	v_cvt_f32_f64_e32 v2, v[2:3]
.LBB30_51:
	s_or_b32 exec_lo, exec_lo, s12
	s_orn2_b32 s5, s6, exec_lo
.LBB30_52:
	s_or_b32 exec_lo, exec_lo, s11
	v_mov_b32_e32 v15, 0x7fc0
	s_and_saveexec_b32 s6, s5
	s_cbranch_execz .LBB30_64
; %bb.53:
	s_mov_b32 s5, exec_lo
	v_cmpx_gt_f32_e32 0x41200000, v17
	s_cbranch_execz .LBB30_57
; %bb.54:
	s_mov_b32 s7, 0
	.p2align	6
.LBB30_55:                              ; =>This Inner Loop Header: Depth=1
	v_div_scale_f32 v3, null, v17, v17, 1.0
	v_div_scale_f32 v8, vcc_lo, 1.0, v17, 1.0
	v_rcp_f32_e32 v6, v3
	v_fma_f32 v7, -v3, v6, 1.0
	v_fmac_f32_e32 v6, v7, v6
	v_mul_f32_e32 v7, v8, v6
	v_fma_f32 v9, -v3, v7, v8
	v_fmac_f32_e32 v7, v9, v6
	v_fma_f32 v3, -v3, v7, v8
	v_div_fmas_f32 v3, v3, v6, v7
	v_div_fixup_f32 v3, v3, v17, 1.0
	v_add_f32_e32 v17, 1.0, v17
	v_sub_f32_e32 v2, v2, v3
	v_cmp_ngt_f32_e32 vcc_lo, 0x41200000, v17
	s_or_b32 s7, vcc_lo, s7
	s_andn2_b32 exec_lo, exec_lo, s7
	s_cbranch_execnz .LBB30_55
; %bb.56:
	s_or_b32 exec_lo, exec_lo, s7
.LBB30_57:
	s_or_b32 exec_lo, exec_lo, s5
                                        ; implicit-def: $vgpr15
	s_mov_b32 s5, exec_lo
	v_cmpx_neq_f32_e32 0x41200000, v17
	s_xor_b32 s7, exec_lo, s5
	s_cbranch_execz .LBB30_61
; %bb.58:
	v_cvt_f64_f32_e32 v[6:7], v17
	v_mov_b32_e32 v3, 0
	s_mov_b32 s12, 0x85d8a000
	s_mov_b32 s13, 0x43763457
	s_mov_b32 s5, exec_lo
	v_cmpx_gt_f64_e32 s[12:13], v[6:7]
	s_cbranch_execz .LBB30_60
; %bb.59:
	v_mul_f32_e32 v3, v17, v17
	v_div_scale_f32 v6, null, v3, v3, 1.0
	v_rcp_f32_e32 v7, v6
	v_fma_f32 v8, -v6, v7, 1.0
	v_fmac_f32_e32 v7, v8, v7
	v_div_scale_f32 v8, vcc_lo, 1.0, v3, 1.0
	v_mul_f32_e32 v9, v8, v7
	v_fma_f32 v15, -v6, v9, v8
	v_fmac_f32_e32 v9, v15, v7
	v_fma_f32 v6, -v6, v9, v8
	v_div_fmas_f32 v6, v6, v7, v9
	v_div_fixup_f32 v3, v6, v3, 1.0
	v_fmaak_f32 v6, 0, v3, 0x3daaaaab
	v_fmaak_f32 v6, v3, v6, 0xbcaccacd
	;; [unrolled: 1-line block ×7, first 2 shown]
	v_mul_f32_e32 v3, v3, v6
.LBB30_60:
	s_or_b32 exec_lo, exec_lo, s5
	v_cmp_gt_f32_e32 vcc_lo, 0x800000, v17
	v_div_scale_f32 v6, null, v17, v17, -0.5
	v_div_scale_f32 v15, s5, -0.5, v17, -0.5
	v_cndmask_b32_e64 v7, 0, 32, vcc_lo
	v_rcp_f32_e32 v8, v6
	v_ldexp_f32 v7, v17, v7
	v_log_f32_e32 v7, v7
	v_fma_f32 v9, -v6, v8, 1.0
	v_fmac_f32_e32 v8, v9, v8
	v_mul_f32_e32 v9, 0x3f317217, v7
	v_mul_f32_e32 v21, v15, v8
	v_fma_f32 v9, 0x3f317217, v7, -v9
	v_fma_f32 v22, -v6, v21, v15
	v_fmamk_f32 v9, v7, 0x3377d1cf, v9
	v_fmac_f32_e32 v21, v22, v8
	v_cndmask_b32_e64 v22, 0, 0x41b17218, vcc_lo
	v_cmp_gt_f32_e64 vcc_lo, 0x7f800000, |v7|
	v_fmac_f32_e32 v9, 0x3f317217, v7
	v_fma_f32 v6, -v6, v21, v15
	v_cndmask_b32_e32 v7, v7, v9, vcc_lo
	s_mov_b32 vcc_lo, s5
	v_div_fmas_f32 v6, v6, v8, v21
	v_sub_f32_e32 v7, v7, v22
	v_div_fixup_f32 v6, v6, v17, -0.5
	v_add_f32_e32 v6, v7, v6
	v_sub_f32_e32 v3, v6, v3
	v_add_f32_e32 v2, v2, v3
	v_bfe_u32 v3, v2, 16, 1
	v_cmp_o_f32_e32 vcc_lo, v2, v2
	v_add3_u32 v2, v2, v3, 0x7fff
	v_mov_b32_e32 v3, 0x7fc0
	v_cndmask_b32_sdwa v15, v3, v2, vcc_lo dst_sel:DWORD dst_unused:UNUSED_PAD src0_sel:DWORD src1_sel:WORD_1
                                        ; implicit-def: $vgpr2
.LBB30_61:
	s_andn2_saveexec_b32 s5, s7
; %bb.62:
	v_add_f32_e32 v2, 0x40101cb7, v2
	v_bfe_u32 v3, v2, 16, 1
	v_cmp_o_f32_e32 vcc_lo, v2, v2
	v_add3_u32 v2, v2, v3, 0x7fff
	v_mov_b32_e32 v3, 0x7fc0
	v_cndmask_b32_sdwa v15, v3, v2, vcc_lo dst_sel:DWORD dst_unused:UNUSED_PAD src0_sel:DWORD src1_sel:WORD_1
; %bb.63:
	s_or_b32 exec_lo, exec_lo, s5
.LBB30_64:
	s_or_b32 exec_lo, exec_lo, s6
                                        ; implicit-def: $vgpr17
.LBB30_65:
	s_andn2_saveexec_b32 s5, s10
; %bb.66:
	v_xor_b32_e32 v2, 0x80000000, v17
	s_mov_b32 s6, 0x7f800000
	v_and_or_b32 v2, 0x80000000, v2, s6
	v_lshrrev_b32_e32 v15, 16, v2
; %bb.67:
	s_or_b32 exec_lo, exec_lo, s5
.LBB30_68:
	s_or_b32 exec_lo, exec_lo, s9
	v_add_nc_u32_e32 v2, 0x200, v10
	s_mov_b32 s9, exec_lo
                                        ; implicit-def: $vgpr17
	v_cmpx_lt_i32_e64 v2, v4
	s_cbranch_execz .LBB30_94
; %bb.69:
                                        ; implicit-def: $vgpr17
	s_mov_b32 s5, exec_lo
	v_cmpx_neq_f32_e32 0, v19
	s_xor_b32 s10, exec_lo, s5
	s_cbranch_execz .LBB30_91
; %bb.70:
	v_mov_b32_e32 v2, 0
	s_mov_b32 s5, -1
	s_mov_b32 s11, exec_lo
	v_cmpx_gt_f32_e32 0, v19
	s_cbranch_execz .LBB30_78
; %bb.71:
	v_trunc_f32_e32 v2, v19
	s_mov_b32 s6, 0
	v_cmp_neq_f32_e32 vcc_lo, v2, v19
	v_mov_b32_e32 v2, 0
	s_and_saveexec_b32 s12, vcc_lo
	s_cbranch_execz .LBB30_77
; %bb.72:
	v_cvt_f64_f32_e32 v[2:3], v19
	s_mov_b32 s7, 0xc00921fb
	s_mov_b32 s6, 0x54442d18
                                        ; implicit-def: $vgpr17
                                        ; implicit-def: $vgpr8_vgpr9
	v_trunc_f64_e32 v[6:7], v[2:3]
	v_cmp_neq_f64_e64 vcc_lo, 0x7ff00000, |v[2:3]|
	v_add_f64 v[6:7], v[2:3], -v[6:7]
	v_mul_f64 v[6:7], |v[6:7]|, s[6:7]
	v_cndmask_b32_e32 v3, 0x80000000, v7, vcc_lo
	v_cndmask_b32_e32 v2, 0, v6, vcc_lo
                                        ; implicit-def: $vgpr6_vgpr7
	v_cmp_ngt_f64_e64 s5, 0x41d00000, |v[2:3]|
	s_and_saveexec_b32 s7, s5
	s_xor_b32 s5, exec_lo, s7
	s_cbranch_execz .LBB30_74
; %bb.73:
	v_ldexp_f64 v[6:7], |v[2:3]|, 0xffffff80
	v_cmp_le_f64_e64 vcc_lo, 0x7b000000, |v[2:3]|
	v_trig_preop_f64 v[8:9], |v[2:3]|, 0
	v_and_b32_e32 v17, 0x7fffffff, v3
	v_trig_preop_f64 v[21:22], |v[2:3]|, 1
	v_trig_preop_f64 v[31:32], |v[2:3]|, 2
	v_mov_b32_e32 v48, 0
	s_mov_b32 s7, 0x3ff921fb
	s_mov_b32 s14, 0x33145c07
	;; [unrolled: 1-line block ×3, first 2 shown]
	v_cndmask_b32_e32 v7, v17, v7, vcc_lo
	v_cndmask_b32_e32 v6, v2, v6, vcc_lo
	v_mul_f64 v[23:24], v[8:9], v[6:7]
	v_mul_f64 v[25:26], v[21:22], v[6:7]
	;; [unrolled: 1-line block ×3, first 2 shown]
	v_fma_f64 v[8:9], v[8:9], v[6:7], -v[23:24]
	v_fma_f64 v[21:22], v[21:22], v[6:7], -v[25:26]
	;; [unrolled: 1-line block ×3, first 2 shown]
	v_add_f64 v[27:28], v[25:26], v[8:9]
	v_add_f64 v[29:30], v[27:28], -v[25:26]
	v_add_f64 v[35:36], v[23:24], v[27:28]
	v_add_f64 v[33:34], v[27:28], -v[29:30]
	v_add_f64 v[8:9], v[8:9], -v[29:30]
	v_ldexp_f64 v[29:30], v[35:36], -2
	v_add_f64 v[23:24], v[35:36], -v[23:24]
	v_add_f64 v[25:26], v[25:26], -v[33:34]
	v_add_f64 v[33:34], v[37:38], v[21:22]
	v_cmp_neq_f64_e64 vcc_lo, 0x7ff00000, |v[29:30]|
	v_add_f64 v[23:24], v[27:28], -v[23:24]
	v_add_f64 v[8:9], v[8:9], v[25:26]
	v_fract_f64_e32 v[25:26], v[29:30]
	v_add_f64 v[27:28], v[33:34], v[8:9]
	v_ldexp_f64 v[25:26], v[25:26], 2
	v_add_f64 v[29:30], v[23:24], v[27:28]
	v_cndmask_b32_e32 v26, 0, v26, vcc_lo
	v_cndmask_b32_e32 v25, 0, v25, vcc_lo
	v_add_f64 v[35:36], v[29:30], v[25:26]
	v_add_f64 v[23:24], v[29:30], -v[23:24]
	v_cmp_gt_f64_e32 vcc_lo, 0, v[35:36]
	v_add_f64 v[35:36], v[33:34], -v[37:38]
	v_add_f64 v[23:24], v[27:28], -v[23:24]
	v_cndmask_b32_e64 v49, 0, 0x40100000, vcc_lo
	v_add_f64 v[53:54], v[33:34], -v[35:36]
	v_add_f64 v[21:22], v[21:22], -v[35:36]
	v_add_f64 v[25:26], v[25:26], v[48:49]
	v_add_f64 v[49:50], v[27:28], -v[33:34]
	v_add_f64 v[35:36], v[37:38], -v[53:54]
	v_add_f64 v[51:52], v[29:30], v[25:26]
	;; [unrolled: 3-line block ×3, first 2 shown]
	v_cvt_i32_f64_e32 v17, v[51:52]
	v_add_f64 v[33:34], v[33:34], -v[64:65]
	v_cvt_f64_i32_e32 v[49:50], v17
	v_add_f64 v[8:9], v[8:9], v[33:34]
	v_add_f64 v[25:26], v[25:26], -v[49:50]
	v_add_f64 v[8:9], v[21:22], v[8:9]
	v_add_f64 v[21:22], v[29:30], v[25:26]
	;; [unrolled: 1-line block ×3, first 2 shown]
	v_add_f64 v[8:9], v[21:22], -v[25:26]
	v_cmp_le_f64_e32 vcc_lo, 0.5, v[21:22]
	v_add_f64 v[6:7], v[23:24], v[6:7]
	v_add_f64 v[8:9], v[29:30], -v[8:9]
	v_cndmask_b32_e64 v49, 0, 0x3ff00000, vcc_lo
	v_add_co_ci_u32_e64 v17, null, 0, v17, vcc_lo
	v_add_f64 v[6:7], v[6:7], v[8:9]
	v_add_f64 v[8:9], v[21:22], -v[48:49]
	v_add_f64 v[21:22], v[8:9], v[6:7]
	v_mul_f64 v[23:24], v[21:22], s[6:7]
	v_add_f64 v[8:9], v[21:22], -v[8:9]
	v_fma_f64 v[25:26], v[21:22], s[6:7], -v[23:24]
	v_add_f64 v[6:7], v[6:7], -v[8:9]
	v_fma_f64 v[8:9], v[21:22], s[14:15], v[25:26]
	v_fma_f64 v[8:9], v[6:7], s[6:7], v[8:9]
	v_add_f64 v[6:7], v[23:24], v[8:9]
	v_add_f64 v[21:22], v[6:7], -v[23:24]
	v_add_f64 v[8:9], v[8:9], -v[21:22]
.LBB30_74:
	s_andn2_saveexec_b32 s5, s5
	s_cbranch_execz .LBB30_76
; %bb.75:
	s_mov_b32 s6, 0x6dc9c883
	s_mov_b32 s7, 0x3fe45f30
	;; [unrolled: 1-line block ×3, first 2 shown]
	v_mul_f64 v[6:7], |v[2:3]|, s[6:7]
	s_mov_b32 s6, 0x54442d18
	s_mov_b32 s7, 0xbff921fb
	;; [unrolled: 1-line block ×3, first 2 shown]
	v_rndne_f64_e32 v[21:22], v[6:7]
	v_fma_f64 v[6:7], v[21:22], s[6:7], |v[2:3]|
	v_mul_f64 v[8:9], v[21:22], s[14:15]
	s_mov_b32 s6, 0x252049c0
	s_mov_b32 s7, 0xb97b839a
	v_cvt_i32_f64_e32 v17, v[21:22]
	v_fma_f64 v[25:26], v[21:22], s[14:15], v[6:7]
	v_add_f64 v[23:24], v[6:7], v[8:9]
	s_mov_b32 s15, 0x3c91a626
	v_add_f64 v[6:7], v[6:7], -v[23:24]
	v_add_f64 v[23:24], v[23:24], -v[25:26]
	v_add_f64 v[6:7], v[6:7], v[8:9]
	v_fma_f64 v[8:9], v[21:22], s[14:15], v[8:9]
	v_add_f64 v[6:7], v[23:24], v[6:7]
	v_add_f64 v[6:7], v[6:7], -v[8:9]
	v_fma_f64 v[8:9], v[21:22], s[6:7], v[6:7]
	v_add_f64 v[6:7], v[25:26], v[8:9]
	v_add_f64 v[23:24], v[6:7], -v[25:26]
	v_add_f64 v[8:9], v[8:9], -v[23:24]
.LBB30_76:
	s_or_b32 exec_lo, exec_lo, s5
	v_mul_f64 v[21:22], v[6:7], v[6:7]
	v_add_f64 v[23:24], v[8:9], v[8:9]
	s_mov_b32 s14, 0xa9a29f71
	s_mov_b32 s16, 0xc751c08c
	;; [unrolled: 1-line block ×4, first 2 shown]
	v_cmp_class_f64_e64 s5, v[2:3], 0x1f8
	v_and_b32_e32 v17, 1, v17
	v_and_b32_e32 v3, 0x80000000, v3
	v_sub_f32_e32 v19, 1.0, v19
	s_mov_b32 s6, exec_lo
	v_cmp_eq_u32_e32 vcc_lo, 0, v17
	v_fma_f64 v[25:26], v[6:7], v[6:7], -v[21:22]
	v_fma_f64 v[23:24], v[6:7], v[23:24], v[25:26]
	v_add_f64 v[21:22], v[21:22], v[23:24]
	v_fma_f64 v[23:24], v[21:22], s[16:17], s[14:15]
	s_mov_b32 s14, 0x90a8aae0
	s_mov_b32 s15, 0x3f17746f
	v_fma_f64 v[23:24], v[21:22], v[23:24], s[14:15]
	s_mov_b32 s14, 0xa6fbf144
	s_mov_b32 s15, 0xbefbb44d
	;; [unrolled: 3-line block ×13, first 2 shown]
	v_mul_f64 v[21:22], v[21:22], v[23:24]
	v_mul_f64 v[23:24], v[6:7], v[21:22]
	v_add_f64 v[25:26], v[6:7], v[23:24]
	v_fma_f64 v[21:22], v[6:7], v[21:22], -v[23:24]
	v_add_f64 v[6:7], v[25:26], -v[6:7]
	v_add_f64 v[8:9], v[8:9], v[21:22]
	v_add_f64 v[6:7], v[23:24], -v[6:7]
	v_add_f64 v[6:7], v[8:9], v[6:7]
	v_add_f64 v[8:9], v[25:26], v[6:7]
	v_rcp_f64_e32 v[21:22], v[8:9]
	v_fma_f64 v[23:24], -v[8:9], v[21:22], 1.0
	v_fma_f64 v[21:22], v[23:24], v[21:22], v[21:22]
	v_fma_f64 v[23:24], -v[8:9], v[21:22], 1.0
	v_fma_f64 v[21:22], v[23:24], v[21:22], v[21:22]
	v_add_f64 v[23:24], v[8:9], -v[25:26]
	v_mul_f64 v[25:26], v[8:9], v[21:22]
	v_add_f64 v[6:7], v[6:7], -v[23:24]
	v_fma_f64 v[23:24], v[21:22], v[8:9], -v[25:26]
	v_fma_f64 v[6:7], v[21:22], v[6:7], v[23:24]
	v_add_f64 v[23:24], v[25:26], v[6:7]
	v_add_f64 v[27:28], -v[23:24], 1.0
	v_add_f64 v[25:26], v[23:24], -v[25:26]
	v_add_f64 v[29:30], -v[27:28], 1.0
	v_add_f64 v[6:7], v[25:26], -v[6:7]
	v_add_f64 v[23:24], v[29:30], -v[23:24]
	v_add_f64 v[6:7], v[6:7], v[23:24]
	v_add_f64 v[6:7], v[27:28], v[6:7]
	v_mul_f64 v[6:7], v[21:22], v[6:7]
	v_add_f64 v[6:7], v[21:22], v[6:7]
	v_xor_b32_e32 v2, 0x80000000, v7
	v_cndmask_b32_e32 v6, v6, v8, vcc_lo
	v_cndmask_b32_e32 v2, v2, v9, vcc_lo
	v_xor_b32_e32 v3, v2, v3
	v_cndmask_b32_e64 v2, 0, v6, s5
	v_cndmask_b32_e64 v3, 0x7ff80000, v3, s5
	v_div_scale_f64 v[6:7], null, v[2:3], v[2:3], s[14:15]
	v_rcp_f64_e32 v[8:9], v[6:7]
	v_fma_f64 v[21:22], -v[6:7], v[8:9], 1.0
	v_fma_f64 v[8:9], v[8:9], v[21:22], v[8:9]
	v_fma_f64 v[21:22], -v[6:7], v[8:9], 1.0
	v_fma_f64 v[8:9], v[8:9], v[21:22], v[8:9]
	v_div_scale_f64 v[21:22], vcc_lo, s[14:15], v[2:3], s[14:15]
	v_mul_f64 v[23:24], v[21:22], v[8:9]
	v_fma_f64 v[6:7], -v[6:7], v[23:24], v[21:22]
	v_div_fmas_f64 v[6:7], v[6:7], v[8:9], v[23:24]
	v_div_fixup_f64 v[2:3], v[6:7], v[2:3], s[14:15]
	v_cvt_f32_f64_e32 v2, v[2:3]
.LBB30_77:
	s_or_b32 exec_lo, exec_lo, s12
	s_orn2_b32 s5, s6, exec_lo
.LBB30_78:
	s_or_b32 exec_lo, exec_lo, s11
	v_mov_b32_e32 v17, 0x7fc0
	s_and_saveexec_b32 s6, s5
	s_cbranch_execz .LBB30_90
; %bb.79:
	s_mov_b32 s5, exec_lo
	v_cmpx_gt_f32_e32 0x41200000, v19
	s_cbranch_execz .LBB30_83
; %bb.80:
	s_mov_b32 s7, 0
	.p2align	6
.LBB30_81:                              ; =>This Inner Loop Header: Depth=1
	v_div_scale_f32 v3, null, v19, v19, 1.0
	v_div_scale_f32 v8, vcc_lo, 1.0, v19, 1.0
	v_rcp_f32_e32 v6, v3
	v_fma_f32 v7, -v3, v6, 1.0
	v_fmac_f32_e32 v6, v7, v6
	v_mul_f32_e32 v7, v8, v6
	v_fma_f32 v9, -v3, v7, v8
	v_fmac_f32_e32 v7, v9, v6
	v_fma_f32 v3, -v3, v7, v8
	v_div_fmas_f32 v3, v3, v6, v7
	v_div_fixup_f32 v3, v3, v19, 1.0
	v_add_f32_e32 v19, 1.0, v19
	v_sub_f32_e32 v2, v2, v3
	v_cmp_ngt_f32_e32 vcc_lo, 0x41200000, v19
	s_or_b32 s7, vcc_lo, s7
	s_andn2_b32 exec_lo, exec_lo, s7
	s_cbranch_execnz .LBB30_81
; %bb.82:
	s_or_b32 exec_lo, exec_lo, s7
.LBB30_83:
	s_or_b32 exec_lo, exec_lo, s5
                                        ; implicit-def: $vgpr17
	s_mov_b32 s5, exec_lo
	v_cmpx_neq_f32_e32 0x41200000, v19
	s_xor_b32 s7, exec_lo, s5
	s_cbranch_execz .LBB30_87
; %bb.84:
	v_cvt_f64_f32_e32 v[6:7], v19
	v_mov_b32_e32 v3, 0
	s_mov_b32 s12, 0x85d8a000
	s_mov_b32 s13, 0x43763457
	s_mov_b32 s5, exec_lo
	v_cmpx_gt_f64_e32 s[12:13], v[6:7]
	s_cbranch_execz .LBB30_86
; %bb.85:
	v_mul_f32_e32 v3, v19, v19
	v_div_scale_f32 v6, null, v3, v3, 1.0
	v_rcp_f32_e32 v7, v6
	v_fma_f32 v8, -v6, v7, 1.0
	v_fmac_f32_e32 v7, v8, v7
	v_div_scale_f32 v8, vcc_lo, 1.0, v3, 1.0
	v_mul_f32_e32 v9, v8, v7
	v_fma_f32 v17, -v6, v9, v8
	v_fmac_f32_e32 v9, v17, v7
	v_fma_f32 v6, -v6, v9, v8
	v_div_fmas_f32 v6, v6, v7, v9
	v_div_fixup_f32 v3, v6, v3, 1.0
	v_fmaak_f32 v6, 0, v3, 0x3daaaaab
	v_fmaak_f32 v6, v3, v6, 0xbcaccacd
	;; [unrolled: 1-line block ×7, first 2 shown]
	v_mul_f32_e32 v3, v3, v6
.LBB30_86:
	s_or_b32 exec_lo, exec_lo, s5
	v_cmp_gt_f32_e32 vcc_lo, 0x800000, v19
	v_div_scale_f32 v6, null, v19, v19, -0.5
	v_div_scale_f32 v17, s5, -0.5, v19, -0.5
	v_cndmask_b32_e64 v7, 0, 32, vcc_lo
	v_rcp_f32_e32 v8, v6
	v_ldexp_f32 v7, v19, v7
	v_log_f32_e32 v7, v7
	v_fma_f32 v9, -v6, v8, 1.0
	v_fmac_f32_e32 v8, v9, v8
	v_mul_f32_e32 v9, 0x3f317217, v7
	v_mul_f32_e32 v21, v17, v8
	v_fma_f32 v9, 0x3f317217, v7, -v9
	v_fma_f32 v22, -v6, v21, v17
	v_fmamk_f32 v9, v7, 0x3377d1cf, v9
	v_fmac_f32_e32 v21, v22, v8
	v_cndmask_b32_e64 v22, 0, 0x41b17218, vcc_lo
	v_cmp_gt_f32_e64 vcc_lo, 0x7f800000, |v7|
	v_fmac_f32_e32 v9, 0x3f317217, v7
	v_fma_f32 v6, -v6, v21, v17
	v_cndmask_b32_e32 v7, v7, v9, vcc_lo
	s_mov_b32 vcc_lo, s5
	v_div_fmas_f32 v6, v6, v8, v21
	v_sub_f32_e32 v7, v7, v22
	v_div_fixup_f32 v6, v6, v19, -0.5
	v_add_f32_e32 v6, v7, v6
	v_sub_f32_e32 v3, v6, v3
	v_add_f32_e32 v2, v2, v3
	v_bfe_u32 v3, v2, 16, 1
	v_cmp_o_f32_e32 vcc_lo, v2, v2
	v_add3_u32 v2, v2, v3, 0x7fff
	v_mov_b32_e32 v3, 0x7fc0
	v_cndmask_b32_sdwa v17, v3, v2, vcc_lo dst_sel:DWORD dst_unused:UNUSED_PAD src0_sel:DWORD src1_sel:WORD_1
                                        ; implicit-def: $vgpr2
.LBB30_87:
	s_andn2_saveexec_b32 s5, s7
; %bb.88:
	v_add_f32_e32 v2, 0x40101cb7, v2
	v_bfe_u32 v3, v2, 16, 1
	v_cmp_o_f32_e32 vcc_lo, v2, v2
	v_add3_u32 v2, v2, v3, 0x7fff
	v_mov_b32_e32 v3, 0x7fc0
	v_cndmask_b32_sdwa v17, v3, v2, vcc_lo dst_sel:DWORD dst_unused:UNUSED_PAD src0_sel:DWORD src1_sel:WORD_1
; %bb.89:
	s_or_b32 exec_lo, exec_lo, s5
.LBB30_90:
	s_or_b32 exec_lo, exec_lo, s6
                                        ; implicit-def: $vgpr19
.LBB30_91:
	s_andn2_saveexec_b32 s5, s10
; %bb.92:
	v_xor_b32_e32 v2, 0x80000000, v19
	s_mov_b32 s6, 0x7f800000
	v_and_or_b32 v2, 0x80000000, v2, s6
	v_lshrrev_b32_e32 v17, 16, v2
; %bb.93:
	s_or_b32 exec_lo, exec_lo, s5
.LBB30_94:
	s_or_b32 exec_lo, exec_lo, s9
	v_add_nc_u32_e32 v2, 0x300, v10
	s_mov_b32 s9, exec_lo
                                        ; implicit-def: $vgpr19
	v_cmpx_lt_i32_e64 v2, v4
	s_cbranch_execz .LBB30_120
; %bb.95:
                                        ; implicit-def: $vgpr19
	s_mov_b32 s5, exec_lo
	v_cmpx_neq_f32_e32 0, v20
	s_xor_b32 s10, exec_lo, s5
	s_cbranch_execz .LBB30_117
; %bb.96:
	v_mov_b32_e32 v2, 0
	s_mov_b32 s5, -1
	s_mov_b32 s11, exec_lo
	v_cmpx_gt_f32_e32 0, v20
	s_cbranch_execz .LBB30_104
; %bb.97:
	v_trunc_f32_e32 v2, v20
	s_mov_b32 s6, 0
	v_cmp_neq_f32_e32 vcc_lo, v2, v20
	v_mov_b32_e32 v2, 0
	s_and_saveexec_b32 s12, vcc_lo
	s_cbranch_execz .LBB30_103
; %bb.98:
	v_cvt_f64_f32_e32 v[2:3], v20
	s_mov_b32 s7, 0xc00921fb
	s_mov_b32 s6, 0x54442d18
                                        ; implicit-def: $vgpr19
                                        ; implicit-def: $vgpr8_vgpr9
	v_trunc_f64_e32 v[6:7], v[2:3]
	v_cmp_neq_f64_e64 vcc_lo, 0x7ff00000, |v[2:3]|
	v_add_f64 v[6:7], v[2:3], -v[6:7]
	v_mul_f64 v[6:7], |v[6:7]|, s[6:7]
	v_cndmask_b32_e32 v3, 0x80000000, v7, vcc_lo
	v_cndmask_b32_e32 v2, 0, v6, vcc_lo
                                        ; implicit-def: $vgpr6_vgpr7
	v_cmp_ngt_f64_e64 s5, 0x41d00000, |v[2:3]|
	s_and_saveexec_b32 s7, s5
	s_xor_b32 s5, exec_lo, s7
	s_cbranch_execz .LBB30_100
; %bb.99:
	v_ldexp_f64 v[6:7], |v[2:3]|, 0xffffff80
	v_cmp_le_f64_e64 vcc_lo, 0x7b000000, |v[2:3]|
	v_trig_preop_f64 v[8:9], |v[2:3]|, 0
	v_and_b32_e32 v19, 0x7fffffff, v3
	v_trig_preop_f64 v[21:22], |v[2:3]|, 1
	v_trig_preop_f64 v[31:32], |v[2:3]|, 2
	v_mov_b32_e32 v48, 0
	s_mov_b32 s7, 0x3ff921fb
	s_mov_b32 s14, 0x33145c07
	;; [unrolled: 1-line block ×3, first 2 shown]
	v_cndmask_b32_e32 v7, v19, v7, vcc_lo
	v_cndmask_b32_e32 v6, v2, v6, vcc_lo
	v_mul_f64 v[23:24], v[8:9], v[6:7]
	v_mul_f64 v[25:26], v[21:22], v[6:7]
	;; [unrolled: 1-line block ×3, first 2 shown]
	v_fma_f64 v[8:9], v[8:9], v[6:7], -v[23:24]
	v_fma_f64 v[21:22], v[21:22], v[6:7], -v[25:26]
	;; [unrolled: 1-line block ×3, first 2 shown]
	v_add_f64 v[27:28], v[25:26], v[8:9]
	v_add_f64 v[29:30], v[27:28], -v[25:26]
	v_add_f64 v[35:36], v[23:24], v[27:28]
	v_add_f64 v[33:34], v[27:28], -v[29:30]
	v_add_f64 v[8:9], v[8:9], -v[29:30]
	v_ldexp_f64 v[29:30], v[35:36], -2
	v_add_f64 v[23:24], v[35:36], -v[23:24]
	v_add_f64 v[25:26], v[25:26], -v[33:34]
	v_add_f64 v[33:34], v[37:38], v[21:22]
	v_cmp_neq_f64_e64 vcc_lo, 0x7ff00000, |v[29:30]|
	v_add_f64 v[23:24], v[27:28], -v[23:24]
	v_add_f64 v[8:9], v[8:9], v[25:26]
	v_fract_f64_e32 v[25:26], v[29:30]
	v_add_f64 v[27:28], v[33:34], v[8:9]
	v_ldexp_f64 v[25:26], v[25:26], 2
	v_add_f64 v[29:30], v[23:24], v[27:28]
	v_cndmask_b32_e32 v26, 0, v26, vcc_lo
	v_cndmask_b32_e32 v25, 0, v25, vcc_lo
	v_add_f64 v[35:36], v[29:30], v[25:26]
	v_add_f64 v[23:24], v[29:30], -v[23:24]
	v_cmp_gt_f64_e32 vcc_lo, 0, v[35:36]
	v_add_f64 v[35:36], v[33:34], -v[37:38]
	v_add_f64 v[23:24], v[27:28], -v[23:24]
	v_cndmask_b32_e64 v49, 0, 0x40100000, vcc_lo
	v_add_f64 v[53:54], v[33:34], -v[35:36]
	v_add_f64 v[21:22], v[21:22], -v[35:36]
	v_add_f64 v[25:26], v[25:26], v[48:49]
	v_add_f64 v[49:50], v[27:28], -v[33:34]
	v_add_f64 v[35:36], v[37:38], -v[53:54]
	v_add_f64 v[51:52], v[29:30], v[25:26]
	;; [unrolled: 3-line block ×3, first 2 shown]
	v_cvt_i32_f64_e32 v19, v[51:52]
	v_add_f64 v[33:34], v[33:34], -v[64:65]
	v_cvt_f64_i32_e32 v[49:50], v19
	v_add_f64 v[8:9], v[8:9], v[33:34]
	v_add_f64 v[25:26], v[25:26], -v[49:50]
	v_add_f64 v[8:9], v[21:22], v[8:9]
	v_add_f64 v[21:22], v[29:30], v[25:26]
	;; [unrolled: 1-line block ×3, first 2 shown]
	v_add_f64 v[8:9], v[21:22], -v[25:26]
	v_cmp_le_f64_e32 vcc_lo, 0.5, v[21:22]
	v_add_f64 v[6:7], v[23:24], v[6:7]
	v_add_f64 v[8:9], v[29:30], -v[8:9]
	v_cndmask_b32_e64 v49, 0, 0x3ff00000, vcc_lo
	v_add_co_ci_u32_e64 v19, null, 0, v19, vcc_lo
	v_add_f64 v[6:7], v[6:7], v[8:9]
	v_add_f64 v[8:9], v[21:22], -v[48:49]
	v_add_f64 v[21:22], v[8:9], v[6:7]
	v_mul_f64 v[23:24], v[21:22], s[6:7]
	v_add_f64 v[8:9], v[21:22], -v[8:9]
	v_fma_f64 v[25:26], v[21:22], s[6:7], -v[23:24]
	v_add_f64 v[6:7], v[6:7], -v[8:9]
	v_fma_f64 v[8:9], v[21:22], s[14:15], v[25:26]
	v_fma_f64 v[8:9], v[6:7], s[6:7], v[8:9]
	v_add_f64 v[6:7], v[23:24], v[8:9]
	v_add_f64 v[21:22], v[6:7], -v[23:24]
	v_add_f64 v[8:9], v[8:9], -v[21:22]
.LBB30_100:
	s_andn2_saveexec_b32 s5, s5
	s_cbranch_execz .LBB30_102
; %bb.101:
	s_mov_b32 s6, 0x6dc9c883
	s_mov_b32 s7, 0x3fe45f30
	;; [unrolled: 1-line block ×3, first 2 shown]
	v_mul_f64 v[6:7], |v[2:3]|, s[6:7]
	s_mov_b32 s6, 0x54442d18
	s_mov_b32 s7, 0xbff921fb
	;; [unrolled: 1-line block ×3, first 2 shown]
	v_rndne_f64_e32 v[21:22], v[6:7]
	v_fma_f64 v[6:7], v[21:22], s[6:7], |v[2:3]|
	v_mul_f64 v[8:9], v[21:22], s[14:15]
	s_mov_b32 s6, 0x252049c0
	s_mov_b32 s7, 0xb97b839a
	v_cvt_i32_f64_e32 v19, v[21:22]
	v_fma_f64 v[25:26], v[21:22], s[14:15], v[6:7]
	v_add_f64 v[23:24], v[6:7], v[8:9]
	s_mov_b32 s15, 0x3c91a626
	v_add_f64 v[6:7], v[6:7], -v[23:24]
	v_add_f64 v[23:24], v[23:24], -v[25:26]
	v_add_f64 v[6:7], v[6:7], v[8:9]
	v_fma_f64 v[8:9], v[21:22], s[14:15], v[8:9]
	v_add_f64 v[6:7], v[23:24], v[6:7]
	v_add_f64 v[6:7], v[6:7], -v[8:9]
	v_fma_f64 v[8:9], v[21:22], s[6:7], v[6:7]
	v_add_f64 v[6:7], v[25:26], v[8:9]
	v_add_f64 v[23:24], v[6:7], -v[25:26]
	v_add_f64 v[8:9], v[8:9], -v[23:24]
.LBB30_102:
	s_or_b32 exec_lo, exec_lo, s5
	v_mul_f64 v[21:22], v[6:7], v[6:7]
	v_add_f64 v[23:24], v[8:9], v[8:9]
	s_mov_b32 s14, 0xa9a29f71
	s_mov_b32 s16, 0xc751c08c
	;; [unrolled: 1-line block ×4, first 2 shown]
	v_cmp_class_f64_e64 s5, v[2:3], 0x1f8
	v_and_b32_e32 v19, 1, v19
	v_and_b32_e32 v3, 0x80000000, v3
	v_sub_f32_e32 v20, 1.0, v20
	s_mov_b32 s6, exec_lo
	v_cmp_eq_u32_e32 vcc_lo, 0, v19
	v_fma_f64 v[25:26], v[6:7], v[6:7], -v[21:22]
	v_fma_f64 v[23:24], v[6:7], v[23:24], v[25:26]
	v_add_f64 v[21:22], v[21:22], v[23:24]
	v_fma_f64 v[23:24], v[21:22], s[16:17], s[14:15]
	s_mov_b32 s14, 0x90a8aae0
	s_mov_b32 s15, 0x3f17746f
	v_fma_f64 v[23:24], v[21:22], v[23:24], s[14:15]
	s_mov_b32 s14, 0xa6fbf144
	s_mov_b32 s15, 0xbefbb44d
	;; [unrolled: 3-line block ×13, first 2 shown]
	v_mul_f64 v[21:22], v[21:22], v[23:24]
	v_mul_f64 v[23:24], v[6:7], v[21:22]
	v_add_f64 v[25:26], v[6:7], v[23:24]
	v_fma_f64 v[21:22], v[6:7], v[21:22], -v[23:24]
	v_add_f64 v[6:7], v[25:26], -v[6:7]
	v_add_f64 v[8:9], v[8:9], v[21:22]
	v_add_f64 v[6:7], v[23:24], -v[6:7]
	v_add_f64 v[6:7], v[8:9], v[6:7]
	v_add_f64 v[8:9], v[25:26], v[6:7]
	v_rcp_f64_e32 v[21:22], v[8:9]
	v_fma_f64 v[23:24], -v[8:9], v[21:22], 1.0
	v_fma_f64 v[21:22], v[23:24], v[21:22], v[21:22]
	v_fma_f64 v[23:24], -v[8:9], v[21:22], 1.0
	v_fma_f64 v[21:22], v[23:24], v[21:22], v[21:22]
	v_add_f64 v[23:24], v[8:9], -v[25:26]
	v_mul_f64 v[25:26], v[8:9], v[21:22]
	v_add_f64 v[6:7], v[6:7], -v[23:24]
	v_fma_f64 v[23:24], v[21:22], v[8:9], -v[25:26]
	v_fma_f64 v[6:7], v[21:22], v[6:7], v[23:24]
	v_add_f64 v[23:24], v[25:26], v[6:7]
	v_add_f64 v[27:28], -v[23:24], 1.0
	v_add_f64 v[25:26], v[23:24], -v[25:26]
	v_add_f64 v[29:30], -v[27:28], 1.0
	v_add_f64 v[6:7], v[25:26], -v[6:7]
	v_add_f64 v[23:24], v[29:30], -v[23:24]
	v_add_f64 v[6:7], v[6:7], v[23:24]
	v_add_f64 v[6:7], v[27:28], v[6:7]
	v_mul_f64 v[6:7], v[21:22], v[6:7]
	v_add_f64 v[6:7], v[21:22], v[6:7]
	v_xor_b32_e32 v2, 0x80000000, v7
	v_cndmask_b32_e32 v6, v6, v8, vcc_lo
	v_cndmask_b32_e32 v2, v2, v9, vcc_lo
	v_xor_b32_e32 v3, v2, v3
	v_cndmask_b32_e64 v2, 0, v6, s5
	v_cndmask_b32_e64 v3, 0x7ff80000, v3, s5
	v_div_scale_f64 v[6:7], null, v[2:3], v[2:3], s[14:15]
	v_rcp_f64_e32 v[8:9], v[6:7]
	v_fma_f64 v[21:22], -v[6:7], v[8:9], 1.0
	v_fma_f64 v[8:9], v[8:9], v[21:22], v[8:9]
	v_fma_f64 v[21:22], -v[6:7], v[8:9], 1.0
	v_fma_f64 v[8:9], v[8:9], v[21:22], v[8:9]
	v_div_scale_f64 v[21:22], vcc_lo, s[14:15], v[2:3], s[14:15]
	v_mul_f64 v[23:24], v[21:22], v[8:9]
	v_fma_f64 v[6:7], -v[6:7], v[23:24], v[21:22]
	v_div_fmas_f64 v[6:7], v[6:7], v[8:9], v[23:24]
	v_div_fixup_f64 v[2:3], v[6:7], v[2:3], s[14:15]
	v_cvt_f32_f64_e32 v2, v[2:3]
.LBB30_103:
	s_or_b32 exec_lo, exec_lo, s12
	s_orn2_b32 s5, s6, exec_lo
.LBB30_104:
	s_or_b32 exec_lo, exec_lo, s11
	v_mov_b32_e32 v19, 0x7fc0
	s_and_saveexec_b32 s6, s5
	s_cbranch_execz .LBB30_116
; %bb.105:
	s_mov_b32 s5, exec_lo
	v_cmpx_gt_f32_e32 0x41200000, v20
	s_cbranch_execz .LBB30_109
; %bb.106:
	s_mov_b32 s7, 0
	.p2align	6
.LBB30_107:                             ; =>This Inner Loop Header: Depth=1
	v_div_scale_f32 v3, null, v20, v20, 1.0
	v_div_scale_f32 v8, vcc_lo, 1.0, v20, 1.0
	v_rcp_f32_e32 v6, v3
	v_fma_f32 v7, -v3, v6, 1.0
	v_fmac_f32_e32 v6, v7, v6
	v_mul_f32_e32 v7, v8, v6
	v_fma_f32 v9, -v3, v7, v8
	v_fmac_f32_e32 v7, v9, v6
	v_fma_f32 v3, -v3, v7, v8
	v_div_fmas_f32 v3, v3, v6, v7
	v_div_fixup_f32 v3, v3, v20, 1.0
	v_add_f32_e32 v20, 1.0, v20
	v_sub_f32_e32 v2, v2, v3
	v_cmp_ngt_f32_e32 vcc_lo, 0x41200000, v20
	s_or_b32 s7, vcc_lo, s7
	s_andn2_b32 exec_lo, exec_lo, s7
	s_cbranch_execnz .LBB30_107
; %bb.108:
	s_or_b32 exec_lo, exec_lo, s7
.LBB30_109:
	s_or_b32 exec_lo, exec_lo, s5
                                        ; implicit-def: $vgpr19
	s_mov_b32 s5, exec_lo
	v_cmpx_neq_f32_e32 0x41200000, v20
	s_xor_b32 s7, exec_lo, s5
	s_cbranch_execz .LBB30_113
; %bb.110:
	v_cvt_f64_f32_e32 v[6:7], v20
	v_mov_b32_e32 v3, 0
	s_mov_b32 s12, 0x85d8a000
	s_mov_b32 s13, 0x43763457
	s_mov_b32 s5, exec_lo
	v_cmpx_gt_f64_e32 s[12:13], v[6:7]
	s_cbranch_execz .LBB30_112
; %bb.111:
	v_mul_f32_e32 v3, v20, v20
	v_div_scale_f32 v6, null, v3, v3, 1.0
	v_rcp_f32_e32 v7, v6
	v_fma_f32 v8, -v6, v7, 1.0
	v_fmac_f32_e32 v7, v8, v7
	v_div_scale_f32 v8, vcc_lo, 1.0, v3, 1.0
	v_mul_f32_e32 v9, v8, v7
	v_fma_f32 v19, -v6, v9, v8
	v_fmac_f32_e32 v9, v19, v7
	v_fma_f32 v6, -v6, v9, v8
	v_div_fmas_f32 v6, v6, v7, v9
	v_div_fixup_f32 v3, v6, v3, 1.0
	v_fmaak_f32 v6, 0, v3, 0x3daaaaab
	v_fmaak_f32 v6, v3, v6, 0xbcaccacd
	;; [unrolled: 1-line block ×7, first 2 shown]
	v_mul_f32_e32 v3, v3, v6
.LBB30_112:
	s_or_b32 exec_lo, exec_lo, s5
	v_cmp_gt_f32_e32 vcc_lo, 0x800000, v20
	v_div_scale_f32 v6, null, v20, v20, -0.5
	v_div_scale_f32 v19, s5, -0.5, v20, -0.5
	v_cndmask_b32_e64 v7, 0, 32, vcc_lo
	v_rcp_f32_e32 v8, v6
	v_ldexp_f32 v7, v20, v7
	v_log_f32_e32 v7, v7
	v_fma_f32 v9, -v6, v8, 1.0
	v_fmac_f32_e32 v8, v9, v8
	v_mul_f32_e32 v9, 0x3f317217, v7
	v_mul_f32_e32 v21, v19, v8
	v_fma_f32 v9, 0x3f317217, v7, -v9
	v_fma_f32 v22, -v6, v21, v19
	v_fmamk_f32 v9, v7, 0x3377d1cf, v9
	v_fmac_f32_e32 v21, v22, v8
	v_cndmask_b32_e64 v22, 0, 0x41b17218, vcc_lo
	v_cmp_gt_f32_e64 vcc_lo, 0x7f800000, |v7|
	v_fmac_f32_e32 v9, 0x3f317217, v7
	v_fma_f32 v6, -v6, v21, v19
	v_cndmask_b32_e32 v7, v7, v9, vcc_lo
	s_mov_b32 vcc_lo, s5
	v_div_fmas_f32 v6, v6, v8, v21
	v_sub_f32_e32 v7, v7, v22
	v_div_fixup_f32 v6, v6, v20, -0.5
	v_add_f32_e32 v6, v7, v6
	v_sub_f32_e32 v3, v6, v3
	v_add_f32_e32 v2, v2, v3
	v_bfe_u32 v3, v2, 16, 1
	v_cmp_o_f32_e32 vcc_lo, v2, v2
	v_add3_u32 v2, v2, v3, 0x7fff
	v_mov_b32_e32 v3, 0x7fc0
	v_cndmask_b32_sdwa v19, v3, v2, vcc_lo dst_sel:DWORD dst_unused:UNUSED_PAD src0_sel:DWORD src1_sel:WORD_1
                                        ; implicit-def: $vgpr2
.LBB30_113:
	s_andn2_saveexec_b32 s5, s7
; %bb.114:
	v_add_f32_e32 v2, 0x40101cb7, v2
	v_bfe_u32 v3, v2, 16, 1
	v_cmp_o_f32_e32 vcc_lo, v2, v2
	v_add3_u32 v2, v2, v3, 0x7fff
	v_mov_b32_e32 v3, 0x7fc0
	v_cndmask_b32_sdwa v19, v3, v2, vcc_lo dst_sel:DWORD dst_unused:UNUSED_PAD src0_sel:DWORD src1_sel:WORD_1
; %bb.115:
	s_or_b32 exec_lo, exec_lo, s5
.LBB30_116:
	s_or_b32 exec_lo, exec_lo, s6
                                        ; implicit-def: $vgpr20
.LBB30_117:
	s_andn2_saveexec_b32 s5, s10
; %bb.118:
	v_xor_b32_e32 v2, 0x80000000, v20
	s_mov_b32 s6, 0x7f800000
	v_and_or_b32 v2, 0x80000000, v2, s6
	v_lshrrev_b32_e32 v19, 16, v2
; %bb.119:
	s_or_b32 exec_lo, exec_lo, s5
.LBB30_120:
	s_or_b32 exec_lo, exec_lo, s9
	v_or_b32_e32 v2, 0x400, v10
	s_mov_b32 s9, exec_lo
                                        ; implicit-def: $vgpr20
	v_cmpx_lt_i32_e64 v2, v4
	s_cbranch_execz .LBB30_146
; %bb.121:
                                        ; implicit-def: $vgpr20
	s_mov_b32 s5, exec_lo
	v_cmpx_neq_f32_e32 0, v18
	s_xor_b32 s10, exec_lo, s5
	s_cbranch_execz .LBB30_143
; %bb.122:
	v_mov_b32_e32 v2, 0
	s_mov_b32 s5, -1
	s_mov_b32 s11, exec_lo
	v_cmpx_gt_f32_e32 0, v18
	s_cbranch_execz .LBB30_130
; %bb.123:
	v_trunc_f32_e32 v2, v18
	s_mov_b32 s6, 0
	v_cmp_neq_f32_e32 vcc_lo, v2, v18
	v_mov_b32_e32 v2, 0
	s_and_saveexec_b32 s12, vcc_lo
	s_cbranch_execz .LBB30_129
; %bb.124:
	v_cvt_f64_f32_e32 v[2:3], v18
	s_mov_b32 s7, 0xc00921fb
	s_mov_b32 s6, 0x54442d18
                                        ; implicit-def: $vgpr20
                                        ; implicit-def: $vgpr8_vgpr9
	v_trunc_f64_e32 v[6:7], v[2:3]
	v_cmp_neq_f64_e64 vcc_lo, 0x7ff00000, |v[2:3]|
	v_add_f64 v[6:7], v[2:3], -v[6:7]
	v_mul_f64 v[6:7], |v[6:7]|, s[6:7]
	v_cndmask_b32_e32 v3, 0x80000000, v7, vcc_lo
	v_cndmask_b32_e32 v2, 0, v6, vcc_lo
                                        ; implicit-def: $vgpr6_vgpr7
	v_cmp_ngt_f64_e64 s5, 0x41d00000, |v[2:3]|
	s_and_saveexec_b32 s7, s5
	s_xor_b32 s5, exec_lo, s7
	s_cbranch_execz .LBB30_126
; %bb.125:
	v_ldexp_f64 v[6:7], |v[2:3]|, 0xffffff80
	v_cmp_le_f64_e64 vcc_lo, 0x7b000000, |v[2:3]|
	v_trig_preop_f64 v[8:9], |v[2:3]|, 0
	v_and_b32_e32 v20, 0x7fffffff, v3
	v_trig_preop_f64 v[30:31], |v[2:3]|, 2
	v_mov_b32_e32 v38, 0
	s_mov_b32 s7, 0x3ff921fb
	s_mov_b32 s14, 0x33145c07
	;; [unrolled: 1-line block ×3, first 2 shown]
	v_cndmask_b32_e32 v7, v20, v7, vcc_lo
	v_cndmask_b32_e32 v6, v2, v6, vcc_lo
	v_trig_preop_f64 v[20:21], |v[2:3]|, 1
	v_mul_f64 v[22:23], v[8:9], v[6:7]
	v_mul_f64 v[36:37], v[30:31], v[6:7]
	v_mul_f64 v[24:25], v[20:21], v[6:7]
	v_fma_f64 v[8:9], v[8:9], v[6:7], -v[22:23]
	v_fma_f64 v[20:21], v[20:21], v[6:7], -v[24:25]
	;; [unrolled: 1-line block ×3, first 2 shown]
	v_add_f64 v[26:27], v[24:25], v[8:9]
	v_add_f64 v[28:29], v[26:27], -v[24:25]
	v_add_f64 v[34:35], v[22:23], v[26:27]
	v_add_f64 v[32:33], v[26:27], -v[28:29]
	v_add_f64 v[8:9], v[8:9], -v[28:29]
	v_ldexp_f64 v[28:29], v[34:35], -2
	v_add_f64 v[22:23], v[34:35], -v[22:23]
	v_add_f64 v[24:25], v[24:25], -v[32:33]
	v_add_f64 v[32:33], v[36:37], v[20:21]
	v_cmp_neq_f64_e64 vcc_lo, 0x7ff00000, |v[28:29]|
	v_add_f64 v[22:23], v[26:27], -v[22:23]
	v_add_f64 v[8:9], v[8:9], v[24:25]
	v_fract_f64_e32 v[24:25], v[28:29]
	v_add_f64 v[26:27], v[32:33], v[8:9]
	v_ldexp_f64 v[24:25], v[24:25], 2
	v_add_f64 v[28:29], v[22:23], v[26:27]
	v_cndmask_b32_e32 v25, 0, v25, vcc_lo
	v_cndmask_b32_e32 v24, 0, v24, vcc_lo
	v_add_f64 v[48:49], v[26:27], -v[32:33]
	v_add_f64 v[34:35], v[28:29], v[24:25]
	v_add_f64 v[22:23], v[28:29], -v[22:23]
	v_add_f64 v[54:55], v[26:27], -v[48:49]
	;; [unrolled: 1-line block ×3, first 2 shown]
	v_cmp_gt_f64_e32 vcc_lo, 0, v[34:35]
	v_add_f64 v[34:35], v[32:33], -v[36:37]
	v_cndmask_b32_e64 v39, 0, 0x40100000, vcc_lo
	v_add_f64 v[52:53], v[32:33], -v[34:35]
	v_add_f64 v[20:21], v[20:21], -v[34:35]
	;; [unrolled: 1-line block ×3, first 2 shown]
	v_add_f64 v[24:25], v[24:25], v[38:39]
	v_add_f64 v[34:35], v[36:37], -v[52:53]
	v_add_f64 v[8:9], v[8:9], v[32:33]
	v_add_f64 v[50:51], v[28:29], v[24:25]
	;; [unrolled: 1-line block ×3, first 2 shown]
	v_cvt_i32_f64_e32 v39, v[50:51]
	v_add_f64 v[8:9], v[20:21], v[8:9]
	v_add_f64 v[20:21], v[26:27], -v[22:23]
	v_cvt_f64_i32_e32 v[48:49], v39
	v_add_f64 v[6:7], v[6:7], v[8:9]
	v_add_f64 v[24:25], v[24:25], -v[48:49]
	v_add_f64 v[6:7], v[20:21], v[6:7]
	v_add_f64 v[30:31], v[28:29], v[24:25]
	v_add_f64 v[8:9], v[30:31], -v[24:25]
	v_cmp_le_f64_e32 vcc_lo, 0.5, v[30:31]
	v_add_f64 v[8:9], v[28:29], -v[8:9]
	v_add_co_ci_u32_e64 v20, null, 0, v39, vcc_lo
	v_cndmask_b32_e64 v39, 0, 0x3ff00000, vcc_lo
	v_add_f64 v[6:7], v[6:7], v[8:9]
	v_add_f64 v[8:9], v[30:31], -v[38:39]
	v_add_f64 v[21:22], v[8:9], v[6:7]
	v_mul_f64 v[23:24], v[21:22], s[6:7]
	v_add_f64 v[8:9], v[21:22], -v[8:9]
	v_fma_f64 v[25:26], v[21:22], s[6:7], -v[23:24]
	v_add_f64 v[6:7], v[6:7], -v[8:9]
	v_fma_f64 v[8:9], v[21:22], s[14:15], v[25:26]
	v_fma_f64 v[8:9], v[6:7], s[6:7], v[8:9]
	v_add_f64 v[6:7], v[23:24], v[8:9]
	v_add_f64 v[21:22], v[6:7], -v[23:24]
	v_add_f64 v[8:9], v[8:9], -v[21:22]
.LBB30_126:
	s_andn2_saveexec_b32 s5, s5
	s_cbranch_execz .LBB30_128
; %bb.127:
	s_mov_b32 s6, 0x6dc9c883
	s_mov_b32 s7, 0x3fe45f30
	;; [unrolled: 1-line block ×3, first 2 shown]
	v_mul_f64 v[6:7], |v[2:3]|, s[6:7]
	s_mov_b32 s6, 0x54442d18
	s_mov_b32 s7, 0xbff921fb
	;; [unrolled: 1-line block ×3, first 2 shown]
	v_rndne_f64_e32 v[20:21], v[6:7]
	v_fma_f64 v[6:7], v[20:21], s[6:7], |v[2:3]|
	v_mul_f64 v[8:9], v[20:21], s[14:15]
	s_mov_b32 s6, 0x252049c0
	s_mov_b32 s7, 0xb97b839a
	v_fma_f64 v[24:25], v[20:21], s[14:15], v[6:7]
	v_add_f64 v[22:23], v[6:7], v[8:9]
	s_mov_b32 s15, 0x3c91a626
	v_add_f64 v[6:7], v[6:7], -v[22:23]
	v_add_f64 v[22:23], v[22:23], -v[24:25]
	v_add_f64 v[6:7], v[6:7], v[8:9]
	v_fma_f64 v[8:9], v[20:21], s[14:15], v[8:9]
	v_add_f64 v[6:7], v[22:23], v[6:7]
	v_add_f64 v[6:7], v[6:7], -v[8:9]
	v_fma_f64 v[8:9], v[20:21], s[6:7], v[6:7]
	v_cvt_i32_f64_e32 v20, v[20:21]
	v_add_f64 v[6:7], v[24:25], v[8:9]
	v_add_f64 v[22:23], v[6:7], -v[24:25]
	v_add_f64 v[8:9], v[8:9], -v[22:23]
.LBB30_128:
	s_or_b32 exec_lo, exec_lo, s5
	v_mul_f64 v[21:22], v[6:7], v[6:7]
	v_add_f64 v[23:24], v[8:9], v[8:9]
	s_mov_b32 s14, 0xa9a29f71
	s_mov_b32 s16, 0xc751c08c
	;; [unrolled: 1-line block ×4, first 2 shown]
	v_cmp_class_f64_e64 s5, v[2:3], 0x1f8
	v_and_b32_e32 v20, 1, v20
	v_and_b32_e32 v3, 0x80000000, v3
	v_sub_f32_e32 v18, 1.0, v18
	s_mov_b32 s6, exec_lo
	v_cmp_eq_u32_e32 vcc_lo, 0, v20
	v_fma_f64 v[25:26], v[6:7], v[6:7], -v[21:22]
	v_fma_f64 v[23:24], v[6:7], v[23:24], v[25:26]
	v_add_f64 v[21:22], v[21:22], v[23:24]
	v_fma_f64 v[23:24], v[21:22], s[16:17], s[14:15]
	s_mov_b32 s14, 0x90a8aae0
	s_mov_b32 s15, 0x3f17746f
	v_fma_f64 v[23:24], v[21:22], v[23:24], s[14:15]
	s_mov_b32 s14, 0xa6fbf144
	s_mov_b32 s15, 0xbefbb44d
	;; [unrolled: 3-line block ×13, first 2 shown]
	v_mul_f64 v[21:22], v[21:22], v[23:24]
	v_mul_f64 v[23:24], v[6:7], v[21:22]
	v_add_f64 v[25:26], v[6:7], v[23:24]
	v_fma_f64 v[21:22], v[6:7], v[21:22], -v[23:24]
	v_add_f64 v[6:7], v[25:26], -v[6:7]
	v_add_f64 v[8:9], v[8:9], v[21:22]
	v_add_f64 v[6:7], v[23:24], -v[6:7]
	v_add_f64 v[6:7], v[8:9], v[6:7]
	v_add_f64 v[8:9], v[25:26], v[6:7]
	v_rcp_f64_e32 v[21:22], v[8:9]
	v_fma_f64 v[23:24], -v[8:9], v[21:22], 1.0
	v_fma_f64 v[21:22], v[23:24], v[21:22], v[21:22]
	v_fma_f64 v[23:24], -v[8:9], v[21:22], 1.0
	v_fma_f64 v[21:22], v[23:24], v[21:22], v[21:22]
	v_add_f64 v[23:24], v[8:9], -v[25:26]
	v_mul_f64 v[25:26], v[8:9], v[21:22]
	v_add_f64 v[6:7], v[6:7], -v[23:24]
	v_fma_f64 v[23:24], v[21:22], v[8:9], -v[25:26]
	v_fma_f64 v[6:7], v[21:22], v[6:7], v[23:24]
	v_add_f64 v[23:24], v[25:26], v[6:7]
	v_add_f64 v[27:28], -v[23:24], 1.0
	v_add_f64 v[25:26], v[23:24], -v[25:26]
	v_add_f64 v[29:30], -v[27:28], 1.0
	v_add_f64 v[6:7], v[25:26], -v[6:7]
	v_add_f64 v[23:24], v[29:30], -v[23:24]
	v_add_f64 v[6:7], v[6:7], v[23:24]
	v_add_f64 v[6:7], v[27:28], v[6:7]
	v_mul_f64 v[6:7], v[21:22], v[6:7]
	v_add_f64 v[6:7], v[21:22], v[6:7]
	v_xor_b32_e32 v2, 0x80000000, v7
	v_cndmask_b32_e32 v6, v6, v8, vcc_lo
	v_cndmask_b32_e32 v2, v2, v9, vcc_lo
	v_xor_b32_e32 v3, v2, v3
	v_cndmask_b32_e64 v2, 0, v6, s5
	v_cndmask_b32_e64 v3, 0x7ff80000, v3, s5
	v_div_scale_f64 v[6:7], null, v[2:3], v[2:3], s[14:15]
	v_rcp_f64_e32 v[8:9], v[6:7]
	v_fma_f64 v[20:21], -v[6:7], v[8:9], 1.0
	v_fma_f64 v[8:9], v[8:9], v[20:21], v[8:9]
	v_fma_f64 v[20:21], -v[6:7], v[8:9], 1.0
	v_fma_f64 v[8:9], v[8:9], v[20:21], v[8:9]
	v_div_scale_f64 v[20:21], vcc_lo, s[14:15], v[2:3], s[14:15]
	v_mul_f64 v[22:23], v[20:21], v[8:9]
	v_fma_f64 v[6:7], -v[6:7], v[22:23], v[20:21]
	v_div_fmas_f64 v[6:7], v[6:7], v[8:9], v[22:23]
	v_div_fixup_f64 v[2:3], v[6:7], v[2:3], s[14:15]
	v_cvt_f32_f64_e32 v2, v[2:3]
.LBB30_129:
	s_or_b32 exec_lo, exec_lo, s12
	s_orn2_b32 s5, s6, exec_lo
.LBB30_130:
	s_or_b32 exec_lo, exec_lo, s11
	v_mov_b32_e32 v20, 0x7fc0
	s_and_saveexec_b32 s6, s5
	s_cbranch_execz .LBB30_142
; %bb.131:
	s_mov_b32 s5, exec_lo
	v_cmpx_gt_f32_e32 0x41200000, v18
	s_cbranch_execz .LBB30_135
; %bb.132:
	s_mov_b32 s7, 0
	.p2align	6
.LBB30_133:                             ; =>This Inner Loop Header: Depth=1
	v_div_scale_f32 v3, null, v18, v18, 1.0
	v_div_scale_f32 v8, vcc_lo, 1.0, v18, 1.0
	v_rcp_f32_e32 v6, v3
	v_fma_f32 v7, -v3, v6, 1.0
	v_fmac_f32_e32 v6, v7, v6
	v_mul_f32_e32 v7, v8, v6
	v_fma_f32 v9, -v3, v7, v8
	v_fmac_f32_e32 v7, v9, v6
	v_fma_f32 v3, -v3, v7, v8
	v_div_fmas_f32 v3, v3, v6, v7
	v_div_fixup_f32 v3, v3, v18, 1.0
	v_add_f32_e32 v18, 1.0, v18
	v_sub_f32_e32 v2, v2, v3
	v_cmp_ngt_f32_e32 vcc_lo, 0x41200000, v18
	s_or_b32 s7, vcc_lo, s7
	s_andn2_b32 exec_lo, exec_lo, s7
	s_cbranch_execnz .LBB30_133
; %bb.134:
	s_or_b32 exec_lo, exec_lo, s7
.LBB30_135:
	s_or_b32 exec_lo, exec_lo, s5
                                        ; implicit-def: $vgpr20
	s_mov_b32 s5, exec_lo
	v_cmpx_neq_f32_e32 0x41200000, v18
	s_xor_b32 s7, exec_lo, s5
	s_cbranch_execz .LBB30_139
; %bb.136:
	v_cvt_f64_f32_e32 v[6:7], v18
	v_mov_b32_e32 v3, 0
	s_mov_b32 s12, 0x85d8a000
	s_mov_b32 s13, 0x43763457
	s_mov_b32 s5, exec_lo
	v_cmpx_gt_f64_e32 s[12:13], v[6:7]
	s_cbranch_execz .LBB30_138
; %bb.137:
	v_mul_f32_e32 v3, v18, v18
	v_div_scale_f32 v6, null, v3, v3, 1.0
	v_rcp_f32_e32 v7, v6
	v_fma_f32 v8, -v6, v7, 1.0
	v_fmac_f32_e32 v7, v8, v7
	v_div_scale_f32 v8, vcc_lo, 1.0, v3, 1.0
	v_mul_f32_e32 v9, v8, v7
	v_fma_f32 v20, -v6, v9, v8
	v_fmac_f32_e32 v9, v20, v7
	v_fma_f32 v6, -v6, v9, v8
	v_div_fmas_f32 v6, v6, v7, v9
	v_div_fixup_f32 v3, v6, v3, 1.0
	v_fmaak_f32 v6, 0, v3, 0x3daaaaab
	v_fmaak_f32 v6, v3, v6, 0xbcaccacd
	;; [unrolled: 1-line block ×7, first 2 shown]
	v_mul_f32_e32 v3, v3, v6
.LBB30_138:
	s_or_b32 exec_lo, exec_lo, s5
	v_cmp_gt_f32_e32 vcc_lo, 0x800000, v18
	v_div_scale_f32 v6, null, v18, v18, -0.5
	v_div_scale_f32 v20, s5, -0.5, v18, -0.5
	v_cndmask_b32_e64 v7, 0, 32, vcc_lo
	v_rcp_f32_e32 v8, v6
	v_ldexp_f32 v7, v18, v7
	v_log_f32_e32 v7, v7
	v_fma_f32 v9, -v6, v8, 1.0
	v_fmac_f32_e32 v8, v9, v8
	v_mul_f32_e32 v9, 0x3f317217, v7
	v_mul_f32_e32 v21, v20, v8
	v_fma_f32 v9, 0x3f317217, v7, -v9
	v_fma_f32 v22, -v6, v21, v20
	v_fmamk_f32 v9, v7, 0x3377d1cf, v9
	v_fmac_f32_e32 v21, v22, v8
	v_cndmask_b32_e64 v22, 0, 0x41b17218, vcc_lo
	v_cmp_gt_f32_e64 vcc_lo, 0x7f800000, |v7|
	v_fmac_f32_e32 v9, 0x3f317217, v7
	v_fma_f32 v6, -v6, v21, v20
	v_cndmask_b32_e32 v7, v7, v9, vcc_lo
	s_mov_b32 vcc_lo, s5
	v_div_fmas_f32 v6, v6, v8, v21
	v_sub_f32_e32 v7, v7, v22
	v_div_fixup_f32 v6, v6, v18, -0.5
	v_add_f32_e32 v6, v7, v6
	v_sub_f32_e32 v3, v6, v3
	v_add_f32_e32 v2, v2, v3
	v_bfe_u32 v3, v2, 16, 1
	v_cmp_o_f32_e32 vcc_lo, v2, v2
	v_add3_u32 v2, v2, v3, 0x7fff
	v_mov_b32_e32 v3, 0x7fc0
	v_cndmask_b32_sdwa v20, v3, v2, vcc_lo dst_sel:DWORD dst_unused:UNUSED_PAD src0_sel:DWORD src1_sel:WORD_1
                                        ; implicit-def: $vgpr2
.LBB30_139:
	s_andn2_saveexec_b32 s5, s7
; %bb.140:
	v_add_f32_e32 v2, 0x40101cb7, v2
	v_bfe_u32 v3, v2, 16, 1
	v_cmp_o_f32_e32 vcc_lo, v2, v2
	v_add3_u32 v2, v2, v3, 0x7fff
	v_mov_b32_e32 v3, 0x7fc0
	v_cndmask_b32_sdwa v20, v3, v2, vcc_lo dst_sel:DWORD dst_unused:UNUSED_PAD src0_sel:DWORD src1_sel:WORD_1
; %bb.141:
	s_or_b32 exec_lo, exec_lo, s5
.LBB30_142:
	s_or_b32 exec_lo, exec_lo, s6
                                        ; implicit-def: $vgpr18
.LBB30_143:
	s_andn2_saveexec_b32 s5, s10
; %bb.144:
	v_xor_b32_e32 v2, 0x80000000, v18
	s_mov_b32 s6, 0x7f800000
	v_and_or_b32 v2, 0x80000000, v2, s6
	v_lshrrev_b32_e32 v20, 16, v2
; %bb.145:
	s_or_b32 exec_lo, exec_lo, s5
.LBB30_146:
	s_or_b32 exec_lo, exec_lo, s9
	v_add_nc_u32_e32 v2, 0x500, v10
	s_mov_b32 s9, exec_lo
                                        ; implicit-def: $vgpr18
	v_cmpx_lt_i32_e64 v2, v4
	s_cbranch_execz .LBB30_172
; %bb.147:
                                        ; implicit-def: $vgpr18
	s_mov_b32 s5, exec_lo
	v_cmpx_neq_f32_e32 0, v16
	s_xor_b32 s10, exec_lo, s5
	s_cbranch_execz .LBB30_169
; %bb.148:
	v_mov_b32_e32 v2, 0
	s_mov_b32 s5, -1
	s_mov_b32 s11, exec_lo
	v_cmpx_gt_f32_e32 0, v16
	s_cbranch_execz .LBB30_156
; %bb.149:
	v_trunc_f32_e32 v2, v16
	s_mov_b32 s6, 0
	v_cmp_neq_f32_e32 vcc_lo, v2, v16
	v_mov_b32_e32 v2, 0
	s_and_saveexec_b32 s12, vcc_lo
	s_cbranch_execz .LBB30_155
; %bb.150:
	v_cvt_f64_f32_e32 v[2:3], v16
	s_mov_b32 s7, 0xc00921fb
	s_mov_b32 s6, 0x54442d18
                                        ; implicit-def: $vgpr18
                                        ; implicit-def: $vgpr8_vgpr9
	v_trunc_f64_e32 v[6:7], v[2:3]
	v_cmp_neq_f64_e64 vcc_lo, 0x7ff00000, |v[2:3]|
	v_add_f64 v[6:7], v[2:3], -v[6:7]
	v_mul_f64 v[6:7], |v[6:7]|, s[6:7]
	v_cndmask_b32_e32 v3, 0x80000000, v7, vcc_lo
	v_cndmask_b32_e32 v2, 0, v6, vcc_lo
                                        ; implicit-def: $vgpr6_vgpr7
	v_cmp_ngt_f64_e64 s5, 0x41d00000, |v[2:3]|
	s_and_saveexec_b32 s7, s5
	s_xor_b32 s5, exec_lo, s7
	s_cbranch_execz .LBB30_152
; %bb.151:
	v_ldexp_f64 v[6:7], |v[2:3]|, 0xffffff80
	v_cmp_le_f64_e64 vcc_lo, 0x7b000000, |v[2:3]|
	v_trig_preop_f64 v[8:9], |v[2:3]|, 0
	v_and_b32_e32 v18, 0x7fffffff, v3
	v_trig_preop_f64 v[21:22], |v[2:3]|, 1
	v_trig_preop_f64 v[31:32], |v[2:3]|, 2
	v_mov_b32_e32 v48, 0
	s_mov_b32 s7, 0x3ff921fb
	s_mov_b32 s14, 0x33145c07
	;; [unrolled: 1-line block ×3, first 2 shown]
	v_cndmask_b32_e32 v7, v18, v7, vcc_lo
	v_cndmask_b32_e32 v6, v2, v6, vcc_lo
	v_mul_f64 v[23:24], v[8:9], v[6:7]
	v_mul_f64 v[25:26], v[21:22], v[6:7]
	;; [unrolled: 1-line block ×3, first 2 shown]
	v_fma_f64 v[8:9], v[8:9], v[6:7], -v[23:24]
	v_fma_f64 v[21:22], v[21:22], v[6:7], -v[25:26]
	;; [unrolled: 1-line block ×3, first 2 shown]
	v_add_f64 v[27:28], v[25:26], v[8:9]
	v_add_f64 v[29:30], v[27:28], -v[25:26]
	v_add_f64 v[35:36], v[23:24], v[27:28]
	v_add_f64 v[33:34], v[27:28], -v[29:30]
	v_add_f64 v[8:9], v[8:9], -v[29:30]
	v_ldexp_f64 v[29:30], v[35:36], -2
	v_add_f64 v[23:24], v[35:36], -v[23:24]
	v_add_f64 v[25:26], v[25:26], -v[33:34]
	v_add_f64 v[33:34], v[37:38], v[21:22]
	v_cmp_neq_f64_e64 vcc_lo, 0x7ff00000, |v[29:30]|
	v_add_f64 v[23:24], v[27:28], -v[23:24]
	v_add_f64 v[8:9], v[8:9], v[25:26]
	v_fract_f64_e32 v[25:26], v[29:30]
	v_add_f64 v[27:28], v[33:34], v[8:9]
	v_ldexp_f64 v[25:26], v[25:26], 2
	v_add_f64 v[29:30], v[23:24], v[27:28]
	v_cndmask_b32_e32 v26, 0, v26, vcc_lo
	v_cndmask_b32_e32 v25, 0, v25, vcc_lo
	v_add_f64 v[35:36], v[29:30], v[25:26]
	v_add_f64 v[23:24], v[29:30], -v[23:24]
	v_cmp_gt_f64_e32 vcc_lo, 0, v[35:36]
	v_add_f64 v[35:36], v[33:34], -v[37:38]
	v_add_f64 v[23:24], v[27:28], -v[23:24]
	v_cndmask_b32_e64 v49, 0, 0x40100000, vcc_lo
	v_add_f64 v[53:54], v[33:34], -v[35:36]
	v_add_f64 v[21:22], v[21:22], -v[35:36]
	v_add_f64 v[25:26], v[25:26], v[48:49]
	v_add_f64 v[49:50], v[27:28], -v[33:34]
	v_add_f64 v[35:36], v[37:38], -v[53:54]
	v_add_f64 v[51:52], v[29:30], v[25:26]
	;; [unrolled: 3-line block ×3, first 2 shown]
	v_cvt_i32_f64_e32 v18, v[51:52]
	v_add_f64 v[33:34], v[33:34], -v[64:65]
	v_cvt_f64_i32_e32 v[49:50], v18
	v_add_f64 v[8:9], v[8:9], v[33:34]
	v_add_f64 v[25:26], v[25:26], -v[49:50]
	v_add_f64 v[8:9], v[21:22], v[8:9]
	v_add_f64 v[21:22], v[29:30], v[25:26]
	;; [unrolled: 1-line block ×3, first 2 shown]
	v_add_f64 v[8:9], v[21:22], -v[25:26]
	v_cmp_le_f64_e32 vcc_lo, 0.5, v[21:22]
	v_add_f64 v[6:7], v[23:24], v[6:7]
	v_add_f64 v[8:9], v[29:30], -v[8:9]
	v_cndmask_b32_e64 v49, 0, 0x3ff00000, vcc_lo
	v_add_co_ci_u32_e64 v18, null, 0, v18, vcc_lo
	v_add_f64 v[6:7], v[6:7], v[8:9]
	v_add_f64 v[8:9], v[21:22], -v[48:49]
	v_add_f64 v[21:22], v[8:9], v[6:7]
	v_mul_f64 v[23:24], v[21:22], s[6:7]
	v_add_f64 v[8:9], v[21:22], -v[8:9]
	v_fma_f64 v[25:26], v[21:22], s[6:7], -v[23:24]
	v_add_f64 v[6:7], v[6:7], -v[8:9]
	v_fma_f64 v[8:9], v[21:22], s[14:15], v[25:26]
	v_fma_f64 v[8:9], v[6:7], s[6:7], v[8:9]
	v_add_f64 v[6:7], v[23:24], v[8:9]
	v_add_f64 v[21:22], v[6:7], -v[23:24]
	v_add_f64 v[8:9], v[8:9], -v[21:22]
.LBB30_152:
	s_andn2_saveexec_b32 s5, s5
	s_cbranch_execz .LBB30_154
; %bb.153:
	s_mov_b32 s6, 0x6dc9c883
	s_mov_b32 s7, 0x3fe45f30
	;; [unrolled: 1-line block ×3, first 2 shown]
	v_mul_f64 v[6:7], |v[2:3]|, s[6:7]
	s_mov_b32 s6, 0x54442d18
	s_mov_b32 s7, 0xbff921fb
	;; [unrolled: 1-line block ×3, first 2 shown]
	v_rndne_f64_e32 v[21:22], v[6:7]
	v_fma_f64 v[6:7], v[21:22], s[6:7], |v[2:3]|
	v_mul_f64 v[8:9], v[21:22], s[14:15]
	s_mov_b32 s6, 0x252049c0
	s_mov_b32 s7, 0xb97b839a
	v_cvt_i32_f64_e32 v18, v[21:22]
	v_fma_f64 v[25:26], v[21:22], s[14:15], v[6:7]
	v_add_f64 v[23:24], v[6:7], v[8:9]
	s_mov_b32 s15, 0x3c91a626
	v_add_f64 v[6:7], v[6:7], -v[23:24]
	v_add_f64 v[23:24], v[23:24], -v[25:26]
	v_add_f64 v[6:7], v[6:7], v[8:9]
	v_fma_f64 v[8:9], v[21:22], s[14:15], v[8:9]
	v_add_f64 v[6:7], v[23:24], v[6:7]
	v_add_f64 v[6:7], v[6:7], -v[8:9]
	v_fma_f64 v[8:9], v[21:22], s[6:7], v[6:7]
	v_add_f64 v[6:7], v[25:26], v[8:9]
	v_add_f64 v[23:24], v[6:7], -v[25:26]
	v_add_f64 v[8:9], v[8:9], -v[23:24]
.LBB30_154:
	s_or_b32 exec_lo, exec_lo, s5
	v_mul_f64 v[21:22], v[6:7], v[6:7]
	v_add_f64 v[23:24], v[8:9], v[8:9]
	s_mov_b32 s14, 0xa9a29f71
	s_mov_b32 s16, 0xc751c08c
	;; [unrolled: 1-line block ×4, first 2 shown]
	v_cmp_class_f64_e64 s5, v[2:3], 0x1f8
	v_and_b32_e32 v18, 1, v18
	v_and_b32_e32 v3, 0x80000000, v3
	v_sub_f32_e32 v16, 1.0, v16
	s_mov_b32 s6, exec_lo
	v_cmp_eq_u32_e32 vcc_lo, 0, v18
	v_fma_f64 v[25:26], v[6:7], v[6:7], -v[21:22]
	v_fma_f64 v[23:24], v[6:7], v[23:24], v[25:26]
	v_add_f64 v[21:22], v[21:22], v[23:24]
	v_fma_f64 v[23:24], v[21:22], s[16:17], s[14:15]
	s_mov_b32 s14, 0x90a8aae0
	s_mov_b32 s15, 0x3f17746f
	v_fma_f64 v[23:24], v[21:22], v[23:24], s[14:15]
	s_mov_b32 s14, 0xa6fbf144
	s_mov_b32 s15, 0xbefbb44d
	;; [unrolled: 3-line block ×13, first 2 shown]
	v_mul_f64 v[21:22], v[21:22], v[23:24]
	v_mul_f64 v[23:24], v[6:7], v[21:22]
	v_add_f64 v[25:26], v[6:7], v[23:24]
	v_fma_f64 v[21:22], v[6:7], v[21:22], -v[23:24]
	v_add_f64 v[6:7], v[25:26], -v[6:7]
	v_add_f64 v[8:9], v[8:9], v[21:22]
	v_add_f64 v[6:7], v[23:24], -v[6:7]
	v_add_f64 v[6:7], v[8:9], v[6:7]
	v_add_f64 v[8:9], v[25:26], v[6:7]
	v_rcp_f64_e32 v[21:22], v[8:9]
	v_fma_f64 v[23:24], -v[8:9], v[21:22], 1.0
	v_fma_f64 v[21:22], v[23:24], v[21:22], v[21:22]
	v_fma_f64 v[23:24], -v[8:9], v[21:22], 1.0
	v_fma_f64 v[21:22], v[23:24], v[21:22], v[21:22]
	v_add_f64 v[23:24], v[8:9], -v[25:26]
	v_mul_f64 v[25:26], v[8:9], v[21:22]
	v_add_f64 v[6:7], v[6:7], -v[23:24]
	v_fma_f64 v[23:24], v[21:22], v[8:9], -v[25:26]
	v_fma_f64 v[6:7], v[21:22], v[6:7], v[23:24]
	v_add_f64 v[23:24], v[25:26], v[6:7]
	v_add_f64 v[27:28], -v[23:24], 1.0
	v_add_f64 v[25:26], v[23:24], -v[25:26]
	v_add_f64 v[29:30], -v[27:28], 1.0
	v_add_f64 v[6:7], v[25:26], -v[6:7]
	v_add_f64 v[23:24], v[29:30], -v[23:24]
	v_add_f64 v[6:7], v[6:7], v[23:24]
	v_add_f64 v[6:7], v[27:28], v[6:7]
	v_mul_f64 v[6:7], v[21:22], v[6:7]
	v_add_f64 v[6:7], v[21:22], v[6:7]
	v_xor_b32_e32 v2, 0x80000000, v7
	v_cndmask_b32_e32 v6, v6, v8, vcc_lo
	v_cndmask_b32_e32 v2, v2, v9, vcc_lo
	v_xor_b32_e32 v3, v2, v3
	v_cndmask_b32_e64 v2, 0, v6, s5
	v_cndmask_b32_e64 v3, 0x7ff80000, v3, s5
	v_div_scale_f64 v[6:7], null, v[2:3], v[2:3], s[14:15]
	v_rcp_f64_e32 v[8:9], v[6:7]
	v_fma_f64 v[21:22], -v[6:7], v[8:9], 1.0
	v_fma_f64 v[8:9], v[8:9], v[21:22], v[8:9]
	v_fma_f64 v[21:22], -v[6:7], v[8:9], 1.0
	v_fma_f64 v[8:9], v[8:9], v[21:22], v[8:9]
	v_div_scale_f64 v[21:22], vcc_lo, s[14:15], v[2:3], s[14:15]
	v_mul_f64 v[23:24], v[21:22], v[8:9]
	v_fma_f64 v[6:7], -v[6:7], v[23:24], v[21:22]
	v_div_fmas_f64 v[6:7], v[6:7], v[8:9], v[23:24]
	v_div_fixup_f64 v[2:3], v[6:7], v[2:3], s[14:15]
	v_cvt_f32_f64_e32 v2, v[2:3]
.LBB30_155:
	s_or_b32 exec_lo, exec_lo, s12
	s_orn2_b32 s5, s6, exec_lo
.LBB30_156:
	s_or_b32 exec_lo, exec_lo, s11
	v_mov_b32_e32 v18, 0x7fc0
	s_and_saveexec_b32 s6, s5
	s_cbranch_execz .LBB30_168
; %bb.157:
	s_mov_b32 s5, exec_lo
	v_cmpx_gt_f32_e32 0x41200000, v16
	s_cbranch_execz .LBB30_161
; %bb.158:
	s_mov_b32 s7, 0
	.p2align	6
.LBB30_159:                             ; =>This Inner Loop Header: Depth=1
	v_div_scale_f32 v3, null, v16, v16, 1.0
	v_div_scale_f32 v8, vcc_lo, 1.0, v16, 1.0
	v_rcp_f32_e32 v6, v3
	v_fma_f32 v7, -v3, v6, 1.0
	v_fmac_f32_e32 v6, v7, v6
	v_mul_f32_e32 v7, v8, v6
	v_fma_f32 v9, -v3, v7, v8
	v_fmac_f32_e32 v7, v9, v6
	v_fma_f32 v3, -v3, v7, v8
	v_div_fmas_f32 v3, v3, v6, v7
	v_div_fixup_f32 v3, v3, v16, 1.0
	v_add_f32_e32 v16, 1.0, v16
	v_sub_f32_e32 v2, v2, v3
	v_cmp_ngt_f32_e32 vcc_lo, 0x41200000, v16
	s_or_b32 s7, vcc_lo, s7
	s_andn2_b32 exec_lo, exec_lo, s7
	s_cbranch_execnz .LBB30_159
; %bb.160:
	s_or_b32 exec_lo, exec_lo, s7
.LBB30_161:
	s_or_b32 exec_lo, exec_lo, s5
                                        ; implicit-def: $vgpr18
	s_mov_b32 s5, exec_lo
	v_cmpx_neq_f32_e32 0x41200000, v16
	s_xor_b32 s7, exec_lo, s5
	s_cbranch_execz .LBB30_165
; %bb.162:
	v_cvt_f64_f32_e32 v[6:7], v16
	v_mov_b32_e32 v3, 0
	s_mov_b32 s12, 0x85d8a000
	s_mov_b32 s13, 0x43763457
	s_mov_b32 s5, exec_lo
	v_cmpx_gt_f64_e32 s[12:13], v[6:7]
	s_cbranch_execz .LBB30_164
; %bb.163:
	v_mul_f32_e32 v3, v16, v16
	v_div_scale_f32 v6, null, v3, v3, 1.0
	v_rcp_f32_e32 v7, v6
	v_fma_f32 v8, -v6, v7, 1.0
	v_fmac_f32_e32 v7, v8, v7
	v_div_scale_f32 v8, vcc_lo, 1.0, v3, 1.0
	v_mul_f32_e32 v9, v8, v7
	v_fma_f32 v18, -v6, v9, v8
	v_fmac_f32_e32 v9, v18, v7
	v_fma_f32 v6, -v6, v9, v8
	v_div_fmas_f32 v6, v6, v7, v9
	v_div_fixup_f32 v3, v6, v3, 1.0
	v_fmaak_f32 v6, 0, v3, 0x3daaaaab
	v_fmaak_f32 v6, v3, v6, 0xbcaccacd
	;; [unrolled: 1-line block ×7, first 2 shown]
	v_mul_f32_e32 v3, v3, v6
.LBB30_164:
	s_or_b32 exec_lo, exec_lo, s5
	v_cmp_gt_f32_e32 vcc_lo, 0x800000, v16
	v_div_scale_f32 v6, null, v16, v16, -0.5
	v_div_scale_f32 v18, s5, -0.5, v16, -0.5
	v_cndmask_b32_e64 v7, 0, 32, vcc_lo
	v_rcp_f32_e32 v8, v6
	v_ldexp_f32 v7, v16, v7
	v_log_f32_e32 v7, v7
	v_fma_f32 v9, -v6, v8, 1.0
	v_fmac_f32_e32 v8, v9, v8
	v_mul_f32_e32 v9, 0x3f317217, v7
	v_mul_f32_e32 v21, v18, v8
	v_fma_f32 v9, 0x3f317217, v7, -v9
	v_fma_f32 v22, -v6, v21, v18
	v_fmamk_f32 v9, v7, 0x3377d1cf, v9
	v_fmac_f32_e32 v21, v22, v8
	v_cndmask_b32_e64 v22, 0, 0x41b17218, vcc_lo
	v_cmp_gt_f32_e64 vcc_lo, 0x7f800000, |v7|
	v_fmac_f32_e32 v9, 0x3f317217, v7
	v_fma_f32 v6, -v6, v21, v18
	v_cndmask_b32_e32 v7, v7, v9, vcc_lo
	s_mov_b32 vcc_lo, s5
	v_div_fmas_f32 v6, v6, v8, v21
	v_sub_f32_e32 v7, v7, v22
	v_div_fixup_f32 v6, v6, v16, -0.5
	v_add_f32_e32 v6, v7, v6
	v_sub_f32_e32 v3, v6, v3
	v_add_f32_e32 v2, v2, v3
	v_bfe_u32 v3, v2, 16, 1
	v_cmp_o_f32_e32 vcc_lo, v2, v2
	v_add3_u32 v2, v2, v3, 0x7fff
	v_mov_b32_e32 v3, 0x7fc0
	v_cndmask_b32_sdwa v18, v3, v2, vcc_lo dst_sel:DWORD dst_unused:UNUSED_PAD src0_sel:DWORD src1_sel:WORD_1
                                        ; implicit-def: $vgpr2
.LBB30_165:
	s_andn2_saveexec_b32 s5, s7
; %bb.166:
	v_add_f32_e32 v2, 0x40101cb7, v2
	v_bfe_u32 v3, v2, 16, 1
	v_cmp_o_f32_e32 vcc_lo, v2, v2
	v_add3_u32 v2, v2, v3, 0x7fff
	v_mov_b32_e32 v3, 0x7fc0
	v_cndmask_b32_sdwa v18, v3, v2, vcc_lo dst_sel:DWORD dst_unused:UNUSED_PAD src0_sel:DWORD src1_sel:WORD_1
; %bb.167:
	s_or_b32 exec_lo, exec_lo, s5
.LBB30_168:
	s_or_b32 exec_lo, exec_lo, s6
                                        ; implicit-def: $vgpr16
.LBB30_169:
	s_andn2_saveexec_b32 s5, s10
; %bb.170:
	v_xor_b32_e32 v2, 0x80000000, v16
	s_mov_b32 s6, 0x7f800000
	v_and_or_b32 v2, 0x80000000, v2, s6
	v_lshrrev_b32_e32 v18, 16, v2
; %bb.171:
	s_or_b32 exec_lo, exec_lo, s5
.LBB30_172:
	s_or_b32 exec_lo, exec_lo, s9
	v_add_nc_u32_e32 v2, 0x600, v10
	s_mov_b32 s9, exec_lo
                                        ; implicit-def: $vgpr16
	v_cmpx_lt_i32_e64 v2, v4
	s_cbranch_execz .LBB30_198
; %bb.173:
                                        ; implicit-def: $vgpr16
	s_mov_b32 s5, exec_lo
	v_cmpx_neq_f32_e32 0, v14
	s_xor_b32 s10, exec_lo, s5
	s_cbranch_execz .LBB30_195
; %bb.174:
	v_mov_b32_e32 v2, 0
	s_mov_b32 s5, -1
	s_mov_b32 s11, exec_lo
	v_cmpx_gt_f32_e32 0, v14
	s_cbranch_execz .LBB30_182
; %bb.175:
	v_trunc_f32_e32 v2, v14
	s_mov_b32 s6, 0
	v_cmp_neq_f32_e32 vcc_lo, v2, v14
	v_mov_b32_e32 v2, 0
	s_and_saveexec_b32 s12, vcc_lo
	s_cbranch_execz .LBB30_181
; %bb.176:
	v_cvt_f64_f32_e32 v[2:3], v14
	s_mov_b32 s7, 0xc00921fb
	s_mov_b32 s6, 0x54442d18
                                        ; implicit-def: $vgpr16
                                        ; implicit-def: $vgpr8_vgpr9
	v_trunc_f64_e32 v[6:7], v[2:3]
	v_cmp_neq_f64_e64 vcc_lo, 0x7ff00000, |v[2:3]|
	v_add_f64 v[6:7], v[2:3], -v[6:7]
	v_mul_f64 v[6:7], |v[6:7]|, s[6:7]
	v_cndmask_b32_e32 v3, 0x80000000, v7, vcc_lo
	v_cndmask_b32_e32 v2, 0, v6, vcc_lo
                                        ; implicit-def: $vgpr6_vgpr7
	v_cmp_ngt_f64_e64 s5, 0x41d00000, |v[2:3]|
	s_and_saveexec_b32 s7, s5
	s_xor_b32 s5, exec_lo, s7
	s_cbranch_execz .LBB30_178
; %bb.177:
	v_ldexp_f64 v[6:7], |v[2:3]|, 0xffffff80
	v_cmp_le_f64_e64 vcc_lo, 0x7b000000, |v[2:3]|
	v_trig_preop_f64 v[8:9], |v[2:3]|, 0
	v_and_b32_e32 v16, 0x7fffffff, v3
	v_trig_preop_f64 v[21:22], |v[2:3]|, 1
	v_trig_preop_f64 v[31:32], |v[2:3]|, 2
	v_mov_b32_e32 v48, 0
	s_mov_b32 s7, 0x3ff921fb
	s_mov_b32 s14, 0x33145c07
	;; [unrolled: 1-line block ×3, first 2 shown]
	v_cndmask_b32_e32 v7, v16, v7, vcc_lo
	v_cndmask_b32_e32 v6, v2, v6, vcc_lo
	v_mul_f64 v[23:24], v[8:9], v[6:7]
	v_mul_f64 v[25:26], v[21:22], v[6:7]
	;; [unrolled: 1-line block ×3, first 2 shown]
	v_fma_f64 v[8:9], v[8:9], v[6:7], -v[23:24]
	v_fma_f64 v[21:22], v[21:22], v[6:7], -v[25:26]
	v_fma_f64 v[6:7], v[31:32], v[6:7], -v[37:38]
	v_add_f64 v[27:28], v[25:26], v[8:9]
	v_add_f64 v[29:30], v[27:28], -v[25:26]
	v_add_f64 v[35:36], v[23:24], v[27:28]
	v_add_f64 v[33:34], v[27:28], -v[29:30]
	v_add_f64 v[8:9], v[8:9], -v[29:30]
	v_ldexp_f64 v[29:30], v[35:36], -2
	v_add_f64 v[23:24], v[35:36], -v[23:24]
	v_add_f64 v[25:26], v[25:26], -v[33:34]
	v_add_f64 v[33:34], v[37:38], v[21:22]
	v_cmp_neq_f64_e64 vcc_lo, 0x7ff00000, |v[29:30]|
	v_add_f64 v[23:24], v[27:28], -v[23:24]
	v_add_f64 v[8:9], v[8:9], v[25:26]
	v_fract_f64_e32 v[25:26], v[29:30]
	v_add_f64 v[27:28], v[33:34], v[8:9]
	v_ldexp_f64 v[25:26], v[25:26], 2
	v_add_f64 v[29:30], v[23:24], v[27:28]
	v_cndmask_b32_e32 v26, 0, v26, vcc_lo
	v_cndmask_b32_e32 v25, 0, v25, vcc_lo
	v_add_f64 v[35:36], v[29:30], v[25:26]
	v_add_f64 v[23:24], v[29:30], -v[23:24]
	v_cmp_gt_f64_e32 vcc_lo, 0, v[35:36]
	v_add_f64 v[35:36], v[33:34], -v[37:38]
	v_add_f64 v[23:24], v[27:28], -v[23:24]
	v_cndmask_b32_e64 v49, 0, 0x40100000, vcc_lo
	v_add_f64 v[53:54], v[33:34], -v[35:36]
	v_add_f64 v[21:22], v[21:22], -v[35:36]
	v_add_f64 v[25:26], v[25:26], v[48:49]
	v_add_f64 v[49:50], v[27:28], -v[33:34]
	v_add_f64 v[35:36], v[37:38], -v[53:54]
	v_add_f64 v[51:52], v[29:30], v[25:26]
	;; [unrolled: 3-line block ×3, first 2 shown]
	v_cvt_i32_f64_e32 v16, v[51:52]
	v_add_f64 v[33:34], v[33:34], -v[64:65]
	v_cvt_f64_i32_e32 v[49:50], v16
	v_add_f64 v[8:9], v[8:9], v[33:34]
	v_add_f64 v[25:26], v[25:26], -v[49:50]
	v_add_f64 v[8:9], v[21:22], v[8:9]
	v_add_f64 v[21:22], v[29:30], v[25:26]
	;; [unrolled: 1-line block ×3, first 2 shown]
	v_add_f64 v[8:9], v[21:22], -v[25:26]
	v_cmp_le_f64_e32 vcc_lo, 0.5, v[21:22]
	v_add_f64 v[6:7], v[23:24], v[6:7]
	v_add_f64 v[8:9], v[29:30], -v[8:9]
	v_cndmask_b32_e64 v49, 0, 0x3ff00000, vcc_lo
	v_add_co_ci_u32_e64 v16, null, 0, v16, vcc_lo
	v_add_f64 v[6:7], v[6:7], v[8:9]
	v_add_f64 v[8:9], v[21:22], -v[48:49]
	v_add_f64 v[21:22], v[8:9], v[6:7]
	v_mul_f64 v[23:24], v[21:22], s[6:7]
	v_add_f64 v[8:9], v[21:22], -v[8:9]
	v_fma_f64 v[25:26], v[21:22], s[6:7], -v[23:24]
	v_add_f64 v[6:7], v[6:7], -v[8:9]
	v_fma_f64 v[8:9], v[21:22], s[14:15], v[25:26]
	v_fma_f64 v[8:9], v[6:7], s[6:7], v[8:9]
	v_add_f64 v[6:7], v[23:24], v[8:9]
	v_add_f64 v[21:22], v[6:7], -v[23:24]
	v_add_f64 v[8:9], v[8:9], -v[21:22]
.LBB30_178:
	s_andn2_saveexec_b32 s5, s5
	s_cbranch_execz .LBB30_180
; %bb.179:
	s_mov_b32 s6, 0x6dc9c883
	s_mov_b32 s7, 0x3fe45f30
	;; [unrolled: 1-line block ×3, first 2 shown]
	v_mul_f64 v[6:7], |v[2:3]|, s[6:7]
	s_mov_b32 s6, 0x54442d18
	s_mov_b32 s7, 0xbff921fb
	;; [unrolled: 1-line block ×3, first 2 shown]
	v_rndne_f64_e32 v[21:22], v[6:7]
	v_fma_f64 v[6:7], v[21:22], s[6:7], |v[2:3]|
	v_mul_f64 v[8:9], v[21:22], s[14:15]
	s_mov_b32 s6, 0x252049c0
	s_mov_b32 s7, 0xb97b839a
	v_cvt_i32_f64_e32 v16, v[21:22]
	v_fma_f64 v[25:26], v[21:22], s[14:15], v[6:7]
	v_add_f64 v[23:24], v[6:7], v[8:9]
	s_mov_b32 s15, 0x3c91a626
	v_add_f64 v[6:7], v[6:7], -v[23:24]
	v_add_f64 v[23:24], v[23:24], -v[25:26]
	v_add_f64 v[6:7], v[6:7], v[8:9]
	v_fma_f64 v[8:9], v[21:22], s[14:15], v[8:9]
	v_add_f64 v[6:7], v[23:24], v[6:7]
	v_add_f64 v[6:7], v[6:7], -v[8:9]
	v_fma_f64 v[8:9], v[21:22], s[6:7], v[6:7]
	v_add_f64 v[6:7], v[25:26], v[8:9]
	v_add_f64 v[23:24], v[6:7], -v[25:26]
	v_add_f64 v[8:9], v[8:9], -v[23:24]
.LBB30_180:
	s_or_b32 exec_lo, exec_lo, s5
	v_mul_f64 v[21:22], v[6:7], v[6:7]
	v_add_f64 v[23:24], v[8:9], v[8:9]
	s_mov_b32 s14, 0xa9a29f71
	s_mov_b32 s16, 0xc751c08c
	;; [unrolled: 1-line block ×4, first 2 shown]
	v_cmp_class_f64_e64 s5, v[2:3], 0x1f8
	v_and_b32_e32 v16, 1, v16
	v_and_b32_e32 v3, 0x80000000, v3
	v_sub_f32_e32 v14, 1.0, v14
	s_mov_b32 s6, exec_lo
	v_cmp_eq_u32_e32 vcc_lo, 0, v16
	v_fma_f64 v[25:26], v[6:7], v[6:7], -v[21:22]
	v_fma_f64 v[23:24], v[6:7], v[23:24], v[25:26]
	v_add_f64 v[21:22], v[21:22], v[23:24]
	v_fma_f64 v[23:24], v[21:22], s[16:17], s[14:15]
	s_mov_b32 s14, 0x90a8aae0
	s_mov_b32 s15, 0x3f17746f
	v_fma_f64 v[23:24], v[21:22], v[23:24], s[14:15]
	s_mov_b32 s14, 0xa6fbf144
	s_mov_b32 s15, 0xbefbb44d
	;; [unrolled: 3-line block ×13, first 2 shown]
	v_mul_f64 v[21:22], v[21:22], v[23:24]
	v_mul_f64 v[23:24], v[6:7], v[21:22]
	v_add_f64 v[25:26], v[6:7], v[23:24]
	v_fma_f64 v[21:22], v[6:7], v[21:22], -v[23:24]
	v_add_f64 v[6:7], v[25:26], -v[6:7]
	v_add_f64 v[8:9], v[8:9], v[21:22]
	v_add_f64 v[6:7], v[23:24], -v[6:7]
	v_add_f64 v[6:7], v[8:9], v[6:7]
	v_add_f64 v[8:9], v[25:26], v[6:7]
	v_rcp_f64_e32 v[21:22], v[8:9]
	v_fma_f64 v[23:24], -v[8:9], v[21:22], 1.0
	v_fma_f64 v[21:22], v[23:24], v[21:22], v[21:22]
	v_fma_f64 v[23:24], -v[8:9], v[21:22], 1.0
	v_fma_f64 v[21:22], v[23:24], v[21:22], v[21:22]
	v_add_f64 v[23:24], v[8:9], -v[25:26]
	v_mul_f64 v[25:26], v[8:9], v[21:22]
	v_add_f64 v[6:7], v[6:7], -v[23:24]
	v_fma_f64 v[23:24], v[21:22], v[8:9], -v[25:26]
	v_fma_f64 v[6:7], v[21:22], v[6:7], v[23:24]
	v_add_f64 v[23:24], v[25:26], v[6:7]
	v_add_f64 v[27:28], -v[23:24], 1.0
	v_add_f64 v[25:26], v[23:24], -v[25:26]
	v_add_f64 v[29:30], -v[27:28], 1.0
	v_add_f64 v[6:7], v[25:26], -v[6:7]
	v_add_f64 v[23:24], v[29:30], -v[23:24]
	v_add_f64 v[6:7], v[6:7], v[23:24]
	v_add_f64 v[6:7], v[27:28], v[6:7]
	v_mul_f64 v[6:7], v[21:22], v[6:7]
	v_add_f64 v[6:7], v[21:22], v[6:7]
	v_xor_b32_e32 v2, 0x80000000, v7
	v_cndmask_b32_e32 v6, v6, v8, vcc_lo
	v_cndmask_b32_e32 v2, v2, v9, vcc_lo
	v_xor_b32_e32 v3, v2, v3
	v_cndmask_b32_e64 v2, 0, v6, s5
	v_cndmask_b32_e64 v3, 0x7ff80000, v3, s5
	v_div_scale_f64 v[6:7], null, v[2:3], v[2:3], s[14:15]
	v_rcp_f64_e32 v[8:9], v[6:7]
	v_fma_f64 v[21:22], -v[6:7], v[8:9], 1.0
	v_fma_f64 v[8:9], v[8:9], v[21:22], v[8:9]
	v_fma_f64 v[21:22], -v[6:7], v[8:9], 1.0
	v_fma_f64 v[8:9], v[8:9], v[21:22], v[8:9]
	v_div_scale_f64 v[21:22], vcc_lo, s[14:15], v[2:3], s[14:15]
	v_mul_f64 v[23:24], v[21:22], v[8:9]
	v_fma_f64 v[6:7], -v[6:7], v[23:24], v[21:22]
	v_div_fmas_f64 v[6:7], v[6:7], v[8:9], v[23:24]
	v_div_fixup_f64 v[2:3], v[6:7], v[2:3], s[14:15]
	v_cvt_f32_f64_e32 v2, v[2:3]
.LBB30_181:
	s_or_b32 exec_lo, exec_lo, s12
	s_orn2_b32 s5, s6, exec_lo
.LBB30_182:
	s_or_b32 exec_lo, exec_lo, s11
	v_mov_b32_e32 v16, 0x7fc0
	s_and_saveexec_b32 s6, s5
	s_cbranch_execz .LBB30_194
; %bb.183:
	s_mov_b32 s5, exec_lo
	v_cmpx_gt_f32_e32 0x41200000, v14
	s_cbranch_execz .LBB30_187
; %bb.184:
	s_mov_b32 s7, 0
	.p2align	6
.LBB30_185:                             ; =>This Inner Loop Header: Depth=1
	v_div_scale_f32 v3, null, v14, v14, 1.0
	v_div_scale_f32 v8, vcc_lo, 1.0, v14, 1.0
	v_rcp_f32_e32 v6, v3
	v_fma_f32 v7, -v3, v6, 1.0
	v_fmac_f32_e32 v6, v7, v6
	v_mul_f32_e32 v7, v8, v6
	v_fma_f32 v9, -v3, v7, v8
	v_fmac_f32_e32 v7, v9, v6
	v_fma_f32 v3, -v3, v7, v8
	v_div_fmas_f32 v3, v3, v6, v7
	v_div_fixup_f32 v3, v3, v14, 1.0
	v_add_f32_e32 v14, 1.0, v14
	v_sub_f32_e32 v2, v2, v3
	v_cmp_ngt_f32_e32 vcc_lo, 0x41200000, v14
	s_or_b32 s7, vcc_lo, s7
	s_andn2_b32 exec_lo, exec_lo, s7
	s_cbranch_execnz .LBB30_185
; %bb.186:
	s_or_b32 exec_lo, exec_lo, s7
.LBB30_187:
	s_or_b32 exec_lo, exec_lo, s5
                                        ; implicit-def: $vgpr16
	s_mov_b32 s5, exec_lo
	v_cmpx_neq_f32_e32 0x41200000, v14
	s_xor_b32 s7, exec_lo, s5
	s_cbranch_execz .LBB30_191
; %bb.188:
	v_cvt_f64_f32_e32 v[6:7], v14
	v_mov_b32_e32 v3, 0
	s_mov_b32 s12, 0x85d8a000
	s_mov_b32 s13, 0x43763457
	s_mov_b32 s5, exec_lo
	v_cmpx_gt_f64_e32 s[12:13], v[6:7]
	s_cbranch_execz .LBB30_190
; %bb.189:
	v_mul_f32_e32 v3, v14, v14
	v_div_scale_f32 v6, null, v3, v3, 1.0
	v_rcp_f32_e32 v7, v6
	v_fma_f32 v8, -v6, v7, 1.0
	v_fmac_f32_e32 v7, v8, v7
	v_div_scale_f32 v8, vcc_lo, 1.0, v3, 1.0
	v_mul_f32_e32 v9, v8, v7
	v_fma_f32 v16, -v6, v9, v8
	v_fmac_f32_e32 v9, v16, v7
	v_fma_f32 v6, -v6, v9, v8
	v_div_fmas_f32 v6, v6, v7, v9
	v_div_fixup_f32 v3, v6, v3, 1.0
	v_fmaak_f32 v6, 0, v3, 0x3daaaaab
	v_fmaak_f32 v6, v3, v6, 0xbcaccacd
	;; [unrolled: 1-line block ×7, first 2 shown]
	v_mul_f32_e32 v3, v3, v6
.LBB30_190:
	s_or_b32 exec_lo, exec_lo, s5
	v_cmp_gt_f32_e32 vcc_lo, 0x800000, v14
	v_div_scale_f32 v6, null, v14, v14, -0.5
	v_div_scale_f32 v16, s5, -0.5, v14, -0.5
	v_cndmask_b32_e64 v7, 0, 32, vcc_lo
	v_rcp_f32_e32 v8, v6
	v_ldexp_f32 v7, v14, v7
	v_log_f32_e32 v7, v7
	v_fma_f32 v9, -v6, v8, 1.0
	v_fmac_f32_e32 v8, v9, v8
	v_mul_f32_e32 v9, 0x3f317217, v7
	v_mul_f32_e32 v21, v16, v8
	v_fma_f32 v9, 0x3f317217, v7, -v9
	v_fma_f32 v22, -v6, v21, v16
	v_fmamk_f32 v9, v7, 0x3377d1cf, v9
	v_fmac_f32_e32 v21, v22, v8
	v_cndmask_b32_e64 v22, 0, 0x41b17218, vcc_lo
	v_cmp_gt_f32_e64 vcc_lo, 0x7f800000, |v7|
	v_fmac_f32_e32 v9, 0x3f317217, v7
	v_fma_f32 v6, -v6, v21, v16
	v_cndmask_b32_e32 v7, v7, v9, vcc_lo
	s_mov_b32 vcc_lo, s5
	v_div_fmas_f32 v6, v6, v8, v21
	v_sub_f32_e32 v7, v7, v22
	v_div_fixup_f32 v6, v6, v14, -0.5
	v_add_f32_e32 v6, v7, v6
	v_sub_f32_e32 v3, v6, v3
	v_add_f32_e32 v2, v2, v3
	v_bfe_u32 v3, v2, 16, 1
	v_cmp_o_f32_e32 vcc_lo, v2, v2
	v_add3_u32 v2, v2, v3, 0x7fff
	v_mov_b32_e32 v3, 0x7fc0
	v_cndmask_b32_sdwa v16, v3, v2, vcc_lo dst_sel:DWORD dst_unused:UNUSED_PAD src0_sel:DWORD src1_sel:WORD_1
                                        ; implicit-def: $vgpr2
.LBB30_191:
	s_andn2_saveexec_b32 s5, s7
; %bb.192:
	v_add_f32_e32 v2, 0x40101cb7, v2
	v_bfe_u32 v3, v2, 16, 1
	v_cmp_o_f32_e32 vcc_lo, v2, v2
	v_add3_u32 v2, v2, v3, 0x7fff
	v_mov_b32_e32 v3, 0x7fc0
	v_cndmask_b32_sdwa v16, v3, v2, vcc_lo dst_sel:DWORD dst_unused:UNUSED_PAD src0_sel:DWORD src1_sel:WORD_1
; %bb.193:
	s_or_b32 exec_lo, exec_lo, s5
.LBB30_194:
	s_or_b32 exec_lo, exec_lo, s6
                                        ; implicit-def: $vgpr14
.LBB30_195:
	s_andn2_saveexec_b32 s5, s10
; %bb.196:
	v_xor_b32_e32 v2, 0x80000000, v14
	s_mov_b32 s6, 0x7f800000
	v_and_or_b32 v2, 0x80000000, v2, s6
	v_lshrrev_b32_e32 v16, 16, v2
; %bb.197:
	s_or_b32 exec_lo, exec_lo, s5
.LBB30_198:
	s_or_b32 exec_lo, exec_lo, s9
	v_add_nc_u32_e32 v2, 0x700, v10
	v_cmp_lt_i32_e32 vcc_lo, v2, v4
                                        ; implicit-def: $vgpr2
	s_and_saveexec_b32 s9, vcc_lo
	s_cbranch_execz .LBB30_232
; %bb.199:
                                        ; implicit-def: $vgpr2
	s_mov_b32 s5, exec_lo
	v_cmpx_neq_f32_e32 0, v12
	s_xor_b32 s10, exec_lo, s5
	s_cbranch_execz .LBB30_221
; %bb.200:
	v_mov_b32_e32 v3, 0
	s_mov_b32 s5, -1
	s_mov_b32 s11, exec_lo
	v_cmpx_gt_f32_e32 0, v12
	s_cbranch_execz .LBB30_208
; %bb.201:
	v_trunc_f32_e32 v2, v12
	v_mov_b32_e32 v3, 0
	s_mov_b32 s6, 0
	s_mov_b32 s12, exec_lo
	v_cmpx_neq_f32_e32 v2, v12
	s_cbranch_execz .LBB30_207
; %bb.202:
	v_cvt_f64_f32_e32 v[2:3], v12
	s_mov_b32 s7, 0xc00921fb
	s_mov_b32 s6, 0x54442d18
                                        ; implicit-def: $vgpr14
                                        ; implicit-def: $vgpr8_vgpr9
	v_trunc_f64_e32 v[6:7], v[2:3]
	v_cmp_neq_f64_e64 vcc_lo, 0x7ff00000, |v[2:3]|
	v_add_f64 v[6:7], v[2:3], -v[6:7]
	v_mul_f64 v[6:7], |v[6:7]|, s[6:7]
	v_cndmask_b32_e32 v3, 0x80000000, v7, vcc_lo
	v_cndmask_b32_e32 v2, 0, v6, vcc_lo
                                        ; implicit-def: $vgpr6_vgpr7
	v_cmp_ngt_f64_e64 s5, 0x41d00000, |v[2:3]|
	s_and_saveexec_b32 s7, s5
	s_xor_b32 s5, exec_lo, s7
	s_cbranch_execz .LBB30_204
; %bb.203:
	v_ldexp_f64 v[6:7], |v[2:3]|, 0xffffff80
	v_cmp_le_f64_e64 vcc_lo, 0x7b000000, |v[2:3]|
	v_trig_preop_f64 v[8:9], |v[2:3]|, 0
	v_and_b32_e32 v14, 0x7fffffff, v3
	v_trig_preop_f64 v[21:22], |v[2:3]|, 1
	v_trig_preop_f64 v[31:32], |v[2:3]|, 2
	v_mov_b32_e32 v48, 0
	s_mov_b32 s7, 0x3ff921fb
	s_mov_b32 s14, 0x33145c07
	s_mov_b32 s15, 0x3c91a626
	v_cndmask_b32_e32 v7, v14, v7, vcc_lo
	v_cndmask_b32_e32 v6, v2, v6, vcc_lo
	v_mul_f64 v[23:24], v[8:9], v[6:7]
	v_mul_f64 v[25:26], v[21:22], v[6:7]
	;; [unrolled: 1-line block ×3, first 2 shown]
	v_fma_f64 v[8:9], v[8:9], v[6:7], -v[23:24]
	v_fma_f64 v[21:22], v[21:22], v[6:7], -v[25:26]
	;; [unrolled: 1-line block ×3, first 2 shown]
	v_add_f64 v[27:28], v[25:26], v[8:9]
	v_add_f64 v[29:30], v[27:28], -v[25:26]
	v_add_f64 v[35:36], v[23:24], v[27:28]
	v_add_f64 v[33:34], v[27:28], -v[29:30]
	v_add_f64 v[8:9], v[8:9], -v[29:30]
	v_ldexp_f64 v[29:30], v[35:36], -2
	v_add_f64 v[23:24], v[35:36], -v[23:24]
	v_add_f64 v[25:26], v[25:26], -v[33:34]
	v_add_f64 v[33:34], v[37:38], v[21:22]
	v_cmp_neq_f64_e64 vcc_lo, 0x7ff00000, |v[29:30]|
	v_add_f64 v[23:24], v[27:28], -v[23:24]
	v_add_f64 v[8:9], v[8:9], v[25:26]
	v_fract_f64_e32 v[25:26], v[29:30]
	v_add_f64 v[27:28], v[33:34], v[8:9]
	v_ldexp_f64 v[25:26], v[25:26], 2
	v_add_f64 v[29:30], v[23:24], v[27:28]
	v_cndmask_b32_e32 v26, 0, v26, vcc_lo
	v_cndmask_b32_e32 v25, 0, v25, vcc_lo
	v_add_f64 v[35:36], v[29:30], v[25:26]
	v_add_f64 v[23:24], v[29:30], -v[23:24]
	v_cmp_gt_f64_e32 vcc_lo, 0, v[35:36]
	v_add_f64 v[35:36], v[33:34], -v[37:38]
	v_add_f64 v[23:24], v[27:28], -v[23:24]
	v_cndmask_b32_e64 v49, 0, 0x40100000, vcc_lo
	v_add_f64 v[53:54], v[33:34], -v[35:36]
	v_add_f64 v[21:22], v[21:22], -v[35:36]
	v_add_f64 v[25:26], v[25:26], v[48:49]
	v_add_f64 v[49:50], v[27:28], -v[33:34]
	v_add_f64 v[35:36], v[37:38], -v[53:54]
	v_add_f64 v[51:52], v[29:30], v[25:26]
	;; [unrolled: 3-line block ×3, first 2 shown]
	v_cvt_i32_f64_e32 v14, v[51:52]
	v_add_f64 v[33:34], v[33:34], -v[64:65]
	v_cvt_f64_i32_e32 v[49:50], v14
	v_add_f64 v[8:9], v[8:9], v[33:34]
	v_add_f64 v[25:26], v[25:26], -v[49:50]
	v_add_f64 v[8:9], v[21:22], v[8:9]
	v_add_f64 v[21:22], v[29:30], v[25:26]
	;; [unrolled: 1-line block ×3, first 2 shown]
	v_add_f64 v[8:9], v[21:22], -v[25:26]
	v_cmp_le_f64_e32 vcc_lo, 0.5, v[21:22]
	v_add_f64 v[6:7], v[23:24], v[6:7]
	v_add_f64 v[8:9], v[29:30], -v[8:9]
	v_cndmask_b32_e64 v49, 0, 0x3ff00000, vcc_lo
	v_add_co_ci_u32_e64 v14, null, 0, v14, vcc_lo
	v_add_f64 v[6:7], v[6:7], v[8:9]
	v_add_f64 v[8:9], v[21:22], -v[48:49]
	v_add_f64 v[21:22], v[8:9], v[6:7]
	v_mul_f64 v[23:24], v[21:22], s[6:7]
	v_add_f64 v[8:9], v[21:22], -v[8:9]
	v_fma_f64 v[25:26], v[21:22], s[6:7], -v[23:24]
	v_add_f64 v[6:7], v[6:7], -v[8:9]
	v_fma_f64 v[8:9], v[21:22], s[14:15], v[25:26]
	v_fma_f64 v[8:9], v[6:7], s[6:7], v[8:9]
	v_add_f64 v[6:7], v[23:24], v[8:9]
	v_add_f64 v[21:22], v[6:7], -v[23:24]
	v_add_f64 v[8:9], v[8:9], -v[21:22]
.LBB30_204:
	s_andn2_saveexec_b32 s5, s5
	s_cbranch_execz .LBB30_206
; %bb.205:
	s_mov_b32 s6, 0x6dc9c883
	s_mov_b32 s7, 0x3fe45f30
	;; [unrolled: 1-line block ×3, first 2 shown]
	v_mul_f64 v[6:7], |v[2:3]|, s[6:7]
	s_mov_b32 s6, 0x54442d18
	s_mov_b32 s7, 0xbff921fb
	;; [unrolled: 1-line block ×3, first 2 shown]
	v_rndne_f64_e32 v[21:22], v[6:7]
	v_fma_f64 v[6:7], v[21:22], s[6:7], |v[2:3]|
	v_mul_f64 v[8:9], v[21:22], s[14:15]
	s_mov_b32 s6, 0x252049c0
	s_mov_b32 s7, 0xb97b839a
	v_cvt_i32_f64_e32 v14, v[21:22]
	v_fma_f64 v[25:26], v[21:22], s[14:15], v[6:7]
	v_add_f64 v[23:24], v[6:7], v[8:9]
	s_mov_b32 s15, 0x3c91a626
	v_add_f64 v[6:7], v[6:7], -v[23:24]
	v_add_f64 v[23:24], v[23:24], -v[25:26]
	v_add_f64 v[6:7], v[6:7], v[8:9]
	v_fma_f64 v[8:9], v[21:22], s[14:15], v[8:9]
	v_add_f64 v[6:7], v[23:24], v[6:7]
	v_add_f64 v[6:7], v[6:7], -v[8:9]
	v_fma_f64 v[8:9], v[21:22], s[6:7], v[6:7]
	v_add_f64 v[6:7], v[25:26], v[8:9]
	v_add_f64 v[23:24], v[6:7], -v[25:26]
	v_add_f64 v[8:9], v[8:9], -v[23:24]
.LBB30_206:
	s_or_b32 exec_lo, exec_lo, s5
	v_mul_f64 v[21:22], v[6:7], v[6:7]
	v_add_f64 v[23:24], v[8:9], v[8:9]
	s_mov_b32 s14, 0xa9a29f71
	s_mov_b32 s16, 0xc751c08c
	;; [unrolled: 1-line block ×4, first 2 shown]
	v_cmp_class_f64_e64 s5, v[2:3], 0x1f8
	v_and_b32_e32 v14, 1, v14
	v_and_b32_e32 v3, 0x80000000, v3
	v_sub_f32_e32 v12, 1.0, v12
	s_mov_b32 s6, exec_lo
	v_cmp_eq_u32_e32 vcc_lo, 0, v14
	v_fma_f64 v[25:26], v[6:7], v[6:7], -v[21:22]
	v_fma_f64 v[23:24], v[6:7], v[23:24], v[25:26]
	v_add_f64 v[21:22], v[21:22], v[23:24]
	v_fma_f64 v[23:24], v[21:22], s[16:17], s[14:15]
	s_mov_b32 s14, 0x90a8aae0
	s_mov_b32 s15, 0x3f17746f
	v_fma_f64 v[23:24], v[21:22], v[23:24], s[14:15]
	s_mov_b32 s14, 0xa6fbf144
	s_mov_b32 s15, 0xbefbb44d
	;; [unrolled: 3-line block ×13, first 2 shown]
	v_mul_f64 v[21:22], v[21:22], v[23:24]
	v_mul_f64 v[23:24], v[6:7], v[21:22]
	v_add_f64 v[25:26], v[6:7], v[23:24]
	v_fma_f64 v[21:22], v[6:7], v[21:22], -v[23:24]
	v_add_f64 v[6:7], v[25:26], -v[6:7]
	v_add_f64 v[8:9], v[8:9], v[21:22]
	v_add_f64 v[6:7], v[23:24], -v[6:7]
	v_add_f64 v[6:7], v[8:9], v[6:7]
	v_add_f64 v[8:9], v[25:26], v[6:7]
	v_rcp_f64_e32 v[21:22], v[8:9]
	v_fma_f64 v[23:24], -v[8:9], v[21:22], 1.0
	v_fma_f64 v[21:22], v[23:24], v[21:22], v[21:22]
	v_fma_f64 v[23:24], -v[8:9], v[21:22], 1.0
	v_fma_f64 v[21:22], v[23:24], v[21:22], v[21:22]
	v_add_f64 v[23:24], v[8:9], -v[25:26]
	v_mul_f64 v[25:26], v[8:9], v[21:22]
	v_add_f64 v[6:7], v[6:7], -v[23:24]
	v_fma_f64 v[23:24], v[21:22], v[8:9], -v[25:26]
	v_fma_f64 v[6:7], v[21:22], v[6:7], v[23:24]
	v_add_f64 v[23:24], v[25:26], v[6:7]
	v_add_f64 v[27:28], -v[23:24], 1.0
	v_add_f64 v[25:26], v[23:24], -v[25:26]
	v_add_f64 v[29:30], -v[27:28], 1.0
	v_add_f64 v[6:7], v[25:26], -v[6:7]
	v_add_f64 v[23:24], v[29:30], -v[23:24]
	v_add_f64 v[6:7], v[6:7], v[23:24]
	v_add_f64 v[6:7], v[27:28], v[6:7]
	v_mul_f64 v[6:7], v[21:22], v[6:7]
	v_add_f64 v[6:7], v[21:22], v[6:7]
	v_xor_b32_e32 v2, 0x80000000, v7
	v_cndmask_b32_e32 v6, v6, v8, vcc_lo
	v_cndmask_b32_e32 v2, v2, v9, vcc_lo
	v_xor_b32_e32 v3, v2, v3
	v_cndmask_b32_e64 v2, 0, v6, s5
	v_cndmask_b32_e64 v3, 0x7ff80000, v3, s5
	v_div_scale_f64 v[6:7], null, v[2:3], v[2:3], s[14:15]
	v_rcp_f64_e32 v[8:9], v[6:7]
	v_fma_f64 v[21:22], -v[6:7], v[8:9], 1.0
	v_fma_f64 v[8:9], v[8:9], v[21:22], v[8:9]
	v_fma_f64 v[21:22], -v[6:7], v[8:9], 1.0
	v_fma_f64 v[8:9], v[8:9], v[21:22], v[8:9]
	v_div_scale_f64 v[21:22], vcc_lo, s[14:15], v[2:3], s[14:15]
	v_mul_f64 v[23:24], v[21:22], v[8:9]
	v_fma_f64 v[6:7], -v[6:7], v[23:24], v[21:22]
	v_div_fmas_f64 v[6:7], v[6:7], v[8:9], v[23:24]
	v_div_fixup_f64 v[2:3], v[6:7], v[2:3], s[14:15]
	v_cvt_f32_f64_e32 v3, v[2:3]
.LBB30_207:
	s_or_b32 exec_lo, exec_lo, s12
	s_orn2_b32 s5, s6, exec_lo
.LBB30_208:
	s_or_b32 exec_lo, exec_lo, s11
	v_mov_b32_e32 v2, 0x7fc0
	s_and_saveexec_b32 s6, s5
	s_cbranch_execz .LBB30_220
; %bb.209:
	s_mov_b32 s5, exec_lo
	v_cmpx_gt_f32_e32 0x41200000, v12
	s_cbranch_execz .LBB30_213
; %bb.210:
	s_mov_b32 s7, 0
	.p2align	6
.LBB30_211:                             ; =>This Inner Loop Header: Depth=1
	v_div_scale_f32 v2, null, v12, v12, 1.0
	v_div_scale_f32 v8, vcc_lo, 1.0, v12, 1.0
	v_rcp_f32_e32 v6, v2
	v_fma_f32 v7, -v2, v6, 1.0
	v_fmac_f32_e32 v6, v7, v6
	v_mul_f32_e32 v7, v8, v6
	v_fma_f32 v9, -v2, v7, v8
	v_fmac_f32_e32 v7, v9, v6
	v_fma_f32 v2, -v2, v7, v8
	v_div_fmas_f32 v2, v2, v6, v7
	v_div_fixup_f32 v2, v2, v12, 1.0
	v_add_f32_e32 v12, 1.0, v12
	v_sub_f32_e32 v3, v3, v2
	v_cmp_ngt_f32_e32 vcc_lo, 0x41200000, v12
	s_or_b32 s7, vcc_lo, s7
	s_andn2_b32 exec_lo, exec_lo, s7
	s_cbranch_execnz .LBB30_211
; %bb.212:
	s_or_b32 exec_lo, exec_lo, s7
.LBB30_213:
	s_or_b32 exec_lo, exec_lo, s5
                                        ; implicit-def: $vgpr2
	s_mov_b32 s5, exec_lo
	v_cmpx_neq_f32_e32 0x41200000, v12
	s_xor_b32 s7, exec_lo, s5
	s_cbranch_execz .LBB30_217
; %bb.214:
	v_cvt_f64_f32_e32 v[6:7], v12
	v_mov_b32_e32 v2, 0
	s_mov_b32 s12, 0x85d8a000
	s_mov_b32 s13, 0x43763457
	s_mov_b32 s5, exec_lo
	v_cmpx_gt_f64_e32 s[12:13], v[6:7]
	s_cbranch_execz .LBB30_216
; %bb.215:
	v_mul_f32_e32 v2, v12, v12
	v_div_scale_f32 v6, null, v2, v2, 1.0
	v_rcp_f32_e32 v7, v6
	v_fma_f32 v8, -v6, v7, 1.0
	v_fmac_f32_e32 v7, v8, v7
	v_div_scale_f32 v8, vcc_lo, 1.0, v2, 1.0
	v_mul_f32_e32 v9, v8, v7
	v_fma_f32 v14, -v6, v9, v8
	v_fmac_f32_e32 v9, v14, v7
	v_fma_f32 v6, -v6, v9, v8
	v_div_fmas_f32 v6, v6, v7, v9
	v_div_fixup_f32 v2, v6, v2, 1.0
	v_fmaak_f32 v6, 0, v2, 0x3daaaaab
	v_fmaak_f32 v6, v2, v6, 0xbcaccacd
	;; [unrolled: 1-line block ×7, first 2 shown]
	v_mul_f32_e32 v2, v2, v6
.LBB30_216:
	s_or_b32 exec_lo, exec_lo, s5
	v_cmp_gt_f32_e32 vcc_lo, 0x800000, v12
	v_div_scale_f32 v6, null, v12, v12, -0.5
	v_div_scale_f32 v14, s5, -0.5, v12, -0.5
	v_cndmask_b32_e64 v7, 0, 32, vcc_lo
	v_rcp_f32_e32 v8, v6
	v_ldexp_f32 v7, v12, v7
	v_log_f32_e32 v7, v7
	v_fma_f32 v9, -v6, v8, 1.0
	v_fmac_f32_e32 v8, v9, v8
	v_mul_f32_e32 v9, 0x3f317217, v7
	v_mul_f32_e32 v21, v14, v8
	v_fma_f32 v9, 0x3f317217, v7, -v9
	v_fma_f32 v22, -v6, v21, v14
	v_fmamk_f32 v9, v7, 0x3377d1cf, v9
	v_fmac_f32_e32 v21, v22, v8
	v_cndmask_b32_e64 v22, 0, 0x41b17218, vcc_lo
	v_cmp_gt_f32_e64 vcc_lo, 0x7f800000, |v7|
	v_fmac_f32_e32 v9, 0x3f317217, v7
	v_fma_f32 v6, -v6, v21, v14
	v_cndmask_b32_e32 v7, v7, v9, vcc_lo
	s_mov_b32 vcc_lo, s5
	v_div_fmas_f32 v6, v6, v8, v21
	v_sub_f32_e32 v7, v7, v22
	v_div_fixup_f32 v6, v6, v12, -0.5
	v_add_f32_e32 v6, v7, v6
	v_sub_f32_e32 v2, v6, v2
	v_add_f32_e32 v2, v3, v2
	v_bfe_u32 v3, v2, 16, 1
	v_cmp_o_f32_e32 vcc_lo, v2, v2
	v_add3_u32 v2, v2, v3, 0x7fff
	v_mov_b32_e32 v3, 0x7fc0
	v_cndmask_b32_sdwa v2, v3, v2, vcc_lo dst_sel:DWORD dst_unused:UNUSED_PAD src0_sel:DWORD src1_sel:WORD_1
                                        ; implicit-def: $vgpr3
.LBB30_217:
	s_andn2_saveexec_b32 s5, s7
; %bb.218:
	v_add_f32_e32 v2, 0x40101cb7, v3
	v_bfe_u32 v3, v2, 16, 1
	v_cmp_o_f32_e32 vcc_lo, v2, v2
	v_add3_u32 v2, v2, v3, 0x7fff
	v_mov_b32_e32 v3, 0x7fc0
	v_cndmask_b32_sdwa v2, v3, v2, vcc_lo dst_sel:DWORD dst_unused:UNUSED_PAD src0_sel:DWORD src1_sel:WORD_1
; %bb.219:
	s_or_b32 exec_lo, exec_lo, s5
.LBB30_220:
	s_or_b32 exec_lo, exec_lo, s6
                                        ; implicit-def: $vgpr12
.LBB30_221:
	s_andn2_saveexec_b32 s5, s10
; %bb.222:
	v_xor_b32_e32 v2, 0x80000000, v12
	s_mov_b32 s6, 0x7f800000
	v_and_or_b32 v2, 0x80000000, v2, s6
	v_lshrrev_b32_e32 v2, 16, v2
; %bb.223:
	s_or_b32 exec_lo, exec_lo, s5
	s_or_b32 exec_lo, exec_lo, s9
	s_and_saveexec_b32 s5, s4
	s_xor_b32 s4, exec_lo, s5
	s_cbranch_execnz .LBB30_233
.LBB30_224:
	s_or_b32 exec_lo, exec_lo, s4
	s_mov_b32 s4, exec_lo
	v_cmpx_lt_i32_e64 v10, v4
	s_cbranch_execz .LBB30_234
.LBB30_225:
	v_add_nc_u32_e32 v5, s8, v10
	v_mov_b32_e32 v6, 0
	v_add_nc_u32_e32 v10, 0x100, v10
	v_lshlrev_b64 v[5:6], 1, v[5:6]
	v_add_co_u32 v5, vcc_lo, v0, v5
	v_add_co_ci_u32_e64 v6, null, v1, v6, vcc_lo
	flat_store_short v[5:6], v15
	s_or_b32 exec_lo, exec_lo, s4
	s_mov_b32 s4, exec_lo
	v_cmpx_lt_i32_e64 v10, v4
	s_cbranch_execnz .LBB30_235
.LBB30_226:
	s_or_b32 exec_lo, exec_lo, s4
	s_mov_b32 s4, exec_lo
	v_cmpx_lt_i32_e64 v10, v4
	s_cbranch_execz .LBB30_236
.LBB30_227:
	v_add_nc_u32_e32 v5, s8, v10
	v_mov_b32_e32 v6, 0
	v_add_nc_u32_e32 v10, 0x100, v10
	v_lshlrev_b64 v[5:6], 1, v[5:6]
	v_add_co_u32 v5, vcc_lo, v0, v5
	v_add_co_ci_u32_e64 v6, null, v1, v6, vcc_lo
	flat_store_short v[5:6], v19
	s_or_b32 exec_lo, exec_lo, s4
	s_mov_b32 s4, exec_lo
	v_cmpx_lt_i32_e64 v10, v4
	s_cbranch_execnz .LBB30_237
.LBB30_228:
	s_or_b32 exec_lo, exec_lo, s4
	s_mov_b32 s4, exec_lo
	v_cmpx_lt_i32_e64 v10, v4
	s_cbranch_execz .LBB30_238
.LBB30_229:
	v_add_nc_u32_e32 v5, s8, v10
	v_mov_b32_e32 v6, 0
	v_add_nc_u32_e32 v10, 0x100, v10
	v_lshlrev_b64 v[5:6], 1, v[5:6]
	v_add_co_u32 v5, vcc_lo, v0, v5
	v_add_co_ci_u32_e64 v6, null, v1, v6, vcc_lo
	flat_store_short v[5:6], v18
	s_or_b32 exec_lo, exec_lo, s4
	s_mov_b32 s4, exec_lo
	v_cmpx_lt_i32_e64 v10, v4
	s_cbranch_execnz .LBB30_239
.LBB30_230:
	s_or_b32 exec_lo, exec_lo, s4
	s_mov_b32 s4, exec_lo
	v_cmpx_lt_i32_e64 v10, v4
	s_cbranch_execz .LBB30_240
.LBB30_231:
	v_add_nc_u32_e32 v3, s8, v10
	v_mov_b32_e32 v4, 0
	v_lshlrev_b64 v[3:4], 1, v[3:4]
	v_add_co_u32 v0, vcc_lo, v0, v3
	v_add_co_ci_u32_e64 v1, null, v1, v4, vcc_lo
	flat_store_short v[0:1], v2
	s_or_b32 exec_lo, exec_lo, s4
	s_waitcnt lgkmcnt(0)
	s_setpc_b64 s[30:31]
.LBB30_232:
	s_or_b32 exec_lo, exec_lo, s9
	s_and_saveexec_b32 s5, s4
	s_xor_b32 s4, exec_lo, s5
	s_cbranch_execz .LBB30_224
.LBB30_233:
	v_mov_b32_e32 v6, 0
	v_mov_b32_e32 v10, v11
	v_lshlrev_b64 v[5:6], 1, v[5:6]
	v_add_co_u32 v5, vcc_lo, v0, v5
	v_add_co_ci_u32_e64 v6, null, v1, v6, vcc_lo
	flat_store_short v[5:6], v13
	s_or_b32 exec_lo, exec_lo, s4
	s_mov_b32 s4, exec_lo
	v_cmpx_lt_i32_e64 v10, v4
	s_cbranch_execnz .LBB30_225
.LBB30_234:
	s_or_b32 exec_lo, exec_lo, s4
	s_mov_b32 s4, exec_lo
	v_cmpx_lt_i32_e64 v10, v4
	s_cbranch_execz .LBB30_226
.LBB30_235:
	v_add_nc_u32_e32 v5, s8, v10
	v_mov_b32_e32 v6, 0
	v_add_nc_u32_e32 v10, 0x100, v10
	v_lshlrev_b64 v[5:6], 1, v[5:6]
	v_add_co_u32 v5, vcc_lo, v0, v5
	v_add_co_ci_u32_e64 v6, null, v1, v6, vcc_lo
	flat_store_short v[5:6], v17
	s_or_b32 exec_lo, exec_lo, s4
	s_mov_b32 s4, exec_lo
	v_cmpx_lt_i32_e64 v10, v4
	s_cbranch_execnz .LBB30_227
.LBB30_236:
	s_or_b32 exec_lo, exec_lo, s4
	s_mov_b32 s4, exec_lo
	v_cmpx_lt_i32_e64 v10, v4
	s_cbranch_execz .LBB30_228
.LBB30_237:
	v_add_nc_u32_e32 v5, s8, v10
	v_mov_b32_e32 v6, 0
	v_add_nc_u32_e32 v10, 0x100, v10
	v_lshlrev_b64 v[5:6], 1, v[5:6]
	v_add_co_u32 v5, vcc_lo, v0, v5
	v_add_co_ci_u32_e64 v6, null, v1, v6, vcc_lo
	flat_store_short v[5:6], v20
	s_or_b32 exec_lo, exec_lo, s4
	s_mov_b32 s4, exec_lo
	v_cmpx_lt_i32_e64 v10, v4
	s_cbranch_execnz .LBB30_229
.LBB30_238:
	s_or_b32 exec_lo, exec_lo, s4
	s_mov_b32 s4, exec_lo
	v_cmpx_lt_i32_e64 v10, v4
	s_cbranch_execz .LBB30_230
.LBB30_239:
	v_add_nc_u32_e32 v5, s8, v10
	v_mov_b32_e32 v6, 0
	v_add_nc_u32_e32 v10, 0x100, v10
	v_lshlrev_b64 v[5:6], 1, v[5:6]
	v_add_co_u32 v5, vcc_lo, v0, v5
	v_add_co_ci_u32_e64 v6, null, v1, v6, vcc_lo
	flat_store_short v[5:6], v16
	s_or_b32 exec_lo, exec_lo, s4
	s_mov_b32 s4, exec_lo
	v_cmpx_lt_i32_e64 v10, v4
	s_cbranch_execnz .LBB30_231
.LBB30_240:
	s_or_b32 exec_lo, exec_lo, s4
	s_waitcnt lgkmcnt(0)
	s_setpc_b64 s[30:31]
.Lfunc_end30:
	.size	_ZN2at6native25elementwise_kernel_helperILb0EZZZNS0_19digamma_kernel_cudaERNS_18TensorIteratorBaseEENKUlvE_clEvENKUlvE2_clEvEUlN3c108BFloat16EE_NS0_6memory8policies11unroll_baseILi256ESt5arrayIPcLm2EE23TrivialOffsetCalculatorILi1EjESG_NS9_15LoadWithoutCastENS9_16StoreWithoutCastELi8ELi1EEEEEvT0_T1_, .Lfunc_end30-_ZN2at6native25elementwise_kernel_helperILb0EZZZNS0_19digamma_kernel_cudaERNS_18TensorIteratorBaseEENKUlvE_clEvENKUlvE2_clEvEUlN3c108BFloat16EE_NS0_6memory8policies11unroll_baseILi256ESt5arrayIPcLm2EE23TrivialOffsetCalculatorILi1EjESG_NS9_15LoadWithoutCastENS9_16StoreWithoutCastELi8ELi1EEEEEvT0_T1_
                                        ; -- End function
	.set .L_ZN2at6native25elementwise_kernel_helperILb0EZZZNS0_19digamma_kernel_cudaERNS_18TensorIteratorBaseEENKUlvE_clEvENKUlvE2_clEvEUlN3c108BFloat16EE_NS0_6memory8policies11unroll_baseILi256ESt5arrayIPcLm2EE23TrivialOffsetCalculatorILi1EjESG_NS9_15LoadWithoutCastENS9_16StoreWithoutCastELi8ELi1EEEEEvT0_T1_.num_vgpr, 66
	.set .L_ZN2at6native25elementwise_kernel_helperILb0EZZZNS0_19digamma_kernel_cudaERNS_18TensorIteratorBaseEENKUlvE_clEvENKUlvE2_clEvEUlN3c108BFloat16EE_NS0_6memory8policies11unroll_baseILi256ESt5arrayIPcLm2EE23TrivialOffsetCalculatorILi1EjESG_NS9_15LoadWithoutCastENS9_16StoreWithoutCastELi8ELi1EEEEEvT0_T1_.num_agpr, 0
	.set .L_ZN2at6native25elementwise_kernel_helperILb0EZZZNS0_19digamma_kernel_cudaERNS_18TensorIteratorBaseEENKUlvE_clEvENKUlvE2_clEvEUlN3c108BFloat16EE_NS0_6memory8policies11unroll_baseILi256ESt5arrayIPcLm2EE23TrivialOffsetCalculatorILi1EjESG_NS9_15LoadWithoutCastENS9_16StoreWithoutCastELi8ELi1EEEEEvT0_T1_.numbered_sgpr, 32
	.set .L_ZN2at6native25elementwise_kernel_helperILb0EZZZNS0_19digamma_kernel_cudaERNS_18TensorIteratorBaseEENKUlvE_clEvENKUlvE2_clEvEUlN3c108BFloat16EE_NS0_6memory8policies11unroll_baseILi256ESt5arrayIPcLm2EE23TrivialOffsetCalculatorILi1EjESG_NS9_15LoadWithoutCastENS9_16StoreWithoutCastELi8ELi1EEEEEvT0_T1_.num_named_barrier, 0
	.set .L_ZN2at6native25elementwise_kernel_helperILb0EZZZNS0_19digamma_kernel_cudaERNS_18TensorIteratorBaseEENKUlvE_clEvENKUlvE2_clEvEUlN3c108BFloat16EE_NS0_6memory8policies11unroll_baseILi256ESt5arrayIPcLm2EE23TrivialOffsetCalculatorILi1EjESG_NS9_15LoadWithoutCastENS9_16StoreWithoutCastELi8ELi1EEEEEvT0_T1_.private_seg_size, 0
	.set .L_ZN2at6native25elementwise_kernel_helperILb0EZZZNS0_19digamma_kernel_cudaERNS_18TensorIteratorBaseEENKUlvE_clEvENKUlvE2_clEvEUlN3c108BFloat16EE_NS0_6memory8policies11unroll_baseILi256ESt5arrayIPcLm2EE23TrivialOffsetCalculatorILi1EjESG_NS9_15LoadWithoutCastENS9_16StoreWithoutCastELi8ELi1EEEEEvT0_T1_.uses_vcc, 1
	.set .L_ZN2at6native25elementwise_kernel_helperILb0EZZZNS0_19digamma_kernel_cudaERNS_18TensorIteratorBaseEENKUlvE_clEvENKUlvE2_clEvEUlN3c108BFloat16EE_NS0_6memory8policies11unroll_baseILi256ESt5arrayIPcLm2EE23TrivialOffsetCalculatorILi1EjESG_NS9_15LoadWithoutCastENS9_16StoreWithoutCastELi8ELi1EEEEEvT0_T1_.uses_flat_scratch, 0
	.set .L_ZN2at6native25elementwise_kernel_helperILb0EZZZNS0_19digamma_kernel_cudaERNS_18TensorIteratorBaseEENKUlvE_clEvENKUlvE2_clEvEUlN3c108BFloat16EE_NS0_6memory8policies11unroll_baseILi256ESt5arrayIPcLm2EE23TrivialOffsetCalculatorILi1EjESG_NS9_15LoadWithoutCastENS9_16StoreWithoutCastELi8ELi1EEEEEvT0_T1_.has_dyn_sized_stack, 0
	.set .L_ZN2at6native25elementwise_kernel_helperILb0EZZZNS0_19digamma_kernel_cudaERNS_18TensorIteratorBaseEENKUlvE_clEvENKUlvE2_clEvEUlN3c108BFloat16EE_NS0_6memory8policies11unroll_baseILi256ESt5arrayIPcLm2EE23TrivialOffsetCalculatorILi1EjESG_NS9_15LoadWithoutCastENS9_16StoreWithoutCastELi8ELi1EEEEEvT0_T1_.has_recursion, 0
	.set .L_ZN2at6native25elementwise_kernel_helperILb0EZZZNS0_19digamma_kernel_cudaERNS_18TensorIteratorBaseEENKUlvE_clEvENKUlvE2_clEvEUlN3c108BFloat16EE_NS0_6memory8policies11unroll_baseILi256ESt5arrayIPcLm2EE23TrivialOffsetCalculatorILi1EjESG_NS9_15LoadWithoutCastENS9_16StoreWithoutCastELi8ELi1EEEEEvT0_T1_.has_indirect_call, 0
	.section	.AMDGPU.csdata,"",@progbits
; Function info:
; codeLenInByte = 21236
; TotalNumSgprs: 34
; NumVgprs: 66
; ScratchSize: 0
; MemoryBound: 0
	.text
	.p2align	2                               ; -- Begin function _ZN2at6native25elementwise_kernel_helperILb0EZZZNS0_19digamma_kernel_cudaERNS_18TensorIteratorBaseEENKUlvE_clEvENKUlvE2_clEvEUlN3c108BFloat16EE_NS0_6memory8policies10vectorizedILi8ESt5arrayIPcLm2EELi8EEEEEvT0_T1_
	.type	_ZN2at6native25elementwise_kernel_helperILb0EZZZNS0_19digamma_kernel_cudaERNS_18TensorIteratorBaseEENKUlvE_clEvENKUlvE2_clEvEUlN3c108BFloat16EE_NS0_6memory8policies10vectorizedILi8ESt5arrayIPcLm2EELi8EEEEEvT0_T1_,@function
_ZN2at6native25elementwise_kernel_helperILb0EZZZNS0_19digamma_kernel_cudaERNS_18TensorIteratorBaseEENKUlvE_clEvENKUlvE2_clEvEUlN3c108BFloat16EE_NS0_6memory8policies10vectorizedILi8ESt5arrayIPcLm2EELi8EEEEEvT0_T1_: ; @_ZN2at6native25elementwise_kernel_helperILb0EZZZNS0_19digamma_kernel_cudaERNS_18TensorIteratorBaseEENKUlvE_clEvENKUlvE2_clEvEUlN3c108BFloat16EE_NS0_6memory8policies10vectorizedILi8ESt5arrayIPcLm2EELi8EEEEEvT0_T1_
; %bb.0:
	s_waitcnt vmcnt(0) expcnt(0) lgkmcnt(0)
	s_lshl_b32 s4, s12, 11
	v_and_b32_e32 v4, 0x3ff, v31
	s_ashr_i32 s5, s4, 31
	v_mov_b32_e32 v6, 0
	s_lshl_b64 s[6:7], s[4:5], 1
                                        ; implicit-def: $vgpr13
	s_mov_b32 s4, exec_lo
	v_lshlrev_b32_e32 v12, 4, v4
	v_add_co_u32 v2, vcc_lo, v2, s6
	v_add_co_ci_u32_e64 v3, null, s7, v3, vcc_lo
	v_add_co_u32 v2, vcc_lo, v2, v12
	v_add_co_ci_u32_e64 v3, null, 0, v3, vcc_lo
	flat_load_dwordx4 v[2:5], v[2:3]
	s_waitcnt vmcnt(0) lgkmcnt(0)
	v_lshlrev_b32_e32 v14, 16, v2
	v_cmpx_neq_f32_e32 0, v14
	s_xor_b32 s8, exec_lo, s4
	s_cbranch_execz .LBB31_22
; %bb.1:
	s_mov_b32 s4, -1
	s_mov_b32 s9, exec_lo
	v_cmpx_gt_f32_e32 0, v14
	s_cbranch_execz .LBB31_9
; %bb.2:
	v_trunc_f32_e32 v6, v14
	s_mov_b32 s5, 0
	v_cmp_neq_f32_e32 vcc_lo, v6, v14
	v_mov_b32_e32 v6, 0
	s_and_saveexec_b32 s10, vcc_lo
	s_cbranch_execz .LBB31_8
; %bb.3:
	v_cvt_f64_f32_e32 v[6:7], v14
	s_mov_b32 s5, 0xc00921fb
	s_mov_b32 s4, 0x54442d18
	s_mov_b32 s11, exec_lo
                                        ; implicit-def: $vgpr13
                                        ; implicit-def: $vgpr10_vgpr11
	v_trunc_f64_e32 v[8:9], v[6:7]
	v_cmp_neq_f64_e64 vcc_lo, 0x7ff00000, |v[6:7]|
	v_add_f64 v[8:9], v[6:7], -v[8:9]
	v_mul_f64 v[8:9], |v[8:9]|, s[4:5]
	v_cndmask_b32_e32 v7, 0x80000000, v9, vcc_lo
	v_cndmask_b32_e32 v6, 0, v8, vcc_lo
                                        ; implicit-def: $vgpr8_vgpr9
	v_cmpx_ngt_f64_e64 0x41d00000, |v[6:7]|
	s_xor_b32 s11, exec_lo, s11
	s_cbranch_execz .LBB31_5
; %bb.4:
	v_ldexp_f64 v[8:9], |v[6:7]|, 0xffffff80
	v_cmp_le_f64_e64 vcc_lo, 0x7b000000, |v[6:7]|
	v_trig_preop_f64 v[10:11], |v[6:7]|, 0
	v_and_b32_e32 v13, 0x7fffffff, v7
	v_trig_preop_f64 v[15:16], |v[6:7]|, 1
	v_trig_preop_f64 v[25:26], |v[6:7]|, 2
	v_mov_b32_e32 v33, 0
	s_mov_b32 s5, 0x3ff921fb
	s_mov_b32 s12, 0x33145c07
	;; [unrolled: 1-line block ×3, first 2 shown]
	v_cndmask_b32_e32 v9, v13, v9, vcc_lo
	v_cndmask_b32_e32 v8, v6, v8, vcc_lo
	v_mul_f64 v[17:18], v[10:11], v[8:9]
	v_mul_f64 v[19:20], v[15:16], v[8:9]
	;; [unrolled: 1-line block ×3, first 2 shown]
	v_fma_f64 v[10:11], v[10:11], v[8:9], -v[17:18]
	v_fma_f64 v[15:16], v[15:16], v[8:9], -v[19:20]
	;; [unrolled: 1-line block ×3, first 2 shown]
	v_add_f64 v[21:22], v[19:20], v[10:11]
	v_add_f64 v[23:24], v[21:22], -v[19:20]
	v_add_f64 v[29:30], v[17:18], v[21:22]
	v_add_f64 v[27:28], v[21:22], -v[23:24]
	v_add_f64 v[10:11], v[10:11], -v[23:24]
	v_ldexp_f64 v[23:24], v[29:30], -2
	v_add_f64 v[17:18], v[29:30], -v[17:18]
	v_add_f64 v[19:20], v[19:20], -v[27:28]
	v_add_f64 v[27:28], v[31:32], v[15:16]
	v_cmp_neq_f64_e64 vcc_lo, 0x7ff00000, |v[23:24]|
	v_add_f64 v[17:18], v[21:22], -v[17:18]
	v_add_f64 v[10:11], v[10:11], v[19:20]
	v_fract_f64_e32 v[19:20], v[23:24]
	v_add_f64 v[21:22], v[27:28], v[10:11]
	v_ldexp_f64 v[19:20], v[19:20], 2
	v_add_f64 v[23:24], v[17:18], v[21:22]
	v_cndmask_b32_e32 v20, 0, v20, vcc_lo
	v_cndmask_b32_e32 v19, 0, v19, vcc_lo
	v_add_f64 v[29:30], v[23:24], v[19:20]
	v_add_f64 v[17:18], v[23:24], -v[17:18]
	v_cmp_gt_f64_e32 vcc_lo, 0, v[29:30]
	v_add_f64 v[29:30], v[27:28], -v[31:32]
	v_add_f64 v[17:18], v[21:22], -v[17:18]
	v_cndmask_b32_e64 v34, 0, 0x40100000, vcc_lo
	v_add_f64 v[38:39], v[27:28], -v[29:30]
	v_add_f64 v[15:16], v[15:16], -v[29:30]
	v_add_f64 v[19:20], v[19:20], v[33:34]
	v_add_f64 v[34:35], v[21:22], -v[27:28]
	v_add_f64 v[29:30], v[31:32], -v[38:39]
	v_add_f64 v[36:37], v[23:24], v[19:20]
	;; [unrolled: 3-line block ×3, first 2 shown]
	v_cvt_i32_f64_e32 v13, v[36:37]
	v_add_f64 v[27:28], v[27:28], -v[48:49]
	v_cvt_f64_i32_e32 v[34:35], v13
	v_add_f64 v[10:11], v[10:11], v[27:28]
	v_add_f64 v[19:20], v[19:20], -v[34:35]
	v_add_f64 v[10:11], v[15:16], v[10:11]
	v_add_f64 v[15:16], v[23:24], v[19:20]
	;; [unrolled: 1-line block ×3, first 2 shown]
	v_add_f64 v[10:11], v[15:16], -v[19:20]
	v_cmp_le_f64_e32 vcc_lo, 0.5, v[15:16]
	v_add_f64 v[8:9], v[17:18], v[8:9]
	v_add_f64 v[10:11], v[23:24], -v[10:11]
	v_cndmask_b32_e64 v34, 0, 0x3ff00000, vcc_lo
	v_add_co_ci_u32_e64 v13, null, 0, v13, vcc_lo
	v_add_f64 v[8:9], v[8:9], v[10:11]
	v_add_f64 v[10:11], v[15:16], -v[33:34]
	v_add_f64 v[15:16], v[10:11], v[8:9]
	v_mul_f64 v[17:18], v[15:16], s[4:5]
	v_add_f64 v[10:11], v[15:16], -v[10:11]
	v_fma_f64 v[19:20], v[15:16], s[4:5], -v[17:18]
	v_add_f64 v[8:9], v[8:9], -v[10:11]
	v_fma_f64 v[10:11], v[15:16], s[12:13], v[19:20]
	v_fma_f64 v[10:11], v[8:9], s[4:5], v[10:11]
	v_add_f64 v[8:9], v[17:18], v[10:11]
	v_add_f64 v[15:16], v[8:9], -v[17:18]
	v_add_f64 v[10:11], v[10:11], -v[15:16]
.LBB31_5:
	s_andn2_saveexec_b32 s4, s11
	s_cbranch_execz .LBB31_7
; %bb.6:
	s_mov_b32 s12, 0x6dc9c883
	s_mov_b32 s13, 0x3fe45f30
	;; [unrolled: 1-line block ×3, first 2 shown]
	v_mul_f64 v[8:9], |v[6:7]|, s[12:13]
	s_mov_b32 s12, 0x54442d18
	s_mov_b32 s13, 0xbff921fb
	;; [unrolled: 1-line block ×3, first 2 shown]
	v_rndne_f64_e32 v[15:16], v[8:9]
	v_fma_f64 v[8:9], v[15:16], s[12:13], |v[6:7]|
	v_mul_f64 v[10:11], v[15:16], s[14:15]
	s_mov_b32 s12, 0x252049c0
	s_mov_b32 s13, 0xb97b839a
	v_cvt_i32_f64_e32 v13, v[15:16]
	v_fma_f64 v[19:20], v[15:16], s[14:15], v[8:9]
	v_add_f64 v[17:18], v[8:9], v[10:11]
	s_mov_b32 s15, 0x3c91a626
	v_add_f64 v[8:9], v[8:9], -v[17:18]
	v_add_f64 v[17:18], v[17:18], -v[19:20]
	v_add_f64 v[8:9], v[8:9], v[10:11]
	v_fma_f64 v[10:11], v[15:16], s[14:15], v[10:11]
	v_add_f64 v[8:9], v[17:18], v[8:9]
	v_add_f64 v[8:9], v[8:9], -v[10:11]
	v_fma_f64 v[10:11], v[15:16], s[12:13], v[8:9]
	v_add_f64 v[8:9], v[19:20], v[10:11]
	v_add_f64 v[17:18], v[8:9], -v[19:20]
	v_add_f64 v[10:11], v[10:11], -v[17:18]
.LBB31_7:
	s_or_b32 exec_lo, exec_lo, s4
	v_mul_f64 v[15:16], v[8:9], v[8:9]
	v_add_f64 v[17:18], v[10:11], v[10:11]
	s_mov_b32 s12, 0xa9a29f71
	s_mov_b32 s14, 0xc751c08c
	;; [unrolled: 1-line block ×4, first 2 shown]
	v_cmp_class_f64_e64 s4, v[6:7], 0x1f8
	v_and_b32_e32 v13, 1, v13
	v_and_b32_e32 v7, 0x80000000, v7
	v_sub_f32_e32 v14, 1.0, v14
	s_mov_b32 s5, exec_lo
	v_cmp_eq_u32_e32 vcc_lo, 0, v13
	v_fma_f64 v[19:20], v[8:9], v[8:9], -v[15:16]
	v_fma_f64 v[17:18], v[8:9], v[17:18], v[19:20]
	v_add_f64 v[15:16], v[15:16], v[17:18]
	v_fma_f64 v[17:18], v[15:16], s[14:15], s[12:13]
	s_mov_b32 s12, 0x90a8aae0
	s_mov_b32 s13, 0x3f17746f
	v_fma_f64 v[17:18], v[15:16], v[17:18], s[12:13]
	s_mov_b32 s12, 0xa6fbf144
	s_mov_b32 s13, 0xbefbb44d
	;; [unrolled: 3-line block ×13, first 2 shown]
	v_mul_f64 v[15:16], v[15:16], v[17:18]
	v_mul_f64 v[17:18], v[8:9], v[15:16]
	v_add_f64 v[19:20], v[8:9], v[17:18]
	v_fma_f64 v[15:16], v[8:9], v[15:16], -v[17:18]
	v_add_f64 v[8:9], v[19:20], -v[8:9]
	v_add_f64 v[10:11], v[10:11], v[15:16]
	v_add_f64 v[8:9], v[17:18], -v[8:9]
	v_add_f64 v[8:9], v[10:11], v[8:9]
	v_add_f64 v[10:11], v[19:20], v[8:9]
	v_rcp_f64_e32 v[15:16], v[10:11]
	v_fma_f64 v[17:18], -v[10:11], v[15:16], 1.0
	v_fma_f64 v[15:16], v[17:18], v[15:16], v[15:16]
	v_fma_f64 v[17:18], -v[10:11], v[15:16], 1.0
	v_fma_f64 v[15:16], v[17:18], v[15:16], v[15:16]
	v_add_f64 v[17:18], v[10:11], -v[19:20]
	v_mul_f64 v[19:20], v[10:11], v[15:16]
	v_add_f64 v[8:9], v[8:9], -v[17:18]
	v_fma_f64 v[17:18], v[15:16], v[10:11], -v[19:20]
	v_fma_f64 v[8:9], v[15:16], v[8:9], v[17:18]
	v_add_f64 v[17:18], v[19:20], v[8:9]
	v_add_f64 v[21:22], -v[17:18], 1.0
	v_add_f64 v[19:20], v[17:18], -v[19:20]
	v_add_f64 v[23:24], -v[21:22], 1.0
	v_add_f64 v[8:9], v[19:20], -v[8:9]
	v_add_f64 v[17:18], v[23:24], -v[17:18]
	v_add_f64 v[8:9], v[8:9], v[17:18]
	v_add_f64 v[8:9], v[21:22], v[8:9]
	v_mul_f64 v[8:9], v[15:16], v[8:9]
	v_add_f64 v[8:9], v[15:16], v[8:9]
	v_xor_b32_e32 v6, 0x80000000, v9
	v_cndmask_b32_e32 v8, v8, v10, vcc_lo
	v_cndmask_b32_e32 v6, v6, v11, vcc_lo
	v_xor_b32_e32 v7, v6, v7
	v_cndmask_b32_e64 v6, 0, v8, s4
	v_cndmask_b32_e64 v7, 0x7ff80000, v7, s4
	v_div_scale_f64 v[8:9], null, v[6:7], v[6:7], s[12:13]
	v_rcp_f64_e32 v[10:11], v[8:9]
	v_fma_f64 v[15:16], -v[8:9], v[10:11], 1.0
	v_fma_f64 v[10:11], v[10:11], v[15:16], v[10:11]
	v_fma_f64 v[15:16], -v[8:9], v[10:11], 1.0
	v_fma_f64 v[10:11], v[10:11], v[15:16], v[10:11]
	v_div_scale_f64 v[15:16], vcc_lo, s[12:13], v[6:7], s[12:13]
	v_mul_f64 v[17:18], v[15:16], v[10:11]
	v_fma_f64 v[8:9], -v[8:9], v[17:18], v[15:16]
	v_div_fmas_f64 v[8:9], v[8:9], v[10:11], v[17:18]
	v_div_fixup_f64 v[6:7], v[8:9], v[6:7], s[12:13]
	v_cvt_f32_f64_e32 v6, v[6:7]
.LBB31_8:
	s_or_b32 exec_lo, exec_lo, s10
	s_orn2_b32 s4, s5, exec_lo
.LBB31_9:
	s_or_b32 exec_lo, exec_lo, s9
	v_mov_b32_e32 v13, 0x7fc0
	s_and_saveexec_b32 s5, s4
	s_cbranch_execz .LBB31_21
; %bb.10:
	s_mov_b32 s4, exec_lo
	v_cmpx_gt_f32_e32 0x41200000, v14
	s_cbranch_execz .LBB31_14
; %bb.11:
	s_mov_b32 s9, 0
	.p2align	6
.LBB31_12:                              ; =>This Inner Loop Header: Depth=1
	v_div_scale_f32 v7, null, v14, v14, 1.0
	v_div_scale_f32 v10, vcc_lo, 1.0, v14, 1.0
	v_rcp_f32_e32 v8, v7
	v_fma_f32 v9, -v7, v8, 1.0
	v_fmac_f32_e32 v8, v9, v8
	v_mul_f32_e32 v9, v10, v8
	v_fma_f32 v11, -v7, v9, v10
	v_fmac_f32_e32 v9, v11, v8
	v_fma_f32 v7, -v7, v9, v10
	v_div_fmas_f32 v7, v7, v8, v9
	v_div_fixup_f32 v7, v7, v14, 1.0
	v_add_f32_e32 v14, 1.0, v14
	v_sub_f32_e32 v6, v6, v7
	v_cmp_ngt_f32_e32 vcc_lo, 0x41200000, v14
	s_or_b32 s9, vcc_lo, s9
	s_andn2_b32 exec_lo, exec_lo, s9
	s_cbranch_execnz .LBB31_12
; %bb.13:
	s_or_b32 exec_lo, exec_lo, s9
.LBB31_14:
	s_or_b32 exec_lo, exec_lo, s4
                                        ; implicit-def: $vgpr13
	s_mov_b32 s4, exec_lo
	v_cmpx_neq_f32_e32 0x41200000, v14
	s_xor_b32 s9, exec_lo, s4
	s_cbranch_execz .LBB31_18
; %bb.15:
	v_cvt_f64_f32_e32 v[7:8], v14
	s_mov_b32 s10, 0x85d8a000
	s_mov_b32 s11, 0x43763457
	v_cmp_gt_f64_e32 vcc_lo, s[10:11], v[7:8]
	v_mov_b32_e32 v7, 0
	s_and_saveexec_b32 s4, vcc_lo
	s_cbranch_execz .LBB31_17
; %bb.16:
	v_mul_f32_e32 v7, v14, v14
	v_div_scale_f32 v8, null, v7, v7, 1.0
	v_rcp_f32_e32 v9, v8
	v_fma_f32 v10, -v8, v9, 1.0
	v_fmac_f32_e32 v9, v10, v9
	v_div_scale_f32 v10, vcc_lo, 1.0, v7, 1.0
	v_mul_f32_e32 v11, v10, v9
	v_fma_f32 v13, -v8, v11, v10
	v_fmac_f32_e32 v11, v13, v9
	v_fma_f32 v8, -v8, v11, v10
	v_div_fmas_f32 v8, v8, v9, v11
	v_div_fixup_f32 v7, v8, v7, 1.0
	v_fmaak_f32 v8, 0, v7, 0x3daaaaab
	v_fmaak_f32 v8, v7, v8, 0xbcaccacd
	;; [unrolled: 1-line block ×7, first 2 shown]
	v_mul_f32_e32 v7, v7, v8
.LBB31_17:
	s_or_b32 exec_lo, exec_lo, s4
	v_cmp_gt_f32_e32 vcc_lo, 0x800000, v14
	v_div_scale_f32 v8, null, v14, v14, -0.5
	v_div_scale_f32 v13, s4, -0.5, v14, -0.5
	v_cndmask_b32_e64 v9, 0, 32, vcc_lo
	v_rcp_f32_e32 v10, v8
	v_ldexp_f32 v9, v14, v9
	v_log_f32_e32 v9, v9
	v_fma_f32 v11, -v8, v10, 1.0
	v_fmac_f32_e32 v10, v11, v10
	v_mul_f32_e32 v11, 0x3f317217, v9
	v_mul_f32_e32 v15, v13, v10
	v_fma_f32 v11, 0x3f317217, v9, -v11
	v_fma_f32 v16, -v8, v15, v13
	v_fmamk_f32 v11, v9, 0x3377d1cf, v11
	v_fmac_f32_e32 v15, v16, v10
	v_cndmask_b32_e64 v16, 0, 0x41b17218, vcc_lo
	v_cmp_gt_f32_e64 vcc_lo, 0x7f800000, |v9|
	v_fmac_f32_e32 v11, 0x3f317217, v9
	v_fma_f32 v8, -v8, v15, v13
	v_cndmask_b32_e32 v9, v9, v11, vcc_lo
	s_mov_b32 vcc_lo, s4
	v_div_fmas_f32 v8, v8, v10, v15
	v_sub_f32_e32 v9, v9, v16
	v_div_fixup_f32 v8, v8, v14, -0.5
	v_add_f32_e32 v8, v9, v8
	v_sub_f32_e32 v7, v8, v7
	v_add_f32_e32 v6, v6, v7
	v_bfe_u32 v7, v6, 16, 1
	v_cmp_o_f32_e32 vcc_lo, v6, v6
	v_add3_u32 v6, v6, v7, 0x7fff
	v_mov_b32_e32 v7, 0x7fc0
	v_cndmask_b32_sdwa v13, v7, v6, vcc_lo dst_sel:DWORD dst_unused:UNUSED_PAD src0_sel:DWORD src1_sel:WORD_1
                                        ; implicit-def: $vgpr6
.LBB31_18:
	s_andn2_saveexec_b32 s4, s9
; %bb.19:
	v_add_f32_e32 v6, 0x40101cb7, v6
	v_bfe_u32 v7, v6, 16, 1
	v_cmp_o_f32_e32 vcc_lo, v6, v6
	v_add3_u32 v6, v6, v7, 0x7fff
	v_mov_b32_e32 v7, 0x7fc0
	v_cndmask_b32_sdwa v13, v7, v6, vcc_lo dst_sel:DWORD dst_unused:UNUSED_PAD src0_sel:DWORD src1_sel:WORD_1
; %bb.20:
	s_or_b32 exec_lo, exec_lo, s4
.LBB31_21:
	s_or_b32 exec_lo, exec_lo, s5
                                        ; implicit-def: $vgpr14
.LBB31_22:
	s_andn2_saveexec_b32 s4, s8
; %bb.23:
	v_xor_b32_e32 v6, 0x80000000, v14
	s_mov_b32 s5, 0x7f800000
	v_and_or_b32 v6, 0x80000000, v6, s5
	v_lshrrev_b32_e32 v13, 16, v6
; %bb.24:
	s_or_b32 exec_lo, exec_lo, s4
	v_and_b32_e32 v2, 0xffff0000, v2
                                        ; implicit-def: $vgpr14
	s_mov_b32 s4, exec_lo
	v_cmpx_neq_f32_e32 0, v2
	s_xor_b32 s8, exec_lo, s4
	s_cbranch_execz .LBB31_46
; %bb.25:
	v_mov_b32_e32 v6, 0
	s_mov_b32 s4, -1
	s_mov_b32 s9, exec_lo
	v_cmpx_gt_f32_e32 0, v2
	s_cbranch_execz .LBB31_33
; %bb.26:
	v_trunc_f32_e32 v6, v2
	s_mov_b32 s5, 0
	v_cmp_neq_f32_e32 vcc_lo, v6, v2
	v_mov_b32_e32 v6, 0
	s_and_saveexec_b32 s10, vcc_lo
	s_cbranch_execz .LBB31_32
; %bb.27:
	v_cvt_f64_f32_e32 v[6:7], v2
	s_mov_b32 s5, 0xc00921fb
	s_mov_b32 s4, 0x54442d18
	s_mov_b32 s11, exec_lo
                                        ; implicit-def: $vgpr14
                                        ; implicit-def: $vgpr10_vgpr11
	v_trunc_f64_e32 v[8:9], v[6:7]
	v_cmp_neq_f64_e64 vcc_lo, 0x7ff00000, |v[6:7]|
	v_add_f64 v[8:9], v[6:7], -v[8:9]
	v_mul_f64 v[8:9], |v[8:9]|, s[4:5]
	v_cndmask_b32_e32 v7, 0x80000000, v9, vcc_lo
	v_cndmask_b32_e32 v6, 0, v8, vcc_lo
                                        ; implicit-def: $vgpr8_vgpr9
	v_cmpx_ngt_f64_e64 0x41d00000, |v[6:7]|
	s_xor_b32 s11, exec_lo, s11
	s_cbranch_execz .LBB31_29
; %bb.28:
	v_ldexp_f64 v[8:9], |v[6:7]|, 0xffffff80
	v_cmp_le_f64_e64 vcc_lo, 0x7b000000, |v[6:7]|
	v_trig_preop_f64 v[10:11], |v[6:7]|, 0
	v_and_b32_e32 v14, 0x7fffffff, v7
	v_trig_preop_f64 v[24:25], |v[6:7]|, 2
	v_mov_b32_e32 v32, 0
	s_mov_b32 s5, 0x3ff921fb
	s_mov_b32 s12, 0x33145c07
	;; [unrolled: 1-line block ×3, first 2 shown]
	v_cndmask_b32_e32 v9, v14, v9, vcc_lo
	v_cndmask_b32_e32 v8, v6, v8, vcc_lo
	v_trig_preop_f64 v[14:15], |v[6:7]|, 1
	v_mul_f64 v[16:17], v[10:11], v[8:9]
	v_mul_f64 v[30:31], v[24:25], v[8:9]
	;; [unrolled: 1-line block ×3, first 2 shown]
	v_fma_f64 v[10:11], v[10:11], v[8:9], -v[16:17]
	v_fma_f64 v[14:15], v[14:15], v[8:9], -v[18:19]
	;; [unrolled: 1-line block ×3, first 2 shown]
	v_add_f64 v[20:21], v[18:19], v[10:11]
	v_add_f64 v[22:23], v[20:21], -v[18:19]
	v_add_f64 v[28:29], v[16:17], v[20:21]
	v_add_f64 v[26:27], v[20:21], -v[22:23]
	v_add_f64 v[10:11], v[10:11], -v[22:23]
	v_ldexp_f64 v[22:23], v[28:29], -2
	v_add_f64 v[16:17], v[28:29], -v[16:17]
	v_add_f64 v[18:19], v[18:19], -v[26:27]
	v_add_f64 v[26:27], v[30:31], v[14:15]
	v_cmp_neq_f64_e64 vcc_lo, 0x7ff00000, |v[22:23]|
	v_add_f64 v[16:17], v[20:21], -v[16:17]
	v_add_f64 v[10:11], v[10:11], v[18:19]
	v_fract_f64_e32 v[18:19], v[22:23]
	v_add_f64 v[20:21], v[26:27], v[10:11]
	v_ldexp_f64 v[18:19], v[18:19], 2
	v_add_f64 v[22:23], v[16:17], v[20:21]
	v_cndmask_b32_e32 v19, 0, v19, vcc_lo
	v_cndmask_b32_e32 v18, 0, v18, vcc_lo
	v_add_f64 v[28:29], v[22:23], v[18:19]
	v_add_f64 v[16:17], v[22:23], -v[16:17]
	v_cmp_gt_f64_e32 vcc_lo, 0, v[28:29]
	v_add_f64 v[28:29], v[26:27], -v[30:31]
	v_cndmask_b32_e64 v33, 0, 0x40100000, vcc_lo
	v_add_f64 v[37:38], v[26:27], -v[28:29]
	v_add_f64 v[14:15], v[14:15], -v[28:29]
	v_add_f64 v[18:19], v[18:19], v[32:33]
	v_add_f64 v[33:34], v[20:21], -v[26:27]
	v_add_f64 v[28:29], v[30:31], -v[37:38]
	v_add_f64 v[35:36], v[22:23], v[18:19]
	;; [unrolled: 3-line block ×3, first 2 shown]
	v_cvt_i32_f64_e32 v35, v[35:36]
	v_add_f64 v[26:27], v[26:27], -v[48:49]
	v_cvt_f64_i32_e32 v[33:34], v35
	v_add_f64 v[10:11], v[10:11], v[26:27]
	v_add_f64 v[18:19], v[18:19], -v[33:34]
	v_add_f64 v[10:11], v[14:15], v[10:11]
	v_add_f64 v[14:15], v[20:21], -v[16:17]
	v_add_f64 v[24:25], v[22:23], v[18:19]
	v_add_f64 v[8:9], v[8:9], v[10:11]
	v_add_f64 v[10:11], v[24:25], -v[18:19]
	v_cmp_le_f64_e32 vcc_lo, 0.5, v[24:25]
	v_add_f64 v[8:9], v[14:15], v[8:9]
	v_add_f64 v[10:11], v[22:23], -v[10:11]
	v_cndmask_b32_e64 v33, 0, 0x3ff00000, vcc_lo
	v_add_co_ci_u32_e64 v14, null, 0, v35, vcc_lo
	v_add_f64 v[8:9], v[8:9], v[10:11]
	v_add_f64 v[10:11], v[24:25], -v[32:33]
	v_add_f64 v[15:16], v[10:11], v[8:9]
	v_mul_f64 v[17:18], v[15:16], s[4:5]
	v_add_f64 v[10:11], v[15:16], -v[10:11]
	v_fma_f64 v[19:20], v[15:16], s[4:5], -v[17:18]
	v_add_f64 v[8:9], v[8:9], -v[10:11]
	v_fma_f64 v[10:11], v[15:16], s[12:13], v[19:20]
	v_fma_f64 v[10:11], v[8:9], s[4:5], v[10:11]
	v_add_f64 v[8:9], v[17:18], v[10:11]
	v_add_f64 v[15:16], v[8:9], -v[17:18]
	v_add_f64 v[10:11], v[10:11], -v[15:16]
.LBB31_29:
	s_andn2_saveexec_b32 s4, s11
	s_cbranch_execz .LBB31_31
; %bb.30:
	s_mov_b32 s12, 0x6dc9c883
	s_mov_b32 s13, 0x3fe45f30
	s_mov_b32 s15, 0xbc91a626
	v_mul_f64 v[8:9], |v[6:7]|, s[12:13]
	s_mov_b32 s12, 0x54442d18
	s_mov_b32 s13, 0xbff921fb
	s_mov_b32 s14, 0x33145c00
	v_rndne_f64_e32 v[14:15], v[8:9]
	v_fma_f64 v[8:9], v[14:15], s[12:13], |v[6:7]|
	v_mul_f64 v[10:11], v[14:15], s[14:15]
	s_mov_b32 s12, 0x252049c0
	s_mov_b32 s13, 0xb97b839a
	v_fma_f64 v[18:19], v[14:15], s[14:15], v[8:9]
	v_add_f64 v[16:17], v[8:9], v[10:11]
	s_mov_b32 s15, 0x3c91a626
	v_add_f64 v[8:9], v[8:9], -v[16:17]
	v_add_f64 v[16:17], v[16:17], -v[18:19]
	v_add_f64 v[8:9], v[8:9], v[10:11]
	v_fma_f64 v[10:11], v[14:15], s[14:15], v[10:11]
	v_add_f64 v[8:9], v[16:17], v[8:9]
	v_add_f64 v[8:9], v[8:9], -v[10:11]
	v_fma_f64 v[10:11], v[14:15], s[12:13], v[8:9]
	v_cvt_i32_f64_e32 v14, v[14:15]
	v_add_f64 v[8:9], v[18:19], v[10:11]
	v_add_f64 v[16:17], v[8:9], -v[18:19]
	v_add_f64 v[10:11], v[10:11], -v[16:17]
.LBB31_31:
	s_or_b32 exec_lo, exec_lo, s4
	v_mul_f64 v[15:16], v[8:9], v[8:9]
	v_add_f64 v[17:18], v[10:11], v[10:11]
	s_mov_b32 s12, 0xa9a29f71
	s_mov_b32 s14, 0xc751c08c
	;; [unrolled: 1-line block ×4, first 2 shown]
	v_cmp_class_f64_e64 s4, v[6:7], 0x1f8
	v_and_b32_e32 v14, 1, v14
	v_and_b32_e32 v7, 0x80000000, v7
	v_sub_f32_e32 v2, 1.0, v2
	s_mov_b32 s5, exec_lo
	v_cmp_eq_u32_e32 vcc_lo, 0, v14
	v_fma_f64 v[19:20], v[8:9], v[8:9], -v[15:16]
	v_fma_f64 v[17:18], v[8:9], v[17:18], v[19:20]
	v_add_f64 v[15:16], v[15:16], v[17:18]
	v_fma_f64 v[17:18], v[15:16], s[14:15], s[12:13]
	s_mov_b32 s12, 0x90a8aae0
	s_mov_b32 s13, 0x3f17746f
	v_fma_f64 v[17:18], v[15:16], v[17:18], s[12:13]
	s_mov_b32 s12, 0xa6fbf144
	s_mov_b32 s13, 0xbefbb44d
	;; [unrolled: 3-line block ×13, first 2 shown]
	v_mul_f64 v[15:16], v[15:16], v[17:18]
	v_mul_f64 v[17:18], v[8:9], v[15:16]
	v_add_f64 v[19:20], v[8:9], v[17:18]
	v_fma_f64 v[15:16], v[8:9], v[15:16], -v[17:18]
	v_add_f64 v[8:9], v[19:20], -v[8:9]
	v_add_f64 v[10:11], v[10:11], v[15:16]
	v_add_f64 v[8:9], v[17:18], -v[8:9]
	v_add_f64 v[8:9], v[10:11], v[8:9]
	v_add_f64 v[10:11], v[19:20], v[8:9]
	v_rcp_f64_e32 v[15:16], v[10:11]
	v_fma_f64 v[17:18], -v[10:11], v[15:16], 1.0
	v_fma_f64 v[15:16], v[17:18], v[15:16], v[15:16]
	v_fma_f64 v[17:18], -v[10:11], v[15:16], 1.0
	v_fma_f64 v[15:16], v[17:18], v[15:16], v[15:16]
	v_add_f64 v[17:18], v[10:11], -v[19:20]
	v_mul_f64 v[19:20], v[10:11], v[15:16]
	v_add_f64 v[8:9], v[8:9], -v[17:18]
	v_fma_f64 v[17:18], v[15:16], v[10:11], -v[19:20]
	v_fma_f64 v[8:9], v[15:16], v[8:9], v[17:18]
	v_add_f64 v[17:18], v[19:20], v[8:9]
	v_add_f64 v[21:22], -v[17:18], 1.0
	v_add_f64 v[19:20], v[17:18], -v[19:20]
	v_add_f64 v[23:24], -v[21:22], 1.0
	v_add_f64 v[8:9], v[19:20], -v[8:9]
	v_add_f64 v[17:18], v[23:24], -v[17:18]
	v_add_f64 v[8:9], v[8:9], v[17:18]
	v_add_f64 v[8:9], v[21:22], v[8:9]
	v_mul_f64 v[8:9], v[15:16], v[8:9]
	v_add_f64 v[8:9], v[15:16], v[8:9]
	v_xor_b32_e32 v6, 0x80000000, v9
	v_cndmask_b32_e32 v8, v8, v10, vcc_lo
	v_cndmask_b32_e32 v6, v6, v11, vcc_lo
	v_xor_b32_e32 v7, v6, v7
	v_cndmask_b32_e64 v6, 0, v8, s4
	v_cndmask_b32_e64 v7, 0x7ff80000, v7, s4
	v_div_scale_f64 v[8:9], null, v[6:7], v[6:7], s[12:13]
	v_rcp_f64_e32 v[10:11], v[8:9]
	v_fma_f64 v[14:15], -v[8:9], v[10:11], 1.0
	v_fma_f64 v[10:11], v[10:11], v[14:15], v[10:11]
	v_fma_f64 v[14:15], -v[8:9], v[10:11], 1.0
	v_fma_f64 v[10:11], v[10:11], v[14:15], v[10:11]
	v_div_scale_f64 v[14:15], vcc_lo, s[12:13], v[6:7], s[12:13]
	v_mul_f64 v[16:17], v[14:15], v[10:11]
	v_fma_f64 v[8:9], -v[8:9], v[16:17], v[14:15]
	v_div_fmas_f64 v[8:9], v[8:9], v[10:11], v[16:17]
	v_div_fixup_f64 v[6:7], v[8:9], v[6:7], s[12:13]
	v_cvt_f32_f64_e32 v6, v[6:7]
.LBB31_32:
	s_or_b32 exec_lo, exec_lo, s10
	s_orn2_b32 s4, s5, exec_lo
.LBB31_33:
	s_or_b32 exec_lo, exec_lo, s9
	v_mov_b32_e32 v14, 0x7fc0
	s_and_saveexec_b32 s5, s4
	s_cbranch_execz .LBB31_45
; %bb.34:
	s_mov_b32 s4, exec_lo
	v_cmpx_gt_f32_e32 0x41200000, v2
	s_cbranch_execz .LBB31_38
; %bb.35:
	s_mov_b32 s9, 0
	.p2align	6
.LBB31_36:                              ; =>This Inner Loop Header: Depth=1
	v_div_scale_f32 v7, null, v2, v2, 1.0
	v_div_scale_f32 v10, vcc_lo, 1.0, v2, 1.0
	v_rcp_f32_e32 v8, v7
	v_fma_f32 v9, -v7, v8, 1.0
	v_fmac_f32_e32 v8, v9, v8
	v_mul_f32_e32 v9, v10, v8
	v_fma_f32 v11, -v7, v9, v10
	v_fmac_f32_e32 v9, v11, v8
	v_fma_f32 v7, -v7, v9, v10
	v_div_fmas_f32 v7, v7, v8, v9
	v_div_fixup_f32 v7, v7, v2, 1.0
	v_add_f32_e32 v2, 1.0, v2
	v_sub_f32_e32 v6, v6, v7
	v_cmp_ngt_f32_e32 vcc_lo, 0x41200000, v2
	s_or_b32 s9, vcc_lo, s9
	s_andn2_b32 exec_lo, exec_lo, s9
	s_cbranch_execnz .LBB31_36
; %bb.37:
	s_or_b32 exec_lo, exec_lo, s9
.LBB31_38:
	s_or_b32 exec_lo, exec_lo, s4
                                        ; implicit-def: $vgpr14
	s_mov_b32 s4, exec_lo
	v_cmpx_neq_f32_e32 0x41200000, v2
	s_xor_b32 s9, exec_lo, s4
	s_cbranch_execz .LBB31_42
; %bb.39:
	v_cvt_f64_f32_e32 v[7:8], v2
	s_mov_b32 s10, 0x85d8a000
	s_mov_b32 s11, 0x43763457
	v_cmp_gt_f64_e32 vcc_lo, s[10:11], v[7:8]
	v_mov_b32_e32 v7, 0
	s_and_saveexec_b32 s4, vcc_lo
	s_cbranch_execz .LBB31_41
; %bb.40:
	v_mul_f32_e32 v7, v2, v2
	v_div_scale_f32 v8, null, v7, v7, 1.0
	v_rcp_f32_e32 v9, v8
	v_fma_f32 v10, -v8, v9, 1.0
	v_fmac_f32_e32 v9, v10, v9
	v_div_scale_f32 v10, vcc_lo, 1.0, v7, 1.0
	v_mul_f32_e32 v11, v10, v9
	v_fma_f32 v14, -v8, v11, v10
	v_fmac_f32_e32 v11, v14, v9
	v_fma_f32 v8, -v8, v11, v10
	v_div_fmas_f32 v8, v8, v9, v11
	v_div_fixup_f32 v7, v8, v7, 1.0
	v_fmaak_f32 v8, 0, v7, 0x3daaaaab
	v_fmaak_f32 v8, v7, v8, 0xbcaccacd
	;; [unrolled: 1-line block ×7, first 2 shown]
	v_mul_f32_e32 v7, v7, v8
.LBB31_41:
	s_or_b32 exec_lo, exec_lo, s4
	v_cmp_gt_f32_e32 vcc_lo, 0x800000, v2
	v_div_scale_f32 v8, null, v2, v2, -0.5
	v_div_scale_f32 v14, s4, -0.5, v2, -0.5
	v_cndmask_b32_e64 v9, 0, 32, vcc_lo
	v_rcp_f32_e32 v10, v8
	v_ldexp_f32 v9, v2, v9
	v_log_f32_e32 v9, v9
	v_fma_f32 v11, -v8, v10, 1.0
	v_fmac_f32_e32 v10, v11, v10
	v_mul_f32_e32 v11, 0x3f317217, v9
	v_mul_f32_e32 v15, v14, v10
	v_fma_f32 v11, 0x3f317217, v9, -v11
	v_fma_f32 v16, -v8, v15, v14
	v_fmamk_f32 v11, v9, 0x3377d1cf, v11
	v_fmac_f32_e32 v15, v16, v10
	v_cndmask_b32_e64 v16, 0, 0x41b17218, vcc_lo
	v_cmp_gt_f32_e64 vcc_lo, 0x7f800000, |v9|
	v_fmac_f32_e32 v11, 0x3f317217, v9
	v_fma_f32 v8, -v8, v15, v14
	v_cndmask_b32_e32 v9, v9, v11, vcc_lo
	s_mov_b32 vcc_lo, s4
	v_div_fmas_f32 v8, v8, v10, v15
	v_sub_f32_e32 v9, v9, v16
	v_div_fixup_f32 v2, v8, v2, -0.5
	v_add_f32_e32 v2, v9, v2
	v_sub_f32_e32 v2, v2, v7
	v_add_f32_e32 v2, v6, v2
	v_bfe_u32 v6, v2, 16, 1
	v_cmp_o_f32_e32 vcc_lo, v2, v2
	v_add3_u32 v2, v2, v6, 0x7fff
	v_mov_b32_e32 v6, 0x7fc0
	v_cndmask_b32_sdwa v14, v6, v2, vcc_lo dst_sel:DWORD dst_unused:UNUSED_PAD src0_sel:DWORD src1_sel:WORD_1
                                        ; implicit-def: $vgpr6
.LBB31_42:
	s_andn2_saveexec_b32 s4, s9
; %bb.43:
	v_add_f32_e32 v2, 0x40101cb7, v6
	v_bfe_u32 v6, v2, 16, 1
	v_cmp_o_f32_e32 vcc_lo, v2, v2
	v_add3_u32 v2, v2, v6, 0x7fff
	v_mov_b32_e32 v6, 0x7fc0
	v_cndmask_b32_sdwa v14, v6, v2, vcc_lo dst_sel:DWORD dst_unused:UNUSED_PAD src0_sel:DWORD src1_sel:WORD_1
; %bb.44:
	s_or_b32 exec_lo, exec_lo, s4
.LBB31_45:
	s_or_b32 exec_lo, exec_lo, s5
                                        ; implicit-def: $vgpr2
.LBB31_46:
	s_andn2_saveexec_b32 s4, s8
; %bb.47:
	v_xor_b32_e32 v2, 0x80000000, v2
	s_mov_b32 s5, 0x7f800000
	v_and_or_b32 v2, 0x80000000, v2, s5
	v_lshrrev_b32_e32 v14, 16, v2
; %bb.48:
	s_or_b32 exec_lo, exec_lo, s4
	v_lshlrev_b32_e32 v2, 16, v3
                                        ; implicit-def: $vgpr10
	s_mov_b32 s4, exec_lo
	v_cmpx_neq_f32_e32 0, v2
	s_xor_b32 s8, exec_lo, s4
	s_cbranch_execz .LBB31_70
; %bb.49:
	v_mov_b32_e32 v6, 0
	s_mov_b32 s4, -1
	s_mov_b32 s9, exec_lo
	v_cmpx_gt_f32_e32 0, v2
	s_cbranch_execz .LBB31_57
; %bb.50:
	v_trunc_f32_e32 v6, v2
	s_mov_b32 s5, 0
	v_cmp_neq_f32_e32 vcc_lo, v6, v2
	v_mov_b32_e32 v6, 0
	s_and_saveexec_b32 s10, vcc_lo
	s_cbranch_execz .LBB31_56
; %bb.51:
	v_cvt_f64_f32_e32 v[6:7], v2
	s_mov_b32 s5, 0xc00921fb
	s_mov_b32 s4, 0x54442d18
	s_mov_b32 s11, exec_lo
                                        ; implicit-def: $vgpr15
                                        ; implicit-def: $vgpr10_vgpr11
	v_trunc_f64_e32 v[8:9], v[6:7]
	v_cmp_neq_f64_e64 vcc_lo, 0x7ff00000, |v[6:7]|
	v_add_f64 v[8:9], v[6:7], -v[8:9]
	v_mul_f64 v[8:9], |v[8:9]|, s[4:5]
	v_cndmask_b32_e32 v7, 0x80000000, v9, vcc_lo
	v_cndmask_b32_e32 v6, 0, v8, vcc_lo
                                        ; implicit-def: $vgpr8_vgpr9
	v_cmpx_ngt_f64_e64 0x41d00000, |v[6:7]|
	s_xor_b32 s11, exec_lo, s11
	s_cbranch_execz .LBB31_53
; %bb.52:
	v_ldexp_f64 v[8:9], |v[6:7]|, 0xffffff80
	v_cmp_le_f64_e64 vcc_lo, 0x7b000000, |v[6:7]|
	v_trig_preop_f64 v[10:11], |v[6:7]|, 0
	v_and_b32_e32 v15, 0x7fffffff, v7
	v_trig_preop_f64 v[25:26], |v[6:7]|, 2
	v_mov_b32_e32 v33, 0
	s_mov_b32 s5, 0x3ff921fb
	s_mov_b32 s12, 0x33145c07
	;; [unrolled: 1-line block ×3, first 2 shown]
	v_cndmask_b32_e32 v9, v15, v9, vcc_lo
	v_cndmask_b32_e32 v8, v6, v8, vcc_lo
	v_trig_preop_f64 v[15:16], |v[6:7]|, 1
	v_mul_f64 v[17:18], v[10:11], v[8:9]
	v_mul_f64 v[31:32], v[25:26], v[8:9]
	;; [unrolled: 1-line block ×3, first 2 shown]
	v_fma_f64 v[10:11], v[10:11], v[8:9], -v[17:18]
	v_fma_f64 v[15:16], v[15:16], v[8:9], -v[19:20]
	;; [unrolled: 1-line block ×3, first 2 shown]
	v_add_f64 v[21:22], v[19:20], v[10:11]
	v_add_f64 v[23:24], v[21:22], -v[19:20]
	v_add_f64 v[29:30], v[17:18], v[21:22]
	v_add_f64 v[27:28], v[21:22], -v[23:24]
	v_add_f64 v[10:11], v[10:11], -v[23:24]
	v_ldexp_f64 v[23:24], v[29:30], -2
	v_add_f64 v[17:18], v[29:30], -v[17:18]
	v_add_f64 v[19:20], v[19:20], -v[27:28]
	v_add_f64 v[27:28], v[31:32], v[15:16]
	v_cmp_neq_f64_e64 vcc_lo, 0x7ff00000, |v[23:24]|
	v_add_f64 v[17:18], v[21:22], -v[17:18]
	v_add_f64 v[10:11], v[10:11], v[19:20]
	v_fract_f64_e32 v[19:20], v[23:24]
	v_add_f64 v[21:22], v[27:28], v[10:11]
	v_ldexp_f64 v[19:20], v[19:20], 2
	v_add_f64 v[23:24], v[17:18], v[21:22]
	v_cndmask_b32_e32 v20, 0, v20, vcc_lo
	v_cndmask_b32_e32 v19, 0, v19, vcc_lo
	v_add_f64 v[29:30], v[23:24], v[19:20]
	v_add_f64 v[17:18], v[23:24], -v[17:18]
	v_cmp_gt_f64_e32 vcc_lo, 0, v[29:30]
	v_add_f64 v[29:30], v[27:28], -v[31:32]
	v_cndmask_b32_e64 v34, 0, 0x40100000, vcc_lo
	v_add_f64 v[38:39], v[27:28], -v[29:30]
	v_add_f64 v[15:16], v[15:16], -v[29:30]
	v_add_f64 v[19:20], v[19:20], v[33:34]
	v_add_f64 v[34:35], v[21:22], -v[27:28]
	v_add_f64 v[29:30], v[31:32], -v[38:39]
	v_add_f64 v[36:37], v[23:24], v[19:20]
	;; [unrolled: 3-line block ×3, first 2 shown]
	v_cvt_i32_f64_e32 v36, v[36:37]
	v_add_f64 v[27:28], v[27:28], -v[48:49]
	v_cvt_f64_i32_e32 v[34:35], v36
	v_add_f64 v[10:11], v[10:11], v[27:28]
	v_add_f64 v[19:20], v[19:20], -v[34:35]
	v_add_f64 v[10:11], v[15:16], v[10:11]
	v_add_f64 v[15:16], v[21:22], -v[17:18]
	v_add_f64 v[25:26], v[23:24], v[19:20]
	v_add_f64 v[8:9], v[8:9], v[10:11]
	v_add_f64 v[10:11], v[25:26], -v[19:20]
	v_cmp_le_f64_e32 vcc_lo, 0.5, v[25:26]
	v_add_f64 v[8:9], v[15:16], v[8:9]
	v_add_f64 v[10:11], v[23:24], -v[10:11]
	v_cndmask_b32_e64 v34, 0, 0x3ff00000, vcc_lo
	v_add_co_ci_u32_e64 v15, null, 0, v36, vcc_lo
	v_add_f64 v[8:9], v[8:9], v[10:11]
	v_add_f64 v[10:11], v[25:26], -v[33:34]
	v_add_f64 v[16:17], v[10:11], v[8:9]
	v_mul_f64 v[18:19], v[16:17], s[4:5]
	v_add_f64 v[10:11], v[16:17], -v[10:11]
	v_fma_f64 v[20:21], v[16:17], s[4:5], -v[18:19]
	v_add_f64 v[8:9], v[8:9], -v[10:11]
	v_fma_f64 v[10:11], v[16:17], s[12:13], v[20:21]
	v_fma_f64 v[10:11], v[8:9], s[4:5], v[10:11]
	v_add_f64 v[8:9], v[18:19], v[10:11]
	v_add_f64 v[16:17], v[8:9], -v[18:19]
	v_add_f64 v[10:11], v[10:11], -v[16:17]
.LBB31_53:
	s_andn2_saveexec_b32 s4, s11
	s_cbranch_execz .LBB31_55
; %bb.54:
	s_mov_b32 s12, 0x6dc9c883
	s_mov_b32 s13, 0x3fe45f30
	;; [unrolled: 1-line block ×3, first 2 shown]
	v_mul_f64 v[8:9], |v[6:7]|, s[12:13]
	s_mov_b32 s12, 0x54442d18
	s_mov_b32 s13, 0xbff921fb
	;; [unrolled: 1-line block ×3, first 2 shown]
	v_rndne_f64_e32 v[15:16], v[8:9]
	v_fma_f64 v[8:9], v[15:16], s[12:13], |v[6:7]|
	v_mul_f64 v[10:11], v[15:16], s[14:15]
	s_mov_b32 s12, 0x252049c0
	s_mov_b32 s13, 0xb97b839a
	v_fma_f64 v[19:20], v[15:16], s[14:15], v[8:9]
	v_add_f64 v[17:18], v[8:9], v[10:11]
	s_mov_b32 s15, 0x3c91a626
	v_add_f64 v[8:9], v[8:9], -v[17:18]
	v_add_f64 v[17:18], v[17:18], -v[19:20]
	v_add_f64 v[8:9], v[8:9], v[10:11]
	v_fma_f64 v[10:11], v[15:16], s[14:15], v[10:11]
	v_add_f64 v[8:9], v[17:18], v[8:9]
	v_add_f64 v[8:9], v[8:9], -v[10:11]
	v_fma_f64 v[10:11], v[15:16], s[12:13], v[8:9]
	v_cvt_i32_f64_e32 v15, v[15:16]
	v_add_f64 v[8:9], v[19:20], v[10:11]
	v_add_f64 v[17:18], v[8:9], -v[19:20]
	v_add_f64 v[10:11], v[10:11], -v[17:18]
.LBB31_55:
	s_or_b32 exec_lo, exec_lo, s4
	v_mul_f64 v[16:17], v[8:9], v[8:9]
	v_add_f64 v[18:19], v[10:11], v[10:11]
	s_mov_b32 s12, 0xa9a29f71
	s_mov_b32 s14, 0xc751c08c
	;; [unrolled: 1-line block ×4, first 2 shown]
	v_cmp_class_f64_e64 s4, v[6:7], 0x1f8
	v_and_b32_e32 v15, 1, v15
	v_and_b32_e32 v7, 0x80000000, v7
	v_sub_f32_e32 v2, 1.0, v2
	s_mov_b32 s5, exec_lo
	v_cmp_eq_u32_e32 vcc_lo, 0, v15
	v_fma_f64 v[20:21], v[8:9], v[8:9], -v[16:17]
	v_fma_f64 v[18:19], v[8:9], v[18:19], v[20:21]
	v_add_f64 v[16:17], v[16:17], v[18:19]
	v_fma_f64 v[18:19], v[16:17], s[14:15], s[12:13]
	s_mov_b32 s12, 0x90a8aae0
	s_mov_b32 s13, 0x3f17746f
	v_fma_f64 v[18:19], v[16:17], v[18:19], s[12:13]
	s_mov_b32 s12, 0xa6fbf144
	s_mov_b32 s13, 0xbefbb44d
	;; [unrolled: 3-line block ×13, first 2 shown]
	v_mul_f64 v[16:17], v[16:17], v[18:19]
	v_mul_f64 v[18:19], v[8:9], v[16:17]
	v_add_f64 v[20:21], v[8:9], v[18:19]
	v_fma_f64 v[16:17], v[8:9], v[16:17], -v[18:19]
	v_add_f64 v[8:9], v[20:21], -v[8:9]
	v_add_f64 v[10:11], v[10:11], v[16:17]
	v_add_f64 v[8:9], v[18:19], -v[8:9]
	v_add_f64 v[8:9], v[10:11], v[8:9]
	v_add_f64 v[10:11], v[20:21], v[8:9]
	v_rcp_f64_e32 v[16:17], v[10:11]
	v_fma_f64 v[18:19], -v[10:11], v[16:17], 1.0
	v_fma_f64 v[16:17], v[18:19], v[16:17], v[16:17]
	v_fma_f64 v[18:19], -v[10:11], v[16:17], 1.0
	v_fma_f64 v[16:17], v[18:19], v[16:17], v[16:17]
	v_add_f64 v[18:19], v[10:11], -v[20:21]
	v_mul_f64 v[20:21], v[10:11], v[16:17]
	v_add_f64 v[8:9], v[8:9], -v[18:19]
	v_fma_f64 v[18:19], v[16:17], v[10:11], -v[20:21]
	v_fma_f64 v[8:9], v[16:17], v[8:9], v[18:19]
	v_add_f64 v[18:19], v[20:21], v[8:9]
	v_add_f64 v[22:23], -v[18:19], 1.0
	v_add_f64 v[20:21], v[18:19], -v[20:21]
	v_add_f64 v[24:25], -v[22:23], 1.0
	v_add_f64 v[8:9], v[20:21], -v[8:9]
	v_add_f64 v[18:19], v[24:25], -v[18:19]
	v_add_f64 v[8:9], v[8:9], v[18:19]
	v_add_f64 v[8:9], v[22:23], v[8:9]
	v_mul_f64 v[8:9], v[16:17], v[8:9]
	v_add_f64 v[8:9], v[16:17], v[8:9]
	v_xor_b32_e32 v6, 0x80000000, v9
	v_cndmask_b32_e32 v8, v8, v10, vcc_lo
	v_cndmask_b32_e32 v6, v6, v11, vcc_lo
	v_xor_b32_e32 v7, v6, v7
	v_cndmask_b32_e64 v6, 0, v8, s4
	v_cndmask_b32_e64 v7, 0x7ff80000, v7, s4
	v_div_scale_f64 v[8:9], null, v[6:7], v[6:7], s[12:13]
	v_rcp_f64_e32 v[10:11], v[8:9]
	v_fma_f64 v[15:16], -v[8:9], v[10:11], 1.0
	v_fma_f64 v[10:11], v[10:11], v[15:16], v[10:11]
	v_fma_f64 v[15:16], -v[8:9], v[10:11], 1.0
	v_fma_f64 v[10:11], v[10:11], v[15:16], v[10:11]
	v_div_scale_f64 v[15:16], vcc_lo, s[12:13], v[6:7], s[12:13]
	v_mul_f64 v[17:18], v[15:16], v[10:11]
	v_fma_f64 v[8:9], -v[8:9], v[17:18], v[15:16]
	v_div_fmas_f64 v[8:9], v[8:9], v[10:11], v[17:18]
	v_div_fixup_f64 v[6:7], v[8:9], v[6:7], s[12:13]
	v_cvt_f32_f64_e32 v6, v[6:7]
.LBB31_56:
	s_or_b32 exec_lo, exec_lo, s10
	s_orn2_b32 s4, s5, exec_lo
.LBB31_57:
	s_or_b32 exec_lo, exec_lo, s9
	v_mov_b32_e32 v10, 0x7fc0
	s_and_saveexec_b32 s5, s4
	s_cbranch_execz .LBB31_69
; %bb.58:
	s_mov_b32 s4, exec_lo
	v_cmpx_gt_f32_e32 0x41200000, v2
	s_cbranch_execz .LBB31_62
; %bb.59:
	s_mov_b32 s9, 0
	.p2align	6
.LBB31_60:                              ; =>This Inner Loop Header: Depth=1
	v_div_scale_f32 v7, null, v2, v2, 1.0
	v_div_scale_f32 v10, vcc_lo, 1.0, v2, 1.0
	v_rcp_f32_e32 v8, v7
	v_fma_f32 v9, -v7, v8, 1.0
	v_fmac_f32_e32 v8, v9, v8
	v_mul_f32_e32 v9, v10, v8
	v_fma_f32 v11, -v7, v9, v10
	v_fmac_f32_e32 v9, v11, v8
	v_fma_f32 v7, -v7, v9, v10
	v_div_fmas_f32 v7, v7, v8, v9
	v_div_fixup_f32 v7, v7, v2, 1.0
	v_add_f32_e32 v2, 1.0, v2
	v_sub_f32_e32 v6, v6, v7
	v_cmp_ngt_f32_e32 vcc_lo, 0x41200000, v2
	s_or_b32 s9, vcc_lo, s9
	s_andn2_b32 exec_lo, exec_lo, s9
	s_cbranch_execnz .LBB31_60
; %bb.61:
	s_or_b32 exec_lo, exec_lo, s9
.LBB31_62:
	s_or_b32 exec_lo, exec_lo, s4
                                        ; implicit-def: $vgpr10
	s_mov_b32 s4, exec_lo
	v_cmpx_neq_f32_e32 0x41200000, v2
	s_xor_b32 s9, exec_lo, s4
	s_cbranch_execz .LBB31_66
; %bb.63:
	v_cvt_f64_f32_e32 v[7:8], v2
	s_mov_b32 s10, 0x85d8a000
	s_mov_b32 s11, 0x43763457
	v_cmp_gt_f64_e32 vcc_lo, s[10:11], v[7:8]
	v_mov_b32_e32 v7, 0
	s_and_saveexec_b32 s4, vcc_lo
	s_cbranch_execz .LBB31_65
; %bb.64:
	v_mul_f32_e32 v7, v2, v2
	v_div_scale_f32 v8, null, v7, v7, 1.0
	v_rcp_f32_e32 v9, v8
	v_fma_f32 v10, -v8, v9, 1.0
	v_fmac_f32_e32 v9, v10, v9
	v_div_scale_f32 v10, vcc_lo, 1.0, v7, 1.0
	v_mul_f32_e32 v11, v10, v9
	v_fma_f32 v15, -v8, v11, v10
	v_fmac_f32_e32 v11, v15, v9
	v_fma_f32 v8, -v8, v11, v10
	v_div_fmas_f32 v8, v8, v9, v11
	v_div_fixup_f32 v7, v8, v7, 1.0
	v_fmaak_f32 v8, 0, v7, 0x3daaaaab
	v_fmaak_f32 v8, v7, v8, 0xbcaccacd
	v_fmaak_f32 v8, v7, v8, 0x3bf83e10
	v_fmaak_f32 v8, v7, v8, 0xbb888889
	v_fmaak_f32 v8, v7, v8, 0x3b820821
	v_fmaak_f32 v8, v7, v8, 0xbc088889
	v_fmaak_f32 v8, v7, v8, 0x3daaaaab
	v_mul_f32_e32 v7, v7, v8
.LBB31_65:
	s_or_b32 exec_lo, exec_lo, s4
	v_cmp_gt_f32_e32 vcc_lo, 0x800000, v2
	v_div_scale_f32 v8, null, v2, v2, -0.5
	v_div_scale_f32 v15, s4, -0.5, v2, -0.5
	v_cndmask_b32_e64 v9, 0, 32, vcc_lo
	v_rcp_f32_e32 v10, v8
	v_ldexp_f32 v9, v2, v9
	v_log_f32_e32 v9, v9
	v_fma_f32 v11, -v8, v10, 1.0
	v_fmac_f32_e32 v10, v11, v10
	v_mul_f32_e32 v11, 0x3f317217, v9
	v_mul_f32_e32 v16, v15, v10
	v_fma_f32 v11, 0x3f317217, v9, -v11
	v_fma_f32 v17, -v8, v16, v15
	v_fmamk_f32 v11, v9, 0x3377d1cf, v11
	v_fmac_f32_e32 v16, v17, v10
	v_cndmask_b32_e64 v17, 0, 0x41b17218, vcc_lo
	v_cmp_gt_f32_e64 vcc_lo, 0x7f800000, |v9|
	v_fmac_f32_e32 v11, 0x3f317217, v9
	v_fma_f32 v8, -v8, v16, v15
	v_cndmask_b32_e32 v9, v9, v11, vcc_lo
	s_mov_b32 vcc_lo, s4
	v_div_fmas_f32 v8, v8, v10, v16
	v_sub_f32_e32 v9, v9, v17
	v_div_fixup_f32 v2, v8, v2, -0.5
	v_add_f32_e32 v2, v9, v2
	v_sub_f32_e32 v2, v2, v7
	v_add_f32_e32 v2, v6, v2
	v_bfe_u32 v6, v2, 16, 1
	v_cmp_o_f32_e32 vcc_lo, v2, v2
	v_add3_u32 v2, v2, v6, 0x7fff
	v_mov_b32_e32 v6, 0x7fc0
	v_cndmask_b32_sdwa v10, v6, v2, vcc_lo dst_sel:DWORD dst_unused:UNUSED_PAD src0_sel:DWORD src1_sel:WORD_1
                                        ; implicit-def: $vgpr6
.LBB31_66:
	s_andn2_saveexec_b32 s4, s9
; %bb.67:
	v_add_f32_e32 v2, 0x40101cb7, v6
	v_bfe_u32 v6, v2, 16, 1
	v_cmp_o_f32_e32 vcc_lo, v2, v2
	v_add3_u32 v2, v2, v6, 0x7fff
	v_mov_b32_e32 v6, 0x7fc0
	v_cndmask_b32_sdwa v10, v6, v2, vcc_lo dst_sel:DWORD dst_unused:UNUSED_PAD src0_sel:DWORD src1_sel:WORD_1
; %bb.68:
	s_or_b32 exec_lo, exec_lo, s4
.LBB31_69:
	s_or_b32 exec_lo, exec_lo, s5
                                        ; implicit-def: $vgpr2
.LBB31_70:
	s_andn2_saveexec_b32 s4, s8
; %bb.71:
	v_xor_b32_e32 v2, 0x80000000, v2
	s_mov_b32 s5, 0x7f800000
	v_and_or_b32 v2, 0x80000000, v2, s5
	v_lshrrev_b32_e32 v10, 16, v2
; %bb.72:
	s_or_b32 exec_lo, exec_lo, s4
	v_and_b32_e32 v15, 0xffff0000, v3
                                        ; implicit-def: $vgpr11
	s_mov_b32 s4, exec_lo
	v_cmpx_neq_f32_e32 0, v15
	s_xor_b32 s8, exec_lo, s4
	s_cbranch_execz .LBB31_94
; %bb.73:
	v_mov_b32_e32 v2, 0
	s_mov_b32 s4, -1
	s_mov_b32 s9, exec_lo
	v_cmpx_gt_f32_e32 0, v15
	s_cbranch_execz .LBB31_81
; %bb.74:
	v_trunc_f32_e32 v2, v15
	s_mov_b32 s5, 0
	v_cmp_neq_f32_e32 vcc_lo, v2, v15
	v_mov_b32_e32 v2, 0
	s_and_saveexec_b32 s10, vcc_lo
	s_cbranch_execz .LBB31_80
; %bb.75:
	v_cvt_f64_f32_e32 v[2:3], v15
	s_mov_b32 s5, 0xc00921fb
	s_mov_b32 s4, 0x54442d18
	s_mov_b32 s11, exec_lo
                                        ; implicit-def: $vgpr11
                                        ; implicit-def: $vgpr8_vgpr9
	v_trunc_f64_e32 v[6:7], v[2:3]
	v_cmp_neq_f64_e64 vcc_lo, 0x7ff00000, |v[2:3]|
	v_add_f64 v[6:7], v[2:3], -v[6:7]
	v_mul_f64 v[6:7], |v[6:7]|, s[4:5]
	v_cndmask_b32_e32 v3, 0x80000000, v7, vcc_lo
	v_cndmask_b32_e32 v2, 0, v6, vcc_lo
                                        ; implicit-def: $vgpr6_vgpr7
	v_cmpx_ngt_f64_e64 0x41d00000, |v[2:3]|
	s_xor_b32 s11, exec_lo, s11
	s_cbranch_execz .LBB31_77
; %bb.76:
	v_ldexp_f64 v[6:7], |v[2:3]|, 0xffffff80
	v_cmp_le_f64_e64 vcc_lo, 0x7b000000, |v[2:3]|
	v_trig_preop_f64 v[8:9], |v[2:3]|, 0
	v_and_b32_e32 v11, 0x7fffffff, v3
	v_trig_preop_f64 v[16:17], |v[2:3]|, 1
	v_trig_preop_f64 v[26:27], |v[2:3]|, 2
	v_mov_b32_e32 v34, 0
	s_mov_b32 s5, 0x3ff921fb
	s_mov_b32 s12, 0x33145c07
	;; [unrolled: 1-line block ×3, first 2 shown]
	v_cndmask_b32_e32 v7, v11, v7, vcc_lo
	v_cndmask_b32_e32 v6, v2, v6, vcc_lo
	v_mul_f64 v[18:19], v[8:9], v[6:7]
	v_mul_f64 v[20:21], v[16:17], v[6:7]
	;; [unrolled: 1-line block ×3, first 2 shown]
	v_fma_f64 v[8:9], v[8:9], v[6:7], -v[18:19]
	v_fma_f64 v[16:17], v[16:17], v[6:7], -v[20:21]
	;; [unrolled: 1-line block ×3, first 2 shown]
	v_add_f64 v[22:23], v[20:21], v[8:9]
	v_add_f64 v[24:25], v[22:23], -v[20:21]
	v_add_f64 v[30:31], v[18:19], v[22:23]
	v_add_f64 v[28:29], v[22:23], -v[24:25]
	v_add_f64 v[8:9], v[8:9], -v[24:25]
	v_ldexp_f64 v[24:25], v[30:31], -2
	v_add_f64 v[18:19], v[30:31], -v[18:19]
	v_add_f64 v[20:21], v[20:21], -v[28:29]
	v_add_f64 v[28:29], v[32:33], v[16:17]
	v_cmp_neq_f64_e64 vcc_lo, 0x7ff00000, |v[24:25]|
	v_add_f64 v[18:19], v[22:23], -v[18:19]
	v_add_f64 v[8:9], v[8:9], v[20:21]
	v_fract_f64_e32 v[20:21], v[24:25]
	v_add_f64 v[22:23], v[28:29], v[8:9]
	v_ldexp_f64 v[20:21], v[20:21], 2
	v_add_f64 v[24:25], v[18:19], v[22:23]
	v_cndmask_b32_e32 v21, 0, v21, vcc_lo
	v_cndmask_b32_e32 v20, 0, v20, vcc_lo
	v_add_f64 v[30:31], v[24:25], v[20:21]
	v_add_f64 v[18:19], v[24:25], -v[18:19]
	v_cmp_gt_f64_e32 vcc_lo, 0, v[30:31]
	v_add_f64 v[30:31], v[28:29], -v[32:33]
	v_add_f64 v[18:19], v[22:23], -v[18:19]
	v_cndmask_b32_e64 v35, 0, 0x40100000, vcc_lo
	v_add_f64 v[48:49], v[28:29], -v[30:31]
	v_add_f64 v[16:17], v[16:17], -v[30:31]
	v_add_f64 v[20:21], v[20:21], v[34:35]
	v_add_f64 v[35:36], v[22:23], -v[28:29]
	v_add_f64 v[30:31], v[32:33], -v[48:49]
	v_add_f64 v[37:38], v[24:25], v[20:21]
	;; [unrolled: 3-line block ×3, first 2 shown]
	v_cvt_i32_f64_e32 v11, v[37:38]
	v_add_f64 v[28:29], v[28:29], -v[50:51]
	v_cvt_f64_i32_e32 v[35:36], v11
	v_add_f64 v[8:9], v[8:9], v[28:29]
	v_add_f64 v[20:21], v[20:21], -v[35:36]
	v_add_f64 v[8:9], v[16:17], v[8:9]
	v_add_f64 v[16:17], v[24:25], v[20:21]
	;; [unrolled: 1-line block ×3, first 2 shown]
	v_add_f64 v[8:9], v[16:17], -v[20:21]
	v_cmp_le_f64_e32 vcc_lo, 0.5, v[16:17]
	v_add_f64 v[6:7], v[18:19], v[6:7]
	v_add_f64 v[8:9], v[24:25], -v[8:9]
	v_cndmask_b32_e64 v35, 0, 0x3ff00000, vcc_lo
	v_add_co_ci_u32_e64 v11, null, 0, v11, vcc_lo
	v_add_f64 v[6:7], v[6:7], v[8:9]
	v_add_f64 v[8:9], v[16:17], -v[34:35]
	v_add_f64 v[16:17], v[8:9], v[6:7]
	v_mul_f64 v[18:19], v[16:17], s[4:5]
	v_add_f64 v[8:9], v[16:17], -v[8:9]
	v_fma_f64 v[20:21], v[16:17], s[4:5], -v[18:19]
	v_add_f64 v[6:7], v[6:7], -v[8:9]
	v_fma_f64 v[8:9], v[16:17], s[12:13], v[20:21]
	v_fma_f64 v[8:9], v[6:7], s[4:5], v[8:9]
	v_add_f64 v[6:7], v[18:19], v[8:9]
	v_add_f64 v[16:17], v[6:7], -v[18:19]
	v_add_f64 v[8:9], v[8:9], -v[16:17]
.LBB31_77:
	s_andn2_saveexec_b32 s4, s11
	s_cbranch_execz .LBB31_79
; %bb.78:
	s_mov_b32 s12, 0x6dc9c883
	s_mov_b32 s13, 0x3fe45f30
	;; [unrolled: 1-line block ×3, first 2 shown]
	v_mul_f64 v[6:7], |v[2:3]|, s[12:13]
	s_mov_b32 s12, 0x54442d18
	s_mov_b32 s13, 0xbff921fb
	;; [unrolled: 1-line block ×3, first 2 shown]
	v_rndne_f64_e32 v[16:17], v[6:7]
	v_fma_f64 v[6:7], v[16:17], s[12:13], |v[2:3]|
	v_mul_f64 v[8:9], v[16:17], s[14:15]
	s_mov_b32 s12, 0x252049c0
	s_mov_b32 s13, 0xb97b839a
	v_cvt_i32_f64_e32 v11, v[16:17]
	v_fma_f64 v[20:21], v[16:17], s[14:15], v[6:7]
	v_add_f64 v[18:19], v[6:7], v[8:9]
	s_mov_b32 s15, 0x3c91a626
	v_add_f64 v[6:7], v[6:7], -v[18:19]
	v_add_f64 v[18:19], v[18:19], -v[20:21]
	v_add_f64 v[6:7], v[6:7], v[8:9]
	v_fma_f64 v[8:9], v[16:17], s[14:15], v[8:9]
	v_add_f64 v[6:7], v[18:19], v[6:7]
	v_add_f64 v[6:7], v[6:7], -v[8:9]
	v_fma_f64 v[8:9], v[16:17], s[12:13], v[6:7]
	v_add_f64 v[6:7], v[20:21], v[8:9]
	v_add_f64 v[18:19], v[6:7], -v[20:21]
	v_add_f64 v[8:9], v[8:9], -v[18:19]
.LBB31_79:
	s_or_b32 exec_lo, exec_lo, s4
	v_mul_f64 v[16:17], v[6:7], v[6:7]
	v_add_f64 v[18:19], v[8:9], v[8:9]
	s_mov_b32 s12, 0xa9a29f71
	s_mov_b32 s14, 0xc751c08c
	;; [unrolled: 1-line block ×4, first 2 shown]
	v_cmp_class_f64_e64 s4, v[2:3], 0x1f8
	v_and_b32_e32 v11, 1, v11
	v_and_b32_e32 v3, 0x80000000, v3
	v_sub_f32_e32 v15, 1.0, v15
	s_mov_b32 s5, exec_lo
	v_cmp_eq_u32_e32 vcc_lo, 0, v11
	v_fma_f64 v[20:21], v[6:7], v[6:7], -v[16:17]
	v_fma_f64 v[18:19], v[6:7], v[18:19], v[20:21]
	v_add_f64 v[16:17], v[16:17], v[18:19]
	v_fma_f64 v[18:19], v[16:17], s[14:15], s[12:13]
	s_mov_b32 s12, 0x90a8aae0
	s_mov_b32 s13, 0x3f17746f
	v_fma_f64 v[18:19], v[16:17], v[18:19], s[12:13]
	s_mov_b32 s12, 0xa6fbf144
	s_mov_b32 s13, 0xbefbb44d
	;; [unrolled: 3-line block ×13, first 2 shown]
	v_mul_f64 v[16:17], v[16:17], v[18:19]
	v_mul_f64 v[18:19], v[6:7], v[16:17]
	v_add_f64 v[20:21], v[6:7], v[18:19]
	v_fma_f64 v[16:17], v[6:7], v[16:17], -v[18:19]
	v_add_f64 v[6:7], v[20:21], -v[6:7]
	v_add_f64 v[8:9], v[8:9], v[16:17]
	v_add_f64 v[6:7], v[18:19], -v[6:7]
	v_add_f64 v[6:7], v[8:9], v[6:7]
	v_add_f64 v[8:9], v[20:21], v[6:7]
	v_rcp_f64_e32 v[16:17], v[8:9]
	v_fma_f64 v[18:19], -v[8:9], v[16:17], 1.0
	v_fma_f64 v[16:17], v[18:19], v[16:17], v[16:17]
	v_fma_f64 v[18:19], -v[8:9], v[16:17], 1.0
	v_fma_f64 v[16:17], v[18:19], v[16:17], v[16:17]
	v_add_f64 v[18:19], v[8:9], -v[20:21]
	v_mul_f64 v[20:21], v[8:9], v[16:17]
	v_add_f64 v[6:7], v[6:7], -v[18:19]
	v_fma_f64 v[18:19], v[16:17], v[8:9], -v[20:21]
	v_fma_f64 v[6:7], v[16:17], v[6:7], v[18:19]
	v_add_f64 v[18:19], v[20:21], v[6:7]
	v_add_f64 v[22:23], -v[18:19], 1.0
	v_add_f64 v[20:21], v[18:19], -v[20:21]
	v_add_f64 v[24:25], -v[22:23], 1.0
	v_add_f64 v[6:7], v[20:21], -v[6:7]
	v_add_f64 v[18:19], v[24:25], -v[18:19]
	v_add_f64 v[6:7], v[6:7], v[18:19]
	v_add_f64 v[6:7], v[22:23], v[6:7]
	v_mul_f64 v[6:7], v[16:17], v[6:7]
	v_add_f64 v[6:7], v[16:17], v[6:7]
	v_xor_b32_e32 v2, 0x80000000, v7
	v_cndmask_b32_e32 v6, v6, v8, vcc_lo
	v_cndmask_b32_e32 v2, v2, v9, vcc_lo
	v_xor_b32_e32 v3, v2, v3
	v_cndmask_b32_e64 v2, 0, v6, s4
	v_cndmask_b32_e64 v3, 0x7ff80000, v3, s4
	v_div_scale_f64 v[6:7], null, v[2:3], v[2:3], s[12:13]
	v_rcp_f64_e32 v[8:9], v[6:7]
	v_fma_f64 v[16:17], -v[6:7], v[8:9], 1.0
	v_fma_f64 v[8:9], v[8:9], v[16:17], v[8:9]
	v_fma_f64 v[16:17], -v[6:7], v[8:9], 1.0
	v_fma_f64 v[8:9], v[8:9], v[16:17], v[8:9]
	v_div_scale_f64 v[16:17], vcc_lo, s[12:13], v[2:3], s[12:13]
	v_mul_f64 v[18:19], v[16:17], v[8:9]
	v_fma_f64 v[6:7], -v[6:7], v[18:19], v[16:17]
	v_div_fmas_f64 v[6:7], v[6:7], v[8:9], v[18:19]
	v_div_fixup_f64 v[2:3], v[6:7], v[2:3], s[12:13]
	v_cvt_f32_f64_e32 v2, v[2:3]
.LBB31_80:
	s_or_b32 exec_lo, exec_lo, s10
	s_orn2_b32 s4, s5, exec_lo
.LBB31_81:
	s_or_b32 exec_lo, exec_lo, s9
	v_mov_b32_e32 v11, 0x7fc0
	s_and_saveexec_b32 s5, s4
	s_cbranch_execz .LBB31_93
; %bb.82:
	s_mov_b32 s4, exec_lo
	v_cmpx_gt_f32_e32 0x41200000, v15
	s_cbranch_execz .LBB31_86
; %bb.83:
	s_mov_b32 s9, 0
	.p2align	6
.LBB31_84:                              ; =>This Inner Loop Header: Depth=1
	v_div_scale_f32 v3, null, v15, v15, 1.0
	v_div_scale_f32 v8, vcc_lo, 1.0, v15, 1.0
	v_rcp_f32_e32 v6, v3
	v_fma_f32 v7, -v3, v6, 1.0
	v_fmac_f32_e32 v6, v7, v6
	v_mul_f32_e32 v7, v8, v6
	v_fma_f32 v9, -v3, v7, v8
	v_fmac_f32_e32 v7, v9, v6
	v_fma_f32 v3, -v3, v7, v8
	v_div_fmas_f32 v3, v3, v6, v7
	v_div_fixup_f32 v3, v3, v15, 1.0
	v_add_f32_e32 v15, 1.0, v15
	v_sub_f32_e32 v2, v2, v3
	v_cmp_ngt_f32_e32 vcc_lo, 0x41200000, v15
	s_or_b32 s9, vcc_lo, s9
	s_andn2_b32 exec_lo, exec_lo, s9
	s_cbranch_execnz .LBB31_84
; %bb.85:
	s_or_b32 exec_lo, exec_lo, s9
.LBB31_86:
	s_or_b32 exec_lo, exec_lo, s4
                                        ; implicit-def: $vgpr11
	s_mov_b32 s4, exec_lo
	v_cmpx_neq_f32_e32 0x41200000, v15
	s_xor_b32 s9, exec_lo, s4
	s_cbranch_execz .LBB31_90
; %bb.87:
	v_cvt_f64_f32_e32 v[6:7], v15
	v_mov_b32_e32 v3, 0
	s_mov_b32 s10, 0x85d8a000
	s_mov_b32 s11, 0x43763457
	s_mov_b32 s4, exec_lo
	v_cmpx_gt_f64_e32 s[10:11], v[6:7]
	s_cbranch_execz .LBB31_89
; %bb.88:
	v_mul_f32_e32 v3, v15, v15
	v_div_scale_f32 v6, null, v3, v3, 1.0
	v_rcp_f32_e32 v7, v6
	v_fma_f32 v8, -v6, v7, 1.0
	v_fmac_f32_e32 v7, v8, v7
	v_div_scale_f32 v8, vcc_lo, 1.0, v3, 1.0
	v_mul_f32_e32 v9, v8, v7
	v_fma_f32 v11, -v6, v9, v8
	v_fmac_f32_e32 v9, v11, v7
	v_fma_f32 v6, -v6, v9, v8
	v_div_fmas_f32 v6, v6, v7, v9
	v_div_fixup_f32 v3, v6, v3, 1.0
	v_fmaak_f32 v6, 0, v3, 0x3daaaaab
	v_fmaak_f32 v6, v3, v6, 0xbcaccacd
	;; [unrolled: 1-line block ×7, first 2 shown]
	v_mul_f32_e32 v3, v3, v6
.LBB31_89:
	s_or_b32 exec_lo, exec_lo, s4
	v_cmp_gt_f32_e32 vcc_lo, 0x800000, v15
	v_div_scale_f32 v6, null, v15, v15, -0.5
	v_div_scale_f32 v11, s4, -0.5, v15, -0.5
	v_cndmask_b32_e64 v7, 0, 32, vcc_lo
	v_rcp_f32_e32 v8, v6
	v_ldexp_f32 v7, v15, v7
	v_log_f32_e32 v7, v7
	v_fma_f32 v9, -v6, v8, 1.0
	v_fmac_f32_e32 v8, v9, v8
	v_mul_f32_e32 v9, 0x3f317217, v7
	v_mul_f32_e32 v16, v11, v8
	v_fma_f32 v9, 0x3f317217, v7, -v9
	v_fma_f32 v17, -v6, v16, v11
	v_fmamk_f32 v9, v7, 0x3377d1cf, v9
	v_fmac_f32_e32 v16, v17, v8
	v_cndmask_b32_e64 v17, 0, 0x41b17218, vcc_lo
	v_cmp_gt_f32_e64 vcc_lo, 0x7f800000, |v7|
	v_fmac_f32_e32 v9, 0x3f317217, v7
	v_fma_f32 v6, -v6, v16, v11
	v_cndmask_b32_e32 v7, v7, v9, vcc_lo
	s_mov_b32 vcc_lo, s4
	v_div_fmas_f32 v6, v6, v8, v16
	v_sub_f32_e32 v7, v7, v17
	v_div_fixup_f32 v6, v6, v15, -0.5
	v_add_f32_e32 v6, v7, v6
	v_sub_f32_e32 v3, v6, v3
	v_add_f32_e32 v2, v2, v3
	v_bfe_u32 v3, v2, 16, 1
	v_cmp_o_f32_e32 vcc_lo, v2, v2
	v_add3_u32 v2, v2, v3, 0x7fff
	v_mov_b32_e32 v3, 0x7fc0
	v_cndmask_b32_sdwa v11, v3, v2, vcc_lo dst_sel:DWORD dst_unused:UNUSED_PAD src0_sel:DWORD src1_sel:WORD_1
                                        ; implicit-def: $vgpr2
.LBB31_90:
	s_andn2_saveexec_b32 s4, s9
; %bb.91:
	v_add_f32_e32 v2, 0x40101cb7, v2
	v_bfe_u32 v3, v2, 16, 1
	v_cmp_o_f32_e32 vcc_lo, v2, v2
	v_add3_u32 v2, v2, v3, 0x7fff
	v_mov_b32_e32 v3, 0x7fc0
	v_cndmask_b32_sdwa v11, v3, v2, vcc_lo dst_sel:DWORD dst_unused:UNUSED_PAD src0_sel:DWORD src1_sel:WORD_1
; %bb.92:
	s_or_b32 exec_lo, exec_lo, s4
.LBB31_93:
	s_or_b32 exec_lo, exec_lo, s5
                                        ; implicit-def: $vgpr15
.LBB31_94:
	s_andn2_saveexec_b32 s4, s8
; %bb.95:
	v_xor_b32_e32 v2, 0x80000000, v15
	s_mov_b32 s5, 0x7f800000
	v_and_or_b32 v2, 0x80000000, v2, s5
	v_lshrrev_b32_e32 v11, 16, v2
; %bb.96:
	s_or_b32 exec_lo, exec_lo, s4
	v_lshlrev_b32_e32 v16, 16, v4
                                        ; implicit-def: $vgpr15
	s_mov_b32 s4, exec_lo
	v_cmpx_neq_f32_e32 0, v16
	s_xor_b32 s8, exec_lo, s4
	s_cbranch_execz .LBB31_118
; %bb.97:
	v_mov_b32_e32 v2, 0
	s_mov_b32 s4, -1
	s_mov_b32 s9, exec_lo
	v_cmpx_gt_f32_e32 0, v16
	s_cbranch_execz .LBB31_105
; %bb.98:
	v_trunc_f32_e32 v2, v16
	s_mov_b32 s5, 0
	v_cmp_neq_f32_e32 vcc_lo, v2, v16
	v_mov_b32_e32 v2, 0
	s_and_saveexec_b32 s10, vcc_lo
	s_cbranch_execz .LBB31_104
; %bb.99:
	v_cvt_f64_f32_e32 v[2:3], v16
	s_mov_b32 s5, 0xc00921fb
	s_mov_b32 s4, 0x54442d18
	s_mov_b32 s11, exec_lo
                                        ; implicit-def: $vgpr15
                                        ; implicit-def: $vgpr8_vgpr9
	v_trunc_f64_e32 v[6:7], v[2:3]
	v_cmp_neq_f64_e64 vcc_lo, 0x7ff00000, |v[2:3]|
	v_add_f64 v[6:7], v[2:3], -v[6:7]
	v_mul_f64 v[6:7], |v[6:7]|, s[4:5]
	v_cndmask_b32_e32 v3, 0x80000000, v7, vcc_lo
	v_cndmask_b32_e32 v2, 0, v6, vcc_lo
                                        ; implicit-def: $vgpr6_vgpr7
	v_cmpx_ngt_f64_e64 0x41d00000, |v[2:3]|
	s_xor_b32 s11, exec_lo, s11
	s_cbranch_execz .LBB31_101
; %bb.100:
	v_ldexp_f64 v[6:7], |v[2:3]|, 0xffffff80
	v_cmp_le_f64_e64 vcc_lo, 0x7b000000, |v[2:3]|
	v_trig_preop_f64 v[8:9], |v[2:3]|, 0
	v_and_b32_e32 v15, 0x7fffffff, v3
	v_trig_preop_f64 v[17:18], |v[2:3]|, 1
	v_trig_preop_f64 v[27:28], |v[2:3]|, 2
	v_mov_b32_e32 v35, 0
	s_mov_b32 s5, 0x3ff921fb
	s_mov_b32 s12, 0x33145c07
	s_mov_b32 s13, 0x3c91a626
	v_cndmask_b32_e32 v7, v15, v7, vcc_lo
	v_cndmask_b32_e32 v6, v2, v6, vcc_lo
	v_mul_f64 v[19:20], v[8:9], v[6:7]
	v_mul_f64 v[21:22], v[17:18], v[6:7]
	;; [unrolled: 1-line block ×3, first 2 shown]
	v_fma_f64 v[8:9], v[8:9], v[6:7], -v[19:20]
	v_fma_f64 v[17:18], v[17:18], v[6:7], -v[21:22]
	;; [unrolled: 1-line block ×3, first 2 shown]
	v_add_f64 v[23:24], v[21:22], v[8:9]
	v_add_f64 v[25:26], v[23:24], -v[21:22]
	v_add_f64 v[31:32], v[19:20], v[23:24]
	v_add_f64 v[29:30], v[23:24], -v[25:26]
	v_add_f64 v[8:9], v[8:9], -v[25:26]
	v_ldexp_f64 v[25:26], v[31:32], -2
	v_add_f64 v[19:20], v[31:32], -v[19:20]
	v_add_f64 v[21:22], v[21:22], -v[29:30]
	v_add_f64 v[29:30], v[33:34], v[17:18]
	v_cmp_neq_f64_e64 vcc_lo, 0x7ff00000, |v[25:26]|
	v_add_f64 v[19:20], v[23:24], -v[19:20]
	v_add_f64 v[8:9], v[8:9], v[21:22]
	v_fract_f64_e32 v[21:22], v[25:26]
	v_add_f64 v[23:24], v[29:30], v[8:9]
	v_ldexp_f64 v[21:22], v[21:22], 2
	v_add_f64 v[25:26], v[19:20], v[23:24]
	v_cndmask_b32_e32 v22, 0, v22, vcc_lo
	v_cndmask_b32_e32 v21, 0, v21, vcc_lo
	v_add_f64 v[31:32], v[25:26], v[21:22]
	v_add_f64 v[19:20], v[25:26], -v[19:20]
	v_cmp_gt_f64_e32 vcc_lo, 0, v[31:32]
	v_add_f64 v[31:32], v[29:30], -v[33:34]
	v_add_f64 v[19:20], v[23:24], -v[19:20]
	v_cndmask_b32_e64 v36, 0, 0x40100000, vcc_lo
	v_add_f64 v[48:49], v[29:30], -v[31:32]
	v_add_f64 v[17:18], v[17:18], -v[31:32]
	v_add_f64 v[21:22], v[21:22], v[35:36]
	v_add_f64 v[36:37], v[23:24], -v[29:30]
	v_add_f64 v[31:32], v[33:34], -v[48:49]
	v_add_f64 v[38:39], v[25:26], v[21:22]
	;; [unrolled: 3-line block ×3, first 2 shown]
	v_cvt_i32_f64_e32 v15, v[38:39]
	v_add_f64 v[29:30], v[29:30], -v[50:51]
	v_cvt_f64_i32_e32 v[36:37], v15
	v_add_f64 v[8:9], v[8:9], v[29:30]
	v_add_f64 v[21:22], v[21:22], -v[36:37]
	v_add_f64 v[8:9], v[17:18], v[8:9]
	v_add_f64 v[17:18], v[25:26], v[21:22]
	;; [unrolled: 1-line block ×3, first 2 shown]
	v_add_f64 v[8:9], v[17:18], -v[21:22]
	v_cmp_le_f64_e32 vcc_lo, 0.5, v[17:18]
	v_add_f64 v[6:7], v[19:20], v[6:7]
	v_add_f64 v[8:9], v[25:26], -v[8:9]
	v_cndmask_b32_e64 v36, 0, 0x3ff00000, vcc_lo
	v_add_co_ci_u32_e64 v15, null, 0, v15, vcc_lo
	v_add_f64 v[6:7], v[6:7], v[8:9]
	v_add_f64 v[8:9], v[17:18], -v[35:36]
	v_add_f64 v[17:18], v[8:9], v[6:7]
	v_mul_f64 v[19:20], v[17:18], s[4:5]
	v_add_f64 v[8:9], v[17:18], -v[8:9]
	v_fma_f64 v[21:22], v[17:18], s[4:5], -v[19:20]
	v_add_f64 v[6:7], v[6:7], -v[8:9]
	v_fma_f64 v[8:9], v[17:18], s[12:13], v[21:22]
	v_fma_f64 v[8:9], v[6:7], s[4:5], v[8:9]
	v_add_f64 v[6:7], v[19:20], v[8:9]
	v_add_f64 v[17:18], v[6:7], -v[19:20]
	v_add_f64 v[8:9], v[8:9], -v[17:18]
.LBB31_101:
	s_andn2_saveexec_b32 s4, s11
	s_cbranch_execz .LBB31_103
; %bb.102:
	s_mov_b32 s12, 0x6dc9c883
	s_mov_b32 s13, 0x3fe45f30
	;; [unrolled: 1-line block ×3, first 2 shown]
	v_mul_f64 v[6:7], |v[2:3]|, s[12:13]
	s_mov_b32 s12, 0x54442d18
	s_mov_b32 s13, 0xbff921fb
	;; [unrolled: 1-line block ×3, first 2 shown]
	v_rndne_f64_e32 v[17:18], v[6:7]
	v_fma_f64 v[6:7], v[17:18], s[12:13], |v[2:3]|
	v_mul_f64 v[8:9], v[17:18], s[14:15]
	s_mov_b32 s12, 0x252049c0
	s_mov_b32 s13, 0xb97b839a
	v_cvt_i32_f64_e32 v15, v[17:18]
	v_fma_f64 v[21:22], v[17:18], s[14:15], v[6:7]
	v_add_f64 v[19:20], v[6:7], v[8:9]
	s_mov_b32 s15, 0x3c91a626
	v_add_f64 v[6:7], v[6:7], -v[19:20]
	v_add_f64 v[19:20], v[19:20], -v[21:22]
	v_add_f64 v[6:7], v[6:7], v[8:9]
	v_fma_f64 v[8:9], v[17:18], s[14:15], v[8:9]
	v_add_f64 v[6:7], v[19:20], v[6:7]
	v_add_f64 v[6:7], v[6:7], -v[8:9]
	v_fma_f64 v[8:9], v[17:18], s[12:13], v[6:7]
	v_add_f64 v[6:7], v[21:22], v[8:9]
	v_add_f64 v[19:20], v[6:7], -v[21:22]
	v_add_f64 v[8:9], v[8:9], -v[19:20]
.LBB31_103:
	s_or_b32 exec_lo, exec_lo, s4
	v_mul_f64 v[17:18], v[6:7], v[6:7]
	v_add_f64 v[19:20], v[8:9], v[8:9]
	s_mov_b32 s12, 0xa9a29f71
	s_mov_b32 s14, 0xc751c08c
	s_mov_b32 s13, 0xbf078809
	s_mov_b32 s15, 0x3ef5e089
	v_cmp_class_f64_e64 s4, v[2:3], 0x1f8
	v_and_b32_e32 v15, 1, v15
	v_and_b32_e32 v3, 0x80000000, v3
	v_sub_f32_e32 v16, 1.0, v16
	s_mov_b32 s5, exec_lo
	v_cmp_eq_u32_e32 vcc_lo, 0, v15
	v_fma_f64 v[21:22], v[6:7], v[6:7], -v[17:18]
	v_fma_f64 v[19:20], v[6:7], v[19:20], v[21:22]
	v_add_f64 v[17:18], v[17:18], v[19:20]
	v_fma_f64 v[19:20], v[17:18], s[14:15], s[12:13]
	s_mov_b32 s12, 0x90a8aae0
	s_mov_b32 s13, 0x3f17746f
	v_fma_f64 v[19:20], v[17:18], v[19:20], s[12:13]
	s_mov_b32 s12, 0xa6fbf144
	s_mov_b32 s13, 0xbefbb44d
	;; [unrolled: 3-line block ×13, first 2 shown]
	v_mul_f64 v[17:18], v[17:18], v[19:20]
	v_mul_f64 v[19:20], v[6:7], v[17:18]
	v_add_f64 v[21:22], v[6:7], v[19:20]
	v_fma_f64 v[17:18], v[6:7], v[17:18], -v[19:20]
	v_add_f64 v[6:7], v[21:22], -v[6:7]
	v_add_f64 v[8:9], v[8:9], v[17:18]
	v_add_f64 v[6:7], v[19:20], -v[6:7]
	v_add_f64 v[6:7], v[8:9], v[6:7]
	v_add_f64 v[8:9], v[21:22], v[6:7]
	v_rcp_f64_e32 v[17:18], v[8:9]
	v_fma_f64 v[19:20], -v[8:9], v[17:18], 1.0
	v_fma_f64 v[17:18], v[19:20], v[17:18], v[17:18]
	v_fma_f64 v[19:20], -v[8:9], v[17:18], 1.0
	v_fma_f64 v[17:18], v[19:20], v[17:18], v[17:18]
	v_add_f64 v[19:20], v[8:9], -v[21:22]
	v_mul_f64 v[21:22], v[8:9], v[17:18]
	v_add_f64 v[6:7], v[6:7], -v[19:20]
	v_fma_f64 v[19:20], v[17:18], v[8:9], -v[21:22]
	v_fma_f64 v[6:7], v[17:18], v[6:7], v[19:20]
	v_add_f64 v[19:20], v[21:22], v[6:7]
	v_add_f64 v[23:24], -v[19:20], 1.0
	v_add_f64 v[21:22], v[19:20], -v[21:22]
	v_add_f64 v[25:26], -v[23:24], 1.0
	v_add_f64 v[6:7], v[21:22], -v[6:7]
	v_add_f64 v[19:20], v[25:26], -v[19:20]
	v_add_f64 v[6:7], v[6:7], v[19:20]
	v_add_f64 v[6:7], v[23:24], v[6:7]
	v_mul_f64 v[6:7], v[17:18], v[6:7]
	v_add_f64 v[6:7], v[17:18], v[6:7]
	v_xor_b32_e32 v2, 0x80000000, v7
	v_cndmask_b32_e32 v6, v6, v8, vcc_lo
	v_cndmask_b32_e32 v2, v2, v9, vcc_lo
	v_xor_b32_e32 v3, v2, v3
	v_cndmask_b32_e64 v2, 0, v6, s4
	v_cndmask_b32_e64 v3, 0x7ff80000, v3, s4
	v_div_scale_f64 v[6:7], null, v[2:3], v[2:3], s[12:13]
	v_rcp_f64_e32 v[8:9], v[6:7]
	v_fma_f64 v[17:18], -v[6:7], v[8:9], 1.0
	v_fma_f64 v[8:9], v[8:9], v[17:18], v[8:9]
	v_fma_f64 v[17:18], -v[6:7], v[8:9], 1.0
	v_fma_f64 v[8:9], v[8:9], v[17:18], v[8:9]
	v_div_scale_f64 v[17:18], vcc_lo, s[12:13], v[2:3], s[12:13]
	v_mul_f64 v[19:20], v[17:18], v[8:9]
	v_fma_f64 v[6:7], -v[6:7], v[19:20], v[17:18]
	v_div_fmas_f64 v[6:7], v[6:7], v[8:9], v[19:20]
	v_div_fixup_f64 v[2:3], v[6:7], v[2:3], s[12:13]
	v_cvt_f32_f64_e32 v2, v[2:3]
.LBB31_104:
	s_or_b32 exec_lo, exec_lo, s10
	s_orn2_b32 s4, s5, exec_lo
.LBB31_105:
	s_or_b32 exec_lo, exec_lo, s9
	v_mov_b32_e32 v15, 0x7fc0
	s_and_saveexec_b32 s5, s4
	s_cbranch_execz .LBB31_117
; %bb.106:
	s_mov_b32 s4, exec_lo
	v_cmpx_gt_f32_e32 0x41200000, v16
	s_cbranch_execz .LBB31_110
; %bb.107:
	s_mov_b32 s9, 0
	.p2align	6
.LBB31_108:                             ; =>This Inner Loop Header: Depth=1
	v_div_scale_f32 v3, null, v16, v16, 1.0
	v_div_scale_f32 v8, vcc_lo, 1.0, v16, 1.0
	v_rcp_f32_e32 v6, v3
	v_fma_f32 v7, -v3, v6, 1.0
	v_fmac_f32_e32 v6, v7, v6
	v_mul_f32_e32 v7, v8, v6
	v_fma_f32 v9, -v3, v7, v8
	v_fmac_f32_e32 v7, v9, v6
	v_fma_f32 v3, -v3, v7, v8
	v_div_fmas_f32 v3, v3, v6, v7
	v_div_fixup_f32 v3, v3, v16, 1.0
	v_add_f32_e32 v16, 1.0, v16
	v_sub_f32_e32 v2, v2, v3
	v_cmp_ngt_f32_e32 vcc_lo, 0x41200000, v16
	s_or_b32 s9, vcc_lo, s9
	s_andn2_b32 exec_lo, exec_lo, s9
	s_cbranch_execnz .LBB31_108
; %bb.109:
	s_or_b32 exec_lo, exec_lo, s9
.LBB31_110:
	s_or_b32 exec_lo, exec_lo, s4
                                        ; implicit-def: $vgpr15
	s_mov_b32 s4, exec_lo
	v_cmpx_neq_f32_e32 0x41200000, v16
	s_xor_b32 s9, exec_lo, s4
	s_cbranch_execz .LBB31_114
; %bb.111:
	v_cvt_f64_f32_e32 v[6:7], v16
	v_mov_b32_e32 v3, 0
	s_mov_b32 s10, 0x85d8a000
	s_mov_b32 s11, 0x43763457
	s_mov_b32 s4, exec_lo
	v_cmpx_gt_f64_e32 s[10:11], v[6:7]
	s_cbranch_execz .LBB31_113
; %bb.112:
	v_mul_f32_e32 v3, v16, v16
	v_div_scale_f32 v6, null, v3, v3, 1.0
	v_rcp_f32_e32 v7, v6
	v_fma_f32 v8, -v6, v7, 1.0
	v_fmac_f32_e32 v7, v8, v7
	v_div_scale_f32 v8, vcc_lo, 1.0, v3, 1.0
	v_mul_f32_e32 v9, v8, v7
	v_fma_f32 v15, -v6, v9, v8
	v_fmac_f32_e32 v9, v15, v7
	v_fma_f32 v6, -v6, v9, v8
	v_div_fmas_f32 v6, v6, v7, v9
	v_div_fixup_f32 v3, v6, v3, 1.0
	v_fmaak_f32 v6, 0, v3, 0x3daaaaab
	v_fmaak_f32 v6, v3, v6, 0xbcaccacd
	;; [unrolled: 1-line block ×7, first 2 shown]
	v_mul_f32_e32 v3, v3, v6
.LBB31_113:
	s_or_b32 exec_lo, exec_lo, s4
	v_cmp_gt_f32_e32 vcc_lo, 0x800000, v16
	v_div_scale_f32 v6, null, v16, v16, -0.5
	v_div_scale_f32 v15, s4, -0.5, v16, -0.5
	v_cndmask_b32_e64 v7, 0, 32, vcc_lo
	v_rcp_f32_e32 v8, v6
	v_ldexp_f32 v7, v16, v7
	v_log_f32_e32 v7, v7
	v_fma_f32 v9, -v6, v8, 1.0
	v_fmac_f32_e32 v8, v9, v8
	v_mul_f32_e32 v9, 0x3f317217, v7
	v_mul_f32_e32 v17, v15, v8
	v_fma_f32 v9, 0x3f317217, v7, -v9
	v_fma_f32 v18, -v6, v17, v15
	v_fmamk_f32 v9, v7, 0x3377d1cf, v9
	v_fmac_f32_e32 v17, v18, v8
	v_cndmask_b32_e64 v18, 0, 0x41b17218, vcc_lo
	v_cmp_gt_f32_e64 vcc_lo, 0x7f800000, |v7|
	v_fmac_f32_e32 v9, 0x3f317217, v7
	v_fma_f32 v6, -v6, v17, v15
	v_cndmask_b32_e32 v7, v7, v9, vcc_lo
	s_mov_b32 vcc_lo, s4
	v_div_fmas_f32 v6, v6, v8, v17
	v_sub_f32_e32 v7, v7, v18
	v_div_fixup_f32 v6, v6, v16, -0.5
	v_add_f32_e32 v6, v7, v6
	v_sub_f32_e32 v3, v6, v3
	v_add_f32_e32 v2, v2, v3
	v_bfe_u32 v3, v2, 16, 1
	v_cmp_o_f32_e32 vcc_lo, v2, v2
	v_add3_u32 v2, v2, v3, 0x7fff
	v_mov_b32_e32 v3, 0x7fc0
	v_cndmask_b32_sdwa v15, v3, v2, vcc_lo dst_sel:DWORD dst_unused:UNUSED_PAD src0_sel:DWORD src1_sel:WORD_1
                                        ; implicit-def: $vgpr2
.LBB31_114:
	s_andn2_saveexec_b32 s4, s9
; %bb.115:
	v_add_f32_e32 v2, 0x40101cb7, v2
	v_bfe_u32 v3, v2, 16, 1
	v_cmp_o_f32_e32 vcc_lo, v2, v2
	v_add3_u32 v2, v2, v3, 0x7fff
	v_mov_b32_e32 v3, 0x7fc0
	v_cndmask_b32_sdwa v15, v3, v2, vcc_lo dst_sel:DWORD dst_unused:UNUSED_PAD src0_sel:DWORD src1_sel:WORD_1
; %bb.116:
	s_or_b32 exec_lo, exec_lo, s4
.LBB31_117:
	s_or_b32 exec_lo, exec_lo, s5
                                        ; implicit-def: $vgpr16
.LBB31_118:
	s_andn2_saveexec_b32 s4, s8
; %bb.119:
	v_xor_b32_e32 v2, 0x80000000, v16
	s_mov_b32 s5, 0x7f800000
	v_and_or_b32 v2, 0x80000000, v2, s5
	v_lshrrev_b32_e32 v15, 16, v2
; %bb.120:
	s_or_b32 exec_lo, exec_lo, s4
	v_and_b32_e32 v4, 0xffff0000, v4
                                        ; implicit-def: $vgpr16
	s_mov_b32 s4, exec_lo
	v_cmpx_neq_f32_e32 0, v4
	s_xor_b32 s8, exec_lo, s4
	s_cbranch_execz .LBB31_142
; %bb.121:
	v_mov_b32_e32 v2, 0
	s_mov_b32 s4, -1
	s_mov_b32 s9, exec_lo
	v_cmpx_gt_f32_e32 0, v4
	s_cbranch_execz .LBB31_129
; %bb.122:
	v_trunc_f32_e32 v2, v4
	s_mov_b32 s5, 0
	v_cmp_neq_f32_e32 vcc_lo, v2, v4
	v_mov_b32_e32 v2, 0
	s_and_saveexec_b32 s10, vcc_lo
	s_cbranch_execz .LBB31_128
; %bb.123:
	v_cvt_f64_f32_e32 v[2:3], v4
	s_mov_b32 s5, 0xc00921fb
	s_mov_b32 s4, 0x54442d18
	s_mov_b32 s11, exec_lo
                                        ; implicit-def: $vgpr16
                                        ; implicit-def: $vgpr8_vgpr9
	v_trunc_f64_e32 v[6:7], v[2:3]
	v_cmp_neq_f64_e64 vcc_lo, 0x7ff00000, |v[2:3]|
	v_add_f64 v[6:7], v[2:3], -v[6:7]
	v_mul_f64 v[6:7], |v[6:7]|, s[4:5]
	v_cndmask_b32_e32 v3, 0x80000000, v7, vcc_lo
	v_cndmask_b32_e32 v2, 0, v6, vcc_lo
                                        ; implicit-def: $vgpr6_vgpr7
	v_cmpx_ngt_f64_e64 0x41d00000, |v[2:3]|
	s_xor_b32 s11, exec_lo, s11
	s_cbranch_execz .LBB31_125
; %bb.124:
	v_ldexp_f64 v[6:7], |v[2:3]|, 0xffffff80
	v_cmp_le_f64_e64 vcc_lo, 0x7b000000, |v[2:3]|
	v_trig_preop_f64 v[8:9], |v[2:3]|, 0
	v_and_b32_e32 v16, 0x7fffffff, v3
	v_trig_preop_f64 v[26:27], |v[2:3]|, 2
	v_mov_b32_e32 v34, 0
	s_mov_b32 s5, 0x3ff921fb
	s_mov_b32 s12, 0x33145c07
	;; [unrolled: 1-line block ×3, first 2 shown]
	v_cndmask_b32_e32 v7, v16, v7, vcc_lo
	v_cndmask_b32_e32 v6, v2, v6, vcc_lo
	v_trig_preop_f64 v[16:17], |v[2:3]|, 1
	v_mul_f64 v[18:19], v[8:9], v[6:7]
	v_mul_f64 v[32:33], v[26:27], v[6:7]
	;; [unrolled: 1-line block ×3, first 2 shown]
	v_fma_f64 v[8:9], v[8:9], v[6:7], -v[18:19]
	v_fma_f64 v[16:17], v[16:17], v[6:7], -v[20:21]
	;; [unrolled: 1-line block ×3, first 2 shown]
	v_add_f64 v[22:23], v[20:21], v[8:9]
	v_add_f64 v[24:25], v[22:23], -v[20:21]
	v_add_f64 v[30:31], v[18:19], v[22:23]
	v_add_f64 v[28:29], v[22:23], -v[24:25]
	v_add_f64 v[8:9], v[8:9], -v[24:25]
	v_ldexp_f64 v[24:25], v[30:31], -2
	v_add_f64 v[18:19], v[30:31], -v[18:19]
	v_add_f64 v[20:21], v[20:21], -v[28:29]
	v_add_f64 v[28:29], v[32:33], v[16:17]
	v_cmp_neq_f64_e64 vcc_lo, 0x7ff00000, |v[24:25]|
	v_add_f64 v[18:19], v[22:23], -v[18:19]
	v_add_f64 v[8:9], v[8:9], v[20:21]
	v_fract_f64_e32 v[20:21], v[24:25]
	v_add_f64 v[22:23], v[28:29], v[8:9]
	v_ldexp_f64 v[20:21], v[20:21], 2
	v_add_f64 v[24:25], v[18:19], v[22:23]
	v_cndmask_b32_e32 v21, 0, v21, vcc_lo
	v_cndmask_b32_e32 v20, 0, v20, vcc_lo
	v_add_f64 v[30:31], v[24:25], v[20:21]
	v_add_f64 v[18:19], v[24:25], -v[18:19]
	v_cmp_gt_f64_e32 vcc_lo, 0, v[30:31]
	v_add_f64 v[30:31], v[28:29], -v[32:33]
	v_cndmask_b32_e64 v35, 0, 0x40100000, vcc_lo
	v_add_f64 v[48:49], v[28:29], -v[30:31]
	v_add_f64 v[16:17], v[16:17], -v[30:31]
	v_add_f64 v[20:21], v[20:21], v[34:35]
	v_add_f64 v[35:36], v[22:23], -v[28:29]
	v_add_f64 v[30:31], v[32:33], -v[48:49]
	v_add_f64 v[37:38], v[24:25], v[20:21]
	;; [unrolled: 3-line block ×3, first 2 shown]
	v_cvt_i32_f64_e32 v37, v[37:38]
	v_add_f64 v[28:29], v[28:29], -v[50:51]
	v_cvt_f64_i32_e32 v[35:36], v37
	v_add_f64 v[8:9], v[8:9], v[28:29]
	v_add_f64 v[20:21], v[20:21], -v[35:36]
	v_add_f64 v[8:9], v[16:17], v[8:9]
	v_add_f64 v[16:17], v[22:23], -v[18:19]
	v_add_f64 v[26:27], v[24:25], v[20:21]
	v_add_f64 v[6:7], v[6:7], v[8:9]
	v_add_f64 v[8:9], v[26:27], -v[20:21]
	v_cmp_le_f64_e32 vcc_lo, 0.5, v[26:27]
	v_add_f64 v[6:7], v[16:17], v[6:7]
	v_add_f64 v[8:9], v[24:25], -v[8:9]
	v_cndmask_b32_e64 v35, 0, 0x3ff00000, vcc_lo
	v_add_co_ci_u32_e64 v16, null, 0, v37, vcc_lo
	v_add_f64 v[6:7], v[6:7], v[8:9]
	v_add_f64 v[8:9], v[26:27], -v[34:35]
	v_add_f64 v[17:18], v[8:9], v[6:7]
	v_mul_f64 v[19:20], v[17:18], s[4:5]
	v_add_f64 v[8:9], v[17:18], -v[8:9]
	v_fma_f64 v[21:22], v[17:18], s[4:5], -v[19:20]
	v_add_f64 v[6:7], v[6:7], -v[8:9]
	v_fma_f64 v[8:9], v[17:18], s[12:13], v[21:22]
	v_fma_f64 v[8:9], v[6:7], s[4:5], v[8:9]
	v_add_f64 v[6:7], v[19:20], v[8:9]
	v_add_f64 v[17:18], v[6:7], -v[19:20]
	v_add_f64 v[8:9], v[8:9], -v[17:18]
.LBB31_125:
	s_andn2_saveexec_b32 s4, s11
	s_cbranch_execz .LBB31_127
; %bb.126:
	s_mov_b32 s12, 0x6dc9c883
	s_mov_b32 s13, 0x3fe45f30
	;; [unrolled: 1-line block ×3, first 2 shown]
	v_mul_f64 v[6:7], |v[2:3]|, s[12:13]
	s_mov_b32 s12, 0x54442d18
	s_mov_b32 s13, 0xbff921fb
	;; [unrolled: 1-line block ×3, first 2 shown]
	v_rndne_f64_e32 v[16:17], v[6:7]
	v_fma_f64 v[6:7], v[16:17], s[12:13], |v[2:3]|
	v_mul_f64 v[8:9], v[16:17], s[14:15]
	s_mov_b32 s12, 0x252049c0
	s_mov_b32 s13, 0xb97b839a
	v_fma_f64 v[20:21], v[16:17], s[14:15], v[6:7]
	v_add_f64 v[18:19], v[6:7], v[8:9]
	s_mov_b32 s15, 0x3c91a626
	v_add_f64 v[6:7], v[6:7], -v[18:19]
	v_add_f64 v[18:19], v[18:19], -v[20:21]
	v_add_f64 v[6:7], v[6:7], v[8:9]
	v_fma_f64 v[8:9], v[16:17], s[14:15], v[8:9]
	v_add_f64 v[6:7], v[18:19], v[6:7]
	v_add_f64 v[6:7], v[6:7], -v[8:9]
	v_fma_f64 v[8:9], v[16:17], s[12:13], v[6:7]
	v_cvt_i32_f64_e32 v16, v[16:17]
	v_add_f64 v[6:7], v[20:21], v[8:9]
	v_add_f64 v[18:19], v[6:7], -v[20:21]
	v_add_f64 v[8:9], v[8:9], -v[18:19]
.LBB31_127:
	s_or_b32 exec_lo, exec_lo, s4
	v_mul_f64 v[17:18], v[6:7], v[6:7]
	v_add_f64 v[19:20], v[8:9], v[8:9]
	s_mov_b32 s12, 0xa9a29f71
	s_mov_b32 s14, 0xc751c08c
	;; [unrolled: 1-line block ×4, first 2 shown]
	v_cmp_class_f64_e64 s4, v[2:3], 0x1f8
	v_and_b32_e32 v16, 1, v16
	v_and_b32_e32 v3, 0x80000000, v3
	v_sub_f32_e32 v4, 1.0, v4
	s_mov_b32 s5, exec_lo
	v_cmp_eq_u32_e32 vcc_lo, 0, v16
	v_fma_f64 v[21:22], v[6:7], v[6:7], -v[17:18]
	v_fma_f64 v[19:20], v[6:7], v[19:20], v[21:22]
	v_add_f64 v[17:18], v[17:18], v[19:20]
	v_fma_f64 v[19:20], v[17:18], s[14:15], s[12:13]
	s_mov_b32 s12, 0x90a8aae0
	s_mov_b32 s13, 0x3f17746f
	v_fma_f64 v[19:20], v[17:18], v[19:20], s[12:13]
	s_mov_b32 s12, 0xa6fbf144
	s_mov_b32 s13, 0xbefbb44d
	;; [unrolled: 3-line block ×13, first 2 shown]
	v_mul_f64 v[17:18], v[17:18], v[19:20]
	v_mul_f64 v[19:20], v[6:7], v[17:18]
	v_add_f64 v[21:22], v[6:7], v[19:20]
	v_fma_f64 v[17:18], v[6:7], v[17:18], -v[19:20]
	v_add_f64 v[6:7], v[21:22], -v[6:7]
	v_add_f64 v[8:9], v[8:9], v[17:18]
	v_add_f64 v[6:7], v[19:20], -v[6:7]
	v_add_f64 v[6:7], v[8:9], v[6:7]
	v_add_f64 v[8:9], v[21:22], v[6:7]
	v_rcp_f64_e32 v[17:18], v[8:9]
	v_fma_f64 v[19:20], -v[8:9], v[17:18], 1.0
	v_fma_f64 v[17:18], v[19:20], v[17:18], v[17:18]
	v_fma_f64 v[19:20], -v[8:9], v[17:18], 1.0
	v_fma_f64 v[17:18], v[19:20], v[17:18], v[17:18]
	v_add_f64 v[19:20], v[8:9], -v[21:22]
	v_mul_f64 v[21:22], v[8:9], v[17:18]
	v_add_f64 v[6:7], v[6:7], -v[19:20]
	v_fma_f64 v[19:20], v[17:18], v[8:9], -v[21:22]
	v_fma_f64 v[6:7], v[17:18], v[6:7], v[19:20]
	v_add_f64 v[19:20], v[21:22], v[6:7]
	v_add_f64 v[23:24], -v[19:20], 1.0
	v_add_f64 v[21:22], v[19:20], -v[21:22]
	v_add_f64 v[25:26], -v[23:24], 1.0
	v_add_f64 v[6:7], v[21:22], -v[6:7]
	v_add_f64 v[19:20], v[25:26], -v[19:20]
	v_add_f64 v[6:7], v[6:7], v[19:20]
	v_add_f64 v[6:7], v[23:24], v[6:7]
	v_mul_f64 v[6:7], v[17:18], v[6:7]
	v_add_f64 v[6:7], v[17:18], v[6:7]
	v_xor_b32_e32 v2, 0x80000000, v7
	v_cndmask_b32_e32 v6, v6, v8, vcc_lo
	v_cndmask_b32_e32 v2, v2, v9, vcc_lo
	v_xor_b32_e32 v3, v2, v3
	v_cndmask_b32_e64 v2, 0, v6, s4
	v_cndmask_b32_e64 v3, 0x7ff80000, v3, s4
	v_div_scale_f64 v[6:7], null, v[2:3], v[2:3], s[12:13]
	v_rcp_f64_e32 v[8:9], v[6:7]
	v_fma_f64 v[16:17], -v[6:7], v[8:9], 1.0
	v_fma_f64 v[8:9], v[8:9], v[16:17], v[8:9]
	v_fma_f64 v[16:17], -v[6:7], v[8:9], 1.0
	v_fma_f64 v[8:9], v[8:9], v[16:17], v[8:9]
	v_div_scale_f64 v[16:17], vcc_lo, s[12:13], v[2:3], s[12:13]
	v_mul_f64 v[18:19], v[16:17], v[8:9]
	v_fma_f64 v[6:7], -v[6:7], v[18:19], v[16:17]
	v_div_fmas_f64 v[6:7], v[6:7], v[8:9], v[18:19]
	v_div_fixup_f64 v[2:3], v[6:7], v[2:3], s[12:13]
	v_cvt_f32_f64_e32 v2, v[2:3]
.LBB31_128:
	s_or_b32 exec_lo, exec_lo, s10
	s_orn2_b32 s4, s5, exec_lo
.LBB31_129:
	s_or_b32 exec_lo, exec_lo, s9
	v_mov_b32_e32 v16, 0x7fc0
	s_and_saveexec_b32 s5, s4
	s_cbranch_execz .LBB31_141
; %bb.130:
	s_mov_b32 s4, exec_lo
	v_cmpx_gt_f32_e32 0x41200000, v4
	s_cbranch_execz .LBB31_134
; %bb.131:
	s_mov_b32 s9, 0
	.p2align	6
.LBB31_132:                             ; =>This Inner Loop Header: Depth=1
	v_div_scale_f32 v3, null, v4, v4, 1.0
	v_div_scale_f32 v8, vcc_lo, 1.0, v4, 1.0
	v_rcp_f32_e32 v6, v3
	v_fma_f32 v7, -v3, v6, 1.0
	v_fmac_f32_e32 v6, v7, v6
	v_mul_f32_e32 v7, v8, v6
	v_fma_f32 v9, -v3, v7, v8
	v_fmac_f32_e32 v7, v9, v6
	v_fma_f32 v3, -v3, v7, v8
	v_div_fmas_f32 v3, v3, v6, v7
	v_div_fixup_f32 v3, v3, v4, 1.0
	v_add_f32_e32 v4, 1.0, v4
	v_sub_f32_e32 v2, v2, v3
	v_cmp_ngt_f32_e32 vcc_lo, 0x41200000, v4
	s_or_b32 s9, vcc_lo, s9
	s_andn2_b32 exec_lo, exec_lo, s9
	s_cbranch_execnz .LBB31_132
; %bb.133:
	s_or_b32 exec_lo, exec_lo, s9
.LBB31_134:
	s_or_b32 exec_lo, exec_lo, s4
                                        ; implicit-def: $vgpr16
	s_mov_b32 s4, exec_lo
	v_cmpx_neq_f32_e32 0x41200000, v4
	s_xor_b32 s9, exec_lo, s4
	s_cbranch_execz .LBB31_138
; %bb.135:
	v_cvt_f64_f32_e32 v[6:7], v4
	v_mov_b32_e32 v3, 0
	s_mov_b32 s10, 0x85d8a000
	s_mov_b32 s11, 0x43763457
	s_mov_b32 s4, exec_lo
	v_cmpx_gt_f64_e32 s[10:11], v[6:7]
	s_cbranch_execz .LBB31_137
; %bb.136:
	v_mul_f32_e32 v3, v4, v4
	v_div_scale_f32 v6, null, v3, v3, 1.0
	v_rcp_f32_e32 v7, v6
	v_fma_f32 v8, -v6, v7, 1.0
	v_fmac_f32_e32 v7, v8, v7
	v_div_scale_f32 v8, vcc_lo, 1.0, v3, 1.0
	v_mul_f32_e32 v9, v8, v7
	v_fma_f32 v16, -v6, v9, v8
	v_fmac_f32_e32 v9, v16, v7
	v_fma_f32 v6, -v6, v9, v8
	v_div_fmas_f32 v6, v6, v7, v9
	v_div_fixup_f32 v3, v6, v3, 1.0
	v_fmaak_f32 v6, 0, v3, 0x3daaaaab
	v_fmaak_f32 v6, v3, v6, 0xbcaccacd
	v_fmaak_f32 v6, v3, v6, 0x3bf83e10
	v_fmaak_f32 v6, v3, v6, 0xbb888889
	v_fmaak_f32 v6, v3, v6, 0x3b820821
	v_fmaak_f32 v6, v3, v6, 0xbc088889
	v_fmaak_f32 v6, v3, v6, 0x3daaaaab
	v_mul_f32_e32 v3, v3, v6
.LBB31_137:
	s_or_b32 exec_lo, exec_lo, s4
	v_cmp_gt_f32_e32 vcc_lo, 0x800000, v4
	v_div_scale_f32 v6, null, v4, v4, -0.5
	v_div_scale_f32 v16, s4, -0.5, v4, -0.5
	v_cndmask_b32_e64 v7, 0, 32, vcc_lo
	v_rcp_f32_e32 v8, v6
	v_ldexp_f32 v7, v4, v7
	v_log_f32_e32 v7, v7
	v_fma_f32 v9, -v6, v8, 1.0
	v_fmac_f32_e32 v8, v9, v8
	v_mul_f32_e32 v9, 0x3f317217, v7
	v_mul_f32_e32 v17, v16, v8
	v_fma_f32 v9, 0x3f317217, v7, -v9
	v_fma_f32 v18, -v6, v17, v16
	v_fmamk_f32 v9, v7, 0x3377d1cf, v9
	v_fmac_f32_e32 v17, v18, v8
	v_cndmask_b32_e64 v18, 0, 0x41b17218, vcc_lo
	v_cmp_gt_f32_e64 vcc_lo, 0x7f800000, |v7|
	v_fmac_f32_e32 v9, 0x3f317217, v7
	v_fma_f32 v6, -v6, v17, v16
	v_cndmask_b32_e32 v7, v7, v9, vcc_lo
	s_mov_b32 vcc_lo, s4
	v_div_fmas_f32 v6, v6, v8, v17
	v_sub_f32_e32 v7, v7, v18
	v_div_fixup_f32 v4, v6, v4, -0.5
	v_add_f32_e32 v4, v7, v4
	v_sub_f32_e32 v3, v4, v3
	v_add_f32_e32 v2, v2, v3
	v_bfe_u32 v3, v2, 16, 1
	v_cmp_o_f32_e32 vcc_lo, v2, v2
	v_add3_u32 v2, v2, v3, 0x7fff
	v_mov_b32_e32 v3, 0x7fc0
	v_cndmask_b32_sdwa v16, v3, v2, vcc_lo dst_sel:DWORD dst_unused:UNUSED_PAD src0_sel:DWORD src1_sel:WORD_1
                                        ; implicit-def: $vgpr2
.LBB31_138:
	s_andn2_saveexec_b32 s4, s9
; %bb.139:
	v_add_f32_e32 v2, 0x40101cb7, v2
	v_bfe_u32 v3, v2, 16, 1
	v_cmp_o_f32_e32 vcc_lo, v2, v2
	v_add3_u32 v2, v2, v3, 0x7fff
	v_mov_b32_e32 v3, 0x7fc0
	v_cndmask_b32_sdwa v16, v3, v2, vcc_lo dst_sel:DWORD dst_unused:UNUSED_PAD src0_sel:DWORD src1_sel:WORD_1
; %bb.140:
	s_or_b32 exec_lo, exec_lo, s4
.LBB31_141:
	s_or_b32 exec_lo, exec_lo, s5
                                        ; implicit-def: $vgpr4
.LBB31_142:
	s_andn2_saveexec_b32 s4, s8
; %bb.143:
	v_xor_b32_e32 v2, 0x80000000, v4
	s_mov_b32 s5, 0x7f800000
	v_and_or_b32 v2, 0x80000000, v2, s5
	v_lshrrev_b32_e32 v16, 16, v2
; %bb.144:
	s_or_b32 exec_lo, exec_lo, s4
	v_lshlrev_b32_e32 v4, 16, v5
                                        ; implicit-def: $vgpr8
	s_mov_b32 s4, exec_lo
	v_cmpx_neq_f32_e32 0, v4
	s_xor_b32 s8, exec_lo, s4
	s_cbranch_execz .LBB31_166
; %bb.145:
	v_mov_b32_e32 v2, 0
	s_mov_b32 s4, -1
	s_mov_b32 s9, exec_lo
	v_cmpx_gt_f32_e32 0, v4
	s_cbranch_execz .LBB31_153
; %bb.146:
	v_trunc_f32_e32 v2, v4
	s_mov_b32 s5, 0
	v_cmp_neq_f32_e32 vcc_lo, v2, v4
	v_mov_b32_e32 v2, 0
	s_and_saveexec_b32 s10, vcc_lo
	s_cbranch_execz .LBB31_152
; %bb.147:
	v_cvt_f64_f32_e32 v[2:3], v4
	s_mov_b32 s5, 0xc00921fb
	s_mov_b32 s4, 0x54442d18
	s_mov_b32 s11, exec_lo
                                        ; implicit-def: $vgpr17
                                        ; implicit-def: $vgpr8_vgpr9
	v_trunc_f64_e32 v[6:7], v[2:3]
	v_cmp_neq_f64_e64 vcc_lo, 0x7ff00000, |v[2:3]|
	v_add_f64 v[6:7], v[2:3], -v[6:7]
	v_mul_f64 v[6:7], |v[6:7]|, s[4:5]
	v_cndmask_b32_e32 v3, 0x80000000, v7, vcc_lo
	v_cndmask_b32_e32 v2, 0, v6, vcc_lo
                                        ; implicit-def: $vgpr6_vgpr7
	v_cmpx_ngt_f64_e64 0x41d00000, |v[2:3]|
	s_xor_b32 s11, exec_lo, s11
	s_cbranch_execz .LBB31_149
; %bb.148:
	v_ldexp_f64 v[6:7], |v[2:3]|, 0xffffff80
	v_cmp_le_f64_e64 vcc_lo, 0x7b000000, |v[2:3]|
	v_trig_preop_f64 v[8:9], |v[2:3]|, 0
	v_and_b32_e32 v17, 0x7fffffff, v3
	v_trig_preop_f64 v[27:28], |v[2:3]|, 2
	v_mov_b32_e32 v35, 0
	s_mov_b32 s5, 0x3ff921fb
	s_mov_b32 s12, 0x33145c07
	;; [unrolled: 1-line block ×3, first 2 shown]
	v_cndmask_b32_e32 v7, v17, v7, vcc_lo
	v_cndmask_b32_e32 v6, v2, v6, vcc_lo
	v_trig_preop_f64 v[17:18], |v[2:3]|, 1
	v_mul_f64 v[19:20], v[8:9], v[6:7]
	v_mul_f64 v[33:34], v[27:28], v[6:7]
	;; [unrolled: 1-line block ×3, first 2 shown]
	v_fma_f64 v[8:9], v[8:9], v[6:7], -v[19:20]
	v_fma_f64 v[17:18], v[17:18], v[6:7], -v[21:22]
	;; [unrolled: 1-line block ×3, first 2 shown]
	v_add_f64 v[23:24], v[21:22], v[8:9]
	v_add_f64 v[25:26], v[23:24], -v[21:22]
	v_add_f64 v[31:32], v[19:20], v[23:24]
	v_add_f64 v[29:30], v[23:24], -v[25:26]
	v_add_f64 v[8:9], v[8:9], -v[25:26]
	v_ldexp_f64 v[25:26], v[31:32], -2
	v_add_f64 v[19:20], v[31:32], -v[19:20]
	v_add_f64 v[21:22], v[21:22], -v[29:30]
	v_add_f64 v[29:30], v[33:34], v[17:18]
	v_cmp_neq_f64_e64 vcc_lo, 0x7ff00000, |v[25:26]|
	v_add_f64 v[19:20], v[23:24], -v[19:20]
	v_add_f64 v[8:9], v[8:9], v[21:22]
	v_fract_f64_e32 v[21:22], v[25:26]
	v_add_f64 v[23:24], v[29:30], v[8:9]
	v_ldexp_f64 v[21:22], v[21:22], 2
	v_add_f64 v[25:26], v[19:20], v[23:24]
	v_cndmask_b32_e32 v22, 0, v22, vcc_lo
	v_cndmask_b32_e32 v21, 0, v21, vcc_lo
	v_add_f64 v[31:32], v[25:26], v[21:22]
	v_add_f64 v[19:20], v[25:26], -v[19:20]
	v_cmp_gt_f64_e32 vcc_lo, 0, v[31:32]
	v_add_f64 v[31:32], v[29:30], -v[33:34]
	v_cndmask_b32_e64 v36, 0, 0x40100000, vcc_lo
	v_add_f64 v[48:49], v[29:30], -v[31:32]
	v_add_f64 v[17:18], v[17:18], -v[31:32]
	v_add_f64 v[21:22], v[21:22], v[35:36]
	v_add_f64 v[36:37], v[23:24], -v[29:30]
	v_add_f64 v[31:32], v[33:34], -v[48:49]
	v_add_f64 v[38:39], v[25:26], v[21:22]
	;; [unrolled: 3-line block ×3, first 2 shown]
	v_cvt_i32_f64_e32 v38, v[38:39]
	v_add_f64 v[29:30], v[29:30], -v[50:51]
	v_cvt_f64_i32_e32 v[36:37], v38
	v_add_f64 v[8:9], v[8:9], v[29:30]
	v_add_f64 v[21:22], v[21:22], -v[36:37]
	v_add_f64 v[8:9], v[17:18], v[8:9]
	v_add_f64 v[17:18], v[23:24], -v[19:20]
	v_add_f64 v[27:28], v[25:26], v[21:22]
	v_add_f64 v[6:7], v[6:7], v[8:9]
	v_add_f64 v[8:9], v[27:28], -v[21:22]
	v_cmp_le_f64_e32 vcc_lo, 0.5, v[27:28]
	v_add_f64 v[6:7], v[17:18], v[6:7]
	v_add_f64 v[8:9], v[25:26], -v[8:9]
	v_cndmask_b32_e64 v36, 0, 0x3ff00000, vcc_lo
	v_add_co_ci_u32_e64 v17, null, 0, v38, vcc_lo
	v_add_f64 v[6:7], v[6:7], v[8:9]
	v_add_f64 v[8:9], v[27:28], -v[35:36]
	v_add_f64 v[18:19], v[8:9], v[6:7]
	v_mul_f64 v[20:21], v[18:19], s[4:5]
	v_add_f64 v[8:9], v[18:19], -v[8:9]
	v_fma_f64 v[22:23], v[18:19], s[4:5], -v[20:21]
	v_add_f64 v[6:7], v[6:7], -v[8:9]
	v_fma_f64 v[8:9], v[18:19], s[12:13], v[22:23]
	v_fma_f64 v[8:9], v[6:7], s[4:5], v[8:9]
	v_add_f64 v[6:7], v[20:21], v[8:9]
	v_add_f64 v[18:19], v[6:7], -v[20:21]
	v_add_f64 v[8:9], v[8:9], -v[18:19]
.LBB31_149:
	s_andn2_saveexec_b32 s4, s11
	s_cbranch_execz .LBB31_151
; %bb.150:
	s_mov_b32 s12, 0x6dc9c883
	s_mov_b32 s13, 0x3fe45f30
	;; [unrolled: 1-line block ×3, first 2 shown]
	v_mul_f64 v[6:7], |v[2:3]|, s[12:13]
	s_mov_b32 s12, 0x54442d18
	s_mov_b32 s13, 0xbff921fb
	;; [unrolled: 1-line block ×3, first 2 shown]
	v_rndne_f64_e32 v[17:18], v[6:7]
	v_fma_f64 v[6:7], v[17:18], s[12:13], |v[2:3]|
	v_mul_f64 v[8:9], v[17:18], s[14:15]
	s_mov_b32 s12, 0x252049c0
	s_mov_b32 s13, 0xb97b839a
	v_fma_f64 v[21:22], v[17:18], s[14:15], v[6:7]
	v_add_f64 v[19:20], v[6:7], v[8:9]
	s_mov_b32 s15, 0x3c91a626
	v_add_f64 v[6:7], v[6:7], -v[19:20]
	v_add_f64 v[19:20], v[19:20], -v[21:22]
	v_add_f64 v[6:7], v[6:7], v[8:9]
	v_fma_f64 v[8:9], v[17:18], s[14:15], v[8:9]
	v_add_f64 v[6:7], v[19:20], v[6:7]
	v_add_f64 v[6:7], v[6:7], -v[8:9]
	v_fma_f64 v[8:9], v[17:18], s[12:13], v[6:7]
	v_cvt_i32_f64_e32 v17, v[17:18]
	v_add_f64 v[6:7], v[21:22], v[8:9]
	v_add_f64 v[19:20], v[6:7], -v[21:22]
	v_add_f64 v[8:9], v[8:9], -v[19:20]
.LBB31_151:
	s_or_b32 exec_lo, exec_lo, s4
	v_mul_f64 v[18:19], v[6:7], v[6:7]
	v_add_f64 v[20:21], v[8:9], v[8:9]
	s_mov_b32 s12, 0xa9a29f71
	s_mov_b32 s14, 0xc751c08c
	;; [unrolled: 1-line block ×4, first 2 shown]
	v_cmp_class_f64_e64 s4, v[2:3], 0x1f8
	v_and_b32_e32 v17, 1, v17
	v_and_b32_e32 v3, 0x80000000, v3
	v_sub_f32_e32 v4, 1.0, v4
	s_mov_b32 s5, exec_lo
	v_cmp_eq_u32_e32 vcc_lo, 0, v17
	v_fma_f64 v[22:23], v[6:7], v[6:7], -v[18:19]
	v_fma_f64 v[20:21], v[6:7], v[20:21], v[22:23]
	v_add_f64 v[18:19], v[18:19], v[20:21]
	v_fma_f64 v[20:21], v[18:19], s[14:15], s[12:13]
	s_mov_b32 s12, 0x90a8aae0
	s_mov_b32 s13, 0x3f17746f
	v_fma_f64 v[20:21], v[18:19], v[20:21], s[12:13]
	s_mov_b32 s12, 0xa6fbf144
	s_mov_b32 s13, 0xbefbb44d
	;; [unrolled: 3-line block ×13, first 2 shown]
	v_mul_f64 v[18:19], v[18:19], v[20:21]
	v_mul_f64 v[20:21], v[6:7], v[18:19]
	v_add_f64 v[22:23], v[6:7], v[20:21]
	v_fma_f64 v[18:19], v[6:7], v[18:19], -v[20:21]
	v_add_f64 v[6:7], v[22:23], -v[6:7]
	v_add_f64 v[8:9], v[8:9], v[18:19]
	v_add_f64 v[6:7], v[20:21], -v[6:7]
	v_add_f64 v[6:7], v[8:9], v[6:7]
	v_add_f64 v[8:9], v[22:23], v[6:7]
	v_rcp_f64_e32 v[18:19], v[8:9]
	v_fma_f64 v[20:21], -v[8:9], v[18:19], 1.0
	v_fma_f64 v[18:19], v[20:21], v[18:19], v[18:19]
	v_fma_f64 v[20:21], -v[8:9], v[18:19], 1.0
	v_fma_f64 v[18:19], v[20:21], v[18:19], v[18:19]
	v_add_f64 v[20:21], v[8:9], -v[22:23]
	v_mul_f64 v[22:23], v[8:9], v[18:19]
	v_add_f64 v[6:7], v[6:7], -v[20:21]
	v_fma_f64 v[20:21], v[18:19], v[8:9], -v[22:23]
	v_fma_f64 v[6:7], v[18:19], v[6:7], v[20:21]
	v_add_f64 v[20:21], v[22:23], v[6:7]
	v_add_f64 v[24:25], -v[20:21], 1.0
	v_add_f64 v[22:23], v[20:21], -v[22:23]
	v_add_f64 v[26:27], -v[24:25], 1.0
	v_add_f64 v[6:7], v[22:23], -v[6:7]
	v_add_f64 v[20:21], v[26:27], -v[20:21]
	v_add_f64 v[6:7], v[6:7], v[20:21]
	v_add_f64 v[6:7], v[24:25], v[6:7]
	v_mul_f64 v[6:7], v[18:19], v[6:7]
	v_add_f64 v[6:7], v[18:19], v[6:7]
	v_xor_b32_e32 v2, 0x80000000, v7
	v_cndmask_b32_e32 v6, v6, v8, vcc_lo
	v_cndmask_b32_e32 v2, v2, v9, vcc_lo
	v_xor_b32_e32 v3, v2, v3
	v_cndmask_b32_e64 v2, 0, v6, s4
	v_cndmask_b32_e64 v3, 0x7ff80000, v3, s4
	v_div_scale_f64 v[6:7], null, v[2:3], v[2:3], s[12:13]
	v_rcp_f64_e32 v[8:9], v[6:7]
	v_fma_f64 v[17:18], -v[6:7], v[8:9], 1.0
	v_fma_f64 v[8:9], v[8:9], v[17:18], v[8:9]
	v_fma_f64 v[17:18], -v[6:7], v[8:9], 1.0
	v_fma_f64 v[8:9], v[8:9], v[17:18], v[8:9]
	v_div_scale_f64 v[17:18], vcc_lo, s[12:13], v[2:3], s[12:13]
	v_mul_f64 v[19:20], v[17:18], v[8:9]
	v_fma_f64 v[6:7], -v[6:7], v[19:20], v[17:18]
	v_div_fmas_f64 v[6:7], v[6:7], v[8:9], v[19:20]
	v_div_fixup_f64 v[2:3], v[6:7], v[2:3], s[12:13]
	v_cvt_f32_f64_e32 v2, v[2:3]
.LBB31_152:
	s_or_b32 exec_lo, exec_lo, s10
	s_orn2_b32 s4, s5, exec_lo
.LBB31_153:
	s_or_b32 exec_lo, exec_lo, s9
	v_mov_b32_e32 v8, 0x7fc0
	s_and_saveexec_b32 s5, s4
	s_cbranch_execz .LBB31_165
; %bb.154:
	s_mov_b32 s4, exec_lo
	v_cmpx_gt_f32_e32 0x41200000, v4
	s_cbranch_execz .LBB31_158
; %bb.155:
	s_mov_b32 s9, 0
	.p2align	6
.LBB31_156:                             ; =>This Inner Loop Header: Depth=1
	v_div_scale_f32 v3, null, v4, v4, 1.0
	v_div_scale_f32 v8, vcc_lo, 1.0, v4, 1.0
	v_rcp_f32_e32 v6, v3
	v_fma_f32 v7, -v3, v6, 1.0
	v_fmac_f32_e32 v6, v7, v6
	v_mul_f32_e32 v7, v8, v6
	v_fma_f32 v9, -v3, v7, v8
	v_fmac_f32_e32 v7, v9, v6
	v_fma_f32 v3, -v3, v7, v8
	v_div_fmas_f32 v3, v3, v6, v7
	v_div_fixup_f32 v3, v3, v4, 1.0
	v_add_f32_e32 v4, 1.0, v4
	v_sub_f32_e32 v2, v2, v3
	v_cmp_ngt_f32_e32 vcc_lo, 0x41200000, v4
	s_or_b32 s9, vcc_lo, s9
	s_andn2_b32 exec_lo, exec_lo, s9
	s_cbranch_execnz .LBB31_156
; %bb.157:
	s_or_b32 exec_lo, exec_lo, s9
.LBB31_158:
	s_or_b32 exec_lo, exec_lo, s4
                                        ; implicit-def: $vgpr8
	s_mov_b32 s4, exec_lo
	v_cmpx_neq_f32_e32 0x41200000, v4
	s_xor_b32 s9, exec_lo, s4
	s_cbranch_execz .LBB31_162
; %bb.159:
	v_cvt_f64_f32_e32 v[6:7], v4
	v_mov_b32_e32 v3, 0
	s_mov_b32 s10, 0x85d8a000
	s_mov_b32 s11, 0x43763457
	s_mov_b32 s4, exec_lo
	v_cmpx_gt_f64_e32 s[10:11], v[6:7]
	s_cbranch_execz .LBB31_161
; %bb.160:
	v_mul_f32_e32 v3, v4, v4
	v_div_scale_f32 v6, null, v3, v3, 1.0
	v_rcp_f32_e32 v7, v6
	v_fma_f32 v8, -v6, v7, 1.0
	v_fmac_f32_e32 v7, v8, v7
	v_div_scale_f32 v8, vcc_lo, 1.0, v3, 1.0
	v_mul_f32_e32 v9, v8, v7
	v_fma_f32 v17, -v6, v9, v8
	v_fmac_f32_e32 v9, v17, v7
	v_fma_f32 v6, -v6, v9, v8
	v_div_fmas_f32 v6, v6, v7, v9
	v_div_fixup_f32 v3, v6, v3, 1.0
	v_fmaak_f32 v6, 0, v3, 0x3daaaaab
	v_fmaak_f32 v6, v3, v6, 0xbcaccacd
	;; [unrolled: 1-line block ×7, first 2 shown]
	v_mul_f32_e32 v3, v3, v6
.LBB31_161:
	s_or_b32 exec_lo, exec_lo, s4
	v_cmp_gt_f32_e32 vcc_lo, 0x800000, v4
	v_div_scale_f32 v6, null, v4, v4, -0.5
	v_div_scale_f32 v17, s4, -0.5, v4, -0.5
	v_cndmask_b32_e64 v7, 0, 32, vcc_lo
	v_rcp_f32_e32 v8, v6
	v_ldexp_f32 v7, v4, v7
	v_log_f32_e32 v7, v7
	v_fma_f32 v9, -v6, v8, 1.0
	v_fmac_f32_e32 v8, v9, v8
	v_mul_f32_e32 v9, 0x3f317217, v7
	v_mul_f32_e32 v18, v17, v8
	v_fma_f32 v9, 0x3f317217, v7, -v9
	v_fma_f32 v19, -v6, v18, v17
	v_fmamk_f32 v9, v7, 0x3377d1cf, v9
	v_fmac_f32_e32 v18, v19, v8
	v_cndmask_b32_e64 v19, 0, 0x41b17218, vcc_lo
	v_cmp_gt_f32_e64 vcc_lo, 0x7f800000, |v7|
	v_fmac_f32_e32 v9, 0x3f317217, v7
	v_fma_f32 v6, -v6, v18, v17
	v_cndmask_b32_e32 v7, v7, v9, vcc_lo
	s_mov_b32 vcc_lo, s4
	v_div_fmas_f32 v6, v6, v8, v18
	v_sub_f32_e32 v7, v7, v19
	v_div_fixup_f32 v4, v6, v4, -0.5
	v_add_f32_e32 v4, v7, v4
	v_sub_f32_e32 v3, v4, v3
	v_add_f32_e32 v2, v2, v3
	v_bfe_u32 v3, v2, 16, 1
	v_cmp_o_f32_e32 vcc_lo, v2, v2
	v_add3_u32 v2, v2, v3, 0x7fff
	v_mov_b32_e32 v3, 0x7fc0
	v_cndmask_b32_sdwa v8, v3, v2, vcc_lo dst_sel:DWORD dst_unused:UNUSED_PAD src0_sel:DWORD src1_sel:WORD_1
                                        ; implicit-def: $vgpr2
.LBB31_162:
	s_andn2_saveexec_b32 s4, s9
; %bb.163:
	v_add_f32_e32 v2, 0x40101cb7, v2
	v_bfe_u32 v3, v2, 16, 1
	v_cmp_o_f32_e32 vcc_lo, v2, v2
	v_add3_u32 v2, v2, v3, 0x7fff
	v_mov_b32_e32 v3, 0x7fc0
	v_cndmask_b32_sdwa v8, v3, v2, vcc_lo dst_sel:DWORD dst_unused:UNUSED_PAD src0_sel:DWORD src1_sel:WORD_1
; %bb.164:
	s_or_b32 exec_lo, exec_lo, s4
.LBB31_165:
	s_or_b32 exec_lo, exec_lo, s5
                                        ; implicit-def: $vgpr4
.LBB31_166:
	s_andn2_saveexec_b32 s4, s8
; %bb.167:
	v_xor_b32_e32 v2, 0x80000000, v4
	s_mov_b32 s5, 0x7f800000
	v_and_or_b32 v2, 0x80000000, v2, s5
	v_lshrrev_b32_e32 v8, 16, v2
; %bb.168:
	s_or_b32 exec_lo, exec_lo, s4
	v_and_b32_e32 v9, 0xffff0000, v5
                                        ; implicit-def: $vgpr3
	s_mov_b32 s4, exec_lo
	v_cmpx_neq_f32_e32 0, v9
	s_xor_b32 s8, exec_lo, s4
	s_cbranch_execz .LBB31_190
; %bb.169:
	v_mov_b32_e32 v2, 0
	s_mov_b32 s4, -1
	s_mov_b32 s9, exec_lo
	v_cmpx_gt_f32_e32 0, v9
	s_cbranch_execz .LBB31_177
; %bb.170:
	v_trunc_f32_e32 v2, v9
	s_mov_b32 s5, 0
	v_cmp_neq_f32_e32 vcc_lo, v2, v9
	v_mov_b32_e32 v2, 0
	s_and_saveexec_b32 s10, vcc_lo
	s_cbranch_execz .LBB31_176
; %bb.171:
	v_cvt_f64_f32_e32 v[2:3], v9
	s_mov_b32 s5, 0xc00921fb
	s_mov_b32 s4, 0x54442d18
	s_mov_b32 s11, exec_lo
                                        ; implicit-def: $vgpr17
                                        ; implicit-def: $vgpr6_vgpr7
	v_trunc_f64_e32 v[4:5], v[2:3]
	v_cmp_neq_f64_e64 vcc_lo, 0x7ff00000, |v[2:3]|
	v_add_f64 v[4:5], v[2:3], -v[4:5]
	v_mul_f64 v[4:5], |v[4:5]|, s[4:5]
	v_cndmask_b32_e32 v3, 0x80000000, v5, vcc_lo
	v_cndmask_b32_e32 v2, 0, v4, vcc_lo
                                        ; implicit-def: $vgpr4_vgpr5
	v_cmpx_ngt_f64_e64 0x41d00000, |v[2:3]|
	s_xor_b32 s11, exec_lo, s11
	s_cbranch_execz .LBB31_173
; %bb.172:
	v_ldexp_f64 v[4:5], |v[2:3]|, 0xffffff80
	v_cmp_le_f64_e64 vcc_lo, 0x7b000000, |v[2:3]|
	v_trig_preop_f64 v[6:7], |v[2:3]|, 0
	v_and_b32_e32 v17, 0x7fffffff, v3
	v_trig_preop_f64 v[27:28], |v[2:3]|, 2
	v_mov_b32_e32 v35, 0
	s_mov_b32 s5, 0x3ff921fb
	s_mov_b32 s12, 0x33145c07
	;; [unrolled: 1-line block ×3, first 2 shown]
	v_cndmask_b32_e32 v5, v17, v5, vcc_lo
	v_cndmask_b32_e32 v4, v2, v4, vcc_lo
	v_trig_preop_f64 v[17:18], |v[2:3]|, 1
	v_mul_f64 v[19:20], v[6:7], v[4:5]
	v_mul_f64 v[33:34], v[27:28], v[4:5]
	;; [unrolled: 1-line block ×3, first 2 shown]
	v_fma_f64 v[6:7], v[6:7], v[4:5], -v[19:20]
	v_fma_f64 v[17:18], v[17:18], v[4:5], -v[21:22]
	v_fma_f64 v[4:5], v[27:28], v[4:5], -v[33:34]
	v_add_f64 v[23:24], v[21:22], v[6:7]
	v_add_f64 v[25:26], v[23:24], -v[21:22]
	v_add_f64 v[31:32], v[19:20], v[23:24]
	v_add_f64 v[29:30], v[23:24], -v[25:26]
	v_add_f64 v[6:7], v[6:7], -v[25:26]
	v_ldexp_f64 v[25:26], v[31:32], -2
	v_add_f64 v[19:20], v[31:32], -v[19:20]
	v_add_f64 v[21:22], v[21:22], -v[29:30]
	v_add_f64 v[29:30], v[33:34], v[17:18]
	v_cmp_neq_f64_e64 vcc_lo, 0x7ff00000, |v[25:26]|
	v_add_f64 v[19:20], v[23:24], -v[19:20]
	v_add_f64 v[6:7], v[6:7], v[21:22]
	v_fract_f64_e32 v[21:22], v[25:26]
	v_add_f64 v[23:24], v[29:30], v[6:7]
	v_ldexp_f64 v[21:22], v[21:22], 2
	v_add_f64 v[25:26], v[19:20], v[23:24]
	v_cndmask_b32_e32 v22, 0, v22, vcc_lo
	v_cndmask_b32_e32 v21, 0, v21, vcc_lo
	v_add_f64 v[31:32], v[25:26], v[21:22]
	v_add_f64 v[19:20], v[25:26], -v[19:20]
	v_cmp_gt_f64_e32 vcc_lo, 0, v[31:32]
	v_add_f64 v[31:32], v[29:30], -v[33:34]
	v_cndmask_b32_e64 v36, 0, 0x40100000, vcc_lo
	v_add_f64 v[48:49], v[29:30], -v[31:32]
	v_add_f64 v[17:18], v[17:18], -v[31:32]
	v_add_f64 v[21:22], v[21:22], v[35:36]
	v_add_f64 v[36:37], v[23:24], -v[29:30]
	v_add_f64 v[31:32], v[33:34], -v[48:49]
	v_add_f64 v[38:39], v[25:26], v[21:22]
	;; [unrolled: 3-line block ×3, first 2 shown]
	v_cvt_i32_f64_e32 v38, v[38:39]
	v_add_f64 v[29:30], v[29:30], -v[50:51]
	v_cvt_f64_i32_e32 v[36:37], v38
	v_add_f64 v[6:7], v[6:7], v[29:30]
	v_add_f64 v[21:22], v[21:22], -v[36:37]
	v_add_f64 v[6:7], v[17:18], v[6:7]
	v_add_f64 v[17:18], v[23:24], -v[19:20]
	v_add_f64 v[27:28], v[25:26], v[21:22]
	v_add_f64 v[4:5], v[4:5], v[6:7]
	v_add_f64 v[6:7], v[27:28], -v[21:22]
	v_cmp_le_f64_e32 vcc_lo, 0.5, v[27:28]
	v_add_f64 v[4:5], v[17:18], v[4:5]
	v_add_f64 v[6:7], v[25:26], -v[6:7]
	v_cndmask_b32_e64 v36, 0, 0x3ff00000, vcc_lo
	v_add_co_ci_u32_e64 v17, null, 0, v38, vcc_lo
	v_add_f64 v[4:5], v[4:5], v[6:7]
	v_add_f64 v[6:7], v[27:28], -v[35:36]
	v_add_f64 v[18:19], v[6:7], v[4:5]
	v_mul_f64 v[20:21], v[18:19], s[4:5]
	v_add_f64 v[6:7], v[18:19], -v[6:7]
	v_fma_f64 v[22:23], v[18:19], s[4:5], -v[20:21]
	v_add_f64 v[4:5], v[4:5], -v[6:7]
	v_fma_f64 v[6:7], v[18:19], s[12:13], v[22:23]
	v_fma_f64 v[6:7], v[4:5], s[4:5], v[6:7]
	v_add_f64 v[4:5], v[20:21], v[6:7]
	v_add_f64 v[18:19], v[4:5], -v[20:21]
	v_add_f64 v[6:7], v[6:7], -v[18:19]
.LBB31_173:
	s_andn2_saveexec_b32 s4, s11
	s_cbranch_execz .LBB31_175
; %bb.174:
	s_mov_b32 s12, 0x6dc9c883
	s_mov_b32 s13, 0x3fe45f30
	;; [unrolled: 1-line block ×3, first 2 shown]
	v_mul_f64 v[4:5], |v[2:3]|, s[12:13]
	s_mov_b32 s12, 0x54442d18
	s_mov_b32 s13, 0xbff921fb
	;; [unrolled: 1-line block ×3, first 2 shown]
	v_rndne_f64_e32 v[17:18], v[4:5]
	v_fma_f64 v[4:5], v[17:18], s[12:13], |v[2:3]|
	v_mul_f64 v[6:7], v[17:18], s[14:15]
	s_mov_b32 s12, 0x252049c0
	s_mov_b32 s13, 0xb97b839a
	v_fma_f64 v[21:22], v[17:18], s[14:15], v[4:5]
	v_add_f64 v[19:20], v[4:5], v[6:7]
	s_mov_b32 s15, 0x3c91a626
	v_add_f64 v[4:5], v[4:5], -v[19:20]
	v_add_f64 v[19:20], v[19:20], -v[21:22]
	v_add_f64 v[4:5], v[4:5], v[6:7]
	v_fma_f64 v[6:7], v[17:18], s[14:15], v[6:7]
	v_add_f64 v[4:5], v[19:20], v[4:5]
	v_add_f64 v[4:5], v[4:5], -v[6:7]
	v_fma_f64 v[6:7], v[17:18], s[12:13], v[4:5]
	v_cvt_i32_f64_e32 v17, v[17:18]
	v_add_f64 v[4:5], v[21:22], v[6:7]
	v_add_f64 v[19:20], v[4:5], -v[21:22]
	v_add_f64 v[6:7], v[6:7], -v[19:20]
.LBB31_175:
	s_or_b32 exec_lo, exec_lo, s4
	v_mul_f64 v[18:19], v[4:5], v[4:5]
	v_add_f64 v[20:21], v[6:7], v[6:7]
	s_mov_b32 s12, 0xa9a29f71
	s_mov_b32 s14, 0xc751c08c
	;; [unrolled: 1-line block ×4, first 2 shown]
	v_cmp_class_f64_e64 s4, v[2:3], 0x1f8
	v_and_b32_e32 v17, 1, v17
	v_and_b32_e32 v3, 0x80000000, v3
	v_sub_f32_e32 v9, 1.0, v9
	s_mov_b32 s5, exec_lo
	v_cmp_eq_u32_e32 vcc_lo, 0, v17
	v_fma_f64 v[22:23], v[4:5], v[4:5], -v[18:19]
	v_fma_f64 v[20:21], v[4:5], v[20:21], v[22:23]
	v_add_f64 v[18:19], v[18:19], v[20:21]
	v_fma_f64 v[20:21], v[18:19], s[14:15], s[12:13]
	s_mov_b32 s12, 0x90a8aae0
	s_mov_b32 s13, 0x3f17746f
	v_fma_f64 v[20:21], v[18:19], v[20:21], s[12:13]
	s_mov_b32 s12, 0xa6fbf144
	s_mov_b32 s13, 0xbefbb44d
	;; [unrolled: 3-line block ×13, first 2 shown]
	v_mul_f64 v[18:19], v[18:19], v[20:21]
	v_mul_f64 v[20:21], v[4:5], v[18:19]
	v_add_f64 v[22:23], v[4:5], v[20:21]
	v_fma_f64 v[18:19], v[4:5], v[18:19], -v[20:21]
	v_add_f64 v[4:5], v[22:23], -v[4:5]
	v_add_f64 v[6:7], v[6:7], v[18:19]
	v_add_f64 v[4:5], v[20:21], -v[4:5]
	v_add_f64 v[4:5], v[6:7], v[4:5]
	v_add_f64 v[6:7], v[22:23], v[4:5]
	v_rcp_f64_e32 v[18:19], v[6:7]
	v_fma_f64 v[20:21], -v[6:7], v[18:19], 1.0
	v_fma_f64 v[18:19], v[20:21], v[18:19], v[18:19]
	v_fma_f64 v[20:21], -v[6:7], v[18:19], 1.0
	v_fma_f64 v[18:19], v[20:21], v[18:19], v[18:19]
	v_add_f64 v[20:21], v[6:7], -v[22:23]
	v_mul_f64 v[22:23], v[6:7], v[18:19]
	v_add_f64 v[4:5], v[4:5], -v[20:21]
	v_fma_f64 v[20:21], v[18:19], v[6:7], -v[22:23]
	v_fma_f64 v[4:5], v[18:19], v[4:5], v[20:21]
	v_add_f64 v[20:21], v[22:23], v[4:5]
	v_add_f64 v[24:25], -v[20:21], 1.0
	v_add_f64 v[22:23], v[20:21], -v[22:23]
	v_add_f64 v[26:27], -v[24:25], 1.0
	v_add_f64 v[4:5], v[22:23], -v[4:5]
	v_add_f64 v[20:21], v[26:27], -v[20:21]
	v_add_f64 v[4:5], v[4:5], v[20:21]
	v_add_f64 v[4:5], v[24:25], v[4:5]
	v_mul_f64 v[4:5], v[18:19], v[4:5]
	v_add_f64 v[4:5], v[18:19], v[4:5]
	v_xor_b32_e32 v2, 0x80000000, v5
	v_cndmask_b32_e32 v4, v4, v6, vcc_lo
	v_cndmask_b32_e32 v2, v2, v7, vcc_lo
	v_xor_b32_e32 v3, v2, v3
	v_cndmask_b32_e64 v2, 0, v4, s4
	v_cndmask_b32_e64 v3, 0x7ff80000, v3, s4
	v_div_scale_f64 v[4:5], null, v[2:3], v[2:3], s[12:13]
	v_rcp_f64_e32 v[6:7], v[4:5]
	v_fma_f64 v[17:18], -v[4:5], v[6:7], 1.0
	v_fma_f64 v[6:7], v[6:7], v[17:18], v[6:7]
	v_fma_f64 v[17:18], -v[4:5], v[6:7], 1.0
	v_fma_f64 v[6:7], v[6:7], v[17:18], v[6:7]
	v_div_scale_f64 v[17:18], vcc_lo, s[12:13], v[2:3], s[12:13]
	v_mul_f64 v[19:20], v[17:18], v[6:7]
	v_fma_f64 v[4:5], -v[4:5], v[19:20], v[17:18]
	v_div_fmas_f64 v[4:5], v[4:5], v[6:7], v[19:20]
	v_div_fixup_f64 v[2:3], v[4:5], v[2:3], s[12:13]
	v_cvt_f32_f64_e32 v2, v[2:3]
.LBB31_176:
	s_or_b32 exec_lo, exec_lo, s10
	s_orn2_b32 s4, s5, exec_lo
.LBB31_177:
	s_or_b32 exec_lo, exec_lo, s9
	v_mov_b32_e32 v3, 0x7fc0
	s_and_saveexec_b32 s5, s4
	s_cbranch_execz .LBB31_189
; %bb.178:
	s_mov_b32 s4, exec_lo
	v_cmpx_gt_f32_e32 0x41200000, v9
	s_cbranch_execz .LBB31_182
; %bb.179:
	s_mov_b32 s9, 0
	.p2align	6
.LBB31_180:                             ; =>This Inner Loop Header: Depth=1
	v_div_scale_f32 v3, null, v9, v9, 1.0
	v_div_scale_f32 v6, vcc_lo, 1.0, v9, 1.0
	v_rcp_f32_e32 v4, v3
	v_fma_f32 v5, -v3, v4, 1.0
	v_fmac_f32_e32 v4, v5, v4
	v_mul_f32_e32 v5, v6, v4
	v_fma_f32 v7, -v3, v5, v6
	v_fmac_f32_e32 v5, v7, v4
	v_fma_f32 v3, -v3, v5, v6
	v_div_fmas_f32 v3, v3, v4, v5
	v_div_fixup_f32 v3, v3, v9, 1.0
	v_add_f32_e32 v9, 1.0, v9
	v_sub_f32_e32 v2, v2, v3
	v_cmp_ngt_f32_e32 vcc_lo, 0x41200000, v9
	s_or_b32 s9, vcc_lo, s9
	s_andn2_b32 exec_lo, exec_lo, s9
	s_cbranch_execnz .LBB31_180
; %bb.181:
	s_or_b32 exec_lo, exec_lo, s9
.LBB31_182:
	s_or_b32 exec_lo, exec_lo, s4
                                        ; implicit-def: $vgpr3
	s_mov_b32 s4, exec_lo
	v_cmpx_neq_f32_e32 0x41200000, v9
	s_xor_b32 s9, exec_lo, s4
	s_cbranch_execz .LBB31_186
; %bb.183:
	v_cvt_f64_f32_e32 v[3:4], v9
	s_mov_b32 s10, 0x85d8a000
	s_mov_b32 s11, 0x43763457
	v_cmp_gt_f64_e32 vcc_lo, s[10:11], v[3:4]
	v_mov_b32_e32 v3, 0
	s_and_saveexec_b32 s4, vcc_lo
	s_cbranch_execz .LBB31_185
; %bb.184:
	v_mul_f32_e32 v3, v9, v9
	v_div_scale_f32 v4, null, v3, v3, 1.0
	v_rcp_f32_e32 v5, v4
	v_fma_f32 v6, -v4, v5, 1.0
	v_fmac_f32_e32 v5, v6, v5
	v_div_scale_f32 v6, vcc_lo, 1.0, v3, 1.0
	v_mul_f32_e32 v7, v6, v5
	v_fma_f32 v17, -v4, v7, v6
	v_fmac_f32_e32 v7, v17, v5
	v_fma_f32 v4, -v4, v7, v6
	v_div_fmas_f32 v4, v4, v5, v7
	v_div_fixup_f32 v3, v4, v3, 1.0
	v_fmaak_f32 v4, 0, v3, 0x3daaaaab
	v_fmaak_f32 v4, v3, v4, 0xbcaccacd
	;; [unrolled: 1-line block ×7, first 2 shown]
	v_mul_f32_e32 v3, v3, v4
.LBB31_185:
	s_or_b32 exec_lo, exec_lo, s4
	v_cmp_gt_f32_e32 vcc_lo, 0x800000, v9
	v_div_scale_f32 v4, null, v9, v9, -0.5
	v_div_scale_f32 v17, s4, -0.5, v9, -0.5
	v_cndmask_b32_e64 v5, 0, 32, vcc_lo
	v_rcp_f32_e32 v6, v4
	v_ldexp_f32 v5, v9, v5
	v_log_f32_e32 v5, v5
	v_fma_f32 v7, -v4, v6, 1.0
	v_fmac_f32_e32 v6, v7, v6
	v_mul_f32_e32 v7, 0x3f317217, v5
	v_mul_f32_e32 v18, v17, v6
	v_fma_f32 v7, 0x3f317217, v5, -v7
	v_fma_f32 v19, -v4, v18, v17
	v_fmamk_f32 v7, v5, 0x3377d1cf, v7
	v_fmac_f32_e32 v18, v19, v6
	v_cndmask_b32_e64 v19, 0, 0x41b17218, vcc_lo
	v_cmp_gt_f32_e64 vcc_lo, 0x7f800000, |v5|
	v_fmac_f32_e32 v7, 0x3f317217, v5
	v_fma_f32 v4, -v4, v18, v17
	v_cndmask_b32_e32 v5, v5, v7, vcc_lo
	s_mov_b32 vcc_lo, s4
	v_div_fmas_f32 v4, v4, v6, v18
	v_sub_f32_e32 v5, v5, v19
	v_div_fixup_f32 v4, v4, v9, -0.5
	v_add_f32_e32 v4, v5, v4
	v_sub_f32_e32 v3, v4, v3
	v_add_f32_e32 v2, v2, v3
	v_bfe_u32 v3, v2, 16, 1
	v_cmp_o_f32_e32 vcc_lo, v2, v2
	v_add3_u32 v2, v2, v3, 0x7fff
	v_mov_b32_e32 v3, 0x7fc0
	v_cndmask_b32_sdwa v3, v3, v2, vcc_lo dst_sel:DWORD dst_unused:UNUSED_PAD src0_sel:DWORD src1_sel:WORD_1
                                        ; implicit-def: $vgpr2
.LBB31_186:
	s_andn2_saveexec_b32 s4, s9
; %bb.187:
	v_add_f32_e32 v2, 0x40101cb7, v2
	v_bfe_u32 v3, v2, 16, 1
	v_cmp_o_f32_e32 vcc_lo, v2, v2
	v_add3_u32 v2, v2, v3, 0x7fff
	v_mov_b32_e32 v3, 0x7fc0
	v_cndmask_b32_sdwa v3, v3, v2, vcc_lo dst_sel:DWORD dst_unused:UNUSED_PAD src0_sel:DWORD src1_sel:WORD_1
; %bb.188:
	s_or_b32 exec_lo, exec_lo, s4
.LBB31_189:
	s_or_b32 exec_lo, exec_lo, s5
                                        ; implicit-def: $vgpr9
.LBB31_190:
	s_andn2_saveexec_b32 s4, s8
; %bb.191:
	v_xor_b32_e32 v2, 0x80000000, v9
	s_mov_b32 s5, 0x7f800000
	v_and_or_b32 v2, 0x80000000, v2, s5
	v_lshrrev_b32_e32 v3, 16, v2
; %bb.192:
	s_or_b32 exec_lo, exec_lo, s4
	v_add_co_u32 v0, vcc_lo, v0, s6
	v_add_co_ci_u32_e64 v1, null, s7, v1, vcc_lo
	v_perm_b32 v3, v3, v8, 0x5040100
	v_add_co_u32 v4, vcc_lo, v0, v12
	v_add_co_ci_u32_e64 v5, null, 0, v1, vcc_lo
	v_perm_b32 v2, v16, v15, 0x5040100
	v_perm_b32 v1, v11, v10, 0x5040100
	;; [unrolled: 1-line block ×3, first 2 shown]
	flat_store_dwordx4 v[4:5], v[0:3]
	s_waitcnt lgkmcnt(0)
	s_setpc_b64 s[30:31]
.Lfunc_end31:
	.size	_ZN2at6native25elementwise_kernel_helperILb0EZZZNS0_19digamma_kernel_cudaERNS_18TensorIteratorBaseEENKUlvE_clEvENKUlvE2_clEvEUlN3c108BFloat16EE_NS0_6memory8policies10vectorizedILi8ESt5arrayIPcLm2EELi8EEEEEvT0_T1_, .Lfunc_end31-_ZN2at6native25elementwise_kernel_helperILb0EZZZNS0_19digamma_kernel_cudaERNS_18TensorIteratorBaseEENKUlvE_clEvENKUlvE2_clEvEUlN3c108BFloat16EE_NS0_6memory8policies10vectorizedILi8ESt5arrayIPcLm2EELi8EEEEEvT0_T1_
                                        ; -- End function
	.set .L_ZN2at6native25elementwise_kernel_helperILb0EZZZNS0_19digamma_kernel_cudaERNS_18TensorIteratorBaseEENKUlvE_clEvENKUlvE2_clEvEUlN3c108BFloat16EE_NS0_6memory8policies10vectorizedILi8ESt5arrayIPcLm2EELi8EEEEEvT0_T1_.num_vgpr, 52
	.set .L_ZN2at6native25elementwise_kernel_helperILb0EZZZNS0_19digamma_kernel_cudaERNS_18TensorIteratorBaseEENKUlvE_clEvENKUlvE2_clEvEUlN3c108BFloat16EE_NS0_6memory8policies10vectorizedILi8ESt5arrayIPcLm2EELi8EEEEEvT0_T1_.num_agpr, 0
	.set .L_ZN2at6native25elementwise_kernel_helperILb0EZZZNS0_19digamma_kernel_cudaERNS_18TensorIteratorBaseEENKUlvE_clEvENKUlvE2_clEvEUlN3c108BFloat16EE_NS0_6memory8policies10vectorizedILi8ESt5arrayIPcLm2EELi8EEEEEvT0_T1_.numbered_sgpr, 32
	.set .L_ZN2at6native25elementwise_kernel_helperILb0EZZZNS0_19digamma_kernel_cudaERNS_18TensorIteratorBaseEENKUlvE_clEvENKUlvE2_clEvEUlN3c108BFloat16EE_NS0_6memory8policies10vectorizedILi8ESt5arrayIPcLm2EELi8EEEEEvT0_T1_.num_named_barrier, 0
	.set .L_ZN2at6native25elementwise_kernel_helperILb0EZZZNS0_19digamma_kernel_cudaERNS_18TensorIteratorBaseEENKUlvE_clEvENKUlvE2_clEvEUlN3c108BFloat16EE_NS0_6memory8policies10vectorizedILi8ESt5arrayIPcLm2EELi8EEEEEvT0_T1_.private_seg_size, 0
	.set .L_ZN2at6native25elementwise_kernel_helperILb0EZZZNS0_19digamma_kernel_cudaERNS_18TensorIteratorBaseEENKUlvE_clEvENKUlvE2_clEvEUlN3c108BFloat16EE_NS0_6memory8policies10vectorizedILi8ESt5arrayIPcLm2EELi8EEEEEvT0_T1_.uses_vcc, 1
	.set .L_ZN2at6native25elementwise_kernel_helperILb0EZZZNS0_19digamma_kernel_cudaERNS_18TensorIteratorBaseEENKUlvE_clEvENKUlvE2_clEvEUlN3c108BFloat16EE_NS0_6memory8policies10vectorizedILi8ESt5arrayIPcLm2EELi8EEEEEvT0_T1_.uses_flat_scratch, 0
	.set .L_ZN2at6native25elementwise_kernel_helperILb0EZZZNS0_19digamma_kernel_cudaERNS_18TensorIteratorBaseEENKUlvE_clEvENKUlvE2_clEvEUlN3c108BFloat16EE_NS0_6memory8policies10vectorizedILi8ESt5arrayIPcLm2EELi8EEEEEvT0_T1_.has_dyn_sized_stack, 0
	.set .L_ZN2at6native25elementwise_kernel_helperILb0EZZZNS0_19digamma_kernel_cudaERNS_18TensorIteratorBaseEENKUlvE_clEvENKUlvE2_clEvEUlN3c108BFloat16EE_NS0_6memory8policies10vectorizedILi8ESt5arrayIPcLm2EELi8EEEEEvT0_T1_.has_recursion, 0
	.set .L_ZN2at6native25elementwise_kernel_helperILb0EZZZNS0_19digamma_kernel_cudaERNS_18TensorIteratorBaseEENKUlvE_clEvENKUlvE2_clEvEUlN3c108BFloat16EE_NS0_6memory8policies10vectorizedILi8ESt5arrayIPcLm2EELi8EEEEEvT0_T1_.has_indirect_call, 0
	.section	.AMDGPU.csdata,"",@progbits
; Function info:
; codeLenInByte = 19604
; TotalNumSgprs: 34
; NumVgprs: 52
; ScratchSize: 0
; MemoryBound: 0
	.section	.text._ZN2at6native29vectorized_elementwise_kernelILi16EZZZNS0_19digamma_kernel_cudaERNS_18TensorIteratorBaseEENKUlvE_clEvENKUlvE2_clEvEUlN3c108BFloat16EE_St5arrayIPcLm2EEEEviT0_T1_,"axG",@progbits,_ZN2at6native29vectorized_elementwise_kernelILi16EZZZNS0_19digamma_kernel_cudaERNS_18TensorIteratorBaseEENKUlvE_clEvENKUlvE2_clEvEUlN3c108BFloat16EE_St5arrayIPcLm2EEEEviT0_T1_,comdat
	.globl	_ZN2at6native29vectorized_elementwise_kernelILi16EZZZNS0_19digamma_kernel_cudaERNS_18TensorIteratorBaseEENKUlvE_clEvENKUlvE2_clEvEUlN3c108BFloat16EE_St5arrayIPcLm2EEEEviT0_T1_ ; -- Begin function _ZN2at6native29vectorized_elementwise_kernelILi16EZZZNS0_19digamma_kernel_cudaERNS_18TensorIteratorBaseEENKUlvE_clEvENKUlvE2_clEvEUlN3c108BFloat16EE_St5arrayIPcLm2EEEEviT0_T1_
	.p2align	8
	.type	_ZN2at6native29vectorized_elementwise_kernelILi16EZZZNS0_19digamma_kernel_cudaERNS_18TensorIteratorBaseEENKUlvE_clEvENKUlvE2_clEvEUlN3c108BFloat16EE_St5arrayIPcLm2EEEEviT0_T1_,@function
_ZN2at6native29vectorized_elementwise_kernelILi16EZZZNS0_19digamma_kernel_cudaERNS_18TensorIteratorBaseEENKUlvE_clEvENKUlvE2_clEvEUlN3c108BFloat16EE_St5arrayIPcLm2EEEEviT0_T1_: ; @_ZN2at6native29vectorized_elementwise_kernelILi16EZZZNS0_19digamma_kernel_cudaERNS_18TensorIteratorBaseEENKUlvE_clEvENKUlvE2_clEvEUlN3c108BFloat16EE_St5arrayIPcLm2EEEEviT0_T1_
; %bb.0:
	s_mov_b32 s16, s6
	s_clause 0x1
	s_load_dword s6, s[4:5], 0x0
	s_load_dwordx4 s[20:23], s[4:5], 0x8
	s_add_u32 s0, s0, s7
	s_addc_u32 s1, s1, 0
	s_lshl_b32 s4, s16, 11
	v_mov_b32_e32 v40, v0
	s_mov_b32 s32, 0
	s_waitcnt lgkmcnt(0)
	s_sub_i32 s17, s6, s4
	s_mov_b32 s4, -1
	s_cmpk_gt_i32 s17, 0x7ff
	s_cbranch_scc1 .LBB32_3
; %bb.1:
	s_andn2_b32 vcc_lo, exec_lo, s4
	s_cbranch_vccz .LBB32_4
.LBB32_2:
	s_endpgm
.LBB32_3:
	v_mov_b32_e32 v31, v40
	v_mov_b32_e32 v0, s20
	;; [unrolled: 1-line block ×5, first 2 shown]
	s_getpc_b64 s[4:5]
	s_add_u32 s4, s4, _ZN2at6native25elementwise_kernel_helperILb0EZZZNS0_19digamma_kernel_cudaERNS_18TensorIteratorBaseEENKUlvE_clEvENKUlvE2_clEvEUlN3c108BFloat16EE_NS0_6memory8policies10vectorizedILi8ESt5arrayIPcLm2EELi8EEEEEvT0_T1_@rel32@lo+4
	s_addc_u32 s5, s5, _ZN2at6native25elementwise_kernel_helperILb0EZZZNS0_19digamma_kernel_cudaERNS_18TensorIteratorBaseEENKUlvE_clEvENKUlvE2_clEvEUlN3c108BFloat16EE_NS0_6memory8policies10vectorizedILi8ESt5arrayIPcLm2EELi8EEEEEvT0_T1_@rel32@hi+12
	s_mov_b32 s12, s16
	s_swappc_b64 s[30:31], s[4:5]
	s_cbranch_execnz .LBB32_2
.LBB32_4:
	v_mov_b32_e32 v31, v40
	v_mov_b32_e32 v0, s20
	;; [unrolled: 1-line block ×6, first 2 shown]
	s_getpc_b64 s[4:5]
	s_add_u32 s4, s4, _ZN2at6native25elementwise_kernel_helperILb0EZZZNS0_19digamma_kernel_cudaERNS_18TensorIteratorBaseEENKUlvE_clEvENKUlvE2_clEvEUlN3c108BFloat16EE_NS0_6memory8policies11unroll_baseILi256ESt5arrayIPcLm2EE23TrivialOffsetCalculatorILi1EjESG_NS9_15LoadWithoutCastENS9_16StoreWithoutCastELi8ELi1EEEEEvT0_T1_@rel32@lo+4
	s_addc_u32 s5, s5, _ZN2at6native25elementwise_kernel_helperILb0EZZZNS0_19digamma_kernel_cudaERNS_18TensorIteratorBaseEENKUlvE_clEvENKUlvE2_clEvEUlN3c108BFloat16EE_NS0_6memory8policies11unroll_baseILi256ESt5arrayIPcLm2EE23TrivialOffsetCalculatorILi1EjESG_NS9_15LoadWithoutCastENS9_16StoreWithoutCastELi8ELi1EEEEEvT0_T1_@rel32@hi+12
	s_mov_b32 s12, s16
	s_swappc_b64 s[30:31], s[4:5]
	s_endpgm
	.section	.rodata,"a",@progbits
	.p2align	6, 0x0
	.amdhsa_kernel _ZN2at6native29vectorized_elementwise_kernelILi16EZZZNS0_19digamma_kernel_cudaERNS_18TensorIteratorBaseEENKUlvE_clEvENKUlvE2_clEvEUlN3c108BFloat16EE_St5arrayIPcLm2EEEEviT0_T1_
		.amdhsa_group_segment_fixed_size 0
		.amdhsa_private_segment_fixed_size 0
		.amdhsa_kernarg_size 24
		.amdhsa_user_sgpr_count 6
		.amdhsa_user_sgpr_private_segment_buffer 1
		.amdhsa_user_sgpr_dispatch_ptr 0
		.amdhsa_user_sgpr_queue_ptr 0
		.amdhsa_user_sgpr_kernarg_segment_ptr 1
		.amdhsa_user_sgpr_dispatch_id 0
		.amdhsa_user_sgpr_flat_scratch_init 0
		.amdhsa_user_sgpr_private_segment_size 0
		.amdhsa_wavefront_size32 1
		.amdhsa_uses_dynamic_stack 0
		.amdhsa_system_sgpr_private_segment_wavefront_offset 0
		.amdhsa_system_sgpr_workgroup_id_x 1
		.amdhsa_system_sgpr_workgroup_id_y 0
		.amdhsa_system_sgpr_workgroup_id_z 0
		.amdhsa_system_sgpr_workgroup_info 0
		.amdhsa_system_vgpr_workitem_id 0
		.amdhsa_next_free_vgpr 66
		.amdhsa_next_free_sgpr 33
		.amdhsa_reserve_vcc 1
		.amdhsa_reserve_flat_scratch 0
		.amdhsa_float_round_mode_32 0
		.amdhsa_float_round_mode_16_64 0
		.amdhsa_float_denorm_mode_32 3
		.amdhsa_float_denorm_mode_16_64 3
		.amdhsa_dx10_clamp 1
		.amdhsa_ieee_mode 1
		.amdhsa_fp16_overflow 0
		.amdhsa_workgroup_processor_mode 1
		.amdhsa_memory_ordered 1
		.amdhsa_forward_progress 1
		.amdhsa_shared_vgpr_count 0
		.amdhsa_exception_fp_ieee_invalid_op 0
		.amdhsa_exception_fp_denorm_src 0
		.amdhsa_exception_fp_ieee_div_zero 0
		.amdhsa_exception_fp_ieee_overflow 0
		.amdhsa_exception_fp_ieee_underflow 0
		.amdhsa_exception_fp_ieee_inexact 0
		.amdhsa_exception_int_div_zero 0
	.end_amdhsa_kernel
	.section	.text._ZN2at6native29vectorized_elementwise_kernelILi16EZZZNS0_19digamma_kernel_cudaERNS_18TensorIteratorBaseEENKUlvE_clEvENKUlvE2_clEvEUlN3c108BFloat16EE_St5arrayIPcLm2EEEEviT0_T1_,"axG",@progbits,_ZN2at6native29vectorized_elementwise_kernelILi16EZZZNS0_19digamma_kernel_cudaERNS_18TensorIteratorBaseEENKUlvE_clEvENKUlvE2_clEvEUlN3c108BFloat16EE_St5arrayIPcLm2EEEEviT0_T1_,comdat
.Lfunc_end32:
	.size	_ZN2at6native29vectorized_elementwise_kernelILi16EZZZNS0_19digamma_kernel_cudaERNS_18TensorIteratorBaseEENKUlvE_clEvENKUlvE2_clEvEUlN3c108BFloat16EE_St5arrayIPcLm2EEEEviT0_T1_, .Lfunc_end32-_ZN2at6native29vectorized_elementwise_kernelILi16EZZZNS0_19digamma_kernel_cudaERNS_18TensorIteratorBaseEENKUlvE_clEvENKUlvE2_clEvEUlN3c108BFloat16EE_St5arrayIPcLm2EEEEviT0_T1_
                                        ; -- End function
	.set _ZN2at6native29vectorized_elementwise_kernelILi16EZZZNS0_19digamma_kernel_cudaERNS_18TensorIteratorBaseEENKUlvE_clEvENKUlvE2_clEvEUlN3c108BFloat16EE_St5arrayIPcLm2EEEEviT0_T1_.num_vgpr, max(41, .L_ZN2at6native25elementwise_kernel_helperILb0EZZZNS0_19digamma_kernel_cudaERNS_18TensorIteratorBaseEENKUlvE_clEvENKUlvE2_clEvEUlN3c108BFloat16EE_NS0_6memory8policies10vectorizedILi8ESt5arrayIPcLm2EELi8EEEEEvT0_T1_.num_vgpr, .L_ZN2at6native25elementwise_kernel_helperILb0EZZZNS0_19digamma_kernel_cudaERNS_18TensorIteratorBaseEENKUlvE_clEvENKUlvE2_clEvEUlN3c108BFloat16EE_NS0_6memory8policies11unroll_baseILi256ESt5arrayIPcLm2EE23TrivialOffsetCalculatorILi1EjESG_NS9_15LoadWithoutCastENS9_16StoreWithoutCastELi8ELi1EEEEEvT0_T1_.num_vgpr)
	.set _ZN2at6native29vectorized_elementwise_kernelILi16EZZZNS0_19digamma_kernel_cudaERNS_18TensorIteratorBaseEENKUlvE_clEvENKUlvE2_clEvEUlN3c108BFloat16EE_St5arrayIPcLm2EEEEviT0_T1_.num_agpr, max(0, .L_ZN2at6native25elementwise_kernel_helperILb0EZZZNS0_19digamma_kernel_cudaERNS_18TensorIteratorBaseEENKUlvE_clEvENKUlvE2_clEvEUlN3c108BFloat16EE_NS0_6memory8policies10vectorizedILi8ESt5arrayIPcLm2EELi8EEEEEvT0_T1_.num_agpr, .L_ZN2at6native25elementwise_kernel_helperILb0EZZZNS0_19digamma_kernel_cudaERNS_18TensorIteratorBaseEENKUlvE_clEvENKUlvE2_clEvEUlN3c108BFloat16EE_NS0_6memory8policies11unroll_baseILi256ESt5arrayIPcLm2EE23TrivialOffsetCalculatorILi1EjESG_NS9_15LoadWithoutCastENS9_16StoreWithoutCastELi8ELi1EEEEEvT0_T1_.num_agpr)
	.set _ZN2at6native29vectorized_elementwise_kernelILi16EZZZNS0_19digamma_kernel_cudaERNS_18TensorIteratorBaseEENKUlvE_clEvENKUlvE2_clEvEUlN3c108BFloat16EE_St5arrayIPcLm2EEEEviT0_T1_.numbered_sgpr, max(33, .L_ZN2at6native25elementwise_kernel_helperILb0EZZZNS0_19digamma_kernel_cudaERNS_18TensorIteratorBaseEENKUlvE_clEvENKUlvE2_clEvEUlN3c108BFloat16EE_NS0_6memory8policies10vectorizedILi8ESt5arrayIPcLm2EELi8EEEEEvT0_T1_.numbered_sgpr, .L_ZN2at6native25elementwise_kernel_helperILb0EZZZNS0_19digamma_kernel_cudaERNS_18TensorIteratorBaseEENKUlvE_clEvENKUlvE2_clEvEUlN3c108BFloat16EE_NS0_6memory8policies11unroll_baseILi256ESt5arrayIPcLm2EE23TrivialOffsetCalculatorILi1EjESG_NS9_15LoadWithoutCastENS9_16StoreWithoutCastELi8ELi1EEEEEvT0_T1_.numbered_sgpr)
	.set _ZN2at6native29vectorized_elementwise_kernelILi16EZZZNS0_19digamma_kernel_cudaERNS_18TensorIteratorBaseEENKUlvE_clEvENKUlvE2_clEvEUlN3c108BFloat16EE_St5arrayIPcLm2EEEEviT0_T1_.num_named_barrier, max(0, .L_ZN2at6native25elementwise_kernel_helperILb0EZZZNS0_19digamma_kernel_cudaERNS_18TensorIteratorBaseEENKUlvE_clEvENKUlvE2_clEvEUlN3c108BFloat16EE_NS0_6memory8policies10vectorizedILi8ESt5arrayIPcLm2EELi8EEEEEvT0_T1_.num_named_barrier, .L_ZN2at6native25elementwise_kernel_helperILb0EZZZNS0_19digamma_kernel_cudaERNS_18TensorIteratorBaseEENKUlvE_clEvENKUlvE2_clEvEUlN3c108BFloat16EE_NS0_6memory8policies11unroll_baseILi256ESt5arrayIPcLm2EE23TrivialOffsetCalculatorILi1EjESG_NS9_15LoadWithoutCastENS9_16StoreWithoutCastELi8ELi1EEEEEvT0_T1_.num_named_barrier)
	.set _ZN2at6native29vectorized_elementwise_kernelILi16EZZZNS0_19digamma_kernel_cudaERNS_18TensorIteratorBaseEENKUlvE_clEvENKUlvE2_clEvEUlN3c108BFloat16EE_St5arrayIPcLm2EEEEviT0_T1_.private_seg_size, 0+max(.L_ZN2at6native25elementwise_kernel_helperILb0EZZZNS0_19digamma_kernel_cudaERNS_18TensorIteratorBaseEENKUlvE_clEvENKUlvE2_clEvEUlN3c108BFloat16EE_NS0_6memory8policies10vectorizedILi8ESt5arrayIPcLm2EELi8EEEEEvT0_T1_.private_seg_size, .L_ZN2at6native25elementwise_kernel_helperILb0EZZZNS0_19digamma_kernel_cudaERNS_18TensorIteratorBaseEENKUlvE_clEvENKUlvE2_clEvEUlN3c108BFloat16EE_NS0_6memory8policies11unroll_baseILi256ESt5arrayIPcLm2EE23TrivialOffsetCalculatorILi1EjESG_NS9_15LoadWithoutCastENS9_16StoreWithoutCastELi8ELi1EEEEEvT0_T1_.private_seg_size)
	.set _ZN2at6native29vectorized_elementwise_kernelILi16EZZZNS0_19digamma_kernel_cudaERNS_18TensorIteratorBaseEENKUlvE_clEvENKUlvE2_clEvEUlN3c108BFloat16EE_St5arrayIPcLm2EEEEviT0_T1_.uses_vcc, or(1, .L_ZN2at6native25elementwise_kernel_helperILb0EZZZNS0_19digamma_kernel_cudaERNS_18TensorIteratorBaseEENKUlvE_clEvENKUlvE2_clEvEUlN3c108BFloat16EE_NS0_6memory8policies10vectorizedILi8ESt5arrayIPcLm2EELi8EEEEEvT0_T1_.uses_vcc, .L_ZN2at6native25elementwise_kernel_helperILb0EZZZNS0_19digamma_kernel_cudaERNS_18TensorIteratorBaseEENKUlvE_clEvENKUlvE2_clEvEUlN3c108BFloat16EE_NS0_6memory8policies11unroll_baseILi256ESt5arrayIPcLm2EE23TrivialOffsetCalculatorILi1EjESG_NS9_15LoadWithoutCastENS9_16StoreWithoutCastELi8ELi1EEEEEvT0_T1_.uses_vcc)
	.set _ZN2at6native29vectorized_elementwise_kernelILi16EZZZNS0_19digamma_kernel_cudaERNS_18TensorIteratorBaseEENKUlvE_clEvENKUlvE2_clEvEUlN3c108BFloat16EE_St5arrayIPcLm2EEEEviT0_T1_.uses_flat_scratch, or(0, .L_ZN2at6native25elementwise_kernel_helperILb0EZZZNS0_19digamma_kernel_cudaERNS_18TensorIteratorBaseEENKUlvE_clEvENKUlvE2_clEvEUlN3c108BFloat16EE_NS0_6memory8policies10vectorizedILi8ESt5arrayIPcLm2EELi8EEEEEvT0_T1_.uses_flat_scratch, .L_ZN2at6native25elementwise_kernel_helperILb0EZZZNS0_19digamma_kernel_cudaERNS_18TensorIteratorBaseEENKUlvE_clEvENKUlvE2_clEvEUlN3c108BFloat16EE_NS0_6memory8policies11unroll_baseILi256ESt5arrayIPcLm2EE23TrivialOffsetCalculatorILi1EjESG_NS9_15LoadWithoutCastENS9_16StoreWithoutCastELi8ELi1EEEEEvT0_T1_.uses_flat_scratch)
	.set _ZN2at6native29vectorized_elementwise_kernelILi16EZZZNS0_19digamma_kernel_cudaERNS_18TensorIteratorBaseEENKUlvE_clEvENKUlvE2_clEvEUlN3c108BFloat16EE_St5arrayIPcLm2EEEEviT0_T1_.has_dyn_sized_stack, or(0, .L_ZN2at6native25elementwise_kernel_helperILb0EZZZNS0_19digamma_kernel_cudaERNS_18TensorIteratorBaseEENKUlvE_clEvENKUlvE2_clEvEUlN3c108BFloat16EE_NS0_6memory8policies10vectorizedILi8ESt5arrayIPcLm2EELi8EEEEEvT0_T1_.has_dyn_sized_stack, .L_ZN2at6native25elementwise_kernel_helperILb0EZZZNS0_19digamma_kernel_cudaERNS_18TensorIteratorBaseEENKUlvE_clEvENKUlvE2_clEvEUlN3c108BFloat16EE_NS0_6memory8policies11unroll_baseILi256ESt5arrayIPcLm2EE23TrivialOffsetCalculatorILi1EjESG_NS9_15LoadWithoutCastENS9_16StoreWithoutCastELi8ELi1EEEEEvT0_T1_.has_dyn_sized_stack)
	.set _ZN2at6native29vectorized_elementwise_kernelILi16EZZZNS0_19digamma_kernel_cudaERNS_18TensorIteratorBaseEENKUlvE_clEvENKUlvE2_clEvEUlN3c108BFloat16EE_St5arrayIPcLm2EEEEviT0_T1_.has_recursion, or(0, .L_ZN2at6native25elementwise_kernel_helperILb0EZZZNS0_19digamma_kernel_cudaERNS_18TensorIteratorBaseEENKUlvE_clEvENKUlvE2_clEvEUlN3c108BFloat16EE_NS0_6memory8policies10vectorizedILi8ESt5arrayIPcLm2EELi8EEEEEvT0_T1_.has_recursion, .L_ZN2at6native25elementwise_kernel_helperILb0EZZZNS0_19digamma_kernel_cudaERNS_18TensorIteratorBaseEENKUlvE_clEvENKUlvE2_clEvEUlN3c108BFloat16EE_NS0_6memory8policies11unroll_baseILi256ESt5arrayIPcLm2EE23TrivialOffsetCalculatorILi1EjESG_NS9_15LoadWithoutCastENS9_16StoreWithoutCastELi8ELi1EEEEEvT0_T1_.has_recursion)
	.set _ZN2at6native29vectorized_elementwise_kernelILi16EZZZNS0_19digamma_kernel_cudaERNS_18TensorIteratorBaseEENKUlvE_clEvENKUlvE2_clEvEUlN3c108BFloat16EE_St5arrayIPcLm2EEEEviT0_T1_.has_indirect_call, or(0, .L_ZN2at6native25elementwise_kernel_helperILb0EZZZNS0_19digamma_kernel_cudaERNS_18TensorIteratorBaseEENKUlvE_clEvENKUlvE2_clEvEUlN3c108BFloat16EE_NS0_6memory8policies10vectorizedILi8ESt5arrayIPcLm2EELi8EEEEEvT0_T1_.has_indirect_call, .L_ZN2at6native25elementwise_kernel_helperILb0EZZZNS0_19digamma_kernel_cudaERNS_18TensorIteratorBaseEENKUlvE_clEvENKUlvE2_clEvEUlN3c108BFloat16EE_NS0_6memory8policies11unroll_baseILi256ESt5arrayIPcLm2EE23TrivialOffsetCalculatorILi1EjESG_NS9_15LoadWithoutCastENS9_16StoreWithoutCastELi8ELi1EEEEEvT0_T1_.has_indirect_call)
	.section	.AMDGPU.csdata,"",@progbits
; Kernel info:
; codeLenInByte = 184
; TotalNumSgprs: 35
; NumVgprs: 66
; ScratchSize: 0
; MemoryBound: 0
; FloatMode: 240
; IeeeMode: 1
; LDSByteSize: 0 bytes/workgroup (compile time only)
; SGPRBlocks: 0
; VGPRBlocks: 8
; NumSGPRsForWavesPerEU: 35
; NumVGPRsForWavesPerEU: 66
; Occupancy: 12
; WaveLimiterHint : 0
; COMPUTE_PGM_RSRC2:SCRATCH_EN: 0
; COMPUTE_PGM_RSRC2:USER_SGPR: 6
; COMPUTE_PGM_RSRC2:TRAP_HANDLER: 0
; COMPUTE_PGM_RSRC2:TGID_X_EN: 1
; COMPUTE_PGM_RSRC2:TGID_Y_EN: 0
; COMPUTE_PGM_RSRC2:TGID_Z_EN: 0
; COMPUTE_PGM_RSRC2:TIDIG_COMP_CNT: 0
	.section	.text._ZN2at6native29vectorized_elementwise_kernelILi8EZZZNS0_19digamma_kernel_cudaERNS_18TensorIteratorBaseEENKUlvE_clEvENKUlvE2_clEvEUlN3c108BFloat16EE_St5arrayIPcLm2EEEEviT0_T1_,"axG",@progbits,_ZN2at6native29vectorized_elementwise_kernelILi8EZZZNS0_19digamma_kernel_cudaERNS_18TensorIteratorBaseEENKUlvE_clEvENKUlvE2_clEvEUlN3c108BFloat16EE_St5arrayIPcLm2EEEEviT0_T1_,comdat
	.globl	_ZN2at6native29vectorized_elementwise_kernelILi8EZZZNS0_19digamma_kernel_cudaERNS_18TensorIteratorBaseEENKUlvE_clEvENKUlvE2_clEvEUlN3c108BFloat16EE_St5arrayIPcLm2EEEEviT0_T1_ ; -- Begin function _ZN2at6native29vectorized_elementwise_kernelILi8EZZZNS0_19digamma_kernel_cudaERNS_18TensorIteratorBaseEENKUlvE_clEvENKUlvE2_clEvEUlN3c108BFloat16EE_St5arrayIPcLm2EEEEviT0_T1_
	.p2align	8
	.type	_ZN2at6native29vectorized_elementwise_kernelILi8EZZZNS0_19digamma_kernel_cudaERNS_18TensorIteratorBaseEENKUlvE_clEvENKUlvE2_clEvEUlN3c108BFloat16EE_St5arrayIPcLm2EEEEviT0_T1_,@function
_ZN2at6native29vectorized_elementwise_kernelILi8EZZZNS0_19digamma_kernel_cudaERNS_18TensorIteratorBaseEENKUlvE_clEvENKUlvE2_clEvEUlN3c108BFloat16EE_St5arrayIPcLm2EEEEviT0_T1_: ; @_ZN2at6native29vectorized_elementwise_kernelILi8EZZZNS0_19digamma_kernel_cudaERNS_18TensorIteratorBaseEENKUlvE_clEvENKUlvE2_clEvEUlN3c108BFloat16EE_St5arrayIPcLm2EEEEviT0_T1_
; %bb.0:
	s_mov_b32 s16, s6
	s_clause 0x1
	s_load_dword s6, s[4:5], 0x0
	s_load_dwordx4 s[20:23], s[4:5], 0x8
	s_add_u32 s0, s0, s7
	s_addc_u32 s1, s1, 0
	s_lshl_b32 s4, s16, 11
	v_mov_b32_e32 v40, v0
	s_mov_b32 s32, 0
	s_waitcnt lgkmcnt(0)
	s_sub_i32 s17, s6, s4
	s_mov_b32 s4, -1
	s_cmpk_gt_i32 s17, 0x7ff
	s_cbranch_scc1 .LBB33_3
; %bb.1:
	s_andn2_b32 vcc_lo, exec_lo, s4
	s_cbranch_vccz .LBB33_4
.LBB33_2:
	s_endpgm
.LBB33_3:
	v_mov_b32_e32 v31, v40
	v_mov_b32_e32 v0, s20
	v_mov_b32_e32 v1, s21
	v_mov_b32_e32 v2, s22
	v_mov_b32_e32 v3, s23
	s_getpc_b64 s[4:5]
	s_add_u32 s4, s4, _ZN2at6native25elementwise_kernel_helperILb0EZZZNS0_19digamma_kernel_cudaERNS_18TensorIteratorBaseEENKUlvE_clEvENKUlvE2_clEvEUlN3c108BFloat16EE_NS0_6memory8policies10vectorizedILi8ESt5arrayIPcLm2EELi8EEEEEvT0_T1_@rel32@lo+4
	s_addc_u32 s5, s5, _ZN2at6native25elementwise_kernel_helperILb0EZZZNS0_19digamma_kernel_cudaERNS_18TensorIteratorBaseEENKUlvE_clEvENKUlvE2_clEvEUlN3c108BFloat16EE_NS0_6memory8policies10vectorizedILi8ESt5arrayIPcLm2EELi8EEEEEvT0_T1_@rel32@hi+12
	s_mov_b32 s12, s16
	s_swappc_b64 s[30:31], s[4:5]
	s_cbranch_execnz .LBB33_2
.LBB33_4:
	v_mov_b32_e32 v31, v40
	v_mov_b32_e32 v0, s20
	;; [unrolled: 1-line block ×6, first 2 shown]
	s_getpc_b64 s[4:5]
	s_add_u32 s4, s4, _ZN2at6native25elementwise_kernel_helperILb0EZZZNS0_19digamma_kernel_cudaERNS_18TensorIteratorBaseEENKUlvE_clEvENKUlvE2_clEvEUlN3c108BFloat16EE_NS0_6memory8policies11unroll_baseILi256ESt5arrayIPcLm2EE23TrivialOffsetCalculatorILi1EjESG_NS9_15LoadWithoutCastENS9_16StoreWithoutCastELi8ELi1EEEEEvT0_T1_@rel32@lo+4
	s_addc_u32 s5, s5, _ZN2at6native25elementwise_kernel_helperILb0EZZZNS0_19digamma_kernel_cudaERNS_18TensorIteratorBaseEENKUlvE_clEvENKUlvE2_clEvEUlN3c108BFloat16EE_NS0_6memory8policies11unroll_baseILi256ESt5arrayIPcLm2EE23TrivialOffsetCalculatorILi1EjESG_NS9_15LoadWithoutCastENS9_16StoreWithoutCastELi8ELi1EEEEEvT0_T1_@rel32@hi+12
	s_mov_b32 s12, s16
	s_swappc_b64 s[30:31], s[4:5]
	s_endpgm
	.section	.rodata,"a",@progbits
	.p2align	6, 0x0
	.amdhsa_kernel _ZN2at6native29vectorized_elementwise_kernelILi8EZZZNS0_19digamma_kernel_cudaERNS_18TensorIteratorBaseEENKUlvE_clEvENKUlvE2_clEvEUlN3c108BFloat16EE_St5arrayIPcLm2EEEEviT0_T1_
		.amdhsa_group_segment_fixed_size 0
		.amdhsa_private_segment_fixed_size 0
		.amdhsa_kernarg_size 24
		.amdhsa_user_sgpr_count 6
		.amdhsa_user_sgpr_private_segment_buffer 1
		.amdhsa_user_sgpr_dispatch_ptr 0
		.amdhsa_user_sgpr_queue_ptr 0
		.amdhsa_user_sgpr_kernarg_segment_ptr 1
		.amdhsa_user_sgpr_dispatch_id 0
		.amdhsa_user_sgpr_flat_scratch_init 0
		.amdhsa_user_sgpr_private_segment_size 0
		.amdhsa_wavefront_size32 1
		.amdhsa_uses_dynamic_stack 0
		.amdhsa_system_sgpr_private_segment_wavefront_offset 0
		.amdhsa_system_sgpr_workgroup_id_x 1
		.amdhsa_system_sgpr_workgroup_id_y 0
		.amdhsa_system_sgpr_workgroup_id_z 0
		.amdhsa_system_sgpr_workgroup_info 0
		.amdhsa_system_vgpr_workitem_id 0
		.amdhsa_next_free_vgpr 66
		.amdhsa_next_free_sgpr 33
		.amdhsa_reserve_vcc 1
		.amdhsa_reserve_flat_scratch 0
		.amdhsa_float_round_mode_32 0
		.amdhsa_float_round_mode_16_64 0
		.amdhsa_float_denorm_mode_32 3
		.amdhsa_float_denorm_mode_16_64 3
		.amdhsa_dx10_clamp 1
		.amdhsa_ieee_mode 1
		.amdhsa_fp16_overflow 0
		.amdhsa_workgroup_processor_mode 1
		.amdhsa_memory_ordered 1
		.amdhsa_forward_progress 1
		.amdhsa_shared_vgpr_count 0
		.amdhsa_exception_fp_ieee_invalid_op 0
		.amdhsa_exception_fp_denorm_src 0
		.amdhsa_exception_fp_ieee_div_zero 0
		.amdhsa_exception_fp_ieee_overflow 0
		.amdhsa_exception_fp_ieee_underflow 0
		.amdhsa_exception_fp_ieee_inexact 0
		.amdhsa_exception_int_div_zero 0
	.end_amdhsa_kernel
	.section	.text._ZN2at6native29vectorized_elementwise_kernelILi8EZZZNS0_19digamma_kernel_cudaERNS_18TensorIteratorBaseEENKUlvE_clEvENKUlvE2_clEvEUlN3c108BFloat16EE_St5arrayIPcLm2EEEEviT0_T1_,"axG",@progbits,_ZN2at6native29vectorized_elementwise_kernelILi8EZZZNS0_19digamma_kernel_cudaERNS_18TensorIteratorBaseEENKUlvE_clEvENKUlvE2_clEvEUlN3c108BFloat16EE_St5arrayIPcLm2EEEEviT0_T1_,comdat
.Lfunc_end33:
	.size	_ZN2at6native29vectorized_elementwise_kernelILi8EZZZNS0_19digamma_kernel_cudaERNS_18TensorIteratorBaseEENKUlvE_clEvENKUlvE2_clEvEUlN3c108BFloat16EE_St5arrayIPcLm2EEEEviT0_T1_, .Lfunc_end33-_ZN2at6native29vectorized_elementwise_kernelILi8EZZZNS0_19digamma_kernel_cudaERNS_18TensorIteratorBaseEENKUlvE_clEvENKUlvE2_clEvEUlN3c108BFloat16EE_St5arrayIPcLm2EEEEviT0_T1_
                                        ; -- End function
	.set _ZN2at6native29vectorized_elementwise_kernelILi8EZZZNS0_19digamma_kernel_cudaERNS_18TensorIteratorBaseEENKUlvE_clEvENKUlvE2_clEvEUlN3c108BFloat16EE_St5arrayIPcLm2EEEEviT0_T1_.num_vgpr, max(41, .L_ZN2at6native25elementwise_kernel_helperILb0EZZZNS0_19digamma_kernel_cudaERNS_18TensorIteratorBaseEENKUlvE_clEvENKUlvE2_clEvEUlN3c108BFloat16EE_NS0_6memory8policies10vectorizedILi8ESt5arrayIPcLm2EELi8EEEEEvT0_T1_.num_vgpr, .L_ZN2at6native25elementwise_kernel_helperILb0EZZZNS0_19digamma_kernel_cudaERNS_18TensorIteratorBaseEENKUlvE_clEvENKUlvE2_clEvEUlN3c108BFloat16EE_NS0_6memory8policies11unroll_baseILi256ESt5arrayIPcLm2EE23TrivialOffsetCalculatorILi1EjESG_NS9_15LoadWithoutCastENS9_16StoreWithoutCastELi8ELi1EEEEEvT0_T1_.num_vgpr)
	.set _ZN2at6native29vectorized_elementwise_kernelILi8EZZZNS0_19digamma_kernel_cudaERNS_18TensorIteratorBaseEENKUlvE_clEvENKUlvE2_clEvEUlN3c108BFloat16EE_St5arrayIPcLm2EEEEviT0_T1_.num_agpr, max(0, .L_ZN2at6native25elementwise_kernel_helperILb0EZZZNS0_19digamma_kernel_cudaERNS_18TensorIteratorBaseEENKUlvE_clEvENKUlvE2_clEvEUlN3c108BFloat16EE_NS0_6memory8policies10vectorizedILi8ESt5arrayIPcLm2EELi8EEEEEvT0_T1_.num_agpr, .L_ZN2at6native25elementwise_kernel_helperILb0EZZZNS0_19digamma_kernel_cudaERNS_18TensorIteratorBaseEENKUlvE_clEvENKUlvE2_clEvEUlN3c108BFloat16EE_NS0_6memory8policies11unroll_baseILi256ESt5arrayIPcLm2EE23TrivialOffsetCalculatorILi1EjESG_NS9_15LoadWithoutCastENS9_16StoreWithoutCastELi8ELi1EEEEEvT0_T1_.num_agpr)
	.set _ZN2at6native29vectorized_elementwise_kernelILi8EZZZNS0_19digamma_kernel_cudaERNS_18TensorIteratorBaseEENKUlvE_clEvENKUlvE2_clEvEUlN3c108BFloat16EE_St5arrayIPcLm2EEEEviT0_T1_.numbered_sgpr, max(33, .L_ZN2at6native25elementwise_kernel_helperILb0EZZZNS0_19digamma_kernel_cudaERNS_18TensorIteratorBaseEENKUlvE_clEvENKUlvE2_clEvEUlN3c108BFloat16EE_NS0_6memory8policies10vectorizedILi8ESt5arrayIPcLm2EELi8EEEEEvT0_T1_.numbered_sgpr, .L_ZN2at6native25elementwise_kernel_helperILb0EZZZNS0_19digamma_kernel_cudaERNS_18TensorIteratorBaseEENKUlvE_clEvENKUlvE2_clEvEUlN3c108BFloat16EE_NS0_6memory8policies11unroll_baseILi256ESt5arrayIPcLm2EE23TrivialOffsetCalculatorILi1EjESG_NS9_15LoadWithoutCastENS9_16StoreWithoutCastELi8ELi1EEEEEvT0_T1_.numbered_sgpr)
	.set _ZN2at6native29vectorized_elementwise_kernelILi8EZZZNS0_19digamma_kernel_cudaERNS_18TensorIteratorBaseEENKUlvE_clEvENKUlvE2_clEvEUlN3c108BFloat16EE_St5arrayIPcLm2EEEEviT0_T1_.num_named_barrier, max(0, .L_ZN2at6native25elementwise_kernel_helperILb0EZZZNS0_19digamma_kernel_cudaERNS_18TensorIteratorBaseEENKUlvE_clEvENKUlvE2_clEvEUlN3c108BFloat16EE_NS0_6memory8policies10vectorizedILi8ESt5arrayIPcLm2EELi8EEEEEvT0_T1_.num_named_barrier, .L_ZN2at6native25elementwise_kernel_helperILb0EZZZNS0_19digamma_kernel_cudaERNS_18TensorIteratorBaseEENKUlvE_clEvENKUlvE2_clEvEUlN3c108BFloat16EE_NS0_6memory8policies11unroll_baseILi256ESt5arrayIPcLm2EE23TrivialOffsetCalculatorILi1EjESG_NS9_15LoadWithoutCastENS9_16StoreWithoutCastELi8ELi1EEEEEvT0_T1_.num_named_barrier)
	.set _ZN2at6native29vectorized_elementwise_kernelILi8EZZZNS0_19digamma_kernel_cudaERNS_18TensorIteratorBaseEENKUlvE_clEvENKUlvE2_clEvEUlN3c108BFloat16EE_St5arrayIPcLm2EEEEviT0_T1_.private_seg_size, 0+max(.L_ZN2at6native25elementwise_kernel_helperILb0EZZZNS0_19digamma_kernel_cudaERNS_18TensorIteratorBaseEENKUlvE_clEvENKUlvE2_clEvEUlN3c108BFloat16EE_NS0_6memory8policies10vectorizedILi8ESt5arrayIPcLm2EELi8EEEEEvT0_T1_.private_seg_size, .L_ZN2at6native25elementwise_kernel_helperILb0EZZZNS0_19digamma_kernel_cudaERNS_18TensorIteratorBaseEENKUlvE_clEvENKUlvE2_clEvEUlN3c108BFloat16EE_NS0_6memory8policies11unroll_baseILi256ESt5arrayIPcLm2EE23TrivialOffsetCalculatorILi1EjESG_NS9_15LoadWithoutCastENS9_16StoreWithoutCastELi8ELi1EEEEEvT0_T1_.private_seg_size)
	.set _ZN2at6native29vectorized_elementwise_kernelILi8EZZZNS0_19digamma_kernel_cudaERNS_18TensorIteratorBaseEENKUlvE_clEvENKUlvE2_clEvEUlN3c108BFloat16EE_St5arrayIPcLm2EEEEviT0_T1_.uses_vcc, or(1, .L_ZN2at6native25elementwise_kernel_helperILb0EZZZNS0_19digamma_kernel_cudaERNS_18TensorIteratorBaseEENKUlvE_clEvENKUlvE2_clEvEUlN3c108BFloat16EE_NS0_6memory8policies10vectorizedILi8ESt5arrayIPcLm2EELi8EEEEEvT0_T1_.uses_vcc, .L_ZN2at6native25elementwise_kernel_helperILb0EZZZNS0_19digamma_kernel_cudaERNS_18TensorIteratorBaseEENKUlvE_clEvENKUlvE2_clEvEUlN3c108BFloat16EE_NS0_6memory8policies11unroll_baseILi256ESt5arrayIPcLm2EE23TrivialOffsetCalculatorILi1EjESG_NS9_15LoadWithoutCastENS9_16StoreWithoutCastELi8ELi1EEEEEvT0_T1_.uses_vcc)
	.set _ZN2at6native29vectorized_elementwise_kernelILi8EZZZNS0_19digamma_kernel_cudaERNS_18TensorIteratorBaseEENKUlvE_clEvENKUlvE2_clEvEUlN3c108BFloat16EE_St5arrayIPcLm2EEEEviT0_T1_.uses_flat_scratch, or(0, .L_ZN2at6native25elementwise_kernel_helperILb0EZZZNS0_19digamma_kernel_cudaERNS_18TensorIteratorBaseEENKUlvE_clEvENKUlvE2_clEvEUlN3c108BFloat16EE_NS0_6memory8policies10vectorizedILi8ESt5arrayIPcLm2EELi8EEEEEvT0_T1_.uses_flat_scratch, .L_ZN2at6native25elementwise_kernel_helperILb0EZZZNS0_19digamma_kernel_cudaERNS_18TensorIteratorBaseEENKUlvE_clEvENKUlvE2_clEvEUlN3c108BFloat16EE_NS0_6memory8policies11unroll_baseILi256ESt5arrayIPcLm2EE23TrivialOffsetCalculatorILi1EjESG_NS9_15LoadWithoutCastENS9_16StoreWithoutCastELi8ELi1EEEEEvT0_T1_.uses_flat_scratch)
	.set _ZN2at6native29vectorized_elementwise_kernelILi8EZZZNS0_19digamma_kernel_cudaERNS_18TensorIteratorBaseEENKUlvE_clEvENKUlvE2_clEvEUlN3c108BFloat16EE_St5arrayIPcLm2EEEEviT0_T1_.has_dyn_sized_stack, or(0, .L_ZN2at6native25elementwise_kernel_helperILb0EZZZNS0_19digamma_kernel_cudaERNS_18TensorIteratorBaseEENKUlvE_clEvENKUlvE2_clEvEUlN3c108BFloat16EE_NS0_6memory8policies10vectorizedILi8ESt5arrayIPcLm2EELi8EEEEEvT0_T1_.has_dyn_sized_stack, .L_ZN2at6native25elementwise_kernel_helperILb0EZZZNS0_19digamma_kernel_cudaERNS_18TensorIteratorBaseEENKUlvE_clEvENKUlvE2_clEvEUlN3c108BFloat16EE_NS0_6memory8policies11unroll_baseILi256ESt5arrayIPcLm2EE23TrivialOffsetCalculatorILi1EjESG_NS9_15LoadWithoutCastENS9_16StoreWithoutCastELi8ELi1EEEEEvT0_T1_.has_dyn_sized_stack)
	.set _ZN2at6native29vectorized_elementwise_kernelILi8EZZZNS0_19digamma_kernel_cudaERNS_18TensorIteratorBaseEENKUlvE_clEvENKUlvE2_clEvEUlN3c108BFloat16EE_St5arrayIPcLm2EEEEviT0_T1_.has_recursion, or(0, .L_ZN2at6native25elementwise_kernel_helperILb0EZZZNS0_19digamma_kernel_cudaERNS_18TensorIteratorBaseEENKUlvE_clEvENKUlvE2_clEvEUlN3c108BFloat16EE_NS0_6memory8policies10vectorizedILi8ESt5arrayIPcLm2EELi8EEEEEvT0_T1_.has_recursion, .L_ZN2at6native25elementwise_kernel_helperILb0EZZZNS0_19digamma_kernel_cudaERNS_18TensorIteratorBaseEENKUlvE_clEvENKUlvE2_clEvEUlN3c108BFloat16EE_NS0_6memory8policies11unroll_baseILi256ESt5arrayIPcLm2EE23TrivialOffsetCalculatorILi1EjESG_NS9_15LoadWithoutCastENS9_16StoreWithoutCastELi8ELi1EEEEEvT0_T1_.has_recursion)
	.set _ZN2at6native29vectorized_elementwise_kernelILi8EZZZNS0_19digamma_kernel_cudaERNS_18TensorIteratorBaseEENKUlvE_clEvENKUlvE2_clEvEUlN3c108BFloat16EE_St5arrayIPcLm2EEEEviT0_T1_.has_indirect_call, or(0, .L_ZN2at6native25elementwise_kernel_helperILb0EZZZNS0_19digamma_kernel_cudaERNS_18TensorIteratorBaseEENKUlvE_clEvENKUlvE2_clEvEUlN3c108BFloat16EE_NS0_6memory8policies10vectorizedILi8ESt5arrayIPcLm2EELi8EEEEEvT0_T1_.has_indirect_call, .L_ZN2at6native25elementwise_kernel_helperILb0EZZZNS0_19digamma_kernel_cudaERNS_18TensorIteratorBaseEENKUlvE_clEvENKUlvE2_clEvEUlN3c108BFloat16EE_NS0_6memory8policies11unroll_baseILi256ESt5arrayIPcLm2EE23TrivialOffsetCalculatorILi1EjESG_NS9_15LoadWithoutCastENS9_16StoreWithoutCastELi8ELi1EEEEEvT0_T1_.has_indirect_call)
	.section	.AMDGPU.csdata,"",@progbits
; Kernel info:
; codeLenInByte = 184
; TotalNumSgprs: 35
; NumVgprs: 66
; ScratchSize: 0
; MemoryBound: 0
; FloatMode: 240
; IeeeMode: 1
; LDSByteSize: 0 bytes/workgroup (compile time only)
; SGPRBlocks: 0
; VGPRBlocks: 8
; NumSGPRsForWavesPerEU: 35
; NumVGPRsForWavesPerEU: 66
; Occupancy: 12
; WaveLimiterHint : 0
; COMPUTE_PGM_RSRC2:SCRATCH_EN: 0
; COMPUTE_PGM_RSRC2:USER_SGPR: 6
; COMPUTE_PGM_RSRC2:TRAP_HANDLER: 0
; COMPUTE_PGM_RSRC2:TGID_X_EN: 1
; COMPUTE_PGM_RSRC2:TGID_Y_EN: 0
; COMPUTE_PGM_RSRC2:TGID_Z_EN: 0
; COMPUTE_PGM_RSRC2:TIDIG_COMP_CNT: 0
	.section	.text._ZN2at6native29vectorized_elementwise_kernelILi4EZZZNS0_19digamma_kernel_cudaERNS_18TensorIteratorBaseEENKUlvE_clEvENKUlvE2_clEvEUlN3c108BFloat16EE_St5arrayIPcLm2EEEEviT0_T1_,"axG",@progbits,_ZN2at6native29vectorized_elementwise_kernelILi4EZZZNS0_19digamma_kernel_cudaERNS_18TensorIteratorBaseEENKUlvE_clEvENKUlvE2_clEvEUlN3c108BFloat16EE_St5arrayIPcLm2EEEEviT0_T1_,comdat
	.globl	_ZN2at6native29vectorized_elementwise_kernelILi4EZZZNS0_19digamma_kernel_cudaERNS_18TensorIteratorBaseEENKUlvE_clEvENKUlvE2_clEvEUlN3c108BFloat16EE_St5arrayIPcLm2EEEEviT0_T1_ ; -- Begin function _ZN2at6native29vectorized_elementwise_kernelILi4EZZZNS0_19digamma_kernel_cudaERNS_18TensorIteratorBaseEENKUlvE_clEvENKUlvE2_clEvEUlN3c108BFloat16EE_St5arrayIPcLm2EEEEviT0_T1_
	.p2align	8
	.type	_ZN2at6native29vectorized_elementwise_kernelILi4EZZZNS0_19digamma_kernel_cudaERNS_18TensorIteratorBaseEENKUlvE_clEvENKUlvE2_clEvEUlN3c108BFloat16EE_St5arrayIPcLm2EEEEviT0_T1_,@function
_ZN2at6native29vectorized_elementwise_kernelILi4EZZZNS0_19digamma_kernel_cudaERNS_18TensorIteratorBaseEENKUlvE_clEvENKUlvE2_clEvEUlN3c108BFloat16EE_St5arrayIPcLm2EEEEviT0_T1_: ; @_ZN2at6native29vectorized_elementwise_kernelILi4EZZZNS0_19digamma_kernel_cudaERNS_18TensorIteratorBaseEENKUlvE_clEvENKUlvE2_clEvEUlN3c108BFloat16EE_St5arrayIPcLm2EEEEviT0_T1_
; %bb.0:
	s_add_u32 s0, s0, s7
	s_clause 0x1
	s_load_dword s7, s[4:5], 0x0
	s_load_dwordx4 s[8:11], s[4:5], 0x8
	s_addc_u32 s1, s1, 0
	s_lshl_b32 s4, s6, 11
	s_mov_b32 s5, -1
	s_mov_b32 s32, 0
	s_waitcnt lgkmcnt(0)
	s_sub_i32 s7, s7, s4
	s_cmpk_gt_i32 s7, 0x7ff
	s_cbranch_scc1 .LBB34_3
; %bb.1:
	s_and_b32 vcc_lo, exec_lo, s5
	s_cbranch_vccnz .LBB34_196
.LBB34_2:
	s_endpgm
.LBB34_3:
	s_ashr_i32 s5, s4, 31
	v_lshlrev_b32_e32 v17, 3, v0
	s_lshl_b64 s[12:13], s[4:5], 1
	v_mov_b32_e32 v5, 0
	s_add_u32 s4, s10, s12
	s_addc_u32 s5, s11, s13
	v_add_co_u32 v1, s14, s4, v17
	v_add_co_ci_u32_e64 v2, null, s5, 0, s14
	global_load_dwordx2 v[7:8], v17, s[4:5]
	v_add_co_u32 v1, vcc_lo, 0x800, v1
	v_add_co_ci_u32_e64 v2, null, 0, v2, vcc_lo
	global_load_dwordx2 v[3:4], v[1:2], off
                                        ; implicit-def: $vgpr1_vgpr2
	s_mov_b32 s4, exec_lo
	s_waitcnt vmcnt(1)
	v_lshlrev_b32_e32 v11, 16, v7
	v_cmpx_neq_f32_e32 0, v11
	s_xor_b32 s14, exec_lo, s4
	s_cbranch_execz .LBB34_25
; %bb.4:
	s_mov_b32 s4, -1
	s_mov_b32 s15, exec_lo
	v_cmpx_gt_f32_e32 0, v11
	s_cbranch_execz .LBB34_12
; %bb.5:
	v_trunc_f32_e32 v1, v11
	v_mov_b32_e32 v5, 0
	s_mov_b32 s5, 0
	s_mov_b32 s16, exec_lo
	v_cmpx_neq_f32_e32 v1, v11
	s_cbranch_execz .LBB34_11
; %bb.6:
	v_cvt_f64_f32_e32 v[1:2], v11
	s_mov_b32 s5, 0xc00921fb
	s_mov_b32 s4, 0x54442d18
	s_mov_b32 s17, exec_lo
                                        ; implicit-def: $vgpr12
                                        ; implicit-def: $vgpr9_vgpr10
	v_trunc_f64_e32 v[5:6], v[1:2]
	v_cmp_neq_f64_e64 vcc_lo, 0x7ff00000, |v[1:2]|
	v_add_f64 v[5:6], v[1:2], -v[5:6]
	v_mul_f64 v[5:6], |v[5:6]|, s[4:5]
	v_cndmask_b32_e32 v2, 0x80000000, v6, vcc_lo
	v_cndmask_b32_e32 v1, 0, v5, vcc_lo
                                        ; implicit-def: $vgpr5_vgpr6
	v_cmpx_ngt_f64_e64 0x41d00000, |v[1:2]|
	s_xor_b32 s17, exec_lo, s17
	s_cbranch_execz .LBB34_8
; %bb.7:
	v_ldexp_f64 v[5:6], |v[1:2]|, 0xffffff80
	v_cmp_le_f64_e64 vcc_lo, 0x7b000000, |v[1:2]|
	v_trig_preop_f64 v[9:10], |v[1:2]|, 0
	v_and_b32_e32 v12, 0x7fffffff, v2
	v_trig_preop_f64 v[24:25], |v[1:2]|, 2
	v_mov_b32_e32 v32, 0
	s_mov_b32 s5, 0x3ff921fb
	s_mov_b32 s18, 0x33145c07
	s_mov_b32 s19, 0x3c91a626
	v_cndmask_b32_e32 v6, v12, v6, vcc_lo
	v_cndmask_b32_e32 v5, v1, v5, vcc_lo
	v_trig_preop_f64 v[12:13], |v[1:2]|, 1
	v_mul_f64 v[14:15], v[9:10], v[5:6]
	v_mul_f64 v[30:31], v[24:25], v[5:6]
	;; [unrolled: 1-line block ×3, first 2 shown]
	v_fma_f64 v[9:10], v[9:10], v[5:6], -v[14:15]
	v_fma_f64 v[12:13], v[12:13], v[5:6], -v[18:19]
	;; [unrolled: 1-line block ×3, first 2 shown]
	v_add_f64 v[20:21], v[18:19], v[9:10]
	v_add_f64 v[22:23], v[20:21], -v[18:19]
	v_add_f64 v[28:29], v[14:15], v[20:21]
	v_add_f64 v[26:27], v[20:21], -v[22:23]
	v_add_f64 v[9:10], v[9:10], -v[22:23]
	v_ldexp_f64 v[22:23], v[28:29], -2
	v_add_f64 v[14:15], v[28:29], -v[14:15]
	v_add_f64 v[18:19], v[18:19], -v[26:27]
	v_add_f64 v[26:27], v[30:31], v[12:13]
	v_cmp_neq_f64_e64 vcc_lo, 0x7ff00000, |v[22:23]|
	v_add_f64 v[14:15], v[20:21], -v[14:15]
	v_add_f64 v[9:10], v[9:10], v[18:19]
	v_fract_f64_e32 v[18:19], v[22:23]
	v_add_f64 v[20:21], v[26:27], v[9:10]
	v_ldexp_f64 v[18:19], v[18:19], 2
	v_add_f64 v[22:23], v[14:15], v[20:21]
	v_cndmask_b32_e32 v19, 0, v19, vcc_lo
	v_cndmask_b32_e32 v18, 0, v18, vcc_lo
	v_add_f64 v[28:29], v[22:23], v[18:19]
	v_add_f64 v[14:15], v[22:23], -v[14:15]
	v_cmp_gt_f64_e32 vcc_lo, 0, v[28:29]
	v_add_f64 v[28:29], v[26:27], -v[30:31]
	v_cndmask_b32_e64 v33, 0, 0x40100000, vcc_lo
	v_add_f64 v[37:38], v[26:27], -v[28:29]
	v_add_f64 v[12:13], v[12:13], -v[28:29]
	v_add_f64 v[18:19], v[18:19], v[32:33]
	v_add_f64 v[33:34], v[20:21], -v[26:27]
	v_add_f64 v[28:29], v[30:31], -v[37:38]
	v_add_f64 v[35:36], v[22:23], v[18:19]
	;; [unrolled: 3-line block ×3, first 2 shown]
	v_cvt_i32_f64_e32 v16, v[35:36]
	v_add_f64 v[26:27], v[26:27], -v[39:40]
	v_cvt_f64_i32_e32 v[33:34], v16
	v_add_f64 v[9:10], v[9:10], v[26:27]
	v_add_f64 v[18:19], v[18:19], -v[33:34]
	v_add_f64 v[9:10], v[12:13], v[9:10]
	v_add_f64 v[12:13], v[20:21], -v[14:15]
	v_add_f64 v[24:25], v[22:23], v[18:19]
	v_add_f64 v[5:6], v[5:6], v[9:10]
	v_add_f64 v[9:10], v[24:25], -v[18:19]
	v_cmp_le_f64_e32 vcc_lo, 0.5, v[24:25]
	v_add_f64 v[5:6], v[12:13], v[5:6]
	v_add_f64 v[9:10], v[22:23], -v[9:10]
	v_cndmask_b32_e64 v33, 0, 0x3ff00000, vcc_lo
	v_add_co_ci_u32_e64 v12, null, 0, v16, vcc_lo
	v_add_f64 v[5:6], v[5:6], v[9:10]
	v_add_f64 v[9:10], v[24:25], -v[32:33]
	v_add_f64 v[13:14], v[9:10], v[5:6]
	v_mul_f64 v[15:16], v[13:14], s[4:5]
	v_add_f64 v[9:10], v[13:14], -v[9:10]
	v_fma_f64 v[18:19], v[13:14], s[4:5], -v[15:16]
	v_add_f64 v[5:6], v[5:6], -v[9:10]
	v_fma_f64 v[9:10], v[13:14], s[18:19], v[18:19]
	v_fma_f64 v[9:10], v[5:6], s[4:5], v[9:10]
	v_add_f64 v[5:6], v[15:16], v[9:10]
	v_add_f64 v[13:14], v[5:6], -v[15:16]
	v_add_f64 v[9:10], v[9:10], -v[13:14]
.LBB34_8:
	s_andn2_saveexec_b32 s4, s17
	s_cbranch_execz .LBB34_10
; %bb.9:
	s_mov_b32 s18, 0x6dc9c883
	s_mov_b32 s19, 0x3fe45f30
	;; [unrolled: 1-line block ×3, first 2 shown]
	v_mul_f64 v[5:6], |v[1:2]|, s[18:19]
	s_mov_b32 s18, 0x54442d18
	s_mov_b32 s19, 0xbff921fb
	;; [unrolled: 1-line block ×3, first 2 shown]
	v_rndne_f64_e32 v[12:13], v[5:6]
	v_fma_f64 v[5:6], v[12:13], s[18:19], |v[1:2]|
	v_mul_f64 v[9:10], v[12:13], s[20:21]
	s_mov_b32 s18, 0x252049c0
	s_mov_b32 s19, 0xb97b839a
	v_fma_f64 v[18:19], v[12:13], s[20:21], v[5:6]
	v_add_f64 v[14:15], v[5:6], v[9:10]
	s_mov_b32 s21, 0x3c91a626
	v_add_f64 v[5:6], v[5:6], -v[14:15]
	v_add_f64 v[14:15], v[14:15], -v[18:19]
	v_add_f64 v[5:6], v[5:6], v[9:10]
	v_fma_f64 v[9:10], v[12:13], s[20:21], v[9:10]
	v_add_f64 v[5:6], v[14:15], v[5:6]
	v_add_f64 v[5:6], v[5:6], -v[9:10]
	v_fma_f64 v[9:10], v[12:13], s[18:19], v[5:6]
	v_cvt_i32_f64_e32 v12, v[12:13]
	v_add_f64 v[5:6], v[18:19], v[9:10]
	v_add_f64 v[14:15], v[5:6], -v[18:19]
	v_add_f64 v[9:10], v[9:10], -v[14:15]
.LBB34_10:
	s_or_b32 exec_lo, exec_lo, s4
	v_mul_f64 v[13:14], v[5:6], v[5:6]
	v_add_f64 v[15:16], v[9:10], v[9:10]
	s_mov_b32 s18, 0xa9a29f71
	s_mov_b32 s20, 0xc751c08c
	s_mov_b32 s19, 0xbf078809
	s_mov_b32 s21, 0x3ef5e089
	v_cmp_class_f64_e64 s4, v[1:2], 0x1f8
	v_and_b32_e32 v12, 1, v12
	v_and_b32_e32 v2, 0x80000000, v2
	v_sub_f32_e32 v11, 1.0, v11
	s_mov_b32 s5, exec_lo
	v_cmp_eq_u32_e32 vcc_lo, 0, v12
	v_fma_f64 v[18:19], v[5:6], v[5:6], -v[13:14]
	v_fma_f64 v[15:16], v[5:6], v[15:16], v[18:19]
	v_add_f64 v[13:14], v[13:14], v[15:16]
	v_fma_f64 v[15:16], v[13:14], s[20:21], s[18:19]
	s_mov_b32 s18, 0x90a8aae0
	s_mov_b32 s19, 0x3f17746f
	v_fma_f64 v[15:16], v[13:14], v[15:16], s[18:19]
	s_mov_b32 s18, 0xa6fbf144
	s_mov_b32 s19, 0xbefbb44d
	;; [unrolled: 3-line block ×13, first 2 shown]
	v_mul_f64 v[13:14], v[13:14], v[15:16]
	v_mul_f64 v[15:16], v[5:6], v[13:14]
	v_add_f64 v[18:19], v[5:6], v[15:16]
	v_fma_f64 v[13:14], v[5:6], v[13:14], -v[15:16]
	v_add_f64 v[5:6], v[18:19], -v[5:6]
	v_add_f64 v[9:10], v[9:10], v[13:14]
	v_add_f64 v[5:6], v[15:16], -v[5:6]
	v_add_f64 v[5:6], v[9:10], v[5:6]
	v_add_f64 v[9:10], v[18:19], v[5:6]
	v_rcp_f64_e32 v[13:14], v[9:10]
	v_fma_f64 v[15:16], -v[9:10], v[13:14], 1.0
	v_fma_f64 v[13:14], v[15:16], v[13:14], v[13:14]
	v_fma_f64 v[15:16], -v[9:10], v[13:14], 1.0
	v_fma_f64 v[13:14], v[15:16], v[13:14], v[13:14]
	v_add_f64 v[15:16], v[9:10], -v[18:19]
	v_mul_f64 v[18:19], v[9:10], v[13:14]
	v_add_f64 v[5:6], v[5:6], -v[15:16]
	v_fma_f64 v[15:16], v[13:14], v[9:10], -v[18:19]
	v_fma_f64 v[5:6], v[13:14], v[5:6], v[15:16]
	v_add_f64 v[15:16], v[18:19], v[5:6]
	v_add_f64 v[20:21], -v[15:16], 1.0
	v_add_f64 v[18:19], v[15:16], -v[18:19]
	v_add_f64 v[22:23], -v[20:21], 1.0
	v_add_f64 v[5:6], v[18:19], -v[5:6]
	v_add_f64 v[15:16], v[22:23], -v[15:16]
	v_add_f64 v[5:6], v[5:6], v[15:16]
	v_add_f64 v[5:6], v[20:21], v[5:6]
	v_mul_f64 v[5:6], v[13:14], v[5:6]
	v_add_f64 v[5:6], v[13:14], v[5:6]
	v_xor_b32_e32 v1, 0x80000000, v6
	v_cndmask_b32_e32 v5, v5, v9, vcc_lo
	v_cndmask_b32_e32 v1, v1, v10, vcc_lo
	v_xor_b32_e32 v2, v1, v2
	v_cndmask_b32_e64 v1, 0, v5, s4
	v_cndmask_b32_e64 v2, 0x7ff80000, v2, s4
	v_div_scale_f64 v[5:6], null, v[1:2], v[1:2], s[18:19]
	v_rcp_f64_e32 v[9:10], v[5:6]
	v_fma_f64 v[12:13], -v[5:6], v[9:10], 1.0
	v_fma_f64 v[9:10], v[9:10], v[12:13], v[9:10]
	v_fma_f64 v[12:13], -v[5:6], v[9:10], 1.0
	v_fma_f64 v[9:10], v[9:10], v[12:13], v[9:10]
	v_div_scale_f64 v[12:13], vcc_lo, s[18:19], v[1:2], s[18:19]
	v_mul_f64 v[14:15], v[12:13], v[9:10]
	v_fma_f64 v[5:6], -v[5:6], v[14:15], v[12:13]
	v_div_fmas_f64 v[5:6], v[5:6], v[9:10], v[14:15]
	v_div_fixup_f64 v[1:2], v[5:6], v[1:2], s[18:19]
	v_cvt_f32_f64_e32 v5, v[1:2]
.LBB34_11:
	s_or_b32 exec_lo, exec_lo, s16
	s_orn2_b32 s4, s5, exec_lo
.LBB34_12:
	s_or_b32 exec_lo, exec_lo, s15
	v_mov_b32_e32 v1, 0x7fc0
	v_mov_b32_e32 v2, 0
	s_and_saveexec_b32 s5, s4
	s_cbranch_execz .LBB34_24
; %bb.13:
	s_mov_b32 s4, exec_lo
	v_cmpx_gt_f32_e32 0x41200000, v11
	s_cbranch_execz .LBB34_17
; %bb.14:
	s_mov_b32 s15, 0
	.p2align	6
.LBB34_15:                              ; =>This Inner Loop Header: Depth=1
	v_div_scale_f32 v1, null, v11, v11, 1.0
	v_div_scale_f32 v9, vcc_lo, 1.0, v11, 1.0
	v_rcp_f32_e32 v2, v1
	v_fma_f32 v6, -v1, v2, 1.0
	v_fmac_f32_e32 v2, v6, v2
	v_mul_f32_e32 v6, v9, v2
	v_fma_f32 v10, -v1, v6, v9
	v_fmac_f32_e32 v6, v10, v2
	v_fma_f32 v1, -v1, v6, v9
	v_div_fmas_f32 v1, v1, v2, v6
	v_div_fixup_f32 v1, v1, v11, 1.0
	v_add_f32_e32 v11, 1.0, v11
	v_sub_f32_e32 v5, v5, v1
	v_cmp_ngt_f32_e32 vcc_lo, 0x41200000, v11
	s_or_b32 s15, vcc_lo, s15
	s_andn2_b32 exec_lo, exec_lo, s15
	s_cbranch_execnz .LBB34_15
; %bb.16:
	s_or_b32 exec_lo, exec_lo, s15
.LBB34_17:
	s_or_b32 exec_lo, exec_lo, s4
                                        ; implicit-def: $vgpr1_vgpr2
	s_mov_b32 s4, exec_lo
	v_cmpx_neq_f32_e32 0x41200000, v11
	s_xor_b32 s15, exec_lo, s4
	s_cbranch_execz .LBB34_21
; %bb.18:
	v_cvt_f64_f32_e32 v[1:2], v11
	s_mov_b32 s16, 0x85d8a000
	s_mov_b32 s17, 0x43763457
	v_cmp_gt_f64_e32 vcc_lo, s[16:17], v[1:2]
	v_mov_b32_e32 v2, 0
	v_mov_b32_e32 v1, 0
	s_and_saveexec_b32 s4, vcc_lo
	s_cbranch_execz .LBB34_20
; %bb.19:
	v_mul_f32_e32 v1, v11, v11
	v_div_scale_f32 v6, null, v1, v1, 1.0
	v_rcp_f32_e32 v9, v6
	v_fma_f32 v10, -v6, v9, 1.0
	v_fmac_f32_e32 v9, v10, v9
	v_div_scale_f32 v10, vcc_lo, 1.0, v1, 1.0
	v_mul_f32_e32 v12, v10, v9
	v_fma_f32 v13, -v6, v12, v10
	v_fmac_f32_e32 v12, v13, v9
	v_fma_f32 v6, -v6, v12, v10
	v_div_fmas_f32 v6, v6, v9, v12
	v_div_fixup_f32 v1, v6, v1, 1.0
	v_fmaak_f32 v6, 0, v1, 0x3daaaaab
	v_fmaak_f32 v6, v1, v6, 0xbcaccacd
	;; [unrolled: 1-line block ×7, first 2 shown]
	v_mul_f32_e32 v1, v1, v6
.LBB34_20:
	s_or_b32 exec_lo, exec_lo, s4
	v_cmp_gt_f32_e32 vcc_lo, 0x800000, v11
	v_div_scale_f32 v6, null, v11, v11, -0.5
	v_div_scale_f32 v13, s4, -0.5, v11, -0.5
	v_cndmask_b32_e64 v9, 0, 32, vcc_lo
	v_rcp_f32_e32 v10, v6
	v_ldexp_f32 v9, v11, v9
	v_log_f32_e32 v9, v9
	v_fma_f32 v12, -v6, v10, 1.0
	v_fmac_f32_e32 v10, v12, v10
	v_mul_f32_e32 v12, 0x3f317217, v9
	v_mul_f32_e32 v14, v13, v10
	v_fma_f32 v12, 0x3f317217, v9, -v12
	v_fma_f32 v15, -v6, v14, v13
	v_fmamk_f32 v12, v9, 0x3377d1cf, v12
	v_fmac_f32_e32 v14, v15, v10
	v_cndmask_b32_e64 v15, 0, 0x41b17218, vcc_lo
	v_cmp_gt_f32_e64 vcc_lo, 0x7f800000, |v9|
	v_fmac_f32_e32 v12, 0x3f317217, v9
	v_fma_f32 v6, -v6, v14, v13
	v_cndmask_b32_e32 v9, v9, v12, vcc_lo
	s_mov_b32 vcc_lo, s4
	v_div_fmas_f32 v6, v6, v10, v14
	v_sub_f32_e32 v9, v9, v15
	v_div_fixup_f32 v6, v6, v11, -0.5
	v_add_f32_e32 v6, v9, v6
	v_sub_f32_e32 v1, v6, v1
	v_add_f32_e32 v1, v5, v1
	v_bfe_u32 v5, v1, 16, 1
	v_cmp_o_f32_e32 vcc_lo, v1, v1
	v_add3_u32 v1, v1, v5, 0x7fff
	v_mov_b32_e32 v5, 0x7fc0
	v_cndmask_b32_sdwa v1, v5, v1, vcc_lo dst_sel:DWORD dst_unused:UNUSED_PAD src0_sel:DWORD src1_sel:WORD_1
                                        ; implicit-def: $vgpr5
.LBB34_21:
	s_andn2_saveexec_b32 s4, s15
	s_cbranch_execz .LBB34_23
; %bb.22:
	v_add_f32_e32 v1, 0x40101cb7, v5
	v_mov_b32_e32 v5, 0x7fc0
	v_bfe_u32 v2, v1, 16, 1
	v_cmp_o_f32_e32 vcc_lo, v1, v1
	v_add3_u32 v1, v1, v2, 0x7fff
	v_mov_b32_e32 v2, 0
	v_cndmask_b32_sdwa v1, v5, v1, vcc_lo dst_sel:DWORD dst_unused:UNUSED_PAD src0_sel:DWORD src1_sel:WORD_1
.LBB34_23:
	s_or_b32 exec_lo, exec_lo, s4
.LBB34_24:
	s_or_b32 exec_lo, exec_lo, s5
                                        ; implicit-def: $vgpr11
.LBB34_25:
	s_andn2_saveexec_b32 s4, s14
; %bb.26:
	v_xor_b32_e32 v1, 0x80000000, v11
	s_mov_b32 s5, 0x7f800000
	v_mov_b32_e32 v2, 0
	v_and_or_b32 v1, 0x80000000, v1, s5
	v_lshrrev_b32_e32 v1, 16, v1
; %bb.27:
	s_or_b32 exec_lo, exec_lo, s4
	v_and_b32_e32 v7, 0xffff0000, v7
                                        ; implicit-def: $vgpr5_vgpr6
	s_mov_b32 s4, exec_lo
	v_cmpx_neq_f32_e32 0, v7
	s_xor_b32 s14, exec_lo, s4
	s_cbranch_execz .LBB34_49
; %bb.28:
	v_mov_b32_e32 v9, 0
	s_mov_b32 s4, -1
	s_mov_b32 s15, exec_lo
	v_cmpx_gt_f32_e32 0, v7
	s_cbranch_execz .LBB34_36
; %bb.29:
	v_trunc_f32_e32 v5, v7
	v_mov_b32_e32 v9, 0
	s_mov_b32 s5, 0
	s_mov_b32 s16, exec_lo
	v_cmpx_neq_f32_e32 v5, v7
	s_cbranch_execz .LBB34_35
; %bb.30:
	v_cvt_f64_f32_e32 v[5:6], v7
	s_mov_b32 s5, 0xc00921fb
	s_mov_b32 s4, 0x54442d18
	s_mov_b32 s17, exec_lo
                                        ; implicit-def: $vgpr13
                                        ; implicit-def: $vgpr11_vgpr12
	v_trunc_f64_e32 v[9:10], v[5:6]
	v_cmp_neq_f64_e64 vcc_lo, 0x7ff00000, |v[5:6]|
	v_add_f64 v[9:10], v[5:6], -v[9:10]
	v_mul_f64 v[9:10], |v[9:10]|, s[4:5]
	v_cndmask_b32_e32 v6, 0x80000000, v10, vcc_lo
	v_cndmask_b32_e32 v5, 0, v9, vcc_lo
                                        ; implicit-def: $vgpr9_vgpr10
	v_cmpx_ngt_f64_e64 0x41d00000, |v[5:6]|
	s_xor_b32 s17, exec_lo, s17
	s_cbranch_execz .LBB34_32
; %bb.31:
	v_ldexp_f64 v[9:10], |v[5:6]|, 0xffffff80
	v_cmp_le_f64_e64 vcc_lo, 0x7b000000, |v[5:6]|
	v_trig_preop_f64 v[11:12], |v[5:6]|, 0
	v_and_b32_e32 v13, 0x7fffffff, v6
	v_trig_preop_f64 v[24:25], |v[5:6]|, 2
	v_mov_b32_e32 v32, 0
	s_mov_b32 s5, 0x3ff921fb
	s_mov_b32 s18, 0x33145c07
	;; [unrolled: 1-line block ×3, first 2 shown]
	v_cndmask_b32_e32 v10, v13, v10, vcc_lo
	v_cndmask_b32_e32 v9, v5, v9, vcc_lo
	v_trig_preop_f64 v[13:14], |v[5:6]|, 1
	v_mul_f64 v[15:16], v[11:12], v[9:10]
	v_mul_f64 v[30:31], v[24:25], v[9:10]
	;; [unrolled: 1-line block ×3, first 2 shown]
	v_fma_f64 v[11:12], v[11:12], v[9:10], -v[15:16]
	v_fma_f64 v[13:14], v[13:14], v[9:10], -v[18:19]
	;; [unrolled: 1-line block ×3, first 2 shown]
	v_add_f64 v[20:21], v[18:19], v[11:12]
	v_add_f64 v[22:23], v[20:21], -v[18:19]
	v_add_f64 v[28:29], v[15:16], v[20:21]
	v_add_f64 v[26:27], v[20:21], -v[22:23]
	v_add_f64 v[11:12], v[11:12], -v[22:23]
	v_ldexp_f64 v[22:23], v[28:29], -2
	v_add_f64 v[15:16], v[28:29], -v[15:16]
	v_add_f64 v[18:19], v[18:19], -v[26:27]
	v_add_f64 v[26:27], v[30:31], v[13:14]
	v_cmp_neq_f64_e64 vcc_lo, 0x7ff00000, |v[22:23]|
	v_add_f64 v[15:16], v[20:21], -v[15:16]
	v_add_f64 v[11:12], v[11:12], v[18:19]
	v_fract_f64_e32 v[18:19], v[22:23]
	v_add_f64 v[20:21], v[26:27], v[11:12]
	v_ldexp_f64 v[18:19], v[18:19], 2
	v_add_f64 v[22:23], v[15:16], v[20:21]
	v_cndmask_b32_e32 v19, 0, v19, vcc_lo
	v_cndmask_b32_e32 v18, 0, v18, vcc_lo
	v_add_f64 v[28:29], v[22:23], v[18:19]
	v_add_f64 v[15:16], v[22:23], -v[15:16]
	v_cmp_gt_f64_e32 vcc_lo, 0, v[28:29]
	v_add_f64 v[28:29], v[26:27], -v[30:31]
	v_cndmask_b32_e64 v33, 0, 0x40100000, vcc_lo
	v_add_f64 v[37:38], v[26:27], -v[28:29]
	v_add_f64 v[13:14], v[13:14], -v[28:29]
	v_add_f64 v[18:19], v[18:19], v[32:33]
	v_add_f64 v[33:34], v[20:21], -v[26:27]
	v_add_f64 v[28:29], v[30:31], -v[37:38]
	v_add_f64 v[35:36], v[22:23], v[18:19]
	;; [unrolled: 3-line block ×3, first 2 shown]
	v_cvt_i32_f64_e32 v35, v[35:36]
	v_add_f64 v[26:27], v[26:27], -v[39:40]
	v_cvt_f64_i32_e32 v[33:34], v35
	v_add_f64 v[11:12], v[11:12], v[26:27]
	v_add_f64 v[18:19], v[18:19], -v[33:34]
	v_add_f64 v[11:12], v[13:14], v[11:12]
	v_add_f64 v[13:14], v[20:21], -v[15:16]
	v_add_f64 v[24:25], v[22:23], v[18:19]
	v_add_f64 v[9:10], v[9:10], v[11:12]
	v_add_f64 v[11:12], v[24:25], -v[18:19]
	v_cmp_le_f64_e32 vcc_lo, 0.5, v[24:25]
	v_add_f64 v[9:10], v[13:14], v[9:10]
	v_add_f64 v[11:12], v[22:23], -v[11:12]
	v_cndmask_b32_e64 v33, 0, 0x3ff00000, vcc_lo
	v_add_co_ci_u32_e64 v13, null, 0, v35, vcc_lo
	v_add_f64 v[9:10], v[9:10], v[11:12]
	v_add_f64 v[11:12], v[24:25], -v[32:33]
	v_add_f64 v[14:15], v[11:12], v[9:10]
	v_mul_f64 v[18:19], v[14:15], s[4:5]
	v_add_f64 v[11:12], v[14:15], -v[11:12]
	v_fma_f64 v[20:21], v[14:15], s[4:5], -v[18:19]
	v_add_f64 v[9:10], v[9:10], -v[11:12]
	v_fma_f64 v[11:12], v[14:15], s[18:19], v[20:21]
	v_fma_f64 v[11:12], v[9:10], s[4:5], v[11:12]
	v_add_f64 v[9:10], v[18:19], v[11:12]
	v_add_f64 v[14:15], v[9:10], -v[18:19]
	v_add_f64 v[11:12], v[11:12], -v[14:15]
.LBB34_32:
	s_andn2_saveexec_b32 s4, s17
	s_cbranch_execz .LBB34_34
; %bb.33:
	s_mov_b32 s18, 0x6dc9c883
	s_mov_b32 s19, 0x3fe45f30
	;; [unrolled: 1-line block ×3, first 2 shown]
	v_mul_f64 v[9:10], |v[5:6]|, s[18:19]
	s_mov_b32 s18, 0x54442d18
	s_mov_b32 s19, 0xbff921fb
	;; [unrolled: 1-line block ×3, first 2 shown]
	v_rndne_f64_e32 v[13:14], v[9:10]
	v_fma_f64 v[9:10], v[13:14], s[18:19], |v[5:6]|
	v_mul_f64 v[11:12], v[13:14], s[20:21]
	s_mov_b32 s18, 0x252049c0
	s_mov_b32 s19, 0xb97b839a
	v_fma_f64 v[18:19], v[13:14], s[20:21], v[9:10]
	v_add_f64 v[15:16], v[9:10], v[11:12]
	s_mov_b32 s21, 0x3c91a626
	v_add_f64 v[9:10], v[9:10], -v[15:16]
	v_add_f64 v[15:16], v[15:16], -v[18:19]
	v_add_f64 v[9:10], v[9:10], v[11:12]
	v_fma_f64 v[11:12], v[13:14], s[20:21], v[11:12]
	v_add_f64 v[9:10], v[15:16], v[9:10]
	v_add_f64 v[9:10], v[9:10], -v[11:12]
	v_fma_f64 v[11:12], v[13:14], s[18:19], v[9:10]
	v_cvt_i32_f64_e32 v13, v[13:14]
	v_add_f64 v[9:10], v[18:19], v[11:12]
	v_add_f64 v[15:16], v[9:10], -v[18:19]
	v_add_f64 v[11:12], v[11:12], -v[15:16]
.LBB34_34:
	s_or_b32 exec_lo, exec_lo, s4
	v_mul_f64 v[14:15], v[9:10], v[9:10]
	v_add_f64 v[18:19], v[11:12], v[11:12]
	s_mov_b32 s18, 0xa9a29f71
	s_mov_b32 s20, 0xc751c08c
	;; [unrolled: 1-line block ×4, first 2 shown]
	v_cmp_class_f64_e64 s4, v[5:6], 0x1f8
	v_and_b32_e32 v13, 1, v13
	v_and_b32_e32 v6, 0x80000000, v6
	v_sub_f32_e32 v7, 1.0, v7
	s_mov_b32 s5, exec_lo
	v_cmp_eq_u32_e32 vcc_lo, 0, v13
	v_fma_f64 v[20:21], v[9:10], v[9:10], -v[14:15]
	v_fma_f64 v[18:19], v[9:10], v[18:19], v[20:21]
	v_add_f64 v[14:15], v[14:15], v[18:19]
	v_fma_f64 v[18:19], v[14:15], s[20:21], s[18:19]
	s_mov_b32 s18, 0x90a8aae0
	s_mov_b32 s19, 0x3f17746f
	v_fma_f64 v[18:19], v[14:15], v[18:19], s[18:19]
	s_mov_b32 s18, 0xa6fbf144
	s_mov_b32 s19, 0xbefbb44d
	;; [unrolled: 3-line block ×13, first 2 shown]
	v_mul_f64 v[14:15], v[14:15], v[18:19]
	v_mul_f64 v[18:19], v[9:10], v[14:15]
	v_add_f64 v[20:21], v[9:10], v[18:19]
	v_fma_f64 v[14:15], v[9:10], v[14:15], -v[18:19]
	v_add_f64 v[9:10], v[20:21], -v[9:10]
	v_add_f64 v[11:12], v[11:12], v[14:15]
	v_add_f64 v[9:10], v[18:19], -v[9:10]
	v_add_f64 v[9:10], v[11:12], v[9:10]
	v_add_f64 v[11:12], v[20:21], v[9:10]
	v_rcp_f64_e32 v[14:15], v[11:12]
	v_fma_f64 v[18:19], -v[11:12], v[14:15], 1.0
	v_fma_f64 v[14:15], v[18:19], v[14:15], v[14:15]
	v_fma_f64 v[18:19], -v[11:12], v[14:15], 1.0
	v_fma_f64 v[14:15], v[18:19], v[14:15], v[14:15]
	v_add_f64 v[18:19], v[11:12], -v[20:21]
	v_mul_f64 v[20:21], v[11:12], v[14:15]
	v_add_f64 v[9:10], v[9:10], -v[18:19]
	v_fma_f64 v[18:19], v[14:15], v[11:12], -v[20:21]
	v_fma_f64 v[9:10], v[14:15], v[9:10], v[18:19]
	v_add_f64 v[18:19], v[20:21], v[9:10]
	v_add_f64 v[22:23], -v[18:19], 1.0
	v_add_f64 v[20:21], v[18:19], -v[20:21]
	v_add_f64 v[24:25], -v[22:23], 1.0
	v_add_f64 v[9:10], v[20:21], -v[9:10]
	v_add_f64 v[18:19], v[24:25], -v[18:19]
	v_add_f64 v[9:10], v[9:10], v[18:19]
	v_add_f64 v[9:10], v[22:23], v[9:10]
	v_mul_f64 v[9:10], v[14:15], v[9:10]
	v_add_f64 v[9:10], v[14:15], v[9:10]
	v_xor_b32_e32 v5, 0x80000000, v10
	v_cndmask_b32_e32 v9, v9, v11, vcc_lo
	v_cndmask_b32_e32 v5, v5, v12, vcc_lo
	v_xor_b32_e32 v6, v5, v6
	v_cndmask_b32_e64 v5, 0, v9, s4
	v_cndmask_b32_e64 v6, 0x7ff80000, v6, s4
	v_div_scale_f64 v[9:10], null, v[5:6], v[5:6], s[18:19]
	v_rcp_f64_e32 v[11:12], v[9:10]
	v_fma_f64 v[13:14], -v[9:10], v[11:12], 1.0
	v_fma_f64 v[11:12], v[11:12], v[13:14], v[11:12]
	v_fma_f64 v[13:14], -v[9:10], v[11:12], 1.0
	v_fma_f64 v[11:12], v[11:12], v[13:14], v[11:12]
	v_div_scale_f64 v[13:14], vcc_lo, s[18:19], v[5:6], s[18:19]
	v_mul_f64 v[15:16], v[13:14], v[11:12]
	v_fma_f64 v[9:10], -v[9:10], v[15:16], v[13:14]
	v_div_fmas_f64 v[9:10], v[9:10], v[11:12], v[15:16]
	v_div_fixup_f64 v[5:6], v[9:10], v[5:6], s[18:19]
	v_cvt_f32_f64_e32 v9, v[5:6]
.LBB34_35:
	s_or_b32 exec_lo, exec_lo, s16
	s_orn2_b32 s4, s5, exec_lo
.LBB34_36:
	s_or_b32 exec_lo, exec_lo, s15
	v_mov_b32_e32 v5, 0x7fc0
	v_mov_b32_e32 v6, 0
	s_and_saveexec_b32 s5, s4
	s_cbranch_execz .LBB34_48
; %bb.37:
	s_mov_b32 s4, exec_lo
	v_cmpx_gt_f32_e32 0x41200000, v7
	s_cbranch_execz .LBB34_41
; %bb.38:
	s_mov_b32 s15, 0
	.p2align	6
.LBB34_39:                              ; =>This Inner Loop Header: Depth=1
	v_div_scale_f32 v5, null, v7, v7, 1.0
	v_div_scale_f32 v11, vcc_lo, 1.0, v7, 1.0
	v_rcp_f32_e32 v6, v5
	v_fma_f32 v10, -v5, v6, 1.0
	v_fmac_f32_e32 v6, v10, v6
	v_mul_f32_e32 v10, v11, v6
	v_fma_f32 v12, -v5, v10, v11
	v_fmac_f32_e32 v10, v12, v6
	v_fma_f32 v5, -v5, v10, v11
	v_div_fmas_f32 v5, v5, v6, v10
	v_div_fixup_f32 v5, v5, v7, 1.0
	v_add_f32_e32 v7, 1.0, v7
	v_sub_f32_e32 v9, v9, v5
	v_cmp_ngt_f32_e32 vcc_lo, 0x41200000, v7
	s_or_b32 s15, vcc_lo, s15
	s_andn2_b32 exec_lo, exec_lo, s15
	s_cbranch_execnz .LBB34_39
; %bb.40:
	s_or_b32 exec_lo, exec_lo, s15
.LBB34_41:
	s_or_b32 exec_lo, exec_lo, s4
                                        ; implicit-def: $vgpr5_vgpr6
	s_mov_b32 s4, exec_lo
	v_cmpx_neq_f32_e32 0x41200000, v7
	s_xor_b32 s15, exec_lo, s4
	s_cbranch_execz .LBB34_45
; %bb.42:
	v_cvt_f64_f32_e32 v[5:6], v7
	s_mov_b32 s16, 0x85d8a000
	s_mov_b32 s17, 0x43763457
	v_cmp_gt_f64_e32 vcc_lo, s[16:17], v[5:6]
	v_mov_b32_e32 v5, 0
	s_and_saveexec_b32 s4, vcc_lo
	s_cbranch_execz .LBB34_44
; %bb.43:
	v_mul_f32_e32 v5, v7, v7
	v_div_scale_f32 v6, null, v5, v5, 1.0
	v_rcp_f32_e32 v10, v6
	v_fma_f32 v11, -v6, v10, 1.0
	v_fmac_f32_e32 v10, v11, v10
	v_div_scale_f32 v11, vcc_lo, 1.0, v5, 1.0
	v_mul_f32_e32 v12, v11, v10
	v_fma_f32 v13, -v6, v12, v11
	v_fmac_f32_e32 v12, v13, v10
	v_fma_f32 v6, -v6, v12, v11
	v_div_fmas_f32 v6, v6, v10, v12
	v_div_fixup_f32 v5, v6, v5, 1.0
	v_fmaak_f32 v6, 0, v5, 0x3daaaaab
	v_fmaak_f32 v6, v5, v6, 0xbcaccacd
	;; [unrolled: 1-line block ×7, first 2 shown]
	v_mul_f32_e32 v5, v5, v6
.LBB34_44:
	s_or_b32 exec_lo, exec_lo, s4
	v_cmp_gt_f32_e32 vcc_lo, 0x800000, v7
	v_div_scale_f32 v6, null, v7, v7, -0.5
	v_div_scale_f32 v13, s4, -0.5, v7, -0.5
	v_cndmask_b32_e64 v10, 0, 32, vcc_lo
	v_rcp_f32_e32 v11, v6
	v_ldexp_f32 v10, v7, v10
	v_log_f32_e32 v10, v10
	v_fma_f32 v12, -v6, v11, 1.0
	v_fmac_f32_e32 v11, v12, v11
	v_mul_f32_e32 v12, 0x3f317217, v10
	v_mul_f32_e32 v14, v13, v11
	v_fma_f32 v12, 0x3f317217, v10, -v12
	v_fma_f32 v15, -v6, v14, v13
	v_fmamk_f32 v12, v10, 0x3377d1cf, v12
	v_fmac_f32_e32 v14, v15, v11
	v_cndmask_b32_e64 v15, 0, 0x41b17218, vcc_lo
	v_cmp_gt_f32_e64 vcc_lo, 0x7f800000, |v10|
	v_fmac_f32_e32 v12, 0x3f317217, v10
	v_fma_f32 v6, -v6, v14, v13
	v_cndmask_b32_e32 v10, v10, v12, vcc_lo
	s_mov_b32 vcc_lo, s4
	v_div_fmas_f32 v6, v6, v11, v14
	v_sub_f32_e32 v10, v10, v15
	v_div_fixup_f32 v6, v6, v7, -0.5
	v_add_f32_e32 v6, v10, v6
	v_sub_f32_e32 v5, v6, v5
	v_add_f32_e32 v5, v9, v5
                                        ; implicit-def: $vgpr9
	v_bfe_u32 v6, v5, 16, 1
	v_cmp_o_f32_e32 vcc_lo, v5, v5
	v_add3_u32 v5, v5, v6, 0x7fff
	v_mov_b32_e32 v6, 0x7fc0
	v_cndmask_b32_sdwa v5, v6, v5, vcc_lo dst_sel:DWORD dst_unused:UNUSED_PAD src0_sel:DWORD src1_sel:WORD_1
.LBB34_45:
	s_andn2_saveexec_b32 s4, s15
; %bb.46:
	v_add_f32_e32 v5, 0x40101cb7, v9
	v_bfe_u32 v6, v5, 16, 1
	v_cmp_o_f32_e32 vcc_lo, v5, v5
	v_add3_u32 v5, v5, v6, 0x7fff
	v_mov_b32_e32 v6, 0x7fc0
	v_cndmask_b32_sdwa v5, v6, v5, vcc_lo dst_sel:DWORD dst_unused:UNUSED_PAD src0_sel:DWORD src1_sel:WORD_1
; %bb.47:
	s_or_b32 exec_lo, exec_lo, s4
.LBB34_48:
	s_or_b32 exec_lo, exec_lo, s5
                                        ; implicit-def: $vgpr7
.LBB34_49:
	s_andn2_saveexec_b32 s4, s14
; %bb.50:
	v_xor_b32_e32 v5, 0x80000000, v7
	s_mov_b32 s5, 0x7f800000
	v_and_or_b32 v5, 0x80000000, v5, s5
	v_lshrrev_b32_e32 v5, 16, v5
; %bb.51:
	s_or_b32 exec_lo, exec_lo, s4
	v_lshlrev_b32_e32 v13, 16, v8
                                        ; implicit-def: $vgpr6_vgpr7
	s_mov_b32 s4, exec_lo
	v_cmpx_neq_f32_e32 0, v13
	s_xor_b32 s14, exec_lo, s4
	s_cbranch_execz .LBB34_73
; %bb.52:
	v_mov_b32_e32 v9, 0
	s_mov_b32 s4, -1
	s_mov_b32 s15, exec_lo
	v_cmpx_gt_f32_e32 0, v13
	s_cbranch_execz .LBB34_60
; %bb.53:
	v_trunc_f32_e32 v6, v13
	v_mov_b32_e32 v9, 0
	s_mov_b32 s5, 0
	s_mov_b32 s16, exec_lo
	v_cmpx_neq_f32_e32 v6, v13
	s_cbranch_execz .LBB34_59
; %bb.54:
	v_cvt_f64_f32_e32 v[6:7], v13
	s_mov_b32 s5, 0xc00921fb
	s_mov_b32 s4, 0x54442d18
	s_mov_b32 s17, exec_lo
                                        ; implicit-def: $vgpr14
                                        ; implicit-def: $vgpr11_vgpr12
	v_trunc_f64_e32 v[9:10], v[6:7]
	v_cmp_neq_f64_e64 vcc_lo, 0x7ff00000, |v[6:7]|
	v_add_f64 v[9:10], v[6:7], -v[9:10]
	v_mul_f64 v[9:10], |v[9:10]|, s[4:5]
	v_cndmask_b32_e32 v7, 0x80000000, v10, vcc_lo
	v_cndmask_b32_e32 v6, 0, v9, vcc_lo
                                        ; implicit-def: $vgpr9_vgpr10
	v_cmpx_ngt_f64_e64 0x41d00000, |v[6:7]|
	s_xor_b32 s17, exec_lo, s17
	s_cbranch_execz .LBB34_56
; %bb.55:
	v_ldexp_f64 v[9:10], |v[6:7]|, 0xffffff80
	v_cmp_le_f64_e64 vcc_lo, 0x7b000000, |v[6:7]|
	v_trig_preop_f64 v[11:12], |v[6:7]|, 0
	v_and_b32_e32 v14, 0x7fffffff, v7
	v_trig_preop_f64 v[26:27], |v[6:7]|, 2
	v_mov_b32_e32 v34, 0
	s_mov_b32 s5, 0x3ff921fb
	s_mov_b32 s18, 0x33145c07
	;; [unrolled: 1-line block ×3, first 2 shown]
	v_cndmask_b32_e32 v10, v14, v10, vcc_lo
	v_cndmask_b32_e32 v9, v6, v9, vcc_lo
	v_trig_preop_f64 v[14:15], |v[6:7]|, 1
	v_mul_f64 v[18:19], v[11:12], v[9:10]
	v_mul_f64 v[32:33], v[26:27], v[9:10]
	;; [unrolled: 1-line block ×3, first 2 shown]
	v_fma_f64 v[11:12], v[11:12], v[9:10], -v[18:19]
	v_fma_f64 v[14:15], v[14:15], v[9:10], -v[20:21]
	v_fma_f64 v[9:10], v[26:27], v[9:10], -v[32:33]
	v_add_f64 v[22:23], v[20:21], v[11:12]
	v_add_f64 v[24:25], v[22:23], -v[20:21]
	v_add_f64 v[30:31], v[18:19], v[22:23]
	v_add_f64 v[28:29], v[22:23], -v[24:25]
	v_add_f64 v[11:12], v[11:12], -v[24:25]
	v_ldexp_f64 v[24:25], v[30:31], -2
	v_add_f64 v[18:19], v[30:31], -v[18:19]
	v_add_f64 v[20:21], v[20:21], -v[28:29]
	v_add_f64 v[28:29], v[32:33], v[14:15]
	v_cmp_neq_f64_e64 vcc_lo, 0x7ff00000, |v[24:25]|
	v_add_f64 v[18:19], v[22:23], -v[18:19]
	v_add_f64 v[11:12], v[11:12], v[20:21]
	v_fract_f64_e32 v[20:21], v[24:25]
	v_add_f64 v[22:23], v[28:29], v[11:12]
	v_ldexp_f64 v[20:21], v[20:21], 2
	v_add_f64 v[24:25], v[18:19], v[22:23]
	v_cndmask_b32_e32 v21, 0, v21, vcc_lo
	v_cndmask_b32_e32 v20, 0, v20, vcc_lo
	v_add_f64 v[30:31], v[24:25], v[20:21]
	v_add_f64 v[18:19], v[24:25], -v[18:19]
	v_cmp_gt_f64_e32 vcc_lo, 0, v[30:31]
	v_add_f64 v[30:31], v[28:29], -v[32:33]
	v_add_f64 v[18:19], v[22:23], -v[18:19]
	v_cndmask_b32_e64 v35, 0, 0x40100000, vcc_lo
	v_add_f64 v[39:40], v[28:29], -v[30:31]
	v_add_f64 v[14:15], v[14:15], -v[30:31]
	v_add_f64 v[20:21], v[20:21], v[34:35]
	v_add_f64 v[35:36], v[22:23], -v[28:29]
	v_add_f64 v[30:31], v[32:33], -v[39:40]
	v_add_f64 v[37:38], v[24:25], v[20:21]
	;; [unrolled: 3-line block ×3, first 2 shown]
	v_cvt_i32_f64_e32 v37, v[37:38]
	v_add_f64 v[28:29], v[28:29], -v[41:42]
	v_cvt_f64_i32_e32 v[35:36], v37
	v_add_f64 v[11:12], v[11:12], v[28:29]
	v_add_f64 v[20:21], v[20:21], -v[35:36]
	v_add_f64 v[11:12], v[14:15], v[11:12]
	v_add_f64 v[15:16], v[24:25], v[20:21]
	;; [unrolled: 1-line block ×3, first 2 shown]
	v_add_f64 v[11:12], v[15:16], -v[20:21]
	v_cmp_le_f64_e32 vcc_lo, 0.5, v[15:16]
	v_add_f64 v[9:10], v[18:19], v[9:10]
	v_add_f64 v[11:12], v[24:25], -v[11:12]
	v_cndmask_b32_e64 v35, 0, 0x3ff00000, vcc_lo
	v_add_co_ci_u32_e64 v14, null, 0, v37, vcc_lo
	v_add_f64 v[9:10], v[9:10], v[11:12]
	v_add_f64 v[11:12], v[15:16], -v[34:35]
	v_add_f64 v[15:16], v[11:12], v[9:10]
	v_mul_f64 v[18:19], v[15:16], s[4:5]
	v_add_f64 v[11:12], v[15:16], -v[11:12]
	v_fma_f64 v[20:21], v[15:16], s[4:5], -v[18:19]
	v_add_f64 v[9:10], v[9:10], -v[11:12]
	v_fma_f64 v[11:12], v[15:16], s[18:19], v[20:21]
	v_fma_f64 v[11:12], v[9:10], s[4:5], v[11:12]
	v_add_f64 v[9:10], v[18:19], v[11:12]
	v_add_f64 v[15:16], v[9:10], -v[18:19]
	v_add_f64 v[11:12], v[11:12], -v[15:16]
.LBB34_56:
	s_andn2_saveexec_b32 s4, s17
	s_cbranch_execz .LBB34_58
; %bb.57:
	s_mov_b32 s18, 0x6dc9c883
	s_mov_b32 s19, 0x3fe45f30
	;; [unrolled: 1-line block ×3, first 2 shown]
	v_mul_f64 v[9:10], |v[6:7]|, s[18:19]
	s_mov_b32 s18, 0x54442d18
	s_mov_b32 s19, 0xbff921fb
	;; [unrolled: 1-line block ×3, first 2 shown]
	v_rndne_f64_e32 v[14:15], v[9:10]
	v_fma_f64 v[9:10], v[14:15], s[18:19], |v[6:7]|
	v_mul_f64 v[11:12], v[14:15], s[20:21]
	s_mov_b32 s18, 0x252049c0
	s_mov_b32 s19, 0xb97b839a
	v_fma_f64 v[20:21], v[14:15], s[20:21], v[9:10]
	v_add_f64 v[18:19], v[9:10], v[11:12]
	s_mov_b32 s21, 0x3c91a626
	v_add_f64 v[9:10], v[9:10], -v[18:19]
	v_add_f64 v[18:19], v[18:19], -v[20:21]
	v_add_f64 v[9:10], v[9:10], v[11:12]
	v_fma_f64 v[11:12], v[14:15], s[20:21], v[11:12]
	v_add_f64 v[9:10], v[18:19], v[9:10]
	v_add_f64 v[9:10], v[9:10], -v[11:12]
	v_fma_f64 v[11:12], v[14:15], s[18:19], v[9:10]
	v_cvt_i32_f64_e32 v14, v[14:15]
	v_add_f64 v[9:10], v[20:21], v[11:12]
	v_add_f64 v[18:19], v[9:10], -v[20:21]
	v_add_f64 v[11:12], v[11:12], -v[18:19]
.LBB34_58:
	s_or_b32 exec_lo, exec_lo, s4
	v_mul_f64 v[15:16], v[9:10], v[9:10]
	v_add_f64 v[18:19], v[11:12], v[11:12]
	s_mov_b32 s18, 0xa9a29f71
	s_mov_b32 s20, 0xc751c08c
	;; [unrolled: 1-line block ×4, first 2 shown]
	v_cmp_class_f64_e64 s4, v[6:7], 0x1f8
	v_and_b32_e32 v14, 1, v14
	v_and_b32_e32 v7, 0x80000000, v7
	v_sub_f32_e32 v13, 1.0, v13
	s_mov_b32 s5, exec_lo
	v_cmp_eq_u32_e32 vcc_lo, 0, v14
	v_fma_f64 v[20:21], v[9:10], v[9:10], -v[15:16]
	v_fma_f64 v[18:19], v[9:10], v[18:19], v[20:21]
	v_add_f64 v[15:16], v[15:16], v[18:19]
	v_fma_f64 v[18:19], v[15:16], s[20:21], s[18:19]
	s_mov_b32 s18, 0x90a8aae0
	s_mov_b32 s19, 0x3f17746f
	v_fma_f64 v[18:19], v[15:16], v[18:19], s[18:19]
	s_mov_b32 s18, 0xa6fbf144
	s_mov_b32 s19, 0xbefbb44d
	;; [unrolled: 3-line block ×13, first 2 shown]
	v_mul_f64 v[15:16], v[15:16], v[18:19]
	v_mul_f64 v[18:19], v[9:10], v[15:16]
	v_add_f64 v[20:21], v[9:10], v[18:19]
	v_fma_f64 v[15:16], v[9:10], v[15:16], -v[18:19]
	v_add_f64 v[9:10], v[20:21], -v[9:10]
	v_add_f64 v[11:12], v[11:12], v[15:16]
	v_add_f64 v[9:10], v[18:19], -v[9:10]
	v_add_f64 v[9:10], v[11:12], v[9:10]
	v_add_f64 v[11:12], v[20:21], v[9:10]
	v_rcp_f64_e32 v[15:16], v[11:12]
	v_fma_f64 v[18:19], -v[11:12], v[15:16], 1.0
	v_fma_f64 v[15:16], v[18:19], v[15:16], v[15:16]
	v_fma_f64 v[18:19], -v[11:12], v[15:16], 1.0
	v_fma_f64 v[15:16], v[18:19], v[15:16], v[15:16]
	v_add_f64 v[18:19], v[11:12], -v[20:21]
	v_mul_f64 v[20:21], v[11:12], v[15:16]
	v_add_f64 v[9:10], v[9:10], -v[18:19]
	v_fma_f64 v[18:19], v[15:16], v[11:12], -v[20:21]
	v_fma_f64 v[9:10], v[15:16], v[9:10], v[18:19]
	v_add_f64 v[18:19], v[20:21], v[9:10]
	v_add_f64 v[22:23], -v[18:19], 1.0
	v_add_f64 v[20:21], v[18:19], -v[20:21]
	v_add_f64 v[24:25], -v[22:23], 1.0
	v_add_f64 v[9:10], v[20:21], -v[9:10]
	v_add_f64 v[18:19], v[24:25], -v[18:19]
	v_add_f64 v[9:10], v[9:10], v[18:19]
	v_add_f64 v[9:10], v[22:23], v[9:10]
	v_mul_f64 v[9:10], v[15:16], v[9:10]
	v_add_f64 v[9:10], v[15:16], v[9:10]
	v_xor_b32_e32 v6, 0x80000000, v10
	v_cndmask_b32_e32 v9, v9, v11, vcc_lo
	v_cndmask_b32_e32 v6, v6, v12, vcc_lo
	v_xor_b32_e32 v7, v6, v7
	v_cndmask_b32_e64 v6, 0, v9, s4
	v_cndmask_b32_e64 v7, 0x7ff80000, v7, s4
	v_div_scale_f64 v[9:10], null, v[6:7], v[6:7], s[18:19]
	v_rcp_f64_e32 v[11:12], v[9:10]
	v_fma_f64 v[14:15], -v[9:10], v[11:12], 1.0
	v_fma_f64 v[11:12], v[11:12], v[14:15], v[11:12]
	v_fma_f64 v[14:15], -v[9:10], v[11:12], 1.0
	v_fma_f64 v[11:12], v[11:12], v[14:15], v[11:12]
	v_div_scale_f64 v[14:15], vcc_lo, s[18:19], v[6:7], s[18:19]
	v_mul_f64 v[18:19], v[14:15], v[11:12]
	v_fma_f64 v[9:10], -v[9:10], v[18:19], v[14:15]
	v_div_fmas_f64 v[9:10], v[9:10], v[11:12], v[18:19]
	v_div_fixup_f64 v[6:7], v[9:10], v[6:7], s[18:19]
	v_cvt_f32_f64_e32 v9, v[6:7]
.LBB34_59:
	s_or_b32 exec_lo, exec_lo, s16
	s_orn2_b32 s4, s5, exec_lo
.LBB34_60:
	s_or_b32 exec_lo, exec_lo, s15
	v_mov_b32_e32 v6, 0x7fc0
	v_mov_b32_e32 v7, 0
	s_and_saveexec_b32 s5, s4
	s_cbranch_execz .LBB34_72
; %bb.61:
	s_mov_b32 s4, exec_lo
	v_cmpx_gt_f32_e32 0x41200000, v13
	s_cbranch_execz .LBB34_65
; %bb.62:
	s_mov_b32 s15, 0
	.p2align	6
.LBB34_63:                              ; =>This Inner Loop Header: Depth=1
	v_div_scale_f32 v6, null, v13, v13, 1.0
	v_div_scale_f32 v11, vcc_lo, 1.0, v13, 1.0
	v_rcp_f32_e32 v7, v6
	v_fma_f32 v10, -v6, v7, 1.0
	v_fmac_f32_e32 v7, v10, v7
	v_mul_f32_e32 v10, v11, v7
	v_fma_f32 v12, -v6, v10, v11
	v_fmac_f32_e32 v10, v12, v7
	v_fma_f32 v6, -v6, v10, v11
	v_div_fmas_f32 v6, v6, v7, v10
	v_div_fixup_f32 v6, v6, v13, 1.0
	v_add_f32_e32 v13, 1.0, v13
	v_sub_f32_e32 v9, v9, v6
	v_cmp_ngt_f32_e32 vcc_lo, 0x41200000, v13
	s_or_b32 s15, vcc_lo, s15
	s_andn2_b32 exec_lo, exec_lo, s15
	s_cbranch_execnz .LBB34_63
; %bb.64:
	s_or_b32 exec_lo, exec_lo, s15
.LBB34_65:
	s_or_b32 exec_lo, exec_lo, s4
                                        ; implicit-def: $vgpr6_vgpr7
	s_mov_b32 s4, exec_lo
	v_cmpx_neq_f32_e32 0x41200000, v13
	s_xor_b32 s15, exec_lo, s4
	s_cbranch_execz .LBB34_69
; %bb.66:
	v_cvt_f64_f32_e32 v[6:7], v13
	s_mov_b32 s16, 0x85d8a000
	s_mov_b32 s17, 0x43763457
	v_cmp_gt_f64_e32 vcc_lo, s[16:17], v[6:7]
	v_mov_b32_e32 v6, 0
	s_and_saveexec_b32 s4, vcc_lo
	s_cbranch_execz .LBB34_68
; %bb.67:
	v_mul_f32_e32 v6, v13, v13
	v_div_scale_f32 v7, null, v6, v6, 1.0
	v_rcp_f32_e32 v10, v7
	v_fma_f32 v11, -v7, v10, 1.0
	v_fmac_f32_e32 v10, v11, v10
	v_div_scale_f32 v11, vcc_lo, 1.0, v6, 1.0
	v_mul_f32_e32 v12, v11, v10
	v_fma_f32 v14, -v7, v12, v11
	v_fmac_f32_e32 v12, v14, v10
	v_fma_f32 v7, -v7, v12, v11
	v_div_fmas_f32 v7, v7, v10, v12
	v_div_fixup_f32 v6, v7, v6, 1.0
	v_fmaak_f32 v7, 0, v6, 0x3daaaaab
	v_fmaak_f32 v7, v6, v7, 0xbcaccacd
	;; [unrolled: 1-line block ×7, first 2 shown]
	v_mul_f32_e32 v6, v6, v7
.LBB34_68:
	s_or_b32 exec_lo, exec_lo, s4
	v_cmp_gt_f32_e32 vcc_lo, 0x800000, v13
	v_div_scale_f32 v7, null, v13, v13, -0.5
	v_div_scale_f32 v14, s4, -0.5, v13, -0.5
	v_cndmask_b32_e64 v10, 0, 32, vcc_lo
	v_rcp_f32_e32 v11, v7
	v_ldexp_f32 v10, v13, v10
	v_log_f32_e32 v10, v10
	v_fma_f32 v12, -v7, v11, 1.0
	v_fmac_f32_e32 v11, v12, v11
	v_mul_f32_e32 v12, 0x3f317217, v10
	v_mul_f32_e32 v15, v14, v11
	v_fma_f32 v12, 0x3f317217, v10, -v12
	v_fma_f32 v16, -v7, v15, v14
	v_fmamk_f32 v12, v10, 0x3377d1cf, v12
	v_fmac_f32_e32 v15, v16, v11
	v_cndmask_b32_e64 v16, 0, 0x41b17218, vcc_lo
	v_cmp_gt_f32_e64 vcc_lo, 0x7f800000, |v10|
	v_fmac_f32_e32 v12, 0x3f317217, v10
	v_fma_f32 v7, -v7, v15, v14
	v_cndmask_b32_e32 v10, v10, v12, vcc_lo
	s_mov_b32 vcc_lo, s4
	v_div_fmas_f32 v7, v7, v11, v15
	v_sub_f32_e32 v10, v10, v16
	v_div_fixup_f32 v7, v7, v13, -0.5
	v_add_f32_e32 v7, v10, v7
	v_sub_f32_e32 v6, v7, v6
	v_add_f32_e32 v6, v9, v6
                                        ; implicit-def: $vgpr9
	v_bfe_u32 v7, v6, 16, 1
	v_cmp_o_f32_e32 vcc_lo, v6, v6
	v_add3_u32 v6, v6, v7, 0x7fff
	v_mov_b32_e32 v7, 0x7fc0
	v_cndmask_b32_sdwa v6, v7, v6, vcc_lo dst_sel:DWORD dst_unused:UNUSED_PAD src0_sel:DWORD src1_sel:WORD_1
.LBB34_69:
	s_andn2_saveexec_b32 s4, s15
; %bb.70:
	v_add_f32_e32 v6, 0x40101cb7, v9
	v_bfe_u32 v7, v6, 16, 1
	v_cmp_o_f32_e32 vcc_lo, v6, v6
	v_add3_u32 v6, v6, v7, 0x7fff
	v_mov_b32_e32 v7, 0x7fc0
	v_cndmask_b32_sdwa v6, v7, v6, vcc_lo dst_sel:DWORD dst_unused:UNUSED_PAD src0_sel:DWORD src1_sel:WORD_1
; %bb.71:
	s_or_b32 exec_lo, exec_lo, s4
.LBB34_72:
	s_or_b32 exec_lo, exec_lo, s5
                                        ; implicit-def: $vgpr13
.LBB34_73:
	s_andn2_saveexec_b32 s4, s14
; %bb.74:
	v_xor_b32_e32 v6, 0x80000000, v13
	s_mov_b32 s5, 0x7f800000
	v_and_or_b32 v6, 0x80000000, v6, s5
	v_lshrrev_b32_e32 v6, 16, v6
; %bb.75:
	s_or_b32 exec_lo, exec_lo, s4
	v_and_b32_e32 v13, 0xffff0000, v8
                                        ; implicit-def: $vgpr7_vgpr8
	s_mov_b32 s4, exec_lo
	v_cmpx_neq_f32_e32 0, v13
	s_xor_b32 s14, exec_lo, s4
	s_cbranch_execz .LBB34_97
; %bb.76:
	v_mov_b32_e32 v9, 0
	s_mov_b32 s4, -1
	s_mov_b32 s15, exec_lo
	v_cmpx_gt_f32_e32 0, v13
	s_cbranch_execz .LBB34_84
; %bb.77:
	v_trunc_f32_e32 v7, v13
	v_mov_b32_e32 v9, 0
	s_mov_b32 s5, 0
	s_mov_b32 s16, exec_lo
	v_cmpx_neq_f32_e32 v7, v13
	s_cbranch_execz .LBB34_83
; %bb.78:
	v_cvt_f64_f32_e32 v[7:8], v13
	s_mov_b32 s5, 0xc00921fb
	s_mov_b32 s4, 0x54442d18
	s_mov_b32 s17, exec_lo
                                        ; implicit-def: $vgpr14
                                        ; implicit-def: $vgpr11_vgpr12
	v_trunc_f64_e32 v[9:10], v[7:8]
	v_cmp_neq_f64_e64 vcc_lo, 0x7ff00000, |v[7:8]|
	v_add_f64 v[9:10], v[7:8], -v[9:10]
	v_mul_f64 v[9:10], |v[9:10]|, s[4:5]
	v_cndmask_b32_e32 v8, 0x80000000, v10, vcc_lo
	v_cndmask_b32_e32 v7, 0, v9, vcc_lo
                                        ; implicit-def: $vgpr9_vgpr10
	v_cmpx_ngt_f64_e64 0x41d00000, |v[7:8]|
	s_xor_b32 s17, exec_lo, s17
	s_cbranch_execz .LBB34_80
; %bb.79:
	v_ldexp_f64 v[9:10], |v[7:8]|, 0xffffff80
	v_cmp_le_f64_e64 vcc_lo, 0x7b000000, |v[7:8]|
	v_trig_preop_f64 v[11:12], |v[7:8]|, 0
	v_and_b32_e32 v14, 0x7fffffff, v8
	v_trig_preop_f64 v[26:27], |v[7:8]|, 2
	v_mov_b32_e32 v34, 0
	s_mov_b32 s5, 0x3ff921fb
	s_mov_b32 s18, 0x33145c07
	;; [unrolled: 1-line block ×3, first 2 shown]
	v_cndmask_b32_e32 v10, v14, v10, vcc_lo
	v_cndmask_b32_e32 v9, v7, v9, vcc_lo
	v_trig_preop_f64 v[14:15], |v[7:8]|, 1
	v_mul_f64 v[18:19], v[11:12], v[9:10]
	v_mul_f64 v[32:33], v[26:27], v[9:10]
	;; [unrolled: 1-line block ×3, first 2 shown]
	v_fma_f64 v[11:12], v[11:12], v[9:10], -v[18:19]
	v_fma_f64 v[14:15], v[14:15], v[9:10], -v[20:21]
	;; [unrolled: 1-line block ×3, first 2 shown]
	v_add_f64 v[22:23], v[20:21], v[11:12]
	v_add_f64 v[24:25], v[22:23], -v[20:21]
	v_add_f64 v[30:31], v[18:19], v[22:23]
	v_add_f64 v[28:29], v[22:23], -v[24:25]
	v_add_f64 v[11:12], v[11:12], -v[24:25]
	v_ldexp_f64 v[24:25], v[30:31], -2
	v_add_f64 v[18:19], v[30:31], -v[18:19]
	v_add_f64 v[20:21], v[20:21], -v[28:29]
	v_add_f64 v[28:29], v[32:33], v[14:15]
	v_cmp_neq_f64_e64 vcc_lo, 0x7ff00000, |v[24:25]|
	v_add_f64 v[18:19], v[22:23], -v[18:19]
	v_add_f64 v[11:12], v[11:12], v[20:21]
	v_fract_f64_e32 v[20:21], v[24:25]
	v_add_f64 v[22:23], v[28:29], v[11:12]
	v_ldexp_f64 v[20:21], v[20:21], 2
	v_add_f64 v[24:25], v[18:19], v[22:23]
	v_cndmask_b32_e32 v21, 0, v21, vcc_lo
	v_cndmask_b32_e32 v20, 0, v20, vcc_lo
	v_add_f64 v[30:31], v[24:25], v[20:21]
	v_add_f64 v[18:19], v[24:25], -v[18:19]
	v_cmp_gt_f64_e32 vcc_lo, 0, v[30:31]
	v_add_f64 v[30:31], v[28:29], -v[32:33]
	v_add_f64 v[18:19], v[22:23], -v[18:19]
	v_cndmask_b32_e64 v35, 0, 0x40100000, vcc_lo
	v_add_f64 v[39:40], v[28:29], -v[30:31]
	v_add_f64 v[14:15], v[14:15], -v[30:31]
	v_add_f64 v[20:21], v[20:21], v[34:35]
	v_add_f64 v[35:36], v[22:23], -v[28:29]
	v_add_f64 v[30:31], v[32:33], -v[39:40]
	v_add_f64 v[37:38], v[24:25], v[20:21]
	;; [unrolled: 3-line block ×3, first 2 shown]
	v_cvt_i32_f64_e32 v37, v[37:38]
	v_add_f64 v[28:29], v[28:29], -v[41:42]
	v_cvt_f64_i32_e32 v[35:36], v37
	v_add_f64 v[11:12], v[11:12], v[28:29]
	v_add_f64 v[20:21], v[20:21], -v[35:36]
	v_add_f64 v[11:12], v[14:15], v[11:12]
	v_add_f64 v[15:16], v[24:25], v[20:21]
	;; [unrolled: 1-line block ×3, first 2 shown]
	v_add_f64 v[11:12], v[15:16], -v[20:21]
	v_cmp_le_f64_e32 vcc_lo, 0.5, v[15:16]
	v_add_f64 v[9:10], v[18:19], v[9:10]
	v_add_f64 v[11:12], v[24:25], -v[11:12]
	v_cndmask_b32_e64 v35, 0, 0x3ff00000, vcc_lo
	v_add_co_ci_u32_e64 v14, null, 0, v37, vcc_lo
	v_add_f64 v[9:10], v[9:10], v[11:12]
	v_add_f64 v[11:12], v[15:16], -v[34:35]
	v_add_f64 v[15:16], v[11:12], v[9:10]
	v_mul_f64 v[18:19], v[15:16], s[4:5]
	v_add_f64 v[11:12], v[15:16], -v[11:12]
	v_fma_f64 v[20:21], v[15:16], s[4:5], -v[18:19]
	v_add_f64 v[9:10], v[9:10], -v[11:12]
	v_fma_f64 v[11:12], v[15:16], s[18:19], v[20:21]
	v_fma_f64 v[11:12], v[9:10], s[4:5], v[11:12]
	v_add_f64 v[9:10], v[18:19], v[11:12]
	v_add_f64 v[15:16], v[9:10], -v[18:19]
	v_add_f64 v[11:12], v[11:12], -v[15:16]
.LBB34_80:
	s_andn2_saveexec_b32 s4, s17
	s_cbranch_execz .LBB34_82
; %bb.81:
	s_mov_b32 s18, 0x6dc9c883
	s_mov_b32 s19, 0x3fe45f30
	;; [unrolled: 1-line block ×3, first 2 shown]
	v_mul_f64 v[9:10], |v[7:8]|, s[18:19]
	s_mov_b32 s18, 0x54442d18
	s_mov_b32 s19, 0xbff921fb
	;; [unrolled: 1-line block ×3, first 2 shown]
	v_rndne_f64_e32 v[14:15], v[9:10]
	v_fma_f64 v[9:10], v[14:15], s[18:19], |v[7:8]|
	v_mul_f64 v[11:12], v[14:15], s[20:21]
	s_mov_b32 s18, 0x252049c0
	s_mov_b32 s19, 0xb97b839a
	v_fma_f64 v[20:21], v[14:15], s[20:21], v[9:10]
	v_add_f64 v[18:19], v[9:10], v[11:12]
	s_mov_b32 s21, 0x3c91a626
	v_add_f64 v[9:10], v[9:10], -v[18:19]
	v_add_f64 v[18:19], v[18:19], -v[20:21]
	v_add_f64 v[9:10], v[9:10], v[11:12]
	v_fma_f64 v[11:12], v[14:15], s[20:21], v[11:12]
	v_add_f64 v[9:10], v[18:19], v[9:10]
	v_add_f64 v[9:10], v[9:10], -v[11:12]
	v_fma_f64 v[11:12], v[14:15], s[18:19], v[9:10]
	v_cvt_i32_f64_e32 v14, v[14:15]
	v_add_f64 v[9:10], v[20:21], v[11:12]
	v_add_f64 v[18:19], v[9:10], -v[20:21]
	v_add_f64 v[11:12], v[11:12], -v[18:19]
.LBB34_82:
	s_or_b32 exec_lo, exec_lo, s4
	v_mul_f64 v[15:16], v[9:10], v[9:10]
	v_add_f64 v[18:19], v[11:12], v[11:12]
	s_mov_b32 s18, 0xa9a29f71
	s_mov_b32 s20, 0xc751c08c
	;; [unrolled: 1-line block ×4, first 2 shown]
	v_cmp_class_f64_e64 s4, v[7:8], 0x1f8
	v_and_b32_e32 v14, 1, v14
	v_and_b32_e32 v8, 0x80000000, v8
	v_sub_f32_e32 v13, 1.0, v13
	s_mov_b32 s5, exec_lo
	v_cmp_eq_u32_e32 vcc_lo, 0, v14
	v_fma_f64 v[20:21], v[9:10], v[9:10], -v[15:16]
	v_fma_f64 v[18:19], v[9:10], v[18:19], v[20:21]
	v_add_f64 v[15:16], v[15:16], v[18:19]
	v_fma_f64 v[18:19], v[15:16], s[20:21], s[18:19]
	s_mov_b32 s18, 0x90a8aae0
	s_mov_b32 s19, 0x3f17746f
	v_fma_f64 v[18:19], v[15:16], v[18:19], s[18:19]
	s_mov_b32 s18, 0xa6fbf144
	s_mov_b32 s19, 0xbefbb44d
	;; [unrolled: 3-line block ×13, first 2 shown]
	v_mul_f64 v[15:16], v[15:16], v[18:19]
	v_mul_f64 v[18:19], v[9:10], v[15:16]
	v_add_f64 v[20:21], v[9:10], v[18:19]
	v_fma_f64 v[15:16], v[9:10], v[15:16], -v[18:19]
	v_add_f64 v[9:10], v[20:21], -v[9:10]
	v_add_f64 v[11:12], v[11:12], v[15:16]
	v_add_f64 v[9:10], v[18:19], -v[9:10]
	v_add_f64 v[9:10], v[11:12], v[9:10]
	v_add_f64 v[11:12], v[20:21], v[9:10]
	v_rcp_f64_e32 v[15:16], v[11:12]
	v_fma_f64 v[18:19], -v[11:12], v[15:16], 1.0
	v_fma_f64 v[15:16], v[18:19], v[15:16], v[15:16]
	v_fma_f64 v[18:19], -v[11:12], v[15:16], 1.0
	v_fma_f64 v[15:16], v[18:19], v[15:16], v[15:16]
	v_add_f64 v[18:19], v[11:12], -v[20:21]
	v_mul_f64 v[20:21], v[11:12], v[15:16]
	v_add_f64 v[9:10], v[9:10], -v[18:19]
	v_fma_f64 v[18:19], v[15:16], v[11:12], -v[20:21]
	v_fma_f64 v[9:10], v[15:16], v[9:10], v[18:19]
	v_add_f64 v[18:19], v[20:21], v[9:10]
	v_add_f64 v[22:23], -v[18:19], 1.0
	v_add_f64 v[20:21], v[18:19], -v[20:21]
	v_add_f64 v[24:25], -v[22:23], 1.0
	v_add_f64 v[9:10], v[20:21], -v[9:10]
	v_add_f64 v[18:19], v[24:25], -v[18:19]
	v_add_f64 v[9:10], v[9:10], v[18:19]
	v_add_f64 v[9:10], v[22:23], v[9:10]
	v_mul_f64 v[9:10], v[15:16], v[9:10]
	v_add_f64 v[9:10], v[15:16], v[9:10]
	v_xor_b32_e32 v7, 0x80000000, v10
	v_cndmask_b32_e32 v9, v9, v11, vcc_lo
	v_cndmask_b32_e32 v7, v7, v12, vcc_lo
	v_xor_b32_e32 v8, v7, v8
	v_cndmask_b32_e64 v7, 0, v9, s4
	v_cndmask_b32_e64 v8, 0x7ff80000, v8, s4
	v_div_scale_f64 v[9:10], null, v[7:8], v[7:8], s[18:19]
	v_rcp_f64_e32 v[11:12], v[9:10]
	v_fma_f64 v[14:15], -v[9:10], v[11:12], 1.0
	v_fma_f64 v[11:12], v[11:12], v[14:15], v[11:12]
	v_fma_f64 v[14:15], -v[9:10], v[11:12], 1.0
	v_fma_f64 v[11:12], v[11:12], v[14:15], v[11:12]
	v_div_scale_f64 v[14:15], vcc_lo, s[18:19], v[7:8], s[18:19]
	v_mul_f64 v[18:19], v[14:15], v[11:12]
	v_fma_f64 v[9:10], -v[9:10], v[18:19], v[14:15]
	v_div_fmas_f64 v[9:10], v[9:10], v[11:12], v[18:19]
	v_div_fixup_f64 v[7:8], v[9:10], v[7:8], s[18:19]
	v_cvt_f32_f64_e32 v9, v[7:8]
.LBB34_83:
	s_or_b32 exec_lo, exec_lo, s16
	s_orn2_b32 s4, s5, exec_lo
.LBB34_84:
	s_or_b32 exec_lo, exec_lo, s15
	v_mov_b32_e32 v7, 0x7fc0
	v_mov_b32_e32 v8, 0
	s_and_saveexec_b32 s5, s4
	s_cbranch_execz .LBB34_96
; %bb.85:
	s_mov_b32 s4, exec_lo
	v_cmpx_gt_f32_e32 0x41200000, v13
	s_cbranch_execz .LBB34_89
; %bb.86:
	s_mov_b32 s15, 0
	.p2align	6
.LBB34_87:                              ; =>This Inner Loop Header: Depth=1
	v_div_scale_f32 v7, null, v13, v13, 1.0
	v_div_scale_f32 v11, vcc_lo, 1.0, v13, 1.0
	v_rcp_f32_e32 v8, v7
	v_fma_f32 v10, -v7, v8, 1.0
	v_fmac_f32_e32 v8, v10, v8
	v_mul_f32_e32 v10, v11, v8
	v_fma_f32 v12, -v7, v10, v11
	v_fmac_f32_e32 v10, v12, v8
	v_fma_f32 v7, -v7, v10, v11
	v_div_fmas_f32 v7, v7, v8, v10
	v_div_fixup_f32 v7, v7, v13, 1.0
	v_add_f32_e32 v13, 1.0, v13
	v_sub_f32_e32 v9, v9, v7
	v_cmp_ngt_f32_e32 vcc_lo, 0x41200000, v13
	s_or_b32 s15, vcc_lo, s15
	s_andn2_b32 exec_lo, exec_lo, s15
	s_cbranch_execnz .LBB34_87
; %bb.88:
	s_or_b32 exec_lo, exec_lo, s15
.LBB34_89:
	s_or_b32 exec_lo, exec_lo, s4
                                        ; implicit-def: $vgpr7_vgpr8
	s_mov_b32 s4, exec_lo
	v_cmpx_neq_f32_e32 0x41200000, v13
	s_xor_b32 s15, exec_lo, s4
	s_cbranch_execz .LBB34_93
; %bb.90:
	v_cvt_f64_f32_e32 v[7:8], v13
	s_mov_b32 s16, 0x85d8a000
	s_mov_b32 s17, 0x43763457
	v_cmp_gt_f64_e32 vcc_lo, s[16:17], v[7:8]
	v_mov_b32_e32 v7, 0
	s_and_saveexec_b32 s4, vcc_lo
	s_cbranch_execz .LBB34_92
; %bb.91:
	v_mul_f32_e32 v7, v13, v13
	v_div_scale_f32 v8, null, v7, v7, 1.0
	v_rcp_f32_e32 v10, v8
	v_fma_f32 v11, -v8, v10, 1.0
	v_fmac_f32_e32 v10, v11, v10
	v_div_scale_f32 v11, vcc_lo, 1.0, v7, 1.0
	v_mul_f32_e32 v12, v11, v10
	v_fma_f32 v14, -v8, v12, v11
	v_fmac_f32_e32 v12, v14, v10
	v_fma_f32 v8, -v8, v12, v11
	v_div_fmas_f32 v8, v8, v10, v12
	v_div_fixup_f32 v7, v8, v7, 1.0
	v_fmaak_f32 v8, 0, v7, 0x3daaaaab
	v_fmaak_f32 v8, v7, v8, 0xbcaccacd
	v_fmaak_f32 v8, v7, v8, 0x3bf83e10
	v_fmaak_f32 v8, v7, v8, 0xbb888889
	v_fmaak_f32 v8, v7, v8, 0x3b820821
	v_fmaak_f32 v8, v7, v8, 0xbc088889
	v_fmaak_f32 v8, v7, v8, 0x3daaaaab
	v_mul_f32_e32 v7, v7, v8
.LBB34_92:
	s_or_b32 exec_lo, exec_lo, s4
	v_cmp_gt_f32_e32 vcc_lo, 0x800000, v13
	v_div_scale_f32 v8, null, v13, v13, -0.5
	v_div_scale_f32 v14, s4, -0.5, v13, -0.5
	v_cndmask_b32_e64 v10, 0, 32, vcc_lo
	v_rcp_f32_e32 v11, v8
	v_ldexp_f32 v10, v13, v10
	v_log_f32_e32 v10, v10
	v_fma_f32 v12, -v8, v11, 1.0
	v_fmac_f32_e32 v11, v12, v11
	v_mul_f32_e32 v12, 0x3f317217, v10
	v_mul_f32_e32 v15, v14, v11
	v_fma_f32 v12, 0x3f317217, v10, -v12
	v_fma_f32 v16, -v8, v15, v14
	v_fmamk_f32 v12, v10, 0x3377d1cf, v12
	v_fmac_f32_e32 v15, v16, v11
	v_cndmask_b32_e64 v16, 0, 0x41b17218, vcc_lo
	v_cmp_gt_f32_e64 vcc_lo, 0x7f800000, |v10|
	v_fmac_f32_e32 v12, 0x3f317217, v10
	v_fma_f32 v8, -v8, v15, v14
	v_cndmask_b32_e32 v10, v10, v12, vcc_lo
	s_mov_b32 vcc_lo, s4
	v_div_fmas_f32 v8, v8, v11, v15
	v_sub_f32_e32 v10, v10, v16
	v_div_fixup_f32 v8, v8, v13, -0.5
	v_add_f32_e32 v8, v10, v8
	v_sub_f32_e32 v7, v8, v7
	v_add_f32_e32 v7, v9, v7
                                        ; implicit-def: $vgpr9
	v_bfe_u32 v8, v7, 16, 1
	v_cmp_o_f32_e32 vcc_lo, v7, v7
	v_add3_u32 v7, v7, v8, 0x7fff
	v_mov_b32_e32 v8, 0x7fc0
	v_cndmask_b32_sdwa v7, v8, v7, vcc_lo dst_sel:DWORD dst_unused:UNUSED_PAD src0_sel:DWORD src1_sel:WORD_1
.LBB34_93:
	s_andn2_saveexec_b32 s4, s15
; %bb.94:
	v_add_f32_e32 v7, 0x40101cb7, v9
	v_bfe_u32 v8, v7, 16, 1
	v_cmp_o_f32_e32 vcc_lo, v7, v7
	v_add3_u32 v7, v7, v8, 0x7fff
	v_mov_b32_e32 v8, 0x7fc0
	v_cndmask_b32_sdwa v7, v8, v7, vcc_lo dst_sel:DWORD dst_unused:UNUSED_PAD src0_sel:DWORD src1_sel:WORD_1
; %bb.95:
	s_or_b32 exec_lo, exec_lo, s4
.LBB34_96:
	s_or_b32 exec_lo, exec_lo, s5
                                        ; implicit-def: $vgpr13
.LBB34_97:
	s_andn2_saveexec_b32 s4, s14
; %bb.98:
	v_xor_b32_e32 v7, 0x80000000, v13
	s_mov_b32 s5, 0x7f800000
	v_and_or_b32 v7, 0x80000000, v7, s5
	v_lshrrev_b32_e32 v7, 16, v7
; %bb.99:
	s_or_b32 exec_lo, exec_lo, s4
	s_waitcnt vmcnt(0)
	v_lshlrev_b32_e32 v14, 16, v3
                                        ; implicit-def: $vgpr8_vgpr9
	s_mov_b32 s4, exec_lo
	v_cmpx_neq_f32_e32 0, v14
	s_xor_b32 s14, exec_lo, s4
	s_cbranch_execz .LBB34_121
; %bb.100:
	v_mov_b32_e32 v10, 0
	s_mov_b32 s4, -1
	s_mov_b32 s15, exec_lo
	v_cmpx_gt_f32_e32 0, v14
	s_cbranch_execz .LBB34_108
; %bb.101:
	v_trunc_f32_e32 v8, v14
	v_mov_b32_e32 v10, 0
	s_mov_b32 s5, 0
	s_mov_b32 s16, exec_lo
	v_cmpx_neq_f32_e32 v8, v14
	s_cbranch_execz .LBB34_107
; %bb.102:
	v_cvt_f64_f32_e32 v[8:9], v14
	s_mov_b32 s5, 0xc00921fb
	s_mov_b32 s4, 0x54442d18
	s_mov_b32 s17, exec_lo
                                        ; implicit-def: $vgpr15
                                        ; implicit-def: $vgpr12_vgpr13
	v_trunc_f64_e32 v[10:11], v[8:9]
	v_cmp_neq_f64_e64 vcc_lo, 0x7ff00000, |v[8:9]|
	v_add_f64 v[10:11], v[8:9], -v[10:11]
	v_mul_f64 v[10:11], |v[10:11]|, s[4:5]
	v_cndmask_b32_e32 v9, 0x80000000, v11, vcc_lo
	v_cndmask_b32_e32 v8, 0, v10, vcc_lo
                                        ; implicit-def: $vgpr10_vgpr11
	v_cmpx_ngt_f64_e64 0x41d00000, |v[8:9]|
	s_xor_b32 s17, exec_lo, s17
	s_cbranch_execz .LBB34_104
; %bb.103:
	v_ldexp_f64 v[10:11], |v[8:9]|, 0xffffff80
	v_cmp_le_f64_e64 vcc_lo, 0x7b000000, |v[8:9]|
	v_trig_preop_f64 v[12:13], |v[8:9]|, 0
	v_and_b32_e32 v15, 0x7fffffff, v9
	v_trig_preop_f64 v[26:27], |v[8:9]|, 2
	v_mov_b32_e32 v34, 0
	s_mov_b32 s5, 0x3ff921fb
	s_mov_b32 s18, 0x33145c07
	;; [unrolled: 1-line block ×3, first 2 shown]
	v_cndmask_b32_e32 v11, v15, v11, vcc_lo
	v_cndmask_b32_e32 v10, v8, v10, vcc_lo
	v_trig_preop_f64 v[15:16], |v[8:9]|, 1
	v_mul_f64 v[18:19], v[12:13], v[10:11]
	v_mul_f64 v[32:33], v[26:27], v[10:11]
	;; [unrolled: 1-line block ×3, first 2 shown]
	v_fma_f64 v[12:13], v[12:13], v[10:11], -v[18:19]
	v_fma_f64 v[15:16], v[15:16], v[10:11], -v[20:21]
	;; [unrolled: 1-line block ×3, first 2 shown]
	v_add_f64 v[22:23], v[20:21], v[12:13]
	v_add_f64 v[24:25], v[22:23], -v[20:21]
	v_add_f64 v[30:31], v[18:19], v[22:23]
	v_add_f64 v[28:29], v[22:23], -v[24:25]
	v_add_f64 v[12:13], v[12:13], -v[24:25]
	v_ldexp_f64 v[24:25], v[30:31], -2
	v_add_f64 v[18:19], v[30:31], -v[18:19]
	v_add_f64 v[20:21], v[20:21], -v[28:29]
	v_add_f64 v[28:29], v[32:33], v[15:16]
	v_cmp_neq_f64_e64 vcc_lo, 0x7ff00000, |v[24:25]|
	v_add_f64 v[18:19], v[22:23], -v[18:19]
	v_add_f64 v[12:13], v[12:13], v[20:21]
	v_fract_f64_e32 v[20:21], v[24:25]
	v_add_f64 v[22:23], v[28:29], v[12:13]
	v_ldexp_f64 v[20:21], v[20:21], 2
	v_add_f64 v[24:25], v[18:19], v[22:23]
	v_cndmask_b32_e32 v21, 0, v21, vcc_lo
	v_cndmask_b32_e32 v20, 0, v20, vcc_lo
	v_add_f64 v[30:31], v[24:25], v[20:21]
	v_add_f64 v[18:19], v[24:25], -v[18:19]
	v_cmp_gt_f64_e32 vcc_lo, 0, v[30:31]
	v_add_f64 v[30:31], v[28:29], -v[32:33]
	v_cndmask_b32_e64 v35, 0, 0x40100000, vcc_lo
	v_add_f64 v[39:40], v[28:29], -v[30:31]
	v_add_f64 v[15:16], v[15:16], -v[30:31]
	v_add_f64 v[20:21], v[20:21], v[34:35]
	v_add_f64 v[35:36], v[22:23], -v[28:29]
	v_add_f64 v[30:31], v[32:33], -v[39:40]
	v_add_f64 v[37:38], v[24:25], v[20:21]
	;; [unrolled: 3-line block ×3, first 2 shown]
	v_cvt_i32_f64_e32 v37, v[37:38]
	v_add_f64 v[28:29], v[28:29], -v[41:42]
	v_cvt_f64_i32_e32 v[35:36], v37
	v_add_f64 v[12:13], v[12:13], v[28:29]
	v_add_f64 v[20:21], v[20:21], -v[35:36]
	v_add_f64 v[12:13], v[15:16], v[12:13]
	v_add_f64 v[15:16], v[22:23], -v[18:19]
	v_add_f64 v[26:27], v[24:25], v[20:21]
	v_add_f64 v[10:11], v[10:11], v[12:13]
	v_add_f64 v[12:13], v[26:27], -v[20:21]
	v_cmp_le_f64_e32 vcc_lo, 0.5, v[26:27]
	v_add_f64 v[10:11], v[15:16], v[10:11]
	v_add_f64 v[12:13], v[24:25], -v[12:13]
	v_cndmask_b32_e64 v35, 0, 0x3ff00000, vcc_lo
	v_add_co_ci_u32_e64 v15, null, 0, v37, vcc_lo
	v_add_f64 v[10:11], v[10:11], v[12:13]
	v_add_f64 v[12:13], v[26:27], -v[34:35]
	v_add_f64 v[18:19], v[12:13], v[10:11]
	v_mul_f64 v[20:21], v[18:19], s[4:5]
	v_add_f64 v[12:13], v[18:19], -v[12:13]
	v_fma_f64 v[22:23], v[18:19], s[4:5], -v[20:21]
	v_add_f64 v[10:11], v[10:11], -v[12:13]
	v_fma_f64 v[12:13], v[18:19], s[18:19], v[22:23]
	v_fma_f64 v[12:13], v[10:11], s[4:5], v[12:13]
	v_add_f64 v[10:11], v[20:21], v[12:13]
	v_add_f64 v[18:19], v[10:11], -v[20:21]
	v_add_f64 v[12:13], v[12:13], -v[18:19]
.LBB34_104:
	s_andn2_saveexec_b32 s4, s17
	s_cbranch_execz .LBB34_106
; %bb.105:
	s_mov_b32 s18, 0x6dc9c883
	s_mov_b32 s19, 0x3fe45f30
	;; [unrolled: 1-line block ×3, first 2 shown]
	v_mul_f64 v[10:11], |v[8:9]|, s[18:19]
	s_mov_b32 s18, 0x54442d18
	s_mov_b32 s19, 0xbff921fb
	;; [unrolled: 1-line block ×3, first 2 shown]
	v_rndne_f64_e32 v[15:16], v[10:11]
	v_fma_f64 v[10:11], v[15:16], s[18:19], |v[8:9]|
	v_mul_f64 v[12:13], v[15:16], s[20:21]
	s_mov_b32 s18, 0x252049c0
	s_mov_b32 s19, 0xb97b839a
	v_fma_f64 v[20:21], v[15:16], s[20:21], v[10:11]
	v_add_f64 v[18:19], v[10:11], v[12:13]
	s_mov_b32 s21, 0x3c91a626
	v_add_f64 v[10:11], v[10:11], -v[18:19]
	v_add_f64 v[18:19], v[18:19], -v[20:21]
	v_add_f64 v[10:11], v[10:11], v[12:13]
	v_fma_f64 v[12:13], v[15:16], s[20:21], v[12:13]
	v_add_f64 v[10:11], v[18:19], v[10:11]
	v_add_f64 v[10:11], v[10:11], -v[12:13]
	v_fma_f64 v[12:13], v[15:16], s[18:19], v[10:11]
	v_cvt_i32_f64_e32 v15, v[15:16]
	v_add_f64 v[10:11], v[20:21], v[12:13]
	v_add_f64 v[18:19], v[10:11], -v[20:21]
	v_add_f64 v[12:13], v[12:13], -v[18:19]
.LBB34_106:
	s_or_b32 exec_lo, exec_lo, s4
	v_mul_f64 v[18:19], v[10:11], v[10:11]
	v_add_f64 v[20:21], v[12:13], v[12:13]
	s_mov_b32 s18, 0xa9a29f71
	s_mov_b32 s20, 0xc751c08c
	;; [unrolled: 1-line block ×4, first 2 shown]
	v_cmp_class_f64_e64 s4, v[8:9], 0x1f8
	v_and_b32_e32 v15, 1, v15
	v_and_b32_e32 v9, 0x80000000, v9
	v_sub_f32_e32 v14, 1.0, v14
	s_mov_b32 s5, exec_lo
	v_cmp_eq_u32_e32 vcc_lo, 0, v15
	v_fma_f64 v[22:23], v[10:11], v[10:11], -v[18:19]
	v_fma_f64 v[20:21], v[10:11], v[20:21], v[22:23]
	v_add_f64 v[18:19], v[18:19], v[20:21]
	v_fma_f64 v[20:21], v[18:19], s[20:21], s[18:19]
	s_mov_b32 s18, 0x90a8aae0
	s_mov_b32 s19, 0x3f17746f
	v_fma_f64 v[20:21], v[18:19], v[20:21], s[18:19]
	s_mov_b32 s18, 0xa6fbf144
	s_mov_b32 s19, 0xbefbb44d
	v_fma_f64 v[20:21], v[18:19], v[20:21], s[18:19]
	s_mov_b32 s18, 0xa7943acf
	s_mov_b32 s19, 0x3f21e634
	v_fma_f64 v[20:21], v[18:19], v[20:21], s[18:19]
	s_mov_b32 s18, 0xdeb68feb
	s_mov_b32 s19, 0x3f2d250f
	v_fma_f64 v[20:21], v[18:19], v[20:21], s[18:19]
	s_mov_b32 s18, 0xb58c4d95
	s_mov_b32 s19, 0x3f437fd9
	v_fma_f64 v[20:21], v[18:19], v[20:21], s[18:19]
	s_mov_b32 s18, 0x15120e2c
	s_mov_b32 s19, 0x3f57d5af
	v_fma_f64 v[20:21], v[18:19], v[20:21], s[18:19]
	s_mov_b32 s18, 0xe09491df
	s_mov_b32 s19, 0x3f6d6d93
	v_fma_f64 v[20:21], v[18:19], v[20:21], s[18:19]
	s_mov_b32 s18, 0x2033784d
	s_mov_b32 s19, 0x3f8226e1
	v_fma_f64 v[20:21], v[18:19], v[20:21], s[18:19]
	s_mov_b32 s18, 0x9ac36ae2
	s_mov_b32 s19, 0x3f9664f4
	v_fma_f64 v[20:21], v[18:19], v[20:21], s[18:19]
	s_mov_b32 s18, 0x1b451c21
	s_mov_b32 s19, 0x3faba1ba
	v_fma_f64 v[20:21], v[18:19], v[20:21], s[18:19]
	s_mov_b32 s18, 0x111185b7
	s_mov_b32 s19, 0x3fc11111
	v_fma_f64 v[20:21], v[18:19], v[20:21], s[18:19]
	s_mov_b32 s18, 0x555554ee
	s_mov_b32 s19, 0x3fd55555
	v_fma_f64 v[20:21], v[18:19], v[20:21], s[18:19]
	s_mov_b32 s18, 0x54442d18
	s_mov_b32 s19, 0xc00921fb
	v_mul_f64 v[18:19], v[18:19], v[20:21]
	v_mul_f64 v[20:21], v[10:11], v[18:19]
	v_add_f64 v[22:23], v[10:11], v[20:21]
	v_fma_f64 v[18:19], v[10:11], v[18:19], -v[20:21]
	v_add_f64 v[10:11], v[22:23], -v[10:11]
	v_add_f64 v[12:13], v[12:13], v[18:19]
	v_add_f64 v[10:11], v[20:21], -v[10:11]
	v_add_f64 v[10:11], v[12:13], v[10:11]
	v_add_f64 v[12:13], v[22:23], v[10:11]
	v_rcp_f64_e32 v[18:19], v[12:13]
	v_fma_f64 v[20:21], -v[12:13], v[18:19], 1.0
	v_fma_f64 v[18:19], v[20:21], v[18:19], v[18:19]
	v_fma_f64 v[20:21], -v[12:13], v[18:19], 1.0
	v_fma_f64 v[18:19], v[20:21], v[18:19], v[18:19]
	v_add_f64 v[20:21], v[12:13], -v[22:23]
	v_mul_f64 v[22:23], v[12:13], v[18:19]
	v_add_f64 v[10:11], v[10:11], -v[20:21]
	v_fma_f64 v[20:21], v[18:19], v[12:13], -v[22:23]
	v_fma_f64 v[10:11], v[18:19], v[10:11], v[20:21]
	v_add_f64 v[20:21], v[22:23], v[10:11]
	v_add_f64 v[24:25], -v[20:21], 1.0
	v_add_f64 v[22:23], v[20:21], -v[22:23]
	v_add_f64 v[26:27], -v[24:25], 1.0
	v_add_f64 v[10:11], v[22:23], -v[10:11]
	v_add_f64 v[20:21], v[26:27], -v[20:21]
	v_add_f64 v[10:11], v[10:11], v[20:21]
	v_add_f64 v[10:11], v[24:25], v[10:11]
	v_mul_f64 v[10:11], v[18:19], v[10:11]
	v_add_f64 v[10:11], v[18:19], v[10:11]
	v_xor_b32_e32 v8, 0x80000000, v11
	v_cndmask_b32_e32 v10, v10, v12, vcc_lo
	v_cndmask_b32_e32 v8, v8, v13, vcc_lo
	v_xor_b32_e32 v9, v8, v9
	v_cndmask_b32_e64 v8, 0, v10, s4
	v_cndmask_b32_e64 v9, 0x7ff80000, v9, s4
	v_div_scale_f64 v[10:11], null, v[8:9], v[8:9], s[18:19]
	v_rcp_f64_e32 v[12:13], v[10:11]
	v_fma_f64 v[15:16], -v[10:11], v[12:13], 1.0
	v_fma_f64 v[12:13], v[12:13], v[15:16], v[12:13]
	v_fma_f64 v[15:16], -v[10:11], v[12:13], 1.0
	v_fma_f64 v[12:13], v[12:13], v[15:16], v[12:13]
	v_div_scale_f64 v[15:16], vcc_lo, s[18:19], v[8:9], s[18:19]
	v_mul_f64 v[18:19], v[15:16], v[12:13]
	v_fma_f64 v[10:11], -v[10:11], v[18:19], v[15:16]
	v_div_fmas_f64 v[10:11], v[10:11], v[12:13], v[18:19]
	v_div_fixup_f64 v[8:9], v[10:11], v[8:9], s[18:19]
	v_cvt_f32_f64_e32 v10, v[8:9]
.LBB34_107:
	s_or_b32 exec_lo, exec_lo, s16
	s_orn2_b32 s4, s5, exec_lo
.LBB34_108:
	s_or_b32 exec_lo, exec_lo, s15
	v_mov_b32_e32 v8, 0x7fc0
	v_mov_b32_e32 v9, 0
	s_and_saveexec_b32 s5, s4
	s_cbranch_execz .LBB34_120
; %bb.109:
	s_mov_b32 s4, exec_lo
	v_cmpx_gt_f32_e32 0x41200000, v14
	s_cbranch_execz .LBB34_113
; %bb.110:
	s_mov_b32 s15, 0
	.p2align	6
.LBB34_111:                             ; =>This Inner Loop Header: Depth=1
	v_div_scale_f32 v8, null, v14, v14, 1.0
	v_div_scale_f32 v12, vcc_lo, 1.0, v14, 1.0
	v_rcp_f32_e32 v9, v8
	v_fma_f32 v11, -v8, v9, 1.0
	v_fmac_f32_e32 v9, v11, v9
	v_mul_f32_e32 v11, v12, v9
	v_fma_f32 v13, -v8, v11, v12
	v_fmac_f32_e32 v11, v13, v9
	v_fma_f32 v8, -v8, v11, v12
	v_div_fmas_f32 v8, v8, v9, v11
	v_div_fixup_f32 v8, v8, v14, 1.0
	v_add_f32_e32 v14, 1.0, v14
	v_sub_f32_e32 v10, v10, v8
	v_cmp_ngt_f32_e32 vcc_lo, 0x41200000, v14
	s_or_b32 s15, vcc_lo, s15
	s_andn2_b32 exec_lo, exec_lo, s15
	s_cbranch_execnz .LBB34_111
; %bb.112:
	s_or_b32 exec_lo, exec_lo, s15
.LBB34_113:
	s_or_b32 exec_lo, exec_lo, s4
                                        ; implicit-def: $vgpr8_vgpr9
	s_mov_b32 s4, exec_lo
	v_cmpx_neq_f32_e32 0x41200000, v14
	s_xor_b32 s15, exec_lo, s4
	s_cbranch_execz .LBB34_117
; %bb.114:
	v_cvt_f64_f32_e32 v[8:9], v14
	s_mov_b32 s16, 0x85d8a000
	s_mov_b32 s17, 0x43763457
	v_cmp_gt_f64_e32 vcc_lo, s[16:17], v[8:9]
	v_mov_b32_e32 v9, 0
	v_mov_b32_e32 v8, 0
	s_and_saveexec_b32 s4, vcc_lo
	s_cbranch_execz .LBB34_116
; %bb.115:
	v_mul_f32_e32 v8, v14, v14
	v_div_scale_f32 v11, null, v8, v8, 1.0
	v_rcp_f32_e32 v12, v11
	v_fma_f32 v13, -v11, v12, 1.0
	v_fmac_f32_e32 v12, v13, v12
	v_div_scale_f32 v13, vcc_lo, 1.0, v8, 1.0
	v_mul_f32_e32 v15, v13, v12
	v_fma_f32 v16, -v11, v15, v13
	v_fmac_f32_e32 v15, v16, v12
	v_fma_f32 v11, -v11, v15, v13
	v_div_fmas_f32 v11, v11, v12, v15
	v_div_fixup_f32 v8, v11, v8, 1.0
	v_fmaak_f32 v11, 0, v8, 0x3daaaaab
	v_fmaak_f32 v11, v8, v11, 0xbcaccacd
	;; [unrolled: 1-line block ×7, first 2 shown]
	v_mul_f32_e32 v8, v8, v11
.LBB34_116:
	s_or_b32 exec_lo, exec_lo, s4
	v_cmp_gt_f32_e32 vcc_lo, 0x800000, v14
	v_div_scale_f32 v11, null, v14, v14, -0.5
	v_div_scale_f32 v16, s4, -0.5, v14, -0.5
	v_cndmask_b32_e64 v12, 0, 32, vcc_lo
	v_rcp_f32_e32 v13, v11
	v_ldexp_f32 v12, v14, v12
	v_log_f32_e32 v12, v12
	v_fma_f32 v15, -v11, v13, 1.0
	v_fmac_f32_e32 v13, v15, v13
	v_mul_f32_e32 v15, 0x3f317217, v12
	v_mul_f32_e32 v18, v16, v13
	v_fma_f32 v15, 0x3f317217, v12, -v15
	v_fma_f32 v19, -v11, v18, v16
	v_fmamk_f32 v15, v12, 0x3377d1cf, v15
	v_fmac_f32_e32 v18, v19, v13
	v_cndmask_b32_e64 v19, 0, 0x41b17218, vcc_lo
	v_cmp_gt_f32_e64 vcc_lo, 0x7f800000, |v12|
	v_fmac_f32_e32 v15, 0x3f317217, v12
	v_fma_f32 v11, -v11, v18, v16
	v_cndmask_b32_e32 v12, v12, v15, vcc_lo
	s_mov_b32 vcc_lo, s4
	v_div_fmas_f32 v11, v11, v13, v18
	v_sub_f32_e32 v12, v12, v19
	v_div_fixup_f32 v11, v11, v14, -0.5
	v_add_f32_e32 v11, v12, v11
	v_sub_f32_e32 v8, v11, v8
	v_add_f32_e32 v8, v10, v8
	v_bfe_u32 v10, v8, 16, 1
	v_cmp_o_f32_e32 vcc_lo, v8, v8
	v_add3_u32 v8, v8, v10, 0x7fff
	v_mov_b32_e32 v10, 0x7fc0
	v_cndmask_b32_sdwa v8, v10, v8, vcc_lo dst_sel:DWORD dst_unused:UNUSED_PAD src0_sel:DWORD src1_sel:WORD_1
                                        ; implicit-def: $vgpr10
.LBB34_117:
	s_andn2_saveexec_b32 s4, s15
	s_cbranch_execz .LBB34_119
; %bb.118:
	v_add_f32_e32 v8, 0x40101cb7, v10
	v_mov_b32_e32 v10, 0x7fc0
	v_bfe_u32 v9, v8, 16, 1
	v_cmp_o_f32_e32 vcc_lo, v8, v8
	v_add3_u32 v8, v8, v9, 0x7fff
	v_mov_b32_e32 v9, 0
	v_cndmask_b32_sdwa v8, v10, v8, vcc_lo dst_sel:DWORD dst_unused:UNUSED_PAD src0_sel:DWORD src1_sel:WORD_1
.LBB34_119:
	s_or_b32 exec_lo, exec_lo, s4
.LBB34_120:
	s_or_b32 exec_lo, exec_lo, s5
                                        ; implicit-def: $vgpr14
.LBB34_121:
	s_andn2_saveexec_b32 s4, s14
; %bb.122:
	v_xor_b32_e32 v8, 0x80000000, v14
	s_mov_b32 s5, 0x7f800000
	v_mov_b32_e32 v9, 0
	v_and_or_b32 v8, 0x80000000, v8, s5
	v_lshrrev_b32_e32 v8, 16, v8
; %bb.123:
	s_or_b32 exec_lo, exec_lo, s4
	v_and_b32_e32 v3, 0xffff0000, v3
                                        ; implicit-def: $vgpr10_vgpr11
	s_mov_b32 s4, exec_lo
	v_cmpx_neq_f32_e32 0, v3
	s_xor_b32 s14, exec_lo, s4
	s_cbranch_execz .LBB34_145
; %bb.124:
	v_mov_b32_e32 v12, 0
	s_mov_b32 s4, -1
	s_mov_b32 s15, exec_lo
	v_cmpx_gt_f32_e32 0, v3
	s_cbranch_execz .LBB34_132
; %bb.125:
	v_trunc_f32_e32 v10, v3
	v_mov_b32_e32 v12, 0
	s_mov_b32 s5, 0
	s_mov_b32 s16, exec_lo
	v_cmpx_neq_f32_e32 v10, v3
	s_cbranch_execz .LBB34_131
; %bb.126:
	v_cvt_f64_f32_e32 v[10:11], v3
	s_mov_b32 s5, 0xc00921fb
	s_mov_b32 s4, 0x54442d18
	s_mov_b32 s17, exec_lo
                                        ; implicit-def: $vgpr16
                                        ; implicit-def: $vgpr14_vgpr15
	v_trunc_f64_e32 v[12:13], v[10:11]
	v_cmp_neq_f64_e64 vcc_lo, 0x7ff00000, |v[10:11]|
	v_add_f64 v[12:13], v[10:11], -v[12:13]
	v_mul_f64 v[12:13], |v[12:13]|, s[4:5]
	v_cndmask_b32_e32 v11, 0x80000000, v13, vcc_lo
	v_cndmask_b32_e32 v10, 0, v12, vcc_lo
                                        ; implicit-def: $vgpr12_vgpr13
	v_cmpx_ngt_f64_e64 0x41d00000, |v[10:11]|
	s_xor_b32 s17, exec_lo, s17
	s_cbranch_execz .LBB34_128
; %bb.127:
	v_ldexp_f64 v[12:13], |v[10:11]|, 0xffffff80
	v_cmp_le_f64_e64 vcc_lo, 0x7b000000, |v[10:11]|
	v_trig_preop_f64 v[14:15], |v[10:11]|, 0
	v_and_b32_e32 v16, 0x7fffffff, v11
	v_trig_preop_f64 v[18:19], |v[10:11]|, 1
	v_trig_preop_f64 v[28:29], |v[10:11]|, 2
	v_mov_b32_e32 v36, 0
	s_mov_b32 s5, 0x3ff921fb
	s_mov_b32 s18, 0x33145c07
	;; [unrolled: 1-line block ×3, first 2 shown]
	v_cndmask_b32_e32 v13, v16, v13, vcc_lo
	v_cndmask_b32_e32 v12, v10, v12, vcc_lo
	v_mul_f64 v[20:21], v[14:15], v[12:13]
	v_mul_f64 v[22:23], v[18:19], v[12:13]
	;; [unrolled: 1-line block ×3, first 2 shown]
	v_fma_f64 v[14:15], v[14:15], v[12:13], -v[20:21]
	v_fma_f64 v[18:19], v[18:19], v[12:13], -v[22:23]
	;; [unrolled: 1-line block ×3, first 2 shown]
	v_add_f64 v[24:25], v[22:23], v[14:15]
	v_add_f64 v[26:27], v[24:25], -v[22:23]
	v_add_f64 v[32:33], v[20:21], v[24:25]
	v_add_f64 v[30:31], v[24:25], -v[26:27]
	v_add_f64 v[14:15], v[14:15], -v[26:27]
	v_ldexp_f64 v[26:27], v[32:33], -2
	v_add_f64 v[20:21], v[32:33], -v[20:21]
	v_add_f64 v[22:23], v[22:23], -v[30:31]
	v_add_f64 v[30:31], v[34:35], v[18:19]
	v_cmp_neq_f64_e64 vcc_lo, 0x7ff00000, |v[26:27]|
	v_add_f64 v[20:21], v[24:25], -v[20:21]
	v_add_f64 v[14:15], v[14:15], v[22:23]
	v_fract_f64_e32 v[22:23], v[26:27]
	v_add_f64 v[24:25], v[30:31], v[14:15]
	v_ldexp_f64 v[22:23], v[22:23], 2
	v_add_f64 v[26:27], v[20:21], v[24:25]
	v_cndmask_b32_e32 v23, 0, v23, vcc_lo
	v_cndmask_b32_e32 v22, 0, v22, vcc_lo
	v_add_f64 v[32:33], v[26:27], v[22:23]
	v_add_f64 v[20:21], v[26:27], -v[20:21]
	v_cmp_gt_f64_e32 vcc_lo, 0, v[32:33]
	v_add_f64 v[32:33], v[30:31], -v[34:35]
	v_add_f64 v[20:21], v[24:25], -v[20:21]
	v_cndmask_b32_e64 v37, 0, 0x40100000, vcc_lo
	v_add_f64 v[41:42], v[30:31], -v[32:33]
	v_add_f64 v[18:19], v[18:19], -v[32:33]
	v_add_f64 v[22:23], v[22:23], v[36:37]
	v_add_f64 v[37:38], v[24:25], -v[30:31]
	v_add_f64 v[32:33], v[34:35], -v[41:42]
	v_add_f64 v[39:40], v[26:27], v[22:23]
	;; [unrolled: 3-line block ×3, first 2 shown]
	v_cvt_i32_f64_e32 v16, v[39:40]
	v_add_f64 v[30:31], v[30:31], -v[43:44]
	v_cvt_f64_i32_e32 v[37:38], v16
	v_add_f64 v[14:15], v[14:15], v[30:31]
	v_add_f64 v[22:23], v[22:23], -v[37:38]
	v_add_f64 v[14:15], v[18:19], v[14:15]
	v_add_f64 v[18:19], v[26:27], v[22:23]
	;; [unrolled: 1-line block ×3, first 2 shown]
	v_add_f64 v[14:15], v[18:19], -v[22:23]
	v_cmp_le_f64_e32 vcc_lo, 0.5, v[18:19]
	v_add_f64 v[12:13], v[20:21], v[12:13]
	v_add_f64 v[14:15], v[26:27], -v[14:15]
	v_cndmask_b32_e64 v37, 0, 0x3ff00000, vcc_lo
	v_add_co_ci_u32_e64 v16, null, 0, v16, vcc_lo
	v_add_f64 v[12:13], v[12:13], v[14:15]
	v_add_f64 v[14:15], v[18:19], -v[36:37]
	v_add_f64 v[18:19], v[14:15], v[12:13]
	v_mul_f64 v[20:21], v[18:19], s[4:5]
	v_add_f64 v[14:15], v[18:19], -v[14:15]
	v_fma_f64 v[22:23], v[18:19], s[4:5], -v[20:21]
	v_add_f64 v[12:13], v[12:13], -v[14:15]
	v_fma_f64 v[14:15], v[18:19], s[18:19], v[22:23]
	v_fma_f64 v[14:15], v[12:13], s[4:5], v[14:15]
	v_add_f64 v[12:13], v[20:21], v[14:15]
	v_add_f64 v[18:19], v[12:13], -v[20:21]
	v_add_f64 v[14:15], v[14:15], -v[18:19]
.LBB34_128:
	s_andn2_saveexec_b32 s4, s17
	s_cbranch_execz .LBB34_130
; %bb.129:
	s_mov_b32 s18, 0x6dc9c883
	s_mov_b32 s19, 0x3fe45f30
	;; [unrolled: 1-line block ×3, first 2 shown]
	v_mul_f64 v[12:13], |v[10:11]|, s[18:19]
	s_mov_b32 s18, 0x54442d18
	s_mov_b32 s19, 0xbff921fb
	;; [unrolled: 1-line block ×3, first 2 shown]
	v_rndne_f64_e32 v[18:19], v[12:13]
	v_fma_f64 v[12:13], v[18:19], s[18:19], |v[10:11]|
	v_mul_f64 v[14:15], v[18:19], s[20:21]
	s_mov_b32 s18, 0x252049c0
	s_mov_b32 s19, 0xb97b839a
	v_cvt_i32_f64_e32 v16, v[18:19]
	v_fma_f64 v[22:23], v[18:19], s[20:21], v[12:13]
	v_add_f64 v[20:21], v[12:13], v[14:15]
	s_mov_b32 s21, 0x3c91a626
	v_add_f64 v[12:13], v[12:13], -v[20:21]
	v_add_f64 v[20:21], v[20:21], -v[22:23]
	v_add_f64 v[12:13], v[12:13], v[14:15]
	v_fma_f64 v[14:15], v[18:19], s[20:21], v[14:15]
	v_add_f64 v[12:13], v[20:21], v[12:13]
	v_add_f64 v[12:13], v[12:13], -v[14:15]
	v_fma_f64 v[14:15], v[18:19], s[18:19], v[12:13]
	v_add_f64 v[12:13], v[22:23], v[14:15]
	v_add_f64 v[20:21], v[12:13], -v[22:23]
	v_add_f64 v[14:15], v[14:15], -v[20:21]
.LBB34_130:
	s_or_b32 exec_lo, exec_lo, s4
	v_mul_f64 v[18:19], v[12:13], v[12:13]
	v_add_f64 v[20:21], v[14:15], v[14:15]
	s_mov_b32 s18, 0xa9a29f71
	s_mov_b32 s20, 0xc751c08c
	;; [unrolled: 1-line block ×4, first 2 shown]
	v_cmp_class_f64_e64 s4, v[10:11], 0x1f8
	v_and_b32_e32 v16, 1, v16
	v_and_b32_e32 v11, 0x80000000, v11
	v_sub_f32_e32 v3, 1.0, v3
	s_mov_b32 s5, exec_lo
	v_cmp_eq_u32_e32 vcc_lo, 0, v16
	v_fma_f64 v[22:23], v[12:13], v[12:13], -v[18:19]
	v_fma_f64 v[20:21], v[12:13], v[20:21], v[22:23]
	v_add_f64 v[18:19], v[18:19], v[20:21]
	v_fma_f64 v[20:21], v[18:19], s[20:21], s[18:19]
	s_mov_b32 s18, 0x90a8aae0
	s_mov_b32 s19, 0x3f17746f
	v_fma_f64 v[20:21], v[18:19], v[20:21], s[18:19]
	s_mov_b32 s18, 0xa6fbf144
	s_mov_b32 s19, 0xbefbb44d
	v_fma_f64 v[20:21], v[18:19], v[20:21], s[18:19]
	s_mov_b32 s18, 0xa7943acf
	s_mov_b32 s19, 0x3f21e634
	v_fma_f64 v[20:21], v[18:19], v[20:21], s[18:19]
	s_mov_b32 s18, 0xdeb68feb
	s_mov_b32 s19, 0x3f2d250f
	v_fma_f64 v[20:21], v[18:19], v[20:21], s[18:19]
	s_mov_b32 s18, 0xb58c4d95
	s_mov_b32 s19, 0x3f437fd9
	v_fma_f64 v[20:21], v[18:19], v[20:21], s[18:19]
	s_mov_b32 s18, 0x15120e2c
	s_mov_b32 s19, 0x3f57d5af
	v_fma_f64 v[20:21], v[18:19], v[20:21], s[18:19]
	s_mov_b32 s18, 0xe09491df
	s_mov_b32 s19, 0x3f6d6d93
	v_fma_f64 v[20:21], v[18:19], v[20:21], s[18:19]
	s_mov_b32 s18, 0x2033784d
	s_mov_b32 s19, 0x3f8226e1
	v_fma_f64 v[20:21], v[18:19], v[20:21], s[18:19]
	s_mov_b32 s18, 0x9ac36ae2
	s_mov_b32 s19, 0x3f9664f4
	v_fma_f64 v[20:21], v[18:19], v[20:21], s[18:19]
	s_mov_b32 s18, 0x1b451c21
	s_mov_b32 s19, 0x3faba1ba
	v_fma_f64 v[20:21], v[18:19], v[20:21], s[18:19]
	s_mov_b32 s18, 0x111185b7
	s_mov_b32 s19, 0x3fc11111
	v_fma_f64 v[20:21], v[18:19], v[20:21], s[18:19]
	s_mov_b32 s18, 0x555554ee
	s_mov_b32 s19, 0x3fd55555
	v_fma_f64 v[20:21], v[18:19], v[20:21], s[18:19]
	s_mov_b32 s18, 0x54442d18
	s_mov_b32 s19, 0xc00921fb
	v_mul_f64 v[18:19], v[18:19], v[20:21]
	v_mul_f64 v[20:21], v[12:13], v[18:19]
	v_add_f64 v[22:23], v[12:13], v[20:21]
	v_fma_f64 v[18:19], v[12:13], v[18:19], -v[20:21]
	v_add_f64 v[12:13], v[22:23], -v[12:13]
	v_add_f64 v[14:15], v[14:15], v[18:19]
	v_add_f64 v[12:13], v[20:21], -v[12:13]
	v_add_f64 v[12:13], v[14:15], v[12:13]
	v_add_f64 v[14:15], v[22:23], v[12:13]
	v_rcp_f64_e32 v[18:19], v[14:15]
	v_fma_f64 v[20:21], -v[14:15], v[18:19], 1.0
	v_fma_f64 v[18:19], v[20:21], v[18:19], v[18:19]
	v_fma_f64 v[20:21], -v[14:15], v[18:19], 1.0
	v_fma_f64 v[18:19], v[20:21], v[18:19], v[18:19]
	v_add_f64 v[20:21], v[14:15], -v[22:23]
	v_mul_f64 v[22:23], v[14:15], v[18:19]
	v_add_f64 v[12:13], v[12:13], -v[20:21]
	v_fma_f64 v[20:21], v[18:19], v[14:15], -v[22:23]
	v_fma_f64 v[12:13], v[18:19], v[12:13], v[20:21]
	v_add_f64 v[20:21], v[22:23], v[12:13]
	v_add_f64 v[24:25], -v[20:21], 1.0
	v_add_f64 v[22:23], v[20:21], -v[22:23]
	v_add_f64 v[26:27], -v[24:25], 1.0
	v_add_f64 v[12:13], v[22:23], -v[12:13]
	v_add_f64 v[20:21], v[26:27], -v[20:21]
	v_add_f64 v[12:13], v[12:13], v[20:21]
	v_add_f64 v[12:13], v[24:25], v[12:13]
	v_mul_f64 v[12:13], v[18:19], v[12:13]
	v_add_f64 v[12:13], v[18:19], v[12:13]
	v_xor_b32_e32 v10, 0x80000000, v13
	v_cndmask_b32_e32 v12, v12, v14, vcc_lo
	v_cndmask_b32_e32 v10, v10, v15, vcc_lo
	v_xor_b32_e32 v11, v10, v11
	v_cndmask_b32_e64 v10, 0, v12, s4
	v_cndmask_b32_e64 v11, 0x7ff80000, v11, s4
	v_div_scale_f64 v[12:13], null, v[10:11], v[10:11], s[18:19]
	v_rcp_f64_e32 v[14:15], v[12:13]
	v_fma_f64 v[18:19], -v[12:13], v[14:15], 1.0
	v_fma_f64 v[14:15], v[14:15], v[18:19], v[14:15]
	v_fma_f64 v[18:19], -v[12:13], v[14:15], 1.0
	v_fma_f64 v[14:15], v[14:15], v[18:19], v[14:15]
	v_div_scale_f64 v[18:19], vcc_lo, s[18:19], v[10:11], s[18:19]
	v_mul_f64 v[20:21], v[18:19], v[14:15]
	v_fma_f64 v[12:13], -v[12:13], v[20:21], v[18:19]
	v_div_fmas_f64 v[12:13], v[12:13], v[14:15], v[20:21]
	v_div_fixup_f64 v[10:11], v[12:13], v[10:11], s[18:19]
	v_cvt_f32_f64_e32 v12, v[10:11]
.LBB34_131:
	s_or_b32 exec_lo, exec_lo, s16
	s_orn2_b32 s4, s5, exec_lo
.LBB34_132:
	s_or_b32 exec_lo, exec_lo, s15
	v_mov_b32_e32 v10, 0x7fc0
	v_mov_b32_e32 v11, 0
	s_and_saveexec_b32 s5, s4
	s_cbranch_execz .LBB34_144
; %bb.133:
	s_mov_b32 s4, exec_lo
	v_cmpx_gt_f32_e32 0x41200000, v3
	s_cbranch_execz .LBB34_137
; %bb.134:
	s_mov_b32 s15, 0
	.p2align	6
.LBB34_135:                             ; =>This Inner Loop Header: Depth=1
	v_div_scale_f32 v10, null, v3, v3, 1.0
	v_div_scale_f32 v14, vcc_lo, 1.0, v3, 1.0
	v_rcp_f32_e32 v11, v10
	v_fma_f32 v13, -v10, v11, 1.0
	v_fmac_f32_e32 v11, v13, v11
	v_mul_f32_e32 v13, v14, v11
	v_fma_f32 v15, -v10, v13, v14
	v_fmac_f32_e32 v13, v15, v11
	v_fma_f32 v10, -v10, v13, v14
	v_div_fmas_f32 v10, v10, v11, v13
	v_div_fixup_f32 v10, v10, v3, 1.0
	v_add_f32_e32 v3, 1.0, v3
	v_sub_f32_e32 v12, v12, v10
	v_cmp_ngt_f32_e32 vcc_lo, 0x41200000, v3
	s_or_b32 s15, vcc_lo, s15
	s_andn2_b32 exec_lo, exec_lo, s15
	s_cbranch_execnz .LBB34_135
; %bb.136:
	s_or_b32 exec_lo, exec_lo, s15
.LBB34_137:
	s_or_b32 exec_lo, exec_lo, s4
                                        ; implicit-def: $vgpr10_vgpr11
	s_mov_b32 s4, exec_lo
	v_cmpx_neq_f32_e32 0x41200000, v3
	s_xor_b32 s15, exec_lo, s4
	s_cbranch_execz .LBB34_141
; %bb.138:
	v_cvt_f64_f32_e32 v[10:11], v3
	s_mov_b32 s16, 0x85d8a000
	s_mov_b32 s17, 0x43763457
	v_cmp_gt_f64_e32 vcc_lo, s[16:17], v[10:11]
	v_mov_b32_e32 v10, 0
	s_and_saveexec_b32 s4, vcc_lo
	s_cbranch_execz .LBB34_140
; %bb.139:
	v_mul_f32_e32 v10, v3, v3
	v_div_scale_f32 v11, null, v10, v10, 1.0
	v_rcp_f32_e32 v13, v11
	v_fma_f32 v14, -v11, v13, 1.0
	v_fmac_f32_e32 v13, v14, v13
	v_div_scale_f32 v14, vcc_lo, 1.0, v10, 1.0
	v_mul_f32_e32 v15, v14, v13
	v_fma_f32 v16, -v11, v15, v14
	v_fmac_f32_e32 v15, v16, v13
	v_fma_f32 v11, -v11, v15, v14
	v_div_fmas_f32 v11, v11, v13, v15
	v_div_fixup_f32 v10, v11, v10, 1.0
	v_fmaak_f32 v11, 0, v10, 0x3daaaaab
	v_fmaak_f32 v11, v10, v11, 0xbcaccacd
	;; [unrolled: 1-line block ×7, first 2 shown]
	v_mul_f32_e32 v10, v10, v11
.LBB34_140:
	s_or_b32 exec_lo, exec_lo, s4
	v_cmp_gt_f32_e32 vcc_lo, 0x800000, v3
	v_div_scale_f32 v11, null, v3, v3, -0.5
	v_div_scale_f32 v16, s4, -0.5, v3, -0.5
	v_cndmask_b32_e64 v13, 0, 32, vcc_lo
	v_rcp_f32_e32 v14, v11
	v_ldexp_f32 v13, v3, v13
	v_log_f32_e32 v13, v13
	v_fma_f32 v15, -v11, v14, 1.0
	v_fmac_f32_e32 v14, v15, v14
	v_mul_f32_e32 v15, 0x3f317217, v13
	v_mul_f32_e32 v18, v16, v14
	v_fma_f32 v15, 0x3f317217, v13, -v15
	v_fma_f32 v19, -v11, v18, v16
	v_fmamk_f32 v15, v13, 0x3377d1cf, v15
	v_fmac_f32_e32 v18, v19, v14
	v_cndmask_b32_e64 v19, 0, 0x41b17218, vcc_lo
	v_cmp_gt_f32_e64 vcc_lo, 0x7f800000, |v13|
	v_fmac_f32_e32 v15, 0x3f317217, v13
	v_fma_f32 v11, -v11, v18, v16
	v_cndmask_b32_e32 v13, v13, v15, vcc_lo
	s_mov_b32 vcc_lo, s4
	v_div_fmas_f32 v11, v11, v14, v18
	v_sub_f32_e32 v13, v13, v19
	v_div_fixup_f32 v3, v11, v3, -0.5
	v_add_f32_e32 v3, v13, v3
	v_sub_f32_e32 v3, v3, v10
	v_add_f32_e32 v3, v12, v3
                                        ; implicit-def: $vgpr12
	v_bfe_u32 v10, v3, 16, 1
	v_cmp_o_f32_e32 vcc_lo, v3, v3
	v_add3_u32 v3, v3, v10, 0x7fff
	v_mov_b32_e32 v10, 0x7fc0
	v_cndmask_b32_sdwa v10, v10, v3, vcc_lo dst_sel:DWORD dst_unused:UNUSED_PAD src0_sel:DWORD src1_sel:WORD_1
.LBB34_141:
	s_andn2_saveexec_b32 s4, s15
; %bb.142:
	v_add_f32_e32 v3, 0x40101cb7, v12
	v_bfe_u32 v10, v3, 16, 1
	v_cmp_o_f32_e32 vcc_lo, v3, v3
	v_add3_u32 v3, v3, v10, 0x7fff
	v_mov_b32_e32 v10, 0x7fc0
	v_cndmask_b32_sdwa v10, v10, v3, vcc_lo dst_sel:DWORD dst_unused:UNUSED_PAD src0_sel:DWORD src1_sel:WORD_1
; %bb.143:
	s_or_b32 exec_lo, exec_lo, s4
.LBB34_144:
	s_or_b32 exec_lo, exec_lo, s5
                                        ; implicit-def: $vgpr3
.LBB34_145:
	s_andn2_saveexec_b32 s4, s14
; %bb.146:
	v_xor_b32_e32 v3, 0x80000000, v3
	s_mov_b32 s5, 0x7f800000
	v_and_or_b32 v3, 0x80000000, v3, s5
	v_lshrrev_b32_e32 v10, 16, v3
; %bb.147:
	s_or_b32 exec_lo, exec_lo, s4
	v_lshlrev_b32_e32 v3, 16, v4
                                        ; implicit-def: $vgpr11_vgpr12
	s_mov_b32 s4, exec_lo
	v_cmpx_neq_f32_e32 0, v3
	s_xor_b32 s14, exec_lo, s4
	s_cbranch_execz .LBB34_169
; %bb.148:
	v_mov_b32_e32 v13, 0
	s_mov_b32 s4, -1
	s_mov_b32 s15, exec_lo
	v_cmpx_gt_f32_e32 0, v3
	s_cbranch_execz .LBB34_156
; %bb.149:
	v_trunc_f32_e32 v11, v3
	v_mov_b32_e32 v13, 0
	s_mov_b32 s5, 0
	s_mov_b32 s16, exec_lo
	v_cmpx_neq_f32_e32 v11, v3
	s_cbranch_execz .LBB34_155
; %bb.150:
	v_cvt_f64_f32_e32 v[11:12], v3
	s_mov_b32 s5, 0xc00921fb
	s_mov_b32 s4, 0x54442d18
	s_mov_b32 s17, exec_lo
                                        ; implicit-def: $vgpr18
                                        ; implicit-def: $vgpr15_vgpr16
	v_trunc_f64_e32 v[13:14], v[11:12]
	v_cmp_neq_f64_e64 vcc_lo, 0x7ff00000, |v[11:12]|
	v_add_f64 v[13:14], v[11:12], -v[13:14]
	v_mul_f64 v[13:14], |v[13:14]|, s[4:5]
	v_cndmask_b32_e32 v12, 0x80000000, v14, vcc_lo
	v_cndmask_b32_e32 v11, 0, v13, vcc_lo
                                        ; implicit-def: $vgpr13_vgpr14
	v_cmpx_ngt_f64_e64 0x41d00000, |v[11:12]|
	s_xor_b32 s17, exec_lo, s17
	s_cbranch_execz .LBB34_152
; %bb.151:
	v_ldexp_f64 v[13:14], |v[11:12]|, 0xffffff80
	v_cmp_le_f64_e64 vcc_lo, 0x7b000000, |v[11:12]|
	v_trig_preop_f64 v[15:16], |v[11:12]|, 0
	v_and_b32_e32 v18, 0x7fffffff, v12
	v_trig_preop_f64 v[28:29], |v[11:12]|, 2
	v_mov_b32_e32 v36, 0
	s_mov_b32 s5, 0x3ff921fb
	s_mov_b32 s18, 0x33145c07
	;; [unrolled: 1-line block ×3, first 2 shown]
	v_cndmask_b32_e32 v14, v18, v14, vcc_lo
	v_cndmask_b32_e32 v13, v11, v13, vcc_lo
	v_trig_preop_f64 v[18:19], |v[11:12]|, 1
	v_mul_f64 v[20:21], v[15:16], v[13:14]
	v_mul_f64 v[34:35], v[28:29], v[13:14]
	;; [unrolled: 1-line block ×3, first 2 shown]
	v_fma_f64 v[15:16], v[15:16], v[13:14], -v[20:21]
	v_fma_f64 v[18:19], v[18:19], v[13:14], -v[22:23]
	v_fma_f64 v[13:14], v[28:29], v[13:14], -v[34:35]
	v_add_f64 v[24:25], v[22:23], v[15:16]
	v_add_f64 v[26:27], v[24:25], -v[22:23]
	v_add_f64 v[32:33], v[20:21], v[24:25]
	v_add_f64 v[30:31], v[24:25], -v[26:27]
	v_add_f64 v[15:16], v[15:16], -v[26:27]
	v_ldexp_f64 v[26:27], v[32:33], -2
	v_add_f64 v[20:21], v[32:33], -v[20:21]
	v_add_f64 v[22:23], v[22:23], -v[30:31]
	v_add_f64 v[30:31], v[34:35], v[18:19]
	v_cmp_neq_f64_e64 vcc_lo, 0x7ff00000, |v[26:27]|
	v_add_f64 v[20:21], v[24:25], -v[20:21]
	v_add_f64 v[15:16], v[15:16], v[22:23]
	v_fract_f64_e32 v[22:23], v[26:27]
	v_add_f64 v[24:25], v[30:31], v[15:16]
	v_ldexp_f64 v[22:23], v[22:23], 2
	v_add_f64 v[26:27], v[20:21], v[24:25]
	v_cndmask_b32_e32 v23, 0, v23, vcc_lo
	v_cndmask_b32_e32 v22, 0, v22, vcc_lo
	v_add_f64 v[32:33], v[26:27], v[22:23]
	v_add_f64 v[20:21], v[26:27], -v[20:21]
	v_cmp_gt_f64_e32 vcc_lo, 0, v[32:33]
	v_add_f64 v[32:33], v[30:31], -v[34:35]
	v_cndmask_b32_e64 v37, 0, 0x40100000, vcc_lo
	v_add_f64 v[41:42], v[30:31], -v[32:33]
	v_add_f64 v[18:19], v[18:19], -v[32:33]
	v_add_f64 v[22:23], v[22:23], v[36:37]
	v_add_f64 v[37:38], v[24:25], -v[30:31]
	v_add_f64 v[32:33], v[34:35], -v[41:42]
	v_add_f64 v[39:40], v[26:27], v[22:23]
	;; [unrolled: 3-line block ×3, first 2 shown]
	v_cvt_i32_f64_e32 v39, v[39:40]
	v_add_f64 v[30:31], v[30:31], -v[43:44]
	v_cvt_f64_i32_e32 v[37:38], v39
	v_add_f64 v[15:16], v[15:16], v[30:31]
	v_add_f64 v[22:23], v[22:23], -v[37:38]
	v_add_f64 v[15:16], v[18:19], v[15:16]
	v_add_f64 v[18:19], v[24:25], -v[20:21]
	v_add_f64 v[28:29], v[26:27], v[22:23]
	v_add_f64 v[13:14], v[13:14], v[15:16]
	v_add_f64 v[15:16], v[28:29], -v[22:23]
	v_cmp_le_f64_e32 vcc_lo, 0.5, v[28:29]
	v_add_f64 v[13:14], v[18:19], v[13:14]
	v_add_f64 v[15:16], v[26:27], -v[15:16]
	v_cndmask_b32_e64 v37, 0, 0x3ff00000, vcc_lo
	v_add_co_ci_u32_e64 v18, null, 0, v39, vcc_lo
	v_add_f64 v[13:14], v[13:14], v[15:16]
	v_add_f64 v[15:16], v[28:29], -v[36:37]
	v_add_f64 v[19:20], v[15:16], v[13:14]
	v_mul_f64 v[21:22], v[19:20], s[4:5]
	v_add_f64 v[15:16], v[19:20], -v[15:16]
	v_fma_f64 v[23:24], v[19:20], s[4:5], -v[21:22]
	v_add_f64 v[13:14], v[13:14], -v[15:16]
	v_fma_f64 v[15:16], v[19:20], s[18:19], v[23:24]
	v_fma_f64 v[15:16], v[13:14], s[4:5], v[15:16]
	v_add_f64 v[13:14], v[21:22], v[15:16]
	v_add_f64 v[19:20], v[13:14], -v[21:22]
	v_add_f64 v[15:16], v[15:16], -v[19:20]
.LBB34_152:
	s_andn2_saveexec_b32 s4, s17
	s_cbranch_execz .LBB34_154
; %bb.153:
	s_mov_b32 s18, 0x6dc9c883
	s_mov_b32 s19, 0x3fe45f30
	;; [unrolled: 1-line block ×3, first 2 shown]
	v_mul_f64 v[13:14], |v[11:12]|, s[18:19]
	s_mov_b32 s18, 0x54442d18
	s_mov_b32 s19, 0xbff921fb
	;; [unrolled: 1-line block ×3, first 2 shown]
	v_rndne_f64_e32 v[18:19], v[13:14]
	v_fma_f64 v[13:14], v[18:19], s[18:19], |v[11:12]|
	v_mul_f64 v[15:16], v[18:19], s[20:21]
	s_mov_b32 s18, 0x252049c0
	s_mov_b32 s19, 0xb97b839a
	v_fma_f64 v[22:23], v[18:19], s[20:21], v[13:14]
	v_add_f64 v[20:21], v[13:14], v[15:16]
	s_mov_b32 s21, 0x3c91a626
	v_add_f64 v[13:14], v[13:14], -v[20:21]
	v_add_f64 v[20:21], v[20:21], -v[22:23]
	v_add_f64 v[13:14], v[13:14], v[15:16]
	v_fma_f64 v[15:16], v[18:19], s[20:21], v[15:16]
	v_add_f64 v[13:14], v[20:21], v[13:14]
	v_add_f64 v[13:14], v[13:14], -v[15:16]
	v_fma_f64 v[15:16], v[18:19], s[18:19], v[13:14]
	v_cvt_i32_f64_e32 v18, v[18:19]
	v_add_f64 v[13:14], v[22:23], v[15:16]
	v_add_f64 v[20:21], v[13:14], -v[22:23]
	v_add_f64 v[15:16], v[15:16], -v[20:21]
.LBB34_154:
	s_or_b32 exec_lo, exec_lo, s4
	v_mul_f64 v[19:20], v[13:14], v[13:14]
	v_add_f64 v[21:22], v[15:16], v[15:16]
	s_mov_b32 s18, 0xa9a29f71
	s_mov_b32 s20, 0xc751c08c
	;; [unrolled: 1-line block ×4, first 2 shown]
	v_cmp_class_f64_e64 s4, v[11:12], 0x1f8
	v_and_b32_e32 v18, 1, v18
	v_and_b32_e32 v12, 0x80000000, v12
	v_sub_f32_e32 v3, 1.0, v3
	s_mov_b32 s5, exec_lo
	v_cmp_eq_u32_e32 vcc_lo, 0, v18
	v_fma_f64 v[23:24], v[13:14], v[13:14], -v[19:20]
	v_fma_f64 v[21:22], v[13:14], v[21:22], v[23:24]
	v_add_f64 v[19:20], v[19:20], v[21:22]
	v_fma_f64 v[21:22], v[19:20], s[20:21], s[18:19]
	s_mov_b32 s18, 0x90a8aae0
	s_mov_b32 s19, 0x3f17746f
	v_fma_f64 v[21:22], v[19:20], v[21:22], s[18:19]
	s_mov_b32 s18, 0xa6fbf144
	s_mov_b32 s19, 0xbefbb44d
	v_fma_f64 v[21:22], v[19:20], v[21:22], s[18:19]
	s_mov_b32 s18, 0xa7943acf
	s_mov_b32 s19, 0x3f21e634
	v_fma_f64 v[21:22], v[19:20], v[21:22], s[18:19]
	s_mov_b32 s18, 0xdeb68feb
	s_mov_b32 s19, 0x3f2d250f
	v_fma_f64 v[21:22], v[19:20], v[21:22], s[18:19]
	s_mov_b32 s18, 0xb58c4d95
	s_mov_b32 s19, 0x3f437fd9
	v_fma_f64 v[21:22], v[19:20], v[21:22], s[18:19]
	s_mov_b32 s18, 0x15120e2c
	s_mov_b32 s19, 0x3f57d5af
	v_fma_f64 v[21:22], v[19:20], v[21:22], s[18:19]
	s_mov_b32 s18, 0xe09491df
	s_mov_b32 s19, 0x3f6d6d93
	v_fma_f64 v[21:22], v[19:20], v[21:22], s[18:19]
	s_mov_b32 s18, 0x2033784d
	s_mov_b32 s19, 0x3f8226e1
	v_fma_f64 v[21:22], v[19:20], v[21:22], s[18:19]
	s_mov_b32 s18, 0x9ac36ae2
	s_mov_b32 s19, 0x3f9664f4
	v_fma_f64 v[21:22], v[19:20], v[21:22], s[18:19]
	s_mov_b32 s18, 0x1b451c21
	s_mov_b32 s19, 0x3faba1ba
	v_fma_f64 v[21:22], v[19:20], v[21:22], s[18:19]
	s_mov_b32 s18, 0x111185b7
	s_mov_b32 s19, 0x3fc11111
	v_fma_f64 v[21:22], v[19:20], v[21:22], s[18:19]
	s_mov_b32 s18, 0x555554ee
	s_mov_b32 s19, 0x3fd55555
	v_fma_f64 v[21:22], v[19:20], v[21:22], s[18:19]
	s_mov_b32 s18, 0x54442d18
	s_mov_b32 s19, 0xc00921fb
	v_mul_f64 v[19:20], v[19:20], v[21:22]
	v_mul_f64 v[21:22], v[13:14], v[19:20]
	v_add_f64 v[23:24], v[13:14], v[21:22]
	v_fma_f64 v[19:20], v[13:14], v[19:20], -v[21:22]
	v_add_f64 v[13:14], v[23:24], -v[13:14]
	v_add_f64 v[15:16], v[15:16], v[19:20]
	v_add_f64 v[13:14], v[21:22], -v[13:14]
	v_add_f64 v[13:14], v[15:16], v[13:14]
	v_add_f64 v[15:16], v[23:24], v[13:14]
	v_rcp_f64_e32 v[19:20], v[15:16]
	v_fma_f64 v[21:22], -v[15:16], v[19:20], 1.0
	v_fma_f64 v[19:20], v[21:22], v[19:20], v[19:20]
	v_fma_f64 v[21:22], -v[15:16], v[19:20], 1.0
	v_fma_f64 v[19:20], v[21:22], v[19:20], v[19:20]
	v_add_f64 v[21:22], v[15:16], -v[23:24]
	v_mul_f64 v[23:24], v[15:16], v[19:20]
	v_add_f64 v[13:14], v[13:14], -v[21:22]
	v_fma_f64 v[21:22], v[19:20], v[15:16], -v[23:24]
	v_fma_f64 v[13:14], v[19:20], v[13:14], v[21:22]
	v_add_f64 v[21:22], v[23:24], v[13:14]
	v_add_f64 v[25:26], -v[21:22], 1.0
	v_add_f64 v[23:24], v[21:22], -v[23:24]
	v_add_f64 v[27:28], -v[25:26], 1.0
	v_add_f64 v[13:14], v[23:24], -v[13:14]
	v_add_f64 v[21:22], v[27:28], -v[21:22]
	v_add_f64 v[13:14], v[13:14], v[21:22]
	v_add_f64 v[13:14], v[25:26], v[13:14]
	v_mul_f64 v[13:14], v[19:20], v[13:14]
	v_add_f64 v[13:14], v[19:20], v[13:14]
	v_xor_b32_e32 v11, 0x80000000, v14
	v_cndmask_b32_e32 v13, v13, v15, vcc_lo
	v_cndmask_b32_e32 v11, v11, v16, vcc_lo
	v_xor_b32_e32 v12, v11, v12
	v_cndmask_b32_e64 v11, 0, v13, s4
	v_cndmask_b32_e64 v12, 0x7ff80000, v12, s4
	v_div_scale_f64 v[13:14], null, v[11:12], v[11:12], s[18:19]
	v_rcp_f64_e32 v[15:16], v[13:14]
	v_fma_f64 v[18:19], -v[13:14], v[15:16], 1.0
	v_fma_f64 v[15:16], v[15:16], v[18:19], v[15:16]
	v_fma_f64 v[18:19], -v[13:14], v[15:16], 1.0
	v_fma_f64 v[15:16], v[15:16], v[18:19], v[15:16]
	v_div_scale_f64 v[18:19], vcc_lo, s[18:19], v[11:12], s[18:19]
	v_mul_f64 v[20:21], v[18:19], v[15:16]
	v_fma_f64 v[13:14], -v[13:14], v[20:21], v[18:19]
	v_div_fmas_f64 v[13:14], v[13:14], v[15:16], v[20:21]
	v_div_fixup_f64 v[11:12], v[13:14], v[11:12], s[18:19]
	v_cvt_f32_f64_e32 v13, v[11:12]
.LBB34_155:
	s_or_b32 exec_lo, exec_lo, s16
	s_orn2_b32 s4, s5, exec_lo
.LBB34_156:
	s_or_b32 exec_lo, exec_lo, s15
	v_mov_b32_e32 v11, 0x7fc0
	v_mov_b32_e32 v12, 0
	s_and_saveexec_b32 s5, s4
	s_cbranch_execz .LBB34_168
; %bb.157:
	s_mov_b32 s4, exec_lo
	v_cmpx_gt_f32_e32 0x41200000, v3
	s_cbranch_execz .LBB34_161
; %bb.158:
	s_mov_b32 s15, 0
	.p2align	6
.LBB34_159:                             ; =>This Inner Loop Header: Depth=1
	v_div_scale_f32 v11, null, v3, v3, 1.0
	v_div_scale_f32 v15, vcc_lo, 1.0, v3, 1.0
	v_rcp_f32_e32 v12, v11
	v_fma_f32 v14, -v11, v12, 1.0
	v_fmac_f32_e32 v12, v14, v12
	v_mul_f32_e32 v14, v15, v12
	v_fma_f32 v16, -v11, v14, v15
	v_fmac_f32_e32 v14, v16, v12
	v_fma_f32 v11, -v11, v14, v15
	v_div_fmas_f32 v11, v11, v12, v14
	v_div_fixup_f32 v11, v11, v3, 1.0
	v_add_f32_e32 v3, 1.0, v3
	v_sub_f32_e32 v13, v13, v11
	v_cmp_ngt_f32_e32 vcc_lo, 0x41200000, v3
	s_or_b32 s15, vcc_lo, s15
	s_andn2_b32 exec_lo, exec_lo, s15
	s_cbranch_execnz .LBB34_159
; %bb.160:
	s_or_b32 exec_lo, exec_lo, s15
.LBB34_161:
	s_or_b32 exec_lo, exec_lo, s4
                                        ; implicit-def: $vgpr11_vgpr12
	s_mov_b32 s4, exec_lo
	v_cmpx_neq_f32_e32 0x41200000, v3
	s_xor_b32 s15, exec_lo, s4
	s_cbranch_execz .LBB34_165
; %bb.162:
	v_cvt_f64_f32_e32 v[11:12], v3
	s_mov_b32 s16, 0x85d8a000
	s_mov_b32 s17, 0x43763457
	v_cmp_gt_f64_e32 vcc_lo, s[16:17], v[11:12]
	v_mov_b32_e32 v11, 0
	s_and_saveexec_b32 s4, vcc_lo
	s_cbranch_execz .LBB34_164
; %bb.163:
	v_mul_f32_e32 v11, v3, v3
	v_div_scale_f32 v12, null, v11, v11, 1.0
	v_rcp_f32_e32 v14, v12
	v_fma_f32 v15, -v12, v14, 1.0
	v_fmac_f32_e32 v14, v15, v14
	v_div_scale_f32 v15, vcc_lo, 1.0, v11, 1.0
	v_mul_f32_e32 v16, v15, v14
	v_fma_f32 v18, -v12, v16, v15
	v_fmac_f32_e32 v16, v18, v14
	v_fma_f32 v12, -v12, v16, v15
	v_div_fmas_f32 v12, v12, v14, v16
	v_div_fixup_f32 v11, v12, v11, 1.0
	v_fmaak_f32 v12, 0, v11, 0x3daaaaab
	v_fmaak_f32 v12, v11, v12, 0xbcaccacd
	;; [unrolled: 1-line block ×7, first 2 shown]
	v_mul_f32_e32 v11, v11, v12
.LBB34_164:
	s_or_b32 exec_lo, exec_lo, s4
	v_cmp_gt_f32_e32 vcc_lo, 0x800000, v3
	v_div_scale_f32 v12, null, v3, v3, -0.5
	v_div_scale_f32 v18, s4, -0.5, v3, -0.5
	v_cndmask_b32_e64 v14, 0, 32, vcc_lo
	v_rcp_f32_e32 v15, v12
	v_ldexp_f32 v14, v3, v14
	v_log_f32_e32 v14, v14
	v_fma_f32 v16, -v12, v15, 1.0
	v_fmac_f32_e32 v15, v16, v15
	v_mul_f32_e32 v16, 0x3f317217, v14
	v_mul_f32_e32 v19, v18, v15
	v_fma_f32 v16, 0x3f317217, v14, -v16
	v_fma_f32 v20, -v12, v19, v18
	v_fmamk_f32 v16, v14, 0x3377d1cf, v16
	v_fmac_f32_e32 v19, v20, v15
	v_cndmask_b32_e64 v20, 0, 0x41b17218, vcc_lo
	v_cmp_gt_f32_e64 vcc_lo, 0x7f800000, |v14|
	v_fmac_f32_e32 v16, 0x3f317217, v14
	v_fma_f32 v12, -v12, v19, v18
	v_cndmask_b32_e32 v14, v14, v16, vcc_lo
	s_mov_b32 vcc_lo, s4
	v_div_fmas_f32 v12, v12, v15, v19
	v_sub_f32_e32 v14, v14, v20
	v_div_fixup_f32 v3, v12, v3, -0.5
	v_add_f32_e32 v3, v14, v3
	v_sub_f32_e32 v3, v3, v11
	v_add_f32_e32 v3, v13, v3
                                        ; implicit-def: $vgpr13
	v_bfe_u32 v11, v3, 16, 1
	v_cmp_o_f32_e32 vcc_lo, v3, v3
	v_add3_u32 v3, v3, v11, 0x7fff
	v_mov_b32_e32 v11, 0x7fc0
	v_cndmask_b32_sdwa v11, v11, v3, vcc_lo dst_sel:DWORD dst_unused:UNUSED_PAD src0_sel:DWORD src1_sel:WORD_1
.LBB34_165:
	s_andn2_saveexec_b32 s4, s15
; %bb.166:
	v_add_f32_e32 v3, 0x40101cb7, v13
	v_bfe_u32 v11, v3, 16, 1
	v_cmp_o_f32_e32 vcc_lo, v3, v3
	v_add3_u32 v3, v3, v11, 0x7fff
	v_mov_b32_e32 v11, 0x7fc0
	v_cndmask_b32_sdwa v11, v11, v3, vcc_lo dst_sel:DWORD dst_unused:UNUSED_PAD src0_sel:DWORD src1_sel:WORD_1
; %bb.167:
	s_or_b32 exec_lo, exec_lo, s4
.LBB34_168:
	s_or_b32 exec_lo, exec_lo, s5
                                        ; implicit-def: $vgpr3
.LBB34_169:
	s_andn2_saveexec_b32 s4, s14
; %bb.170:
	v_xor_b32_e32 v3, 0x80000000, v3
	s_mov_b32 s5, 0x7f800000
	v_and_or_b32 v3, 0x80000000, v3, s5
	v_lshrrev_b32_e32 v11, 16, v3
; %bb.171:
	s_or_b32 exec_lo, exec_lo, s4
	v_and_b32_e32 v16, 0xffff0000, v4
                                        ; implicit-def: $vgpr3_vgpr4
	s_mov_b32 s4, exec_lo
	v_cmpx_neq_f32_e32 0, v16
	s_xor_b32 s14, exec_lo, s4
	s_cbranch_execz .LBB34_193
; %bb.172:
	v_mov_b32_e32 v12, 0
	s_mov_b32 s4, -1
	s_mov_b32 s15, exec_lo
	v_cmpx_gt_f32_e32 0, v16
	s_cbranch_execz .LBB34_180
; %bb.173:
	v_trunc_f32_e32 v3, v16
	v_mov_b32_e32 v12, 0
	s_mov_b32 s5, 0
	s_mov_b32 s16, exec_lo
	v_cmpx_neq_f32_e32 v3, v16
	s_cbranch_execz .LBB34_179
; %bb.174:
	v_cvt_f64_f32_e32 v[3:4], v16
	s_mov_b32 s5, 0xc00921fb
	s_mov_b32 s4, 0x54442d18
	s_mov_b32 s17, exec_lo
                                        ; implicit-def: $vgpr18
                                        ; implicit-def: $vgpr14_vgpr15
	v_trunc_f64_e32 v[12:13], v[3:4]
	v_cmp_neq_f64_e64 vcc_lo, 0x7ff00000, |v[3:4]|
	v_add_f64 v[12:13], v[3:4], -v[12:13]
	v_mul_f64 v[12:13], |v[12:13]|, s[4:5]
	v_cndmask_b32_e32 v4, 0x80000000, v13, vcc_lo
	v_cndmask_b32_e32 v3, 0, v12, vcc_lo
                                        ; implicit-def: $vgpr12_vgpr13
	v_cmpx_ngt_f64_e64 0x41d00000, |v[3:4]|
	s_xor_b32 s17, exec_lo, s17
	s_cbranch_execz .LBB34_176
; %bb.175:
	v_ldexp_f64 v[12:13], |v[3:4]|, 0xffffff80
	v_cmp_le_f64_e64 vcc_lo, 0x7b000000, |v[3:4]|
	v_trig_preop_f64 v[14:15], |v[3:4]|, 0
	v_and_b32_e32 v18, 0x7fffffff, v4
	v_trig_preop_f64 v[28:29], |v[3:4]|, 2
	v_mov_b32_e32 v36, 0
	s_mov_b32 s5, 0x3ff921fb
	s_mov_b32 s18, 0x33145c07
	;; [unrolled: 1-line block ×3, first 2 shown]
	v_cndmask_b32_e32 v13, v18, v13, vcc_lo
	v_cndmask_b32_e32 v12, v3, v12, vcc_lo
	v_trig_preop_f64 v[18:19], |v[3:4]|, 1
	v_mul_f64 v[20:21], v[14:15], v[12:13]
	v_mul_f64 v[34:35], v[28:29], v[12:13]
	;; [unrolled: 1-line block ×3, first 2 shown]
	v_fma_f64 v[14:15], v[14:15], v[12:13], -v[20:21]
	v_fma_f64 v[18:19], v[18:19], v[12:13], -v[22:23]
	;; [unrolled: 1-line block ×3, first 2 shown]
	v_add_f64 v[24:25], v[22:23], v[14:15]
	v_add_f64 v[26:27], v[24:25], -v[22:23]
	v_add_f64 v[32:33], v[20:21], v[24:25]
	v_add_f64 v[30:31], v[24:25], -v[26:27]
	v_add_f64 v[14:15], v[14:15], -v[26:27]
	v_ldexp_f64 v[26:27], v[32:33], -2
	v_add_f64 v[20:21], v[32:33], -v[20:21]
	v_add_f64 v[22:23], v[22:23], -v[30:31]
	v_add_f64 v[30:31], v[34:35], v[18:19]
	v_cmp_neq_f64_e64 vcc_lo, 0x7ff00000, |v[26:27]|
	v_add_f64 v[20:21], v[24:25], -v[20:21]
	v_add_f64 v[14:15], v[14:15], v[22:23]
	v_fract_f64_e32 v[22:23], v[26:27]
	v_add_f64 v[24:25], v[30:31], v[14:15]
	v_ldexp_f64 v[22:23], v[22:23], 2
	v_add_f64 v[26:27], v[20:21], v[24:25]
	v_cndmask_b32_e32 v23, 0, v23, vcc_lo
	v_cndmask_b32_e32 v22, 0, v22, vcc_lo
	v_add_f64 v[32:33], v[26:27], v[22:23]
	v_add_f64 v[20:21], v[26:27], -v[20:21]
	v_cmp_gt_f64_e32 vcc_lo, 0, v[32:33]
	v_add_f64 v[32:33], v[30:31], -v[34:35]
	v_cndmask_b32_e64 v37, 0, 0x40100000, vcc_lo
	v_add_f64 v[41:42], v[30:31], -v[32:33]
	v_add_f64 v[18:19], v[18:19], -v[32:33]
	v_add_f64 v[22:23], v[22:23], v[36:37]
	v_add_f64 v[37:38], v[24:25], -v[30:31]
	v_add_f64 v[32:33], v[34:35], -v[41:42]
	v_add_f64 v[39:40], v[26:27], v[22:23]
	;; [unrolled: 3-line block ×3, first 2 shown]
	v_cvt_i32_f64_e32 v39, v[39:40]
	v_add_f64 v[30:31], v[30:31], -v[43:44]
	v_cvt_f64_i32_e32 v[37:38], v39
	v_add_f64 v[14:15], v[14:15], v[30:31]
	v_add_f64 v[22:23], v[22:23], -v[37:38]
	v_add_f64 v[14:15], v[18:19], v[14:15]
	v_add_f64 v[18:19], v[24:25], -v[20:21]
	v_add_f64 v[28:29], v[26:27], v[22:23]
	v_add_f64 v[12:13], v[12:13], v[14:15]
	v_add_f64 v[14:15], v[28:29], -v[22:23]
	v_cmp_le_f64_e32 vcc_lo, 0.5, v[28:29]
	v_add_f64 v[12:13], v[18:19], v[12:13]
	v_add_f64 v[14:15], v[26:27], -v[14:15]
	v_cndmask_b32_e64 v37, 0, 0x3ff00000, vcc_lo
	v_add_co_ci_u32_e64 v18, null, 0, v39, vcc_lo
	v_add_f64 v[12:13], v[12:13], v[14:15]
	v_add_f64 v[14:15], v[28:29], -v[36:37]
	v_add_f64 v[19:20], v[14:15], v[12:13]
	v_mul_f64 v[21:22], v[19:20], s[4:5]
	v_add_f64 v[14:15], v[19:20], -v[14:15]
	v_fma_f64 v[23:24], v[19:20], s[4:5], -v[21:22]
	v_add_f64 v[12:13], v[12:13], -v[14:15]
	v_fma_f64 v[14:15], v[19:20], s[18:19], v[23:24]
	v_fma_f64 v[14:15], v[12:13], s[4:5], v[14:15]
	v_add_f64 v[12:13], v[21:22], v[14:15]
	v_add_f64 v[19:20], v[12:13], -v[21:22]
	v_add_f64 v[14:15], v[14:15], -v[19:20]
.LBB34_176:
	s_andn2_saveexec_b32 s4, s17
	s_cbranch_execz .LBB34_178
; %bb.177:
	s_mov_b32 s18, 0x6dc9c883
	s_mov_b32 s19, 0x3fe45f30
	;; [unrolled: 1-line block ×3, first 2 shown]
	v_mul_f64 v[12:13], |v[3:4]|, s[18:19]
	s_mov_b32 s18, 0x54442d18
	s_mov_b32 s19, 0xbff921fb
	;; [unrolled: 1-line block ×3, first 2 shown]
	v_rndne_f64_e32 v[18:19], v[12:13]
	v_fma_f64 v[12:13], v[18:19], s[18:19], |v[3:4]|
	v_mul_f64 v[14:15], v[18:19], s[20:21]
	s_mov_b32 s18, 0x252049c0
	s_mov_b32 s19, 0xb97b839a
	v_fma_f64 v[22:23], v[18:19], s[20:21], v[12:13]
	v_add_f64 v[20:21], v[12:13], v[14:15]
	s_mov_b32 s21, 0x3c91a626
	v_add_f64 v[12:13], v[12:13], -v[20:21]
	v_add_f64 v[20:21], v[20:21], -v[22:23]
	v_add_f64 v[12:13], v[12:13], v[14:15]
	v_fma_f64 v[14:15], v[18:19], s[20:21], v[14:15]
	v_add_f64 v[12:13], v[20:21], v[12:13]
	v_add_f64 v[12:13], v[12:13], -v[14:15]
	v_fma_f64 v[14:15], v[18:19], s[18:19], v[12:13]
	v_cvt_i32_f64_e32 v18, v[18:19]
	v_add_f64 v[12:13], v[22:23], v[14:15]
	v_add_f64 v[20:21], v[12:13], -v[22:23]
	v_add_f64 v[14:15], v[14:15], -v[20:21]
.LBB34_178:
	s_or_b32 exec_lo, exec_lo, s4
	v_mul_f64 v[19:20], v[12:13], v[12:13]
	v_add_f64 v[21:22], v[14:15], v[14:15]
	s_mov_b32 s18, 0xa9a29f71
	s_mov_b32 s20, 0xc751c08c
	;; [unrolled: 1-line block ×4, first 2 shown]
	v_cmp_class_f64_e64 s4, v[3:4], 0x1f8
	v_and_b32_e32 v18, 1, v18
	v_and_b32_e32 v4, 0x80000000, v4
	v_sub_f32_e32 v16, 1.0, v16
	s_mov_b32 s5, exec_lo
	v_cmp_eq_u32_e32 vcc_lo, 0, v18
	v_fma_f64 v[23:24], v[12:13], v[12:13], -v[19:20]
	v_fma_f64 v[21:22], v[12:13], v[21:22], v[23:24]
	v_add_f64 v[19:20], v[19:20], v[21:22]
	v_fma_f64 v[21:22], v[19:20], s[20:21], s[18:19]
	s_mov_b32 s18, 0x90a8aae0
	s_mov_b32 s19, 0x3f17746f
	v_fma_f64 v[21:22], v[19:20], v[21:22], s[18:19]
	s_mov_b32 s18, 0xa6fbf144
	s_mov_b32 s19, 0xbefbb44d
	;; [unrolled: 3-line block ×13, first 2 shown]
	v_mul_f64 v[19:20], v[19:20], v[21:22]
	v_mul_f64 v[21:22], v[12:13], v[19:20]
	v_add_f64 v[23:24], v[12:13], v[21:22]
	v_fma_f64 v[19:20], v[12:13], v[19:20], -v[21:22]
	v_add_f64 v[12:13], v[23:24], -v[12:13]
	v_add_f64 v[14:15], v[14:15], v[19:20]
	v_add_f64 v[12:13], v[21:22], -v[12:13]
	v_add_f64 v[12:13], v[14:15], v[12:13]
	v_add_f64 v[14:15], v[23:24], v[12:13]
	v_rcp_f64_e32 v[19:20], v[14:15]
	v_fma_f64 v[21:22], -v[14:15], v[19:20], 1.0
	v_fma_f64 v[19:20], v[21:22], v[19:20], v[19:20]
	v_fma_f64 v[21:22], -v[14:15], v[19:20], 1.0
	v_fma_f64 v[19:20], v[21:22], v[19:20], v[19:20]
	v_add_f64 v[21:22], v[14:15], -v[23:24]
	v_mul_f64 v[23:24], v[14:15], v[19:20]
	v_add_f64 v[12:13], v[12:13], -v[21:22]
	v_fma_f64 v[21:22], v[19:20], v[14:15], -v[23:24]
	v_fma_f64 v[12:13], v[19:20], v[12:13], v[21:22]
	v_add_f64 v[21:22], v[23:24], v[12:13]
	v_add_f64 v[25:26], -v[21:22], 1.0
	v_add_f64 v[23:24], v[21:22], -v[23:24]
	v_add_f64 v[27:28], -v[25:26], 1.0
	v_add_f64 v[12:13], v[23:24], -v[12:13]
	v_add_f64 v[21:22], v[27:28], -v[21:22]
	v_add_f64 v[12:13], v[12:13], v[21:22]
	v_add_f64 v[12:13], v[25:26], v[12:13]
	v_mul_f64 v[12:13], v[19:20], v[12:13]
	v_add_f64 v[12:13], v[19:20], v[12:13]
	v_xor_b32_e32 v3, 0x80000000, v13
	v_cndmask_b32_e32 v12, v12, v14, vcc_lo
	v_cndmask_b32_e32 v3, v3, v15, vcc_lo
	v_xor_b32_e32 v4, v3, v4
	v_cndmask_b32_e64 v3, 0, v12, s4
	v_cndmask_b32_e64 v4, 0x7ff80000, v4, s4
	v_div_scale_f64 v[12:13], null, v[3:4], v[3:4], s[18:19]
	v_rcp_f64_e32 v[14:15], v[12:13]
	v_fma_f64 v[18:19], -v[12:13], v[14:15], 1.0
	v_fma_f64 v[14:15], v[14:15], v[18:19], v[14:15]
	v_fma_f64 v[18:19], -v[12:13], v[14:15], 1.0
	v_fma_f64 v[14:15], v[14:15], v[18:19], v[14:15]
	v_div_scale_f64 v[18:19], vcc_lo, s[18:19], v[3:4], s[18:19]
	v_mul_f64 v[20:21], v[18:19], v[14:15]
	v_fma_f64 v[12:13], -v[12:13], v[20:21], v[18:19]
	v_div_fmas_f64 v[12:13], v[12:13], v[14:15], v[20:21]
	v_div_fixup_f64 v[3:4], v[12:13], v[3:4], s[18:19]
	v_cvt_f32_f64_e32 v12, v[3:4]
.LBB34_179:
	s_or_b32 exec_lo, exec_lo, s16
	s_orn2_b32 s4, s5, exec_lo
.LBB34_180:
	s_or_b32 exec_lo, exec_lo, s15
	v_mov_b32_e32 v3, 0x7fc0
	v_mov_b32_e32 v4, 0
	s_and_saveexec_b32 s5, s4
	s_cbranch_execz .LBB34_192
; %bb.181:
	s_mov_b32 s4, exec_lo
	v_cmpx_gt_f32_e32 0x41200000, v16
	s_cbranch_execz .LBB34_185
; %bb.182:
	s_mov_b32 s15, 0
	.p2align	6
.LBB34_183:                             ; =>This Inner Loop Header: Depth=1
	v_div_scale_f32 v3, null, v16, v16, 1.0
	v_div_scale_f32 v14, vcc_lo, 1.0, v16, 1.0
	v_rcp_f32_e32 v4, v3
	v_fma_f32 v13, -v3, v4, 1.0
	v_fmac_f32_e32 v4, v13, v4
	v_mul_f32_e32 v13, v14, v4
	v_fma_f32 v15, -v3, v13, v14
	v_fmac_f32_e32 v13, v15, v4
	v_fma_f32 v3, -v3, v13, v14
	v_div_fmas_f32 v3, v3, v4, v13
	v_div_fixup_f32 v3, v3, v16, 1.0
	v_add_f32_e32 v16, 1.0, v16
	v_sub_f32_e32 v12, v12, v3
	v_cmp_ngt_f32_e32 vcc_lo, 0x41200000, v16
	s_or_b32 s15, vcc_lo, s15
	s_andn2_b32 exec_lo, exec_lo, s15
	s_cbranch_execnz .LBB34_183
; %bb.184:
	s_or_b32 exec_lo, exec_lo, s15
.LBB34_185:
	s_or_b32 exec_lo, exec_lo, s4
                                        ; implicit-def: $vgpr3_vgpr4
	s_mov_b32 s4, exec_lo
	v_cmpx_neq_f32_e32 0x41200000, v16
	s_xor_b32 s15, exec_lo, s4
	s_cbranch_execz .LBB34_189
; %bb.186:
	v_cvt_f64_f32_e32 v[3:4], v16
	s_mov_b32 s16, 0x85d8a000
	s_mov_b32 s17, 0x43763457
	v_cmp_gt_f64_e32 vcc_lo, s[16:17], v[3:4]
	v_mov_b32_e32 v3, 0
	s_and_saveexec_b32 s4, vcc_lo
	s_cbranch_execz .LBB34_188
; %bb.187:
	v_mul_f32_e32 v3, v16, v16
	v_div_scale_f32 v4, null, v3, v3, 1.0
	v_rcp_f32_e32 v13, v4
	v_fma_f32 v14, -v4, v13, 1.0
	v_fmac_f32_e32 v13, v14, v13
	v_div_scale_f32 v14, vcc_lo, 1.0, v3, 1.0
	v_mul_f32_e32 v15, v14, v13
	v_fma_f32 v18, -v4, v15, v14
	v_fmac_f32_e32 v15, v18, v13
	v_fma_f32 v4, -v4, v15, v14
	v_div_fmas_f32 v4, v4, v13, v15
	v_div_fixup_f32 v3, v4, v3, 1.0
	v_fmaak_f32 v4, 0, v3, 0x3daaaaab
	v_fmaak_f32 v4, v3, v4, 0xbcaccacd
	v_fmaak_f32 v4, v3, v4, 0x3bf83e10
	v_fmaak_f32 v4, v3, v4, 0xbb888889
	v_fmaak_f32 v4, v3, v4, 0x3b820821
	v_fmaak_f32 v4, v3, v4, 0xbc088889
	v_fmaak_f32 v4, v3, v4, 0x3daaaaab
	v_mul_f32_e32 v3, v3, v4
.LBB34_188:
	s_or_b32 exec_lo, exec_lo, s4
	v_cmp_gt_f32_e32 vcc_lo, 0x800000, v16
	v_div_scale_f32 v4, null, v16, v16, -0.5
	v_div_scale_f32 v18, s4, -0.5, v16, -0.5
	v_cndmask_b32_e64 v13, 0, 32, vcc_lo
	v_rcp_f32_e32 v14, v4
	v_ldexp_f32 v13, v16, v13
	v_log_f32_e32 v13, v13
	v_fma_f32 v15, -v4, v14, 1.0
	v_fmac_f32_e32 v14, v15, v14
	v_mul_f32_e32 v15, 0x3f317217, v13
	v_mul_f32_e32 v19, v18, v14
	v_fma_f32 v15, 0x3f317217, v13, -v15
	v_fma_f32 v20, -v4, v19, v18
	v_fmamk_f32 v15, v13, 0x3377d1cf, v15
	v_fmac_f32_e32 v19, v20, v14
	v_cndmask_b32_e64 v20, 0, 0x41b17218, vcc_lo
	v_cmp_gt_f32_e64 vcc_lo, 0x7f800000, |v13|
	v_fmac_f32_e32 v15, 0x3f317217, v13
	v_fma_f32 v4, -v4, v19, v18
	v_cndmask_b32_e32 v13, v13, v15, vcc_lo
	s_mov_b32 vcc_lo, s4
	v_div_fmas_f32 v4, v4, v14, v19
	v_sub_f32_e32 v13, v13, v20
	v_div_fixup_f32 v4, v4, v16, -0.5
	v_add_f32_e32 v4, v13, v4
	v_sub_f32_e32 v3, v4, v3
	v_add_f32_e32 v3, v12, v3
                                        ; implicit-def: $vgpr12
	v_bfe_u32 v4, v3, 16, 1
	v_cmp_o_f32_e32 vcc_lo, v3, v3
	v_add3_u32 v3, v3, v4, 0x7fff
	v_mov_b32_e32 v4, 0x7fc0
	v_cndmask_b32_sdwa v3, v4, v3, vcc_lo dst_sel:DWORD dst_unused:UNUSED_PAD src0_sel:DWORD src1_sel:WORD_1
.LBB34_189:
	s_andn2_saveexec_b32 s4, s15
; %bb.190:
	v_add_f32_e32 v3, 0x40101cb7, v12
	v_bfe_u32 v4, v3, 16, 1
	v_cmp_o_f32_e32 vcc_lo, v3, v3
	v_add3_u32 v3, v3, v4, 0x7fff
	v_mov_b32_e32 v4, 0x7fc0
	v_cndmask_b32_sdwa v3, v4, v3, vcc_lo dst_sel:DWORD dst_unused:UNUSED_PAD src0_sel:DWORD src1_sel:WORD_1
; %bb.191:
	s_or_b32 exec_lo, exec_lo, s4
.LBB34_192:
	s_or_b32 exec_lo, exec_lo, s5
                                        ; implicit-def: $vgpr16
.LBB34_193:
	s_andn2_saveexec_b32 s4, s14
; %bb.194:
	v_xor_b32_e32 v3, 0x80000000, v16
	s_mov_b32 s5, 0x7f800000
	v_and_or_b32 v3, 0x80000000, v3, s5
	v_lshrrev_b32_e32 v3, 16, v3
; %bb.195:
	s_or_b32 exec_lo, exec_lo, s4
	v_lshlrev_b32_e32 v4, 16, v10
	v_lshlrev_b32_e32 v5, 16, v5
	s_add_u32 s12, s8, s12
	s_addc_u32 s13, s9, s13
	v_add_co_u32 v4, vcc_lo, v4, v8
	v_add_co_ci_u32_e64 v8, null, 0, v9, vcc_lo
	v_add_co_u32 v1, vcc_lo, v5, v1
	v_add_co_ci_u32_e64 v2, null, 0, v2, vcc_lo
	v_and_b32_e32 v5, 0xffff, v6
	v_and_b32_e32 v6, 0xffff, v11
	v_add_co_u32 v1, vcc_lo, v1, 0
	v_add_co_ci_u32_e64 v2, null, v2, v5, vcc_lo
	v_lshlrev_b32_e32 v5, 16, v7
	v_add_co_u32 v4, vcc_lo, v4, 0
	v_add_co_ci_u32_e64 v6, null, v8, v6, vcc_lo
	v_add_co_u32 v1, vcc_lo, v1, 0
	v_add_co_ci_u32_e64 v2, null, v2, v5, vcc_lo
	v_lshlrev_b32_e32 v5, 16, v3
	v_add_co_u32 v7, s4, s12, v17
	v_add_co_ci_u32_e64 v8, null, s13, 0, s4
	v_add_co_u32 v3, vcc_lo, v4, 0
	v_add_co_ci_u32_e64 v4, null, v6, v5, vcc_lo
	v_add_co_u32 v5, vcc_lo, 0x800, v7
	v_add_co_ci_u32_e64 v6, null, 0, v8, vcc_lo
	global_store_dwordx2 v17, v[1:2], s[12:13]
	global_store_dwordx2 v[5:6], v[3:4], off
	s_branch .LBB34_2
.LBB34_196:
	v_mov_b32_e32 v31, v0
	v_mov_b32_e32 v0, s8
	;; [unrolled: 1-line block ×6, first 2 shown]
	s_getpc_b64 s[4:5]
	s_add_u32 s4, s4, _ZN2at6native25elementwise_kernel_helperILb0EZZZNS0_19digamma_kernel_cudaERNS_18TensorIteratorBaseEENKUlvE_clEvENKUlvE2_clEvEUlN3c108BFloat16EE_NS0_6memory8policies11unroll_baseILi256ESt5arrayIPcLm2EE23TrivialOffsetCalculatorILi1EjESG_NS9_15LoadWithoutCastENS9_16StoreWithoutCastELi8ELi1EEEEEvT0_T1_@rel32@lo+4
	s_addc_u32 s5, s5, _ZN2at6native25elementwise_kernel_helperILb0EZZZNS0_19digamma_kernel_cudaERNS_18TensorIteratorBaseEENKUlvE_clEvENKUlvE2_clEvEUlN3c108BFloat16EE_NS0_6memory8policies11unroll_baseILi256ESt5arrayIPcLm2EE23TrivialOffsetCalculatorILi1EjESG_NS9_15LoadWithoutCastENS9_16StoreWithoutCastELi8ELi1EEEEEvT0_T1_@rel32@hi+12
	s_mov_b32 s12, s6
	s_swappc_b64 s[30:31], s[4:5]
	s_endpgm
	.section	.rodata,"a",@progbits
	.p2align	6, 0x0
	.amdhsa_kernel _ZN2at6native29vectorized_elementwise_kernelILi4EZZZNS0_19digamma_kernel_cudaERNS_18TensorIteratorBaseEENKUlvE_clEvENKUlvE2_clEvEUlN3c108BFloat16EE_St5arrayIPcLm2EEEEviT0_T1_
		.amdhsa_group_segment_fixed_size 0
		.amdhsa_private_segment_fixed_size 0
		.amdhsa_kernarg_size 24
		.amdhsa_user_sgpr_count 6
		.amdhsa_user_sgpr_private_segment_buffer 1
		.amdhsa_user_sgpr_dispatch_ptr 0
		.amdhsa_user_sgpr_queue_ptr 0
		.amdhsa_user_sgpr_kernarg_segment_ptr 1
		.amdhsa_user_sgpr_dispatch_id 0
		.amdhsa_user_sgpr_flat_scratch_init 0
		.amdhsa_user_sgpr_private_segment_size 0
		.amdhsa_wavefront_size32 1
		.amdhsa_uses_dynamic_stack 0
		.amdhsa_system_sgpr_private_segment_wavefront_offset 0
		.amdhsa_system_sgpr_workgroup_id_x 1
		.amdhsa_system_sgpr_workgroup_id_y 0
		.amdhsa_system_sgpr_workgroup_id_z 0
		.amdhsa_system_sgpr_workgroup_info 0
		.amdhsa_system_vgpr_workitem_id 0
		.amdhsa_next_free_vgpr 66
		.amdhsa_next_free_sgpr 33
		.amdhsa_reserve_vcc 1
		.amdhsa_reserve_flat_scratch 0
		.amdhsa_float_round_mode_32 0
		.amdhsa_float_round_mode_16_64 0
		.amdhsa_float_denorm_mode_32 3
		.amdhsa_float_denorm_mode_16_64 3
		.amdhsa_dx10_clamp 1
		.amdhsa_ieee_mode 1
		.amdhsa_fp16_overflow 0
		.amdhsa_workgroup_processor_mode 1
		.amdhsa_memory_ordered 1
		.amdhsa_forward_progress 1
		.amdhsa_shared_vgpr_count 0
		.amdhsa_exception_fp_ieee_invalid_op 0
		.amdhsa_exception_fp_denorm_src 0
		.amdhsa_exception_fp_ieee_div_zero 0
		.amdhsa_exception_fp_ieee_overflow 0
		.amdhsa_exception_fp_ieee_underflow 0
		.amdhsa_exception_fp_ieee_inexact 0
		.amdhsa_exception_int_div_zero 0
	.end_amdhsa_kernel
	.section	.text._ZN2at6native29vectorized_elementwise_kernelILi4EZZZNS0_19digamma_kernel_cudaERNS_18TensorIteratorBaseEENKUlvE_clEvENKUlvE2_clEvEUlN3c108BFloat16EE_St5arrayIPcLm2EEEEviT0_T1_,"axG",@progbits,_ZN2at6native29vectorized_elementwise_kernelILi4EZZZNS0_19digamma_kernel_cudaERNS_18TensorIteratorBaseEENKUlvE_clEvENKUlvE2_clEvEUlN3c108BFloat16EE_St5arrayIPcLm2EEEEviT0_T1_,comdat
.Lfunc_end34:
	.size	_ZN2at6native29vectorized_elementwise_kernelILi4EZZZNS0_19digamma_kernel_cudaERNS_18TensorIteratorBaseEENKUlvE_clEvENKUlvE2_clEvEUlN3c108BFloat16EE_St5arrayIPcLm2EEEEviT0_T1_, .Lfunc_end34-_ZN2at6native29vectorized_elementwise_kernelILi4EZZZNS0_19digamma_kernel_cudaERNS_18TensorIteratorBaseEENKUlvE_clEvENKUlvE2_clEvEUlN3c108BFloat16EE_St5arrayIPcLm2EEEEviT0_T1_
                                        ; -- End function
	.set _ZN2at6native29vectorized_elementwise_kernelILi4EZZZNS0_19digamma_kernel_cudaERNS_18TensorIteratorBaseEENKUlvE_clEvENKUlvE2_clEvEUlN3c108BFloat16EE_St5arrayIPcLm2EEEEviT0_T1_.num_vgpr, max(45, .L_ZN2at6native25elementwise_kernel_helperILb0EZZZNS0_19digamma_kernel_cudaERNS_18TensorIteratorBaseEENKUlvE_clEvENKUlvE2_clEvEUlN3c108BFloat16EE_NS0_6memory8policies11unroll_baseILi256ESt5arrayIPcLm2EE23TrivialOffsetCalculatorILi1EjESG_NS9_15LoadWithoutCastENS9_16StoreWithoutCastELi8ELi1EEEEEvT0_T1_.num_vgpr)
	.set _ZN2at6native29vectorized_elementwise_kernelILi4EZZZNS0_19digamma_kernel_cudaERNS_18TensorIteratorBaseEENKUlvE_clEvENKUlvE2_clEvEUlN3c108BFloat16EE_St5arrayIPcLm2EEEEviT0_T1_.num_agpr, max(0, .L_ZN2at6native25elementwise_kernel_helperILb0EZZZNS0_19digamma_kernel_cudaERNS_18TensorIteratorBaseEENKUlvE_clEvENKUlvE2_clEvEUlN3c108BFloat16EE_NS0_6memory8policies11unroll_baseILi256ESt5arrayIPcLm2EE23TrivialOffsetCalculatorILi1EjESG_NS9_15LoadWithoutCastENS9_16StoreWithoutCastELi8ELi1EEEEEvT0_T1_.num_agpr)
	.set _ZN2at6native29vectorized_elementwise_kernelILi4EZZZNS0_19digamma_kernel_cudaERNS_18TensorIteratorBaseEENKUlvE_clEvENKUlvE2_clEvEUlN3c108BFloat16EE_St5arrayIPcLm2EEEEviT0_T1_.numbered_sgpr, max(33, .L_ZN2at6native25elementwise_kernel_helperILb0EZZZNS0_19digamma_kernel_cudaERNS_18TensorIteratorBaseEENKUlvE_clEvENKUlvE2_clEvEUlN3c108BFloat16EE_NS0_6memory8policies11unroll_baseILi256ESt5arrayIPcLm2EE23TrivialOffsetCalculatorILi1EjESG_NS9_15LoadWithoutCastENS9_16StoreWithoutCastELi8ELi1EEEEEvT0_T1_.numbered_sgpr)
	.set _ZN2at6native29vectorized_elementwise_kernelILi4EZZZNS0_19digamma_kernel_cudaERNS_18TensorIteratorBaseEENKUlvE_clEvENKUlvE2_clEvEUlN3c108BFloat16EE_St5arrayIPcLm2EEEEviT0_T1_.num_named_barrier, max(0, .L_ZN2at6native25elementwise_kernel_helperILb0EZZZNS0_19digamma_kernel_cudaERNS_18TensorIteratorBaseEENKUlvE_clEvENKUlvE2_clEvEUlN3c108BFloat16EE_NS0_6memory8policies11unroll_baseILi256ESt5arrayIPcLm2EE23TrivialOffsetCalculatorILi1EjESG_NS9_15LoadWithoutCastENS9_16StoreWithoutCastELi8ELi1EEEEEvT0_T1_.num_named_barrier)
	.set _ZN2at6native29vectorized_elementwise_kernelILi4EZZZNS0_19digamma_kernel_cudaERNS_18TensorIteratorBaseEENKUlvE_clEvENKUlvE2_clEvEUlN3c108BFloat16EE_St5arrayIPcLm2EEEEviT0_T1_.private_seg_size, 0+max(.L_ZN2at6native25elementwise_kernel_helperILb0EZZZNS0_19digamma_kernel_cudaERNS_18TensorIteratorBaseEENKUlvE_clEvENKUlvE2_clEvEUlN3c108BFloat16EE_NS0_6memory8policies11unroll_baseILi256ESt5arrayIPcLm2EE23TrivialOffsetCalculatorILi1EjESG_NS9_15LoadWithoutCastENS9_16StoreWithoutCastELi8ELi1EEEEEvT0_T1_.private_seg_size)
	.set _ZN2at6native29vectorized_elementwise_kernelILi4EZZZNS0_19digamma_kernel_cudaERNS_18TensorIteratorBaseEENKUlvE_clEvENKUlvE2_clEvEUlN3c108BFloat16EE_St5arrayIPcLm2EEEEviT0_T1_.uses_vcc, or(1, .L_ZN2at6native25elementwise_kernel_helperILb0EZZZNS0_19digamma_kernel_cudaERNS_18TensorIteratorBaseEENKUlvE_clEvENKUlvE2_clEvEUlN3c108BFloat16EE_NS0_6memory8policies11unroll_baseILi256ESt5arrayIPcLm2EE23TrivialOffsetCalculatorILi1EjESG_NS9_15LoadWithoutCastENS9_16StoreWithoutCastELi8ELi1EEEEEvT0_T1_.uses_vcc)
	.set _ZN2at6native29vectorized_elementwise_kernelILi4EZZZNS0_19digamma_kernel_cudaERNS_18TensorIteratorBaseEENKUlvE_clEvENKUlvE2_clEvEUlN3c108BFloat16EE_St5arrayIPcLm2EEEEviT0_T1_.uses_flat_scratch, or(0, .L_ZN2at6native25elementwise_kernel_helperILb0EZZZNS0_19digamma_kernel_cudaERNS_18TensorIteratorBaseEENKUlvE_clEvENKUlvE2_clEvEUlN3c108BFloat16EE_NS0_6memory8policies11unroll_baseILi256ESt5arrayIPcLm2EE23TrivialOffsetCalculatorILi1EjESG_NS9_15LoadWithoutCastENS9_16StoreWithoutCastELi8ELi1EEEEEvT0_T1_.uses_flat_scratch)
	.set _ZN2at6native29vectorized_elementwise_kernelILi4EZZZNS0_19digamma_kernel_cudaERNS_18TensorIteratorBaseEENKUlvE_clEvENKUlvE2_clEvEUlN3c108BFloat16EE_St5arrayIPcLm2EEEEviT0_T1_.has_dyn_sized_stack, or(0, .L_ZN2at6native25elementwise_kernel_helperILb0EZZZNS0_19digamma_kernel_cudaERNS_18TensorIteratorBaseEENKUlvE_clEvENKUlvE2_clEvEUlN3c108BFloat16EE_NS0_6memory8policies11unroll_baseILi256ESt5arrayIPcLm2EE23TrivialOffsetCalculatorILi1EjESG_NS9_15LoadWithoutCastENS9_16StoreWithoutCastELi8ELi1EEEEEvT0_T1_.has_dyn_sized_stack)
	.set _ZN2at6native29vectorized_elementwise_kernelILi4EZZZNS0_19digamma_kernel_cudaERNS_18TensorIteratorBaseEENKUlvE_clEvENKUlvE2_clEvEUlN3c108BFloat16EE_St5arrayIPcLm2EEEEviT0_T1_.has_recursion, or(0, .L_ZN2at6native25elementwise_kernel_helperILb0EZZZNS0_19digamma_kernel_cudaERNS_18TensorIteratorBaseEENKUlvE_clEvENKUlvE2_clEvEUlN3c108BFloat16EE_NS0_6memory8policies11unroll_baseILi256ESt5arrayIPcLm2EE23TrivialOffsetCalculatorILi1EjESG_NS9_15LoadWithoutCastENS9_16StoreWithoutCastELi8ELi1EEEEEvT0_T1_.has_recursion)
	.set _ZN2at6native29vectorized_elementwise_kernelILi4EZZZNS0_19digamma_kernel_cudaERNS_18TensorIteratorBaseEENKUlvE_clEvENKUlvE2_clEvEUlN3c108BFloat16EE_St5arrayIPcLm2EEEEviT0_T1_.has_indirect_call, or(0, .L_ZN2at6native25elementwise_kernel_helperILb0EZZZNS0_19digamma_kernel_cudaERNS_18TensorIteratorBaseEENKUlvE_clEvENKUlvE2_clEvEUlN3c108BFloat16EE_NS0_6memory8policies11unroll_baseILi256ESt5arrayIPcLm2EE23TrivialOffsetCalculatorILi1EjESG_NS9_15LoadWithoutCastENS9_16StoreWithoutCastELi8ELi1EEEEEvT0_T1_.has_indirect_call)
	.section	.AMDGPU.csdata,"",@progbits
; Kernel info:
; codeLenInByte = 20012
; TotalNumSgprs: 35
; NumVgprs: 66
; ScratchSize: 0
; MemoryBound: 0
; FloatMode: 240
; IeeeMode: 1
; LDSByteSize: 0 bytes/workgroup (compile time only)
; SGPRBlocks: 0
; VGPRBlocks: 8
; NumSGPRsForWavesPerEU: 35
; NumVGPRsForWavesPerEU: 66
; Occupancy: 12
; WaveLimiterHint : 1
; COMPUTE_PGM_RSRC2:SCRATCH_EN: 0
; COMPUTE_PGM_RSRC2:USER_SGPR: 6
; COMPUTE_PGM_RSRC2:TRAP_HANDLER: 0
; COMPUTE_PGM_RSRC2:TGID_X_EN: 1
; COMPUTE_PGM_RSRC2:TGID_Y_EN: 0
; COMPUTE_PGM_RSRC2:TGID_Z_EN: 0
; COMPUTE_PGM_RSRC2:TIDIG_COMP_CNT: 0
	.section	.text._ZN2at6native29vectorized_elementwise_kernelILi2EZZZNS0_19digamma_kernel_cudaERNS_18TensorIteratorBaseEENKUlvE_clEvENKUlvE2_clEvEUlN3c108BFloat16EE_St5arrayIPcLm2EEEEviT0_T1_,"axG",@progbits,_ZN2at6native29vectorized_elementwise_kernelILi2EZZZNS0_19digamma_kernel_cudaERNS_18TensorIteratorBaseEENKUlvE_clEvENKUlvE2_clEvEUlN3c108BFloat16EE_St5arrayIPcLm2EEEEviT0_T1_,comdat
	.globl	_ZN2at6native29vectorized_elementwise_kernelILi2EZZZNS0_19digamma_kernel_cudaERNS_18TensorIteratorBaseEENKUlvE_clEvENKUlvE2_clEvEUlN3c108BFloat16EE_St5arrayIPcLm2EEEEviT0_T1_ ; -- Begin function _ZN2at6native29vectorized_elementwise_kernelILi2EZZZNS0_19digamma_kernel_cudaERNS_18TensorIteratorBaseEENKUlvE_clEvENKUlvE2_clEvEUlN3c108BFloat16EE_St5arrayIPcLm2EEEEviT0_T1_
	.p2align	8
	.type	_ZN2at6native29vectorized_elementwise_kernelILi2EZZZNS0_19digamma_kernel_cudaERNS_18TensorIteratorBaseEENKUlvE_clEvENKUlvE2_clEvEUlN3c108BFloat16EE_St5arrayIPcLm2EEEEviT0_T1_,@function
_ZN2at6native29vectorized_elementwise_kernelILi2EZZZNS0_19digamma_kernel_cudaERNS_18TensorIteratorBaseEENKUlvE_clEvENKUlvE2_clEvEUlN3c108BFloat16EE_St5arrayIPcLm2EEEEviT0_T1_: ; @_ZN2at6native29vectorized_elementwise_kernelILi2EZZZNS0_19digamma_kernel_cudaERNS_18TensorIteratorBaseEENKUlvE_clEvENKUlvE2_clEvEUlN3c108BFloat16EE_St5arrayIPcLm2EEEEviT0_T1_
; %bb.0:
	s_add_u32 s0, s0, s7
	s_clause 0x1
	s_load_dword s7, s[4:5], 0x0
	s_load_dwordx4 s[8:11], s[4:5], 0x8
	s_addc_u32 s1, s1, 0
	s_lshl_b32 s4, s6, 11
	s_mov_b32 s5, -1
	s_mov_b32 s32, 0
	s_waitcnt lgkmcnt(0)
	s_sub_i32 s7, s7, s4
	s_cmpk_gt_i32 s7, 0x7ff
	s_cbranch_scc1 .LBB35_3
; %bb.1:
	s_and_b32 vcc_lo, exec_lo, s5
	s_cbranch_vccnz .LBB35_196
.LBB35_2:
	s_endpgm
.LBB35_3:
	s_ashr_i32 s5, s4, 31
	v_lshlrev_b32_e32 v7, 2, v0
	s_lshl_b64 s[12:13], s[4:5], 1
                                        ; implicit-def: $vgpr8
	s_add_u32 s4, s10, s12
	s_addc_u32 s5, s11, s13
	v_add_co_u32 v1, s14, s4, v7
	v_add_co_ci_u32_e64 v2, null, s5, 0, s14
	global_load_dword v10, v7, s[4:5]
	v_add_co_u32 v1, vcc_lo, 0x800, v1
	v_add_co_ci_u32_e64 v2, null, 0, v2, vcc_lo
	s_clause 0x2
	global_load_dword v13, v7, s[4:5] offset:1024
	global_load_dword v12, v[1:2], off
	global_load_dword v9, v[1:2], off offset:1024
	v_mov_b32_e32 v1, 0
	s_mov_b32 s4, exec_lo
	s_waitcnt vmcnt(3)
	v_lshlrev_b32_e32 v11, 16, v10
	v_cmpx_neq_f32_e32 0, v11
	s_xor_b32 s14, exec_lo, s4
	s_cbranch_execz .LBB35_25
; %bb.4:
	s_mov_b32 s4, -1
	s_mov_b32 s15, exec_lo
	v_cmpx_gt_f32_e32 0, v11
	s_cbranch_execz .LBB35_12
; %bb.5:
	v_trunc_f32_e32 v1, v11
	s_mov_b32 s5, 0
	v_cmp_neq_f32_e32 vcc_lo, v1, v11
	v_mov_b32_e32 v1, 0
	s_and_saveexec_b32 s16, vcc_lo
	s_cbranch_execz .LBB35_11
; %bb.6:
	v_cvt_f64_f32_e32 v[1:2], v11
	s_mov_b32 s5, 0xc00921fb
	s_mov_b32 s4, 0x54442d18
	s_mov_b32 s17, exec_lo
                                        ; implicit-def: $vgpr8
                                        ; implicit-def: $vgpr5_vgpr6
	v_trunc_f64_e32 v[3:4], v[1:2]
	v_cmp_neq_f64_e64 vcc_lo, 0x7ff00000, |v[1:2]|
	v_add_f64 v[3:4], v[1:2], -v[3:4]
	v_mul_f64 v[3:4], |v[3:4]|, s[4:5]
	v_cndmask_b32_e32 v2, 0x80000000, v4, vcc_lo
	v_cndmask_b32_e32 v1, 0, v3, vcc_lo
                                        ; implicit-def: $vgpr3_vgpr4
	v_cmpx_ngt_f64_e64 0x41d00000, |v[1:2]|
	s_xor_b32 s17, exec_lo, s17
	s_cbranch_execz .LBB35_8
; %bb.7:
	v_ldexp_f64 v[3:4], |v[1:2]|, 0xffffff80
	v_cmp_le_f64_e64 vcc_lo, 0x7b000000, |v[1:2]|
	v_trig_preop_f64 v[5:6], |v[1:2]|, 0
	v_and_b32_e32 v8, 0x7fffffff, v2
	v_trig_preop_f64 v[14:15], |v[1:2]|, 1
	v_trig_preop_f64 v[24:25], |v[1:2]|, 2
	v_mov_b32_e32 v32, 0
	s_mov_b32 s5, 0x3ff921fb
	s_mov_b32 s18, 0x33145c07
	;; [unrolled: 1-line block ×3, first 2 shown]
	v_cndmask_b32_e32 v4, v8, v4, vcc_lo
	v_cndmask_b32_e32 v3, v1, v3, vcc_lo
	v_mul_f64 v[16:17], v[5:6], v[3:4]
	v_mul_f64 v[18:19], v[14:15], v[3:4]
	;; [unrolled: 1-line block ×3, first 2 shown]
	v_fma_f64 v[5:6], v[5:6], v[3:4], -v[16:17]
	v_fma_f64 v[14:15], v[14:15], v[3:4], -v[18:19]
	;; [unrolled: 1-line block ×3, first 2 shown]
	v_add_f64 v[20:21], v[18:19], v[5:6]
	v_add_f64 v[22:23], v[20:21], -v[18:19]
	v_add_f64 v[28:29], v[16:17], v[20:21]
	v_add_f64 v[26:27], v[20:21], -v[22:23]
	v_add_f64 v[5:6], v[5:6], -v[22:23]
	v_ldexp_f64 v[22:23], v[28:29], -2
	v_add_f64 v[16:17], v[28:29], -v[16:17]
	v_add_f64 v[18:19], v[18:19], -v[26:27]
	v_add_f64 v[26:27], v[30:31], v[14:15]
	v_cmp_neq_f64_e64 vcc_lo, 0x7ff00000, |v[22:23]|
	v_add_f64 v[16:17], v[20:21], -v[16:17]
	v_add_f64 v[5:6], v[5:6], v[18:19]
	v_fract_f64_e32 v[18:19], v[22:23]
	v_add_f64 v[20:21], v[26:27], v[5:6]
	v_ldexp_f64 v[18:19], v[18:19], 2
	v_add_f64 v[22:23], v[16:17], v[20:21]
	v_cndmask_b32_e32 v19, 0, v19, vcc_lo
	v_cndmask_b32_e32 v18, 0, v18, vcc_lo
	v_add_f64 v[28:29], v[22:23], v[18:19]
	v_add_f64 v[16:17], v[22:23], -v[16:17]
	v_cmp_gt_f64_e32 vcc_lo, 0, v[28:29]
	v_add_f64 v[28:29], v[26:27], -v[30:31]
	v_add_f64 v[16:17], v[20:21], -v[16:17]
	v_cndmask_b32_e64 v33, 0, 0x40100000, vcc_lo
	v_add_f64 v[37:38], v[26:27], -v[28:29]
	v_add_f64 v[14:15], v[14:15], -v[28:29]
	v_add_f64 v[18:19], v[18:19], v[32:33]
	v_add_f64 v[33:34], v[20:21], -v[26:27]
	v_add_f64 v[28:29], v[30:31], -v[37:38]
	v_add_f64 v[35:36], v[22:23], v[18:19]
	;; [unrolled: 3-line block ×3, first 2 shown]
	v_cvt_i32_f64_e32 v8, v[35:36]
	v_add_f64 v[26:27], v[26:27], -v[39:40]
	v_cvt_f64_i32_e32 v[33:34], v8
	v_add_f64 v[5:6], v[5:6], v[26:27]
	v_add_f64 v[18:19], v[18:19], -v[33:34]
	v_add_f64 v[5:6], v[14:15], v[5:6]
	v_add_f64 v[14:15], v[22:23], v[18:19]
	;; [unrolled: 1-line block ×3, first 2 shown]
	v_add_f64 v[5:6], v[14:15], -v[18:19]
	v_cmp_le_f64_e32 vcc_lo, 0.5, v[14:15]
	v_add_f64 v[3:4], v[16:17], v[3:4]
	v_add_f64 v[5:6], v[22:23], -v[5:6]
	v_cndmask_b32_e64 v33, 0, 0x3ff00000, vcc_lo
	v_add_co_ci_u32_e64 v8, null, 0, v8, vcc_lo
	v_add_f64 v[3:4], v[3:4], v[5:6]
	v_add_f64 v[5:6], v[14:15], -v[32:33]
	v_add_f64 v[14:15], v[5:6], v[3:4]
	v_mul_f64 v[16:17], v[14:15], s[4:5]
	v_add_f64 v[5:6], v[14:15], -v[5:6]
	v_fma_f64 v[18:19], v[14:15], s[4:5], -v[16:17]
	v_add_f64 v[3:4], v[3:4], -v[5:6]
	v_fma_f64 v[5:6], v[14:15], s[18:19], v[18:19]
	v_fma_f64 v[5:6], v[3:4], s[4:5], v[5:6]
	v_add_f64 v[3:4], v[16:17], v[5:6]
	v_add_f64 v[14:15], v[3:4], -v[16:17]
	v_add_f64 v[5:6], v[5:6], -v[14:15]
.LBB35_8:
	s_andn2_saveexec_b32 s4, s17
	s_cbranch_execz .LBB35_10
; %bb.9:
	s_mov_b32 s18, 0x6dc9c883
	s_mov_b32 s19, 0x3fe45f30
	;; [unrolled: 1-line block ×3, first 2 shown]
	v_mul_f64 v[3:4], |v[1:2]|, s[18:19]
	s_mov_b32 s18, 0x54442d18
	s_mov_b32 s19, 0xbff921fb
	;; [unrolled: 1-line block ×3, first 2 shown]
	v_rndne_f64_e32 v[14:15], v[3:4]
	v_fma_f64 v[3:4], v[14:15], s[18:19], |v[1:2]|
	v_mul_f64 v[5:6], v[14:15], s[20:21]
	s_mov_b32 s18, 0x252049c0
	s_mov_b32 s19, 0xb97b839a
	v_cvt_i32_f64_e32 v8, v[14:15]
	v_fma_f64 v[18:19], v[14:15], s[20:21], v[3:4]
	v_add_f64 v[16:17], v[3:4], v[5:6]
	s_mov_b32 s21, 0x3c91a626
	v_add_f64 v[3:4], v[3:4], -v[16:17]
	v_add_f64 v[16:17], v[16:17], -v[18:19]
	v_add_f64 v[3:4], v[3:4], v[5:6]
	v_fma_f64 v[5:6], v[14:15], s[20:21], v[5:6]
	v_add_f64 v[3:4], v[16:17], v[3:4]
	v_add_f64 v[3:4], v[3:4], -v[5:6]
	v_fma_f64 v[5:6], v[14:15], s[18:19], v[3:4]
	v_add_f64 v[3:4], v[18:19], v[5:6]
	v_add_f64 v[16:17], v[3:4], -v[18:19]
	v_add_f64 v[5:6], v[5:6], -v[16:17]
.LBB35_10:
	s_or_b32 exec_lo, exec_lo, s4
	v_mul_f64 v[14:15], v[3:4], v[3:4]
	v_add_f64 v[16:17], v[5:6], v[5:6]
	s_mov_b32 s18, 0xa9a29f71
	s_mov_b32 s20, 0xc751c08c
	s_mov_b32 s19, 0xbf078809
	s_mov_b32 s21, 0x3ef5e089
	v_cmp_class_f64_e64 s4, v[1:2], 0x1f8
	v_and_b32_e32 v8, 1, v8
	v_and_b32_e32 v2, 0x80000000, v2
	v_sub_f32_e32 v11, 1.0, v11
	s_mov_b32 s5, exec_lo
	v_cmp_eq_u32_e32 vcc_lo, 0, v8
	v_fma_f64 v[18:19], v[3:4], v[3:4], -v[14:15]
	v_fma_f64 v[16:17], v[3:4], v[16:17], v[18:19]
	v_add_f64 v[14:15], v[14:15], v[16:17]
	v_fma_f64 v[16:17], v[14:15], s[20:21], s[18:19]
	s_mov_b32 s18, 0x90a8aae0
	s_mov_b32 s19, 0x3f17746f
	v_fma_f64 v[16:17], v[14:15], v[16:17], s[18:19]
	s_mov_b32 s18, 0xa6fbf144
	s_mov_b32 s19, 0xbefbb44d
	;; [unrolled: 3-line block ×13, first 2 shown]
	v_mul_f64 v[14:15], v[14:15], v[16:17]
	v_mul_f64 v[16:17], v[3:4], v[14:15]
	v_add_f64 v[18:19], v[3:4], v[16:17]
	v_fma_f64 v[14:15], v[3:4], v[14:15], -v[16:17]
	v_add_f64 v[3:4], v[18:19], -v[3:4]
	v_add_f64 v[5:6], v[5:6], v[14:15]
	v_add_f64 v[3:4], v[16:17], -v[3:4]
	v_add_f64 v[3:4], v[5:6], v[3:4]
	v_add_f64 v[5:6], v[18:19], v[3:4]
	v_rcp_f64_e32 v[14:15], v[5:6]
	v_fma_f64 v[16:17], -v[5:6], v[14:15], 1.0
	v_fma_f64 v[14:15], v[16:17], v[14:15], v[14:15]
	v_fma_f64 v[16:17], -v[5:6], v[14:15], 1.0
	v_fma_f64 v[14:15], v[16:17], v[14:15], v[14:15]
	v_add_f64 v[16:17], v[5:6], -v[18:19]
	v_mul_f64 v[18:19], v[5:6], v[14:15]
	v_add_f64 v[3:4], v[3:4], -v[16:17]
	v_fma_f64 v[16:17], v[14:15], v[5:6], -v[18:19]
	v_fma_f64 v[3:4], v[14:15], v[3:4], v[16:17]
	v_add_f64 v[16:17], v[18:19], v[3:4]
	v_add_f64 v[20:21], -v[16:17], 1.0
	v_add_f64 v[18:19], v[16:17], -v[18:19]
	v_add_f64 v[22:23], -v[20:21], 1.0
	v_add_f64 v[3:4], v[18:19], -v[3:4]
	v_add_f64 v[16:17], v[22:23], -v[16:17]
	v_add_f64 v[3:4], v[3:4], v[16:17]
	v_add_f64 v[3:4], v[20:21], v[3:4]
	v_mul_f64 v[3:4], v[14:15], v[3:4]
	v_add_f64 v[3:4], v[14:15], v[3:4]
	v_xor_b32_e32 v1, 0x80000000, v4
	v_cndmask_b32_e32 v3, v3, v5, vcc_lo
	v_cndmask_b32_e32 v1, v1, v6, vcc_lo
	v_xor_b32_e32 v2, v1, v2
	v_cndmask_b32_e64 v1, 0, v3, s4
	v_cndmask_b32_e64 v2, 0x7ff80000, v2, s4
	v_div_scale_f64 v[3:4], null, v[1:2], v[1:2], s[18:19]
	v_rcp_f64_e32 v[5:6], v[3:4]
	v_fma_f64 v[14:15], -v[3:4], v[5:6], 1.0
	v_fma_f64 v[5:6], v[5:6], v[14:15], v[5:6]
	v_fma_f64 v[14:15], -v[3:4], v[5:6], 1.0
	v_fma_f64 v[5:6], v[5:6], v[14:15], v[5:6]
	v_div_scale_f64 v[14:15], vcc_lo, s[18:19], v[1:2], s[18:19]
	v_mul_f64 v[16:17], v[14:15], v[5:6]
	v_fma_f64 v[3:4], -v[3:4], v[16:17], v[14:15]
	v_div_fmas_f64 v[3:4], v[3:4], v[5:6], v[16:17]
	v_div_fixup_f64 v[1:2], v[3:4], v[1:2], s[18:19]
	v_cvt_f32_f64_e32 v1, v[1:2]
.LBB35_11:
	s_or_b32 exec_lo, exec_lo, s16
	s_orn2_b32 s4, s5, exec_lo
.LBB35_12:
	s_or_b32 exec_lo, exec_lo, s15
	v_mov_b32_e32 v8, 0x7fc0
	s_and_saveexec_b32 s5, s4
	s_cbranch_execz .LBB35_24
; %bb.13:
	s_mov_b32 s4, exec_lo
	v_cmpx_gt_f32_e32 0x41200000, v11
	s_cbranch_execz .LBB35_17
; %bb.14:
	s_mov_b32 s15, 0
	.p2align	6
.LBB35_15:                              ; =>This Inner Loop Header: Depth=1
	v_div_scale_f32 v2, null, v11, v11, 1.0
	v_div_scale_f32 v5, vcc_lo, 1.0, v11, 1.0
	v_rcp_f32_e32 v3, v2
	v_fma_f32 v4, -v2, v3, 1.0
	v_fmac_f32_e32 v3, v4, v3
	v_mul_f32_e32 v4, v5, v3
	v_fma_f32 v6, -v2, v4, v5
	v_fmac_f32_e32 v4, v6, v3
	v_fma_f32 v2, -v2, v4, v5
	v_div_fmas_f32 v2, v2, v3, v4
	v_div_fixup_f32 v2, v2, v11, 1.0
	v_add_f32_e32 v11, 1.0, v11
	v_sub_f32_e32 v1, v1, v2
	v_cmp_ngt_f32_e32 vcc_lo, 0x41200000, v11
	s_or_b32 s15, vcc_lo, s15
	s_andn2_b32 exec_lo, exec_lo, s15
	s_cbranch_execnz .LBB35_15
; %bb.16:
	s_or_b32 exec_lo, exec_lo, s15
.LBB35_17:
	s_or_b32 exec_lo, exec_lo, s4
                                        ; implicit-def: $vgpr8
	s_mov_b32 s4, exec_lo
	v_cmpx_neq_f32_e32 0x41200000, v11
	s_xor_b32 s15, exec_lo, s4
	s_cbranch_execz .LBB35_21
; %bb.18:
	v_cvt_f64_f32_e32 v[2:3], v11
	s_mov_b32 s16, 0x85d8a000
	s_mov_b32 s17, 0x43763457
	v_cmp_gt_f64_e32 vcc_lo, s[16:17], v[2:3]
	v_mov_b32_e32 v2, 0
	s_and_saveexec_b32 s4, vcc_lo
	s_cbranch_execz .LBB35_20
; %bb.19:
	v_mul_f32_e32 v2, v11, v11
	v_div_scale_f32 v3, null, v2, v2, 1.0
	v_rcp_f32_e32 v4, v3
	v_fma_f32 v5, -v3, v4, 1.0
	v_fmac_f32_e32 v4, v5, v4
	v_div_scale_f32 v5, vcc_lo, 1.0, v2, 1.0
	v_mul_f32_e32 v6, v5, v4
	v_fma_f32 v8, -v3, v6, v5
	v_fmac_f32_e32 v6, v8, v4
	v_fma_f32 v3, -v3, v6, v5
	v_div_fmas_f32 v3, v3, v4, v6
	v_div_fixup_f32 v2, v3, v2, 1.0
	v_fmaak_f32 v3, 0, v2, 0x3daaaaab
	v_fmaak_f32 v3, v2, v3, 0xbcaccacd
	;; [unrolled: 1-line block ×7, first 2 shown]
	v_mul_f32_e32 v2, v2, v3
.LBB35_20:
	s_or_b32 exec_lo, exec_lo, s4
	v_cmp_gt_f32_e32 vcc_lo, 0x800000, v11
	v_div_scale_f32 v3, null, v11, v11, -0.5
	v_div_scale_f32 v8, s4, -0.5, v11, -0.5
	v_cndmask_b32_e64 v4, 0, 32, vcc_lo
	v_rcp_f32_e32 v5, v3
	v_ldexp_f32 v4, v11, v4
	v_log_f32_e32 v4, v4
	v_fma_f32 v6, -v3, v5, 1.0
	v_fmac_f32_e32 v5, v6, v5
	v_mul_f32_e32 v6, 0x3f317217, v4
	v_mul_f32_e32 v14, v8, v5
	v_fma_f32 v6, 0x3f317217, v4, -v6
	v_fma_f32 v15, -v3, v14, v8
	v_fmamk_f32 v6, v4, 0x3377d1cf, v6
	v_fmac_f32_e32 v14, v15, v5
	v_cndmask_b32_e64 v15, 0, 0x41b17218, vcc_lo
	v_cmp_gt_f32_e64 vcc_lo, 0x7f800000, |v4|
	v_fmac_f32_e32 v6, 0x3f317217, v4
	v_fma_f32 v3, -v3, v14, v8
	v_cndmask_b32_e32 v4, v4, v6, vcc_lo
	s_mov_b32 vcc_lo, s4
	v_div_fmas_f32 v3, v3, v5, v14
	v_sub_f32_e32 v4, v4, v15
	v_div_fixup_f32 v3, v3, v11, -0.5
	v_add_f32_e32 v3, v4, v3
	v_sub_f32_e32 v2, v3, v2
	v_add_f32_e32 v1, v1, v2
	v_bfe_u32 v2, v1, 16, 1
	v_cmp_o_f32_e32 vcc_lo, v1, v1
	v_add3_u32 v1, v1, v2, 0x7fff
	v_mov_b32_e32 v2, 0x7fc0
	v_cndmask_b32_sdwa v8, v2, v1, vcc_lo dst_sel:DWORD dst_unused:UNUSED_PAD src0_sel:DWORD src1_sel:WORD_1
                                        ; implicit-def: $vgpr1
.LBB35_21:
	s_andn2_saveexec_b32 s4, s15
; %bb.22:
	v_add_f32_e32 v1, 0x40101cb7, v1
	v_bfe_u32 v2, v1, 16, 1
	v_cmp_o_f32_e32 vcc_lo, v1, v1
	v_add3_u32 v1, v1, v2, 0x7fff
	v_mov_b32_e32 v2, 0x7fc0
	v_cndmask_b32_sdwa v8, v2, v1, vcc_lo dst_sel:DWORD dst_unused:UNUSED_PAD src0_sel:DWORD src1_sel:WORD_1
; %bb.23:
	s_or_b32 exec_lo, exec_lo, s4
.LBB35_24:
	s_or_b32 exec_lo, exec_lo, s5
                                        ; implicit-def: $vgpr11
.LBB35_25:
	s_andn2_saveexec_b32 s4, s14
; %bb.26:
	v_xor_b32_e32 v1, 0x80000000, v11
	s_mov_b32 s5, 0x7f800000
	v_and_or_b32 v1, 0x80000000, v1, s5
	v_lshrrev_b32_e32 v8, 16, v1
; %bb.27:
	s_or_b32 exec_lo, exec_lo, s4
	v_and_b32_e32 v11, 0xffff0000, v10
                                        ; implicit-def: $vgpr10
	s_mov_b32 s4, exec_lo
	v_cmpx_neq_f32_e32 0, v11
	s_xor_b32 s14, exec_lo, s4
	s_cbranch_execz .LBB35_49
; %bb.28:
	v_mov_b32_e32 v1, 0
	s_mov_b32 s4, -1
	s_mov_b32 s15, exec_lo
	v_cmpx_gt_f32_e32 0, v11
	s_cbranch_execz .LBB35_36
; %bb.29:
	v_trunc_f32_e32 v1, v11
	s_mov_b32 s5, 0
	v_cmp_neq_f32_e32 vcc_lo, v1, v11
	v_mov_b32_e32 v1, 0
	s_and_saveexec_b32 s16, vcc_lo
	s_cbranch_execz .LBB35_35
; %bb.30:
	v_cvt_f64_f32_e32 v[1:2], v11
	s_mov_b32 s5, 0xc00921fb
	s_mov_b32 s4, 0x54442d18
	s_mov_b32 s17, exec_lo
                                        ; implicit-def: $vgpr10
                                        ; implicit-def: $vgpr5_vgpr6
	v_trunc_f64_e32 v[3:4], v[1:2]
	v_cmp_neq_f64_e64 vcc_lo, 0x7ff00000, |v[1:2]|
	v_add_f64 v[3:4], v[1:2], -v[3:4]
	v_mul_f64 v[3:4], |v[3:4]|, s[4:5]
	v_cndmask_b32_e32 v2, 0x80000000, v4, vcc_lo
	v_cndmask_b32_e32 v1, 0, v3, vcc_lo
                                        ; implicit-def: $vgpr3_vgpr4
	v_cmpx_ngt_f64_e64 0x41d00000, |v[1:2]|
	s_xor_b32 s17, exec_lo, s17
	s_cbranch_execz .LBB35_32
; %bb.31:
	v_ldexp_f64 v[3:4], |v[1:2]|, 0xffffff80
	v_cmp_le_f64_e64 vcc_lo, 0x7b000000, |v[1:2]|
	v_trig_preop_f64 v[5:6], |v[1:2]|, 0
	v_and_b32_e32 v10, 0x7fffffff, v2
	v_trig_preop_f64 v[14:15], |v[1:2]|, 1
	v_trig_preop_f64 v[24:25], |v[1:2]|, 2
	v_mov_b32_e32 v32, 0
	s_mov_b32 s5, 0x3ff921fb
	s_mov_b32 s18, 0x33145c07
	;; [unrolled: 1-line block ×3, first 2 shown]
	v_cndmask_b32_e32 v4, v10, v4, vcc_lo
	v_cndmask_b32_e32 v3, v1, v3, vcc_lo
	v_mul_f64 v[16:17], v[5:6], v[3:4]
	v_mul_f64 v[18:19], v[14:15], v[3:4]
	;; [unrolled: 1-line block ×3, first 2 shown]
	v_fma_f64 v[5:6], v[5:6], v[3:4], -v[16:17]
	v_fma_f64 v[14:15], v[14:15], v[3:4], -v[18:19]
	;; [unrolled: 1-line block ×3, first 2 shown]
	v_add_f64 v[20:21], v[18:19], v[5:6]
	v_add_f64 v[22:23], v[20:21], -v[18:19]
	v_add_f64 v[28:29], v[16:17], v[20:21]
	v_add_f64 v[26:27], v[20:21], -v[22:23]
	v_add_f64 v[5:6], v[5:6], -v[22:23]
	v_ldexp_f64 v[22:23], v[28:29], -2
	v_add_f64 v[16:17], v[28:29], -v[16:17]
	v_add_f64 v[18:19], v[18:19], -v[26:27]
	v_add_f64 v[26:27], v[30:31], v[14:15]
	v_cmp_neq_f64_e64 vcc_lo, 0x7ff00000, |v[22:23]|
	v_add_f64 v[16:17], v[20:21], -v[16:17]
	v_add_f64 v[5:6], v[5:6], v[18:19]
	v_fract_f64_e32 v[18:19], v[22:23]
	v_add_f64 v[20:21], v[26:27], v[5:6]
	v_ldexp_f64 v[18:19], v[18:19], 2
	v_add_f64 v[22:23], v[16:17], v[20:21]
	v_cndmask_b32_e32 v19, 0, v19, vcc_lo
	v_cndmask_b32_e32 v18, 0, v18, vcc_lo
	v_add_f64 v[28:29], v[22:23], v[18:19]
	v_add_f64 v[16:17], v[22:23], -v[16:17]
	v_cmp_gt_f64_e32 vcc_lo, 0, v[28:29]
	v_add_f64 v[28:29], v[26:27], -v[30:31]
	v_add_f64 v[16:17], v[20:21], -v[16:17]
	v_cndmask_b32_e64 v33, 0, 0x40100000, vcc_lo
	v_add_f64 v[37:38], v[26:27], -v[28:29]
	v_add_f64 v[14:15], v[14:15], -v[28:29]
	v_add_f64 v[18:19], v[18:19], v[32:33]
	v_add_f64 v[33:34], v[20:21], -v[26:27]
	v_add_f64 v[28:29], v[30:31], -v[37:38]
	v_add_f64 v[35:36], v[22:23], v[18:19]
	;; [unrolled: 3-line block ×3, first 2 shown]
	v_cvt_i32_f64_e32 v10, v[35:36]
	v_add_f64 v[26:27], v[26:27], -v[39:40]
	v_cvt_f64_i32_e32 v[33:34], v10
	v_add_f64 v[5:6], v[5:6], v[26:27]
	v_add_f64 v[18:19], v[18:19], -v[33:34]
	v_add_f64 v[5:6], v[14:15], v[5:6]
	v_add_f64 v[14:15], v[22:23], v[18:19]
	v_add_f64 v[3:4], v[3:4], v[5:6]
	v_add_f64 v[5:6], v[14:15], -v[18:19]
	v_cmp_le_f64_e32 vcc_lo, 0.5, v[14:15]
	v_add_f64 v[3:4], v[16:17], v[3:4]
	v_add_f64 v[5:6], v[22:23], -v[5:6]
	v_cndmask_b32_e64 v33, 0, 0x3ff00000, vcc_lo
	v_add_co_ci_u32_e64 v10, null, 0, v10, vcc_lo
	v_add_f64 v[3:4], v[3:4], v[5:6]
	v_add_f64 v[5:6], v[14:15], -v[32:33]
	v_add_f64 v[14:15], v[5:6], v[3:4]
	v_mul_f64 v[16:17], v[14:15], s[4:5]
	v_add_f64 v[5:6], v[14:15], -v[5:6]
	v_fma_f64 v[18:19], v[14:15], s[4:5], -v[16:17]
	v_add_f64 v[3:4], v[3:4], -v[5:6]
	v_fma_f64 v[5:6], v[14:15], s[18:19], v[18:19]
	v_fma_f64 v[5:6], v[3:4], s[4:5], v[5:6]
	v_add_f64 v[3:4], v[16:17], v[5:6]
	v_add_f64 v[14:15], v[3:4], -v[16:17]
	v_add_f64 v[5:6], v[5:6], -v[14:15]
.LBB35_32:
	s_andn2_saveexec_b32 s4, s17
	s_cbranch_execz .LBB35_34
; %bb.33:
	s_mov_b32 s18, 0x6dc9c883
	s_mov_b32 s19, 0x3fe45f30
	;; [unrolled: 1-line block ×3, first 2 shown]
	v_mul_f64 v[3:4], |v[1:2]|, s[18:19]
	s_mov_b32 s18, 0x54442d18
	s_mov_b32 s19, 0xbff921fb
	;; [unrolled: 1-line block ×3, first 2 shown]
	v_rndne_f64_e32 v[14:15], v[3:4]
	v_fma_f64 v[3:4], v[14:15], s[18:19], |v[1:2]|
	v_mul_f64 v[5:6], v[14:15], s[20:21]
	s_mov_b32 s18, 0x252049c0
	s_mov_b32 s19, 0xb97b839a
	v_cvt_i32_f64_e32 v10, v[14:15]
	v_fma_f64 v[18:19], v[14:15], s[20:21], v[3:4]
	v_add_f64 v[16:17], v[3:4], v[5:6]
	s_mov_b32 s21, 0x3c91a626
	v_add_f64 v[3:4], v[3:4], -v[16:17]
	v_add_f64 v[16:17], v[16:17], -v[18:19]
	v_add_f64 v[3:4], v[3:4], v[5:6]
	v_fma_f64 v[5:6], v[14:15], s[20:21], v[5:6]
	v_add_f64 v[3:4], v[16:17], v[3:4]
	v_add_f64 v[3:4], v[3:4], -v[5:6]
	v_fma_f64 v[5:6], v[14:15], s[18:19], v[3:4]
	v_add_f64 v[3:4], v[18:19], v[5:6]
	v_add_f64 v[16:17], v[3:4], -v[18:19]
	v_add_f64 v[5:6], v[5:6], -v[16:17]
.LBB35_34:
	s_or_b32 exec_lo, exec_lo, s4
	v_mul_f64 v[14:15], v[3:4], v[3:4]
	v_add_f64 v[16:17], v[5:6], v[5:6]
	s_mov_b32 s18, 0xa9a29f71
	s_mov_b32 s20, 0xc751c08c
	;; [unrolled: 1-line block ×4, first 2 shown]
	v_cmp_class_f64_e64 s4, v[1:2], 0x1f8
	v_and_b32_e32 v10, 1, v10
	v_and_b32_e32 v2, 0x80000000, v2
	v_sub_f32_e32 v11, 1.0, v11
	s_mov_b32 s5, exec_lo
	v_cmp_eq_u32_e32 vcc_lo, 0, v10
	v_fma_f64 v[18:19], v[3:4], v[3:4], -v[14:15]
	v_fma_f64 v[16:17], v[3:4], v[16:17], v[18:19]
	v_add_f64 v[14:15], v[14:15], v[16:17]
	v_fma_f64 v[16:17], v[14:15], s[20:21], s[18:19]
	s_mov_b32 s18, 0x90a8aae0
	s_mov_b32 s19, 0x3f17746f
	v_fma_f64 v[16:17], v[14:15], v[16:17], s[18:19]
	s_mov_b32 s18, 0xa6fbf144
	s_mov_b32 s19, 0xbefbb44d
	;; [unrolled: 3-line block ×13, first 2 shown]
	v_mul_f64 v[14:15], v[14:15], v[16:17]
	v_mul_f64 v[16:17], v[3:4], v[14:15]
	v_add_f64 v[18:19], v[3:4], v[16:17]
	v_fma_f64 v[14:15], v[3:4], v[14:15], -v[16:17]
	v_add_f64 v[3:4], v[18:19], -v[3:4]
	v_add_f64 v[5:6], v[5:6], v[14:15]
	v_add_f64 v[3:4], v[16:17], -v[3:4]
	v_add_f64 v[3:4], v[5:6], v[3:4]
	v_add_f64 v[5:6], v[18:19], v[3:4]
	v_rcp_f64_e32 v[14:15], v[5:6]
	v_fma_f64 v[16:17], -v[5:6], v[14:15], 1.0
	v_fma_f64 v[14:15], v[16:17], v[14:15], v[14:15]
	v_fma_f64 v[16:17], -v[5:6], v[14:15], 1.0
	v_fma_f64 v[14:15], v[16:17], v[14:15], v[14:15]
	v_add_f64 v[16:17], v[5:6], -v[18:19]
	v_mul_f64 v[18:19], v[5:6], v[14:15]
	v_add_f64 v[3:4], v[3:4], -v[16:17]
	v_fma_f64 v[16:17], v[14:15], v[5:6], -v[18:19]
	v_fma_f64 v[3:4], v[14:15], v[3:4], v[16:17]
	v_add_f64 v[16:17], v[18:19], v[3:4]
	v_add_f64 v[20:21], -v[16:17], 1.0
	v_add_f64 v[18:19], v[16:17], -v[18:19]
	v_add_f64 v[22:23], -v[20:21], 1.0
	v_add_f64 v[3:4], v[18:19], -v[3:4]
	v_add_f64 v[16:17], v[22:23], -v[16:17]
	v_add_f64 v[3:4], v[3:4], v[16:17]
	v_add_f64 v[3:4], v[20:21], v[3:4]
	v_mul_f64 v[3:4], v[14:15], v[3:4]
	v_add_f64 v[3:4], v[14:15], v[3:4]
	v_xor_b32_e32 v1, 0x80000000, v4
	v_cndmask_b32_e32 v3, v3, v5, vcc_lo
	v_cndmask_b32_e32 v1, v1, v6, vcc_lo
	v_xor_b32_e32 v2, v1, v2
	v_cndmask_b32_e64 v1, 0, v3, s4
	v_cndmask_b32_e64 v2, 0x7ff80000, v2, s4
	v_div_scale_f64 v[3:4], null, v[1:2], v[1:2], s[18:19]
	v_rcp_f64_e32 v[5:6], v[3:4]
	v_fma_f64 v[14:15], -v[3:4], v[5:6], 1.0
	v_fma_f64 v[5:6], v[5:6], v[14:15], v[5:6]
	v_fma_f64 v[14:15], -v[3:4], v[5:6], 1.0
	v_fma_f64 v[5:6], v[5:6], v[14:15], v[5:6]
	v_div_scale_f64 v[14:15], vcc_lo, s[18:19], v[1:2], s[18:19]
	v_mul_f64 v[16:17], v[14:15], v[5:6]
	v_fma_f64 v[3:4], -v[3:4], v[16:17], v[14:15]
	v_div_fmas_f64 v[3:4], v[3:4], v[5:6], v[16:17]
	v_div_fixup_f64 v[1:2], v[3:4], v[1:2], s[18:19]
	v_cvt_f32_f64_e32 v1, v[1:2]
.LBB35_35:
	s_or_b32 exec_lo, exec_lo, s16
	s_orn2_b32 s4, s5, exec_lo
.LBB35_36:
	s_or_b32 exec_lo, exec_lo, s15
	v_mov_b32_e32 v10, 0x7fc00000
	s_and_saveexec_b32 s15, s4
	s_cbranch_execz .LBB35_48
; %bb.37:
	s_mov_b32 s4, exec_lo
	v_cmpx_gt_f32_e32 0x41200000, v11
	s_cbranch_execz .LBB35_41
; %bb.38:
	s_mov_b32 s5, 0
	.p2align	6
.LBB35_39:                              ; =>This Inner Loop Header: Depth=1
	v_div_scale_f32 v2, null, v11, v11, 1.0
	v_div_scale_f32 v5, vcc_lo, 1.0, v11, 1.0
	v_rcp_f32_e32 v3, v2
	v_fma_f32 v4, -v2, v3, 1.0
	v_fmac_f32_e32 v3, v4, v3
	v_mul_f32_e32 v4, v5, v3
	v_fma_f32 v6, -v2, v4, v5
	v_fmac_f32_e32 v4, v6, v3
	v_fma_f32 v2, -v2, v4, v5
	v_div_fmas_f32 v2, v2, v3, v4
	v_div_fixup_f32 v2, v2, v11, 1.0
	v_add_f32_e32 v11, 1.0, v11
	v_sub_f32_e32 v1, v1, v2
	v_cmp_ngt_f32_e32 vcc_lo, 0x41200000, v11
	s_or_b32 s5, vcc_lo, s5
	s_andn2_b32 exec_lo, exec_lo, s5
	s_cbranch_execnz .LBB35_39
; %bb.40:
	s_or_b32 exec_lo, exec_lo, s5
.LBB35_41:
	s_or_b32 exec_lo, exec_lo, s4
                                        ; implicit-def: $vgpr10
	s_mov_b32 s4, exec_lo
	v_cmpx_neq_f32_e32 0x41200000, v11
	s_xor_b32 s16, exec_lo, s4
	s_cbranch_execz .LBB35_45
; %bb.42:
	v_cvt_f64_f32_e32 v[2:3], v11
	s_mov_b32 s4, 0x85d8a000
	s_mov_b32 s5, 0x43763457
	v_cmp_gt_f64_e32 vcc_lo, s[4:5], v[2:3]
	v_mov_b32_e32 v2, 0
	s_and_saveexec_b32 s4, vcc_lo
	s_cbranch_execz .LBB35_44
; %bb.43:
	v_mul_f32_e32 v2, v11, v11
	v_div_scale_f32 v3, null, v2, v2, 1.0
	v_rcp_f32_e32 v4, v3
	v_fma_f32 v5, -v3, v4, 1.0
	v_fmac_f32_e32 v4, v5, v4
	v_div_scale_f32 v5, vcc_lo, 1.0, v2, 1.0
	v_mul_f32_e32 v6, v5, v4
	v_fma_f32 v10, -v3, v6, v5
	v_fmac_f32_e32 v6, v10, v4
	v_fma_f32 v3, -v3, v6, v5
	v_div_fmas_f32 v3, v3, v4, v6
	v_div_fixup_f32 v2, v3, v2, 1.0
	v_fmaak_f32 v3, 0, v2, 0x3daaaaab
	v_fmaak_f32 v3, v2, v3, 0xbcaccacd
	;; [unrolled: 1-line block ×7, first 2 shown]
	v_mul_f32_e32 v2, v2, v3
.LBB35_44:
	s_or_b32 exec_lo, exec_lo, s4
	v_cmp_gt_f32_e32 vcc_lo, 0x800000, v11
	v_div_scale_f32 v3, null, v11, v11, -0.5
	v_div_scale_f32 v10, s4, -0.5, v11, -0.5
	v_cndmask_b32_e64 v4, 0, 32, vcc_lo
	v_rcp_f32_e32 v5, v3
	v_ldexp_f32 v4, v11, v4
	v_log_f32_e32 v4, v4
	v_fma_f32 v6, -v3, v5, 1.0
	v_fmac_f32_e32 v5, v6, v5
	v_mul_f32_e32 v6, 0x3f317217, v4
	v_mul_f32_e32 v14, v10, v5
	v_cmp_gt_f32_e64 s5, 0x7f800000, |v4|
	v_fma_f32 v6, 0x3f317217, v4, -v6
	v_fma_f32 v15, -v3, v14, v10
	v_fmamk_f32 v6, v4, 0x3377d1cf, v6
	v_fmac_f32_e32 v14, v15, v5
	v_fmac_f32_e32 v6, 0x3f317217, v4
	v_fma_f32 v3, -v3, v14, v10
	v_cndmask_b32_e64 v4, v4, v6, s5
	v_cndmask_b32_e64 v6, 0, 0x41b17218, vcc_lo
	s_mov_b32 vcc_lo, s4
	v_div_fmas_f32 v3, v3, v5, v14
	v_sub_f32_e32 v4, v4, v6
	v_div_fixup_f32 v3, v3, v11, -0.5
	v_add_f32_e32 v3, v4, v3
	v_sub_f32_e32 v2, v3, v2
	v_add_f32_e32 v1, v1, v2
	v_bfe_u32 v2, v1, 16, 1
	v_cmp_o_f32_e32 vcc_lo, v1, v1
	v_add3_u32 v2, v1, v2, 0x7fff
                                        ; implicit-def: $vgpr1
	v_and_b32_e32 v2, 0xffff0000, v2
	v_cndmask_b32_e32 v10, 0x7fc00000, v2, vcc_lo
.LBB35_45:
	s_andn2_saveexec_b32 s4, s16
; %bb.46:
	v_add_f32_e32 v1, 0x40101cb7, v1
	v_bfe_u32 v2, v1, 16, 1
	v_cmp_o_f32_e32 vcc_lo, v1, v1
	v_add3_u32 v2, v1, v2, 0x7fff
	v_and_b32_e32 v2, 0xffff0000, v2
	v_cndmask_b32_e32 v10, 0x7fc00000, v2, vcc_lo
; %bb.47:
	s_or_b32 exec_lo, exec_lo, s4
.LBB35_48:
	s_or_b32 exec_lo, exec_lo, s15
                                        ; implicit-def: $vgpr11
.LBB35_49:
	s_andn2_saveexec_b32 s4, s14
; %bb.50:
	v_xor_b32_e32 v1, 0x80000000, v11
	s_mov_b32 s5, 0x7f800000
	v_and_or_b32 v10, 0x80000000, v1, s5
; %bb.51:
	s_or_b32 exec_lo, exec_lo, s4
	s_waitcnt vmcnt(2)
	v_lshlrev_b32_e32 v14, 16, v13
                                        ; implicit-def: $vgpr11
	s_mov_b32 s4, exec_lo
	v_cmpx_neq_f32_e32 0, v14
	s_xor_b32 s14, exec_lo, s4
	s_cbranch_execz .LBB35_73
; %bb.52:
	v_mov_b32_e32 v1, 0
	s_mov_b32 s4, -1
	s_mov_b32 s15, exec_lo
	v_cmpx_gt_f32_e32 0, v14
	s_cbranch_execz .LBB35_60
; %bb.53:
	v_trunc_f32_e32 v1, v14
	s_mov_b32 s5, 0
	v_cmp_neq_f32_e32 vcc_lo, v1, v14
	v_mov_b32_e32 v1, 0
	s_and_saveexec_b32 s16, vcc_lo
	s_cbranch_execz .LBB35_59
; %bb.54:
	v_cvt_f64_f32_e32 v[1:2], v14
	s_mov_b32 s5, 0xc00921fb
	s_mov_b32 s4, 0x54442d18
	s_mov_b32 s17, exec_lo
                                        ; implicit-def: $vgpr11
                                        ; implicit-def: $vgpr5_vgpr6
	v_trunc_f64_e32 v[3:4], v[1:2]
	v_cmp_neq_f64_e64 vcc_lo, 0x7ff00000, |v[1:2]|
	v_add_f64 v[3:4], v[1:2], -v[3:4]
	v_mul_f64 v[3:4], |v[3:4]|, s[4:5]
	v_cndmask_b32_e32 v2, 0x80000000, v4, vcc_lo
	v_cndmask_b32_e32 v1, 0, v3, vcc_lo
                                        ; implicit-def: $vgpr3_vgpr4
	v_cmpx_ngt_f64_e64 0x41d00000, |v[1:2]|
	s_xor_b32 s17, exec_lo, s17
	s_cbranch_execz .LBB35_56
; %bb.55:
	v_ldexp_f64 v[3:4], |v[1:2]|, 0xffffff80
	v_cmp_le_f64_e64 vcc_lo, 0x7b000000, |v[1:2]|
	v_trig_preop_f64 v[5:6], |v[1:2]|, 0
	v_and_b32_e32 v11, 0x7fffffff, v2
	v_trig_preop_f64 v[15:16], |v[1:2]|, 1
	v_trig_preop_f64 v[25:26], |v[1:2]|, 2
	v_mov_b32_e32 v33, 0
	s_mov_b32 s5, 0x3ff921fb
	s_mov_b32 s18, 0x33145c07
	;; [unrolled: 1-line block ×3, first 2 shown]
	v_cndmask_b32_e32 v4, v11, v4, vcc_lo
	v_cndmask_b32_e32 v3, v1, v3, vcc_lo
	v_mul_f64 v[17:18], v[5:6], v[3:4]
	v_mul_f64 v[19:20], v[15:16], v[3:4]
	;; [unrolled: 1-line block ×3, first 2 shown]
	v_fma_f64 v[5:6], v[5:6], v[3:4], -v[17:18]
	v_fma_f64 v[15:16], v[15:16], v[3:4], -v[19:20]
	;; [unrolled: 1-line block ×3, first 2 shown]
	v_add_f64 v[21:22], v[19:20], v[5:6]
	v_add_f64 v[23:24], v[21:22], -v[19:20]
	v_add_f64 v[29:30], v[17:18], v[21:22]
	v_add_f64 v[27:28], v[21:22], -v[23:24]
	v_add_f64 v[5:6], v[5:6], -v[23:24]
	v_ldexp_f64 v[23:24], v[29:30], -2
	v_add_f64 v[17:18], v[29:30], -v[17:18]
	v_add_f64 v[19:20], v[19:20], -v[27:28]
	v_add_f64 v[27:28], v[31:32], v[15:16]
	v_cmp_neq_f64_e64 vcc_lo, 0x7ff00000, |v[23:24]|
	v_add_f64 v[17:18], v[21:22], -v[17:18]
	v_add_f64 v[5:6], v[5:6], v[19:20]
	v_fract_f64_e32 v[19:20], v[23:24]
	v_add_f64 v[21:22], v[27:28], v[5:6]
	v_ldexp_f64 v[19:20], v[19:20], 2
	v_add_f64 v[23:24], v[17:18], v[21:22]
	v_cndmask_b32_e32 v20, 0, v20, vcc_lo
	v_cndmask_b32_e32 v19, 0, v19, vcc_lo
	v_add_f64 v[29:30], v[23:24], v[19:20]
	v_add_f64 v[17:18], v[23:24], -v[17:18]
	v_cmp_gt_f64_e32 vcc_lo, 0, v[29:30]
	v_add_f64 v[29:30], v[27:28], -v[31:32]
	v_add_f64 v[17:18], v[21:22], -v[17:18]
	v_cndmask_b32_e64 v34, 0, 0x40100000, vcc_lo
	v_add_f64 v[38:39], v[27:28], -v[29:30]
	v_add_f64 v[15:16], v[15:16], -v[29:30]
	v_add_f64 v[19:20], v[19:20], v[33:34]
	v_add_f64 v[34:35], v[21:22], -v[27:28]
	v_add_f64 v[29:30], v[31:32], -v[38:39]
	v_add_f64 v[36:37], v[23:24], v[19:20]
	;; [unrolled: 3-line block ×3, first 2 shown]
	v_cvt_i32_f64_e32 v11, v[36:37]
	v_add_f64 v[27:28], v[27:28], -v[40:41]
	v_cvt_f64_i32_e32 v[34:35], v11
	v_add_f64 v[5:6], v[5:6], v[27:28]
	v_add_f64 v[19:20], v[19:20], -v[34:35]
	v_add_f64 v[5:6], v[15:16], v[5:6]
	v_add_f64 v[15:16], v[23:24], v[19:20]
	v_add_f64 v[3:4], v[3:4], v[5:6]
	v_add_f64 v[5:6], v[15:16], -v[19:20]
	v_cmp_le_f64_e32 vcc_lo, 0.5, v[15:16]
	v_add_f64 v[3:4], v[17:18], v[3:4]
	v_add_f64 v[5:6], v[23:24], -v[5:6]
	v_cndmask_b32_e64 v34, 0, 0x3ff00000, vcc_lo
	v_add_co_ci_u32_e64 v11, null, 0, v11, vcc_lo
	v_add_f64 v[3:4], v[3:4], v[5:6]
	v_add_f64 v[5:6], v[15:16], -v[33:34]
	v_add_f64 v[15:16], v[5:6], v[3:4]
	v_mul_f64 v[17:18], v[15:16], s[4:5]
	v_add_f64 v[5:6], v[15:16], -v[5:6]
	v_fma_f64 v[19:20], v[15:16], s[4:5], -v[17:18]
	v_add_f64 v[3:4], v[3:4], -v[5:6]
	v_fma_f64 v[5:6], v[15:16], s[18:19], v[19:20]
	v_fma_f64 v[5:6], v[3:4], s[4:5], v[5:6]
	v_add_f64 v[3:4], v[17:18], v[5:6]
	v_add_f64 v[15:16], v[3:4], -v[17:18]
	v_add_f64 v[5:6], v[5:6], -v[15:16]
.LBB35_56:
	s_andn2_saveexec_b32 s4, s17
	s_cbranch_execz .LBB35_58
; %bb.57:
	s_mov_b32 s18, 0x6dc9c883
	s_mov_b32 s19, 0x3fe45f30
	;; [unrolled: 1-line block ×3, first 2 shown]
	v_mul_f64 v[3:4], |v[1:2]|, s[18:19]
	s_mov_b32 s18, 0x54442d18
	s_mov_b32 s19, 0xbff921fb
	s_mov_b32 s20, 0x33145c00
	v_rndne_f64_e32 v[15:16], v[3:4]
	v_fma_f64 v[3:4], v[15:16], s[18:19], |v[1:2]|
	v_mul_f64 v[5:6], v[15:16], s[20:21]
	s_mov_b32 s18, 0x252049c0
	s_mov_b32 s19, 0xb97b839a
	v_cvt_i32_f64_e32 v11, v[15:16]
	v_fma_f64 v[19:20], v[15:16], s[20:21], v[3:4]
	v_add_f64 v[17:18], v[3:4], v[5:6]
	s_mov_b32 s21, 0x3c91a626
	v_add_f64 v[3:4], v[3:4], -v[17:18]
	v_add_f64 v[17:18], v[17:18], -v[19:20]
	v_add_f64 v[3:4], v[3:4], v[5:6]
	v_fma_f64 v[5:6], v[15:16], s[20:21], v[5:6]
	v_add_f64 v[3:4], v[17:18], v[3:4]
	v_add_f64 v[3:4], v[3:4], -v[5:6]
	v_fma_f64 v[5:6], v[15:16], s[18:19], v[3:4]
	v_add_f64 v[3:4], v[19:20], v[5:6]
	v_add_f64 v[17:18], v[3:4], -v[19:20]
	v_add_f64 v[5:6], v[5:6], -v[17:18]
.LBB35_58:
	s_or_b32 exec_lo, exec_lo, s4
	v_mul_f64 v[15:16], v[3:4], v[3:4]
	v_add_f64 v[17:18], v[5:6], v[5:6]
	s_mov_b32 s18, 0xa9a29f71
	s_mov_b32 s20, 0xc751c08c
	;; [unrolled: 1-line block ×4, first 2 shown]
	v_cmp_class_f64_e64 s4, v[1:2], 0x1f8
	v_and_b32_e32 v11, 1, v11
	v_and_b32_e32 v2, 0x80000000, v2
	v_sub_f32_e32 v14, 1.0, v14
	s_mov_b32 s5, exec_lo
	v_cmp_eq_u32_e32 vcc_lo, 0, v11
	v_fma_f64 v[19:20], v[3:4], v[3:4], -v[15:16]
	v_fma_f64 v[17:18], v[3:4], v[17:18], v[19:20]
	v_add_f64 v[15:16], v[15:16], v[17:18]
	v_fma_f64 v[17:18], v[15:16], s[20:21], s[18:19]
	s_mov_b32 s18, 0x90a8aae0
	s_mov_b32 s19, 0x3f17746f
	v_fma_f64 v[17:18], v[15:16], v[17:18], s[18:19]
	s_mov_b32 s18, 0xa6fbf144
	s_mov_b32 s19, 0xbefbb44d
	;; [unrolled: 3-line block ×13, first 2 shown]
	v_mul_f64 v[15:16], v[15:16], v[17:18]
	v_mul_f64 v[17:18], v[3:4], v[15:16]
	v_add_f64 v[19:20], v[3:4], v[17:18]
	v_fma_f64 v[15:16], v[3:4], v[15:16], -v[17:18]
	v_add_f64 v[3:4], v[19:20], -v[3:4]
	v_add_f64 v[5:6], v[5:6], v[15:16]
	v_add_f64 v[3:4], v[17:18], -v[3:4]
	v_add_f64 v[3:4], v[5:6], v[3:4]
	v_add_f64 v[5:6], v[19:20], v[3:4]
	v_rcp_f64_e32 v[15:16], v[5:6]
	v_fma_f64 v[17:18], -v[5:6], v[15:16], 1.0
	v_fma_f64 v[15:16], v[17:18], v[15:16], v[15:16]
	v_fma_f64 v[17:18], -v[5:6], v[15:16], 1.0
	v_fma_f64 v[15:16], v[17:18], v[15:16], v[15:16]
	v_add_f64 v[17:18], v[5:6], -v[19:20]
	v_mul_f64 v[19:20], v[5:6], v[15:16]
	v_add_f64 v[3:4], v[3:4], -v[17:18]
	v_fma_f64 v[17:18], v[15:16], v[5:6], -v[19:20]
	v_fma_f64 v[3:4], v[15:16], v[3:4], v[17:18]
	v_add_f64 v[17:18], v[19:20], v[3:4]
	v_add_f64 v[21:22], -v[17:18], 1.0
	v_add_f64 v[19:20], v[17:18], -v[19:20]
	v_add_f64 v[23:24], -v[21:22], 1.0
	v_add_f64 v[3:4], v[19:20], -v[3:4]
	v_add_f64 v[17:18], v[23:24], -v[17:18]
	v_add_f64 v[3:4], v[3:4], v[17:18]
	v_add_f64 v[3:4], v[21:22], v[3:4]
	v_mul_f64 v[3:4], v[15:16], v[3:4]
	v_add_f64 v[3:4], v[15:16], v[3:4]
	v_xor_b32_e32 v1, 0x80000000, v4
	v_cndmask_b32_e32 v3, v3, v5, vcc_lo
	v_cndmask_b32_e32 v1, v1, v6, vcc_lo
	v_xor_b32_e32 v2, v1, v2
	v_cndmask_b32_e64 v1, 0, v3, s4
	v_cndmask_b32_e64 v2, 0x7ff80000, v2, s4
	v_div_scale_f64 v[3:4], null, v[1:2], v[1:2], s[18:19]
	v_rcp_f64_e32 v[5:6], v[3:4]
	v_fma_f64 v[15:16], -v[3:4], v[5:6], 1.0
	v_fma_f64 v[5:6], v[5:6], v[15:16], v[5:6]
	v_fma_f64 v[15:16], -v[3:4], v[5:6], 1.0
	v_fma_f64 v[5:6], v[5:6], v[15:16], v[5:6]
	v_div_scale_f64 v[15:16], vcc_lo, s[18:19], v[1:2], s[18:19]
	v_mul_f64 v[17:18], v[15:16], v[5:6]
	v_fma_f64 v[3:4], -v[3:4], v[17:18], v[15:16]
	v_div_fmas_f64 v[3:4], v[3:4], v[5:6], v[17:18]
	v_div_fixup_f64 v[1:2], v[3:4], v[1:2], s[18:19]
	v_cvt_f32_f64_e32 v1, v[1:2]
.LBB35_59:
	s_or_b32 exec_lo, exec_lo, s16
	s_orn2_b32 s4, s5, exec_lo
.LBB35_60:
	s_or_b32 exec_lo, exec_lo, s15
	v_mov_b32_e32 v11, 0x7fc0
	s_and_saveexec_b32 s5, s4
	s_cbranch_execz .LBB35_72
; %bb.61:
	s_mov_b32 s4, exec_lo
	v_cmpx_gt_f32_e32 0x41200000, v14
	s_cbranch_execz .LBB35_65
; %bb.62:
	s_mov_b32 s15, 0
	.p2align	6
.LBB35_63:                              ; =>This Inner Loop Header: Depth=1
	v_div_scale_f32 v2, null, v14, v14, 1.0
	v_div_scale_f32 v5, vcc_lo, 1.0, v14, 1.0
	v_rcp_f32_e32 v3, v2
	v_fma_f32 v4, -v2, v3, 1.0
	v_fmac_f32_e32 v3, v4, v3
	v_mul_f32_e32 v4, v5, v3
	v_fma_f32 v6, -v2, v4, v5
	v_fmac_f32_e32 v4, v6, v3
	v_fma_f32 v2, -v2, v4, v5
	v_div_fmas_f32 v2, v2, v3, v4
	v_div_fixup_f32 v2, v2, v14, 1.0
	v_add_f32_e32 v14, 1.0, v14
	v_sub_f32_e32 v1, v1, v2
	v_cmp_ngt_f32_e32 vcc_lo, 0x41200000, v14
	s_or_b32 s15, vcc_lo, s15
	s_andn2_b32 exec_lo, exec_lo, s15
	s_cbranch_execnz .LBB35_63
; %bb.64:
	s_or_b32 exec_lo, exec_lo, s15
.LBB35_65:
	s_or_b32 exec_lo, exec_lo, s4
                                        ; implicit-def: $vgpr11
	s_mov_b32 s4, exec_lo
	v_cmpx_neq_f32_e32 0x41200000, v14
	s_xor_b32 s15, exec_lo, s4
	s_cbranch_execz .LBB35_69
; %bb.66:
	v_cvt_f64_f32_e32 v[2:3], v14
	s_mov_b32 s16, 0x85d8a000
	s_mov_b32 s17, 0x43763457
	v_cmp_gt_f64_e32 vcc_lo, s[16:17], v[2:3]
	v_mov_b32_e32 v2, 0
	s_and_saveexec_b32 s4, vcc_lo
	s_cbranch_execz .LBB35_68
; %bb.67:
	v_mul_f32_e32 v2, v14, v14
	v_div_scale_f32 v3, null, v2, v2, 1.0
	v_rcp_f32_e32 v4, v3
	v_fma_f32 v5, -v3, v4, 1.0
	v_fmac_f32_e32 v4, v5, v4
	v_div_scale_f32 v5, vcc_lo, 1.0, v2, 1.0
	v_mul_f32_e32 v6, v5, v4
	v_fma_f32 v11, -v3, v6, v5
	v_fmac_f32_e32 v6, v11, v4
	v_fma_f32 v3, -v3, v6, v5
	v_div_fmas_f32 v3, v3, v4, v6
	v_div_fixup_f32 v2, v3, v2, 1.0
	v_fmaak_f32 v3, 0, v2, 0x3daaaaab
	v_fmaak_f32 v3, v2, v3, 0xbcaccacd
	;; [unrolled: 1-line block ×7, first 2 shown]
	v_mul_f32_e32 v2, v2, v3
.LBB35_68:
	s_or_b32 exec_lo, exec_lo, s4
	v_cmp_gt_f32_e32 vcc_lo, 0x800000, v14
	v_div_scale_f32 v3, null, v14, v14, -0.5
	v_div_scale_f32 v11, s4, -0.5, v14, -0.5
	v_cndmask_b32_e64 v4, 0, 32, vcc_lo
	v_rcp_f32_e32 v5, v3
	v_ldexp_f32 v4, v14, v4
	v_log_f32_e32 v4, v4
	v_fma_f32 v6, -v3, v5, 1.0
	v_fmac_f32_e32 v5, v6, v5
	v_mul_f32_e32 v6, 0x3f317217, v4
	v_mul_f32_e32 v15, v11, v5
	v_fma_f32 v6, 0x3f317217, v4, -v6
	v_fma_f32 v16, -v3, v15, v11
	v_fmamk_f32 v6, v4, 0x3377d1cf, v6
	v_fmac_f32_e32 v15, v16, v5
	v_cndmask_b32_e64 v16, 0, 0x41b17218, vcc_lo
	v_cmp_gt_f32_e64 vcc_lo, 0x7f800000, |v4|
	v_fmac_f32_e32 v6, 0x3f317217, v4
	v_fma_f32 v3, -v3, v15, v11
	v_cndmask_b32_e32 v4, v4, v6, vcc_lo
	s_mov_b32 vcc_lo, s4
	v_div_fmas_f32 v3, v3, v5, v15
	v_sub_f32_e32 v4, v4, v16
	v_div_fixup_f32 v3, v3, v14, -0.5
	v_add_f32_e32 v3, v4, v3
	v_sub_f32_e32 v2, v3, v2
	v_add_f32_e32 v1, v1, v2
	v_bfe_u32 v2, v1, 16, 1
	v_cmp_o_f32_e32 vcc_lo, v1, v1
	v_add3_u32 v1, v1, v2, 0x7fff
	v_mov_b32_e32 v2, 0x7fc0
	v_cndmask_b32_sdwa v11, v2, v1, vcc_lo dst_sel:DWORD dst_unused:UNUSED_PAD src0_sel:DWORD src1_sel:WORD_1
                                        ; implicit-def: $vgpr1
.LBB35_69:
	s_andn2_saveexec_b32 s4, s15
; %bb.70:
	v_add_f32_e32 v1, 0x40101cb7, v1
	v_bfe_u32 v2, v1, 16, 1
	v_cmp_o_f32_e32 vcc_lo, v1, v1
	v_add3_u32 v1, v1, v2, 0x7fff
	v_mov_b32_e32 v2, 0x7fc0
	v_cndmask_b32_sdwa v11, v2, v1, vcc_lo dst_sel:DWORD dst_unused:UNUSED_PAD src0_sel:DWORD src1_sel:WORD_1
; %bb.71:
	s_or_b32 exec_lo, exec_lo, s4
.LBB35_72:
	s_or_b32 exec_lo, exec_lo, s5
                                        ; implicit-def: $vgpr14
.LBB35_73:
	s_andn2_saveexec_b32 s4, s14
; %bb.74:
	v_xor_b32_e32 v1, 0x80000000, v14
	s_mov_b32 s5, 0x7f800000
	v_and_or_b32 v1, 0x80000000, v1, s5
	v_lshrrev_b32_e32 v11, 16, v1
; %bb.75:
	s_or_b32 exec_lo, exec_lo, s4
	v_and_b32_e32 v14, 0xffff0000, v13
                                        ; implicit-def: $vgpr13
	s_mov_b32 s4, exec_lo
	v_cmpx_neq_f32_e32 0, v14
	s_xor_b32 s14, exec_lo, s4
	s_cbranch_execz .LBB35_97
; %bb.76:
	v_mov_b32_e32 v1, 0
	s_mov_b32 s4, -1
	s_mov_b32 s15, exec_lo
	v_cmpx_gt_f32_e32 0, v14
	s_cbranch_execz .LBB35_84
; %bb.77:
	v_trunc_f32_e32 v1, v14
	s_mov_b32 s5, 0
	v_cmp_neq_f32_e32 vcc_lo, v1, v14
	v_mov_b32_e32 v1, 0
	s_and_saveexec_b32 s16, vcc_lo
	s_cbranch_execz .LBB35_83
; %bb.78:
	v_cvt_f64_f32_e32 v[1:2], v14
	s_mov_b32 s5, 0xc00921fb
	s_mov_b32 s4, 0x54442d18
	s_mov_b32 s17, exec_lo
                                        ; implicit-def: $vgpr13
                                        ; implicit-def: $vgpr5_vgpr6
	v_trunc_f64_e32 v[3:4], v[1:2]
	v_cmp_neq_f64_e64 vcc_lo, 0x7ff00000, |v[1:2]|
	v_add_f64 v[3:4], v[1:2], -v[3:4]
	v_mul_f64 v[3:4], |v[3:4]|, s[4:5]
	v_cndmask_b32_e32 v2, 0x80000000, v4, vcc_lo
	v_cndmask_b32_e32 v1, 0, v3, vcc_lo
                                        ; implicit-def: $vgpr3_vgpr4
	v_cmpx_ngt_f64_e64 0x41d00000, |v[1:2]|
	s_xor_b32 s17, exec_lo, s17
	s_cbranch_execz .LBB35_80
; %bb.79:
	v_ldexp_f64 v[3:4], |v[1:2]|, 0xffffff80
	v_cmp_le_f64_e64 vcc_lo, 0x7b000000, |v[1:2]|
	v_trig_preop_f64 v[5:6], |v[1:2]|, 0
	v_and_b32_e32 v13, 0x7fffffff, v2
	v_trig_preop_f64 v[15:16], |v[1:2]|, 1
	v_trig_preop_f64 v[25:26], |v[1:2]|, 2
	v_mov_b32_e32 v33, 0
	s_mov_b32 s5, 0x3ff921fb
	s_mov_b32 s18, 0x33145c07
	;; [unrolled: 1-line block ×3, first 2 shown]
	v_cndmask_b32_e32 v4, v13, v4, vcc_lo
	v_cndmask_b32_e32 v3, v1, v3, vcc_lo
	v_mul_f64 v[17:18], v[5:6], v[3:4]
	v_mul_f64 v[19:20], v[15:16], v[3:4]
	;; [unrolled: 1-line block ×3, first 2 shown]
	v_fma_f64 v[5:6], v[5:6], v[3:4], -v[17:18]
	v_fma_f64 v[15:16], v[15:16], v[3:4], -v[19:20]
	;; [unrolled: 1-line block ×3, first 2 shown]
	v_add_f64 v[21:22], v[19:20], v[5:6]
	v_add_f64 v[23:24], v[21:22], -v[19:20]
	v_add_f64 v[29:30], v[17:18], v[21:22]
	v_add_f64 v[27:28], v[21:22], -v[23:24]
	v_add_f64 v[5:6], v[5:6], -v[23:24]
	v_ldexp_f64 v[23:24], v[29:30], -2
	v_add_f64 v[17:18], v[29:30], -v[17:18]
	v_add_f64 v[19:20], v[19:20], -v[27:28]
	v_add_f64 v[27:28], v[31:32], v[15:16]
	v_cmp_neq_f64_e64 vcc_lo, 0x7ff00000, |v[23:24]|
	v_add_f64 v[17:18], v[21:22], -v[17:18]
	v_add_f64 v[5:6], v[5:6], v[19:20]
	v_fract_f64_e32 v[19:20], v[23:24]
	v_add_f64 v[21:22], v[27:28], v[5:6]
	v_ldexp_f64 v[19:20], v[19:20], 2
	v_add_f64 v[23:24], v[17:18], v[21:22]
	v_cndmask_b32_e32 v20, 0, v20, vcc_lo
	v_cndmask_b32_e32 v19, 0, v19, vcc_lo
	v_add_f64 v[29:30], v[23:24], v[19:20]
	v_add_f64 v[17:18], v[23:24], -v[17:18]
	v_cmp_gt_f64_e32 vcc_lo, 0, v[29:30]
	v_add_f64 v[29:30], v[27:28], -v[31:32]
	v_add_f64 v[17:18], v[21:22], -v[17:18]
	v_cndmask_b32_e64 v34, 0, 0x40100000, vcc_lo
	v_add_f64 v[38:39], v[27:28], -v[29:30]
	v_add_f64 v[15:16], v[15:16], -v[29:30]
	v_add_f64 v[19:20], v[19:20], v[33:34]
	v_add_f64 v[34:35], v[21:22], -v[27:28]
	v_add_f64 v[29:30], v[31:32], -v[38:39]
	v_add_f64 v[36:37], v[23:24], v[19:20]
	;; [unrolled: 3-line block ×3, first 2 shown]
	v_cvt_i32_f64_e32 v13, v[36:37]
	v_add_f64 v[27:28], v[27:28], -v[40:41]
	v_cvt_f64_i32_e32 v[34:35], v13
	v_add_f64 v[5:6], v[5:6], v[27:28]
	v_add_f64 v[19:20], v[19:20], -v[34:35]
	v_add_f64 v[5:6], v[15:16], v[5:6]
	v_add_f64 v[15:16], v[23:24], v[19:20]
	;; [unrolled: 1-line block ×3, first 2 shown]
	v_add_f64 v[5:6], v[15:16], -v[19:20]
	v_cmp_le_f64_e32 vcc_lo, 0.5, v[15:16]
	v_add_f64 v[3:4], v[17:18], v[3:4]
	v_add_f64 v[5:6], v[23:24], -v[5:6]
	v_cndmask_b32_e64 v34, 0, 0x3ff00000, vcc_lo
	v_add_co_ci_u32_e64 v13, null, 0, v13, vcc_lo
	v_add_f64 v[3:4], v[3:4], v[5:6]
	v_add_f64 v[5:6], v[15:16], -v[33:34]
	v_add_f64 v[15:16], v[5:6], v[3:4]
	v_mul_f64 v[17:18], v[15:16], s[4:5]
	v_add_f64 v[5:6], v[15:16], -v[5:6]
	v_fma_f64 v[19:20], v[15:16], s[4:5], -v[17:18]
	v_add_f64 v[3:4], v[3:4], -v[5:6]
	v_fma_f64 v[5:6], v[15:16], s[18:19], v[19:20]
	v_fma_f64 v[5:6], v[3:4], s[4:5], v[5:6]
	v_add_f64 v[3:4], v[17:18], v[5:6]
	v_add_f64 v[15:16], v[3:4], -v[17:18]
	v_add_f64 v[5:6], v[5:6], -v[15:16]
.LBB35_80:
	s_andn2_saveexec_b32 s4, s17
	s_cbranch_execz .LBB35_82
; %bb.81:
	s_mov_b32 s18, 0x6dc9c883
	s_mov_b32 s19, 0x3fe45f30
	;; [unrolled: 1-line block ×3, first 2 shown]
	v_mul_f64 v[3:4], |v[1:2]|, s[18:19]
	s_mov_b32 s18, 0x54442d18
	s_mov_b32 s19, 0xbff921fb
	;; [unrolled: 1-line block ×3, first 2 shown]
	v_rndne_f64_e32 v[15:16], v[3:4]
	v_fma_f64 v[3:4], v[15:16], s[18:19], |v[1:2]|
	v_mul_f64 v[5:6], v[15:16], s[20:21]
	s_mov_b32 s18, 0x252049c0
	s_mov_b32 s19, 0xb97b839a
	v_cvt_i32_f64_e32 v13, v[15:16]
	v_fma_f64 v[19:20], v[15:16], s[20:21], v[3:4]
	v_add_f64 v[17:18], v[3:4], v[5:6]
	s_mov_b32 s21, 0x3c91a626
	v_add_f64 v[3:4], v[3:4], -v[17:18]
	v_add_f64 v[17:18], v[17:18], -v[19:20]
	v_add_f64 v[3:4], v[3:4], v[5:6]
	v_fma_f64 v[5:6], v[15:16], s[20:21], v[5:6]
	v_add_f64 v[3:4], v[17:18], v[3:4]
	v_add_f64 v[3:4], v[3:4], -v[5:6]
	v_fma_f64 v[5:6], v[15:16], s[18:19], v[3:4]
	v_add_f64 v[3:4], v[19:20], v[5:6]
	v_add_f64 v[17:18], v[3:4], -v[19:20]
	v_add_f64 v[5:6], v[5:6], -v[17:18]
.LBB35_82:
	s_or_b32 exec_lo, exec_lo, s4
	v_mul_f64 v[15:16], v[3:4], v[3:4]
	v_add_f64 v[17:18], v[5:6], v[5:6]
	s_mov_b32 s18, 0xa9a29f71
	s_mov_b32 s20, 0xc751c08c
	;; [unrolled: 1-line block ×4, first 2 shown]
	v_cmp_class_f64_e64 s4, v[1:2], 0x1f8
	v_and_b32_e32 v13, 1, v13
	v_and_b32_e32 v2, 0x80000000, v2
	v_sub_f32_e32 v14, 1.0, v14
	s_mov_b32 s5, exec_lo
	v_cmp_eq_u32_e32 vcc_lo, 0, v13
	v_fma_f64 v[19:20], v[3:4], v[3:4], -v[15:16]
	v_fma_f64 v[17:18], v[3:4], v[17:18], v[19:20]
	v_add_f64 v[15:16], v[15:16], v[17:18]
	v_fma_f64 v[17:18], v[15:16], s[20:21], s[18:19]
	s_mov_b32 s18, 0x90a8aae0
	s_mov_b32 s19, 0x3f17746f
	v_fma_f64 v[17:18], v[15:16], v[17:18], s[18:19]
	s_mov_b32 s18, 0xa6fbf144
	s_mov_b32 s19, 0xbefbb44d
	;; [unrolled: 3-line block ×13, first 2 shown]
	v_mul_f64 v[15:16], v[15:16], v[17:18]
	v_mul_f64 v[17:18], v[3:4], v[15:16]
	v_add_f64 v[19:20], v[3:4], v[17:18]
	v_fma_f64 v[15:16], v[3:4], v[15:16], -v[17:18]
	v_add_f64 v[3:4], v[19:20], -v[3:4]
	v_add_f64 v[5:6], v[5:6], v[15:16]
	v_add_f64 v[3:4], v[17:18], -v[3:4]
	v_add_f64 v[3:4], v[5:6], v[3:4]
	v_add_f64 v[5:6], v[19:20], v[3:4]
	v_rcp_f64_e32 v[15:16], v[5:6]
	v_fma_f64 v[17:18], -v[5:6], v[15:16], 1.0
	v_fma_f64 v[15:16], v[17:18], v[15:16], v[15:16]
	v_fma_f64 v[17:18], -v[5:6], v[15:16], 1.0
	v_fma_f64 v[15:16], v[17:18], v[15:16], v[15:16]
	v_add_f64 v[17:18], v[5:6], -v[19:20]
	v_mul_f64 v[19:20], v[5:6], v[15:16]
	v_add_f64 v[3:4], v[3:4], -v[17:18]
	v_fma_f64 v[17:18], v[15:16], v[5:6], -v[19:20]
	v_fma_f64 v[3:4], v[15:16], v[3:4], v[17:18]
	v_add_f64 v[17:18], v[19:20], v[3:4]
	v_add_f64 v[21:22], -v[17:18], 1.0
	v_add_f64 v[19:20], v[17:18], -v[19:20]
	v_add_f64 v[23:24], -v[21:22], 1.0
	v_add_f64 v[3:4], v[19:20], -v[3:4]
	v_add_f64 v[17:18], v[23:24], -v[17:18]
	v_add_f64 v[3:4], v[3:4], v[17:18]
	v_add_f64 v[3:4], v[21:22], v[3:4]
	v_mul_f64 v[3:4], v[15:16], v[3:4]
	v_add_f64 v[3:4], v[15:16], v[3:4]
	v_xor_b32_e32 v1, 0x80000000, v4
	v_cndmask_b32_e32 v3, v3, v5, vcc_lo
	v_cndmask_b32_e32 v1, v1, v6, vcc_lo
	v_xor_b32_e32 v2, v1, v2
	v_cndmask_b32_e64 v1, 0, v3, s4
	v_cndmask_b32_e64 v2, 0x7ff80000, v2, s4
	v_div_scale_f64 v[3:4], null, v[1:2], v[1:2], s[18:19]
	v_rcp_f64_e32 v[5:6], v[3:4]
	v_fma_f64 v[15:16], -v[3:4], v[5:6], 1.0
	v_fma_f64 v[5:6], v[5:6], v[15:16], v[5:6]
	v_fma_f64 v[15:16], -v[3:4], v[5:6], 1.0
	v_fma_f64 v[5:6], v[5:6], v[15:16], v[5:6]
	v_div_scale_f64 v[15:16], vcc_lo, s[18:19], v[1:2], s[18:19]
	v_mul_f64 v[17:18], v[15:16], v[5:6]
	v_fma_f64 v[3:4], -v[3:4], v[17:18], v[15:16]
	v_div_fmas_f64 v[3:4], v[3:4], v[5:6], v[17:18]
	v_div_fixup_f64 v[1:2], v[3:4], v[1:2], s[18:19]
	v_cvt_f32_f64_e32 v1, v[1:2]
.LBB35_83:
	s_or_b32 exec_lo, exec_lo, s16
	s_orn2_b32 s4, s5, exec_lo
.LBB35_84:
	s_or_b32 exec_lo, exec_lo, s15
	v_mov_b32_e32 v13, 0x7fc00000
	s_and_saveexec_b32 s15, s4
	s_cbranch_execz .LBB35_96
; %bb.85:
	s_mov_b32 s4, exec_lo
	v_cmpx_gt_f32_e32 0x41200000, v14
	s_cbranch_execz .LBB35_89
; %bb.86:
	s_mov_b32 s5, 0
	.p2align	6
.LBB35_87:                              ; =>This Inner Loop Header: Depth=1
	v_div_scale_f32 v2, null, v14, v14, 1.0
	v_div_scale_f32 v5, vcc_lo, 1.0, v14, 1.0
	v_rcp_f32_e32 v3, v2
	v_fma_f32 v4, -v2, v3, 1.0
	v_fmac_f32_e32 v3, v4, v3
	v_mul_f32_e32 v4, v5, v3
	v_fma_f32 v6, -v2, v4, v5
	v_fmac_f32_e32 v4, v6, v3
	v_fma_f32 v2, -v2, v4, v5
	v_div_fmas_f32 v2, v2, v3, v4
	v_div_fixup_f32 v2, v2, v14, 1.0
	v_add_f32_e32 v14, 1.0, v14
	v_sub_f32_e32 v1, v1, v2
	v_cmp_ngt_f32_e32 vcc_lo, 0x41200000, v14
	s_or_b32 s5, vcc_lo, s5
	s_andn2_b32 exec_lo, exec_lo, s5
	s_cbranch_execnz .LBB35_87
; %bb.88:
	s_or_b32 exec_lo, exec_lo, s5
.LBB35_89:
	s_or_b32 exec_lo, exec_lo, s4
                                        ; implicit-def: $vgpr13
	s_mov_b32 s4, exec_lo
	v_cmpx_neq_f32_e32 0x41200000, v14
	s_xor_b32 s16, exec_lo, s4
	s_cbranch_execz .LBB35_93
; %bb.90:
	v_cvt_f64_f32_e32 v[2:3], v14
	s_mov_b32 s4, 0x85d8a000
	s_mov_b32 s5, 0x43763457
	v_cmp_gt_f64_e32 vcc_lo, s[4:5], v[2:3]
	v_mov_b32_e32 v2, 0
	s_and_saveexec_b32 s4, vcc_lo
	s_cbranch_execz .LBB35_92
; %bb.91:
	v_mul_f32_e32 v2, v14, v14
	v_div_scale_f32 v3, null, v2, v2, 1.0
	v_rcp_f32_e32 v4, v3
	v_fma_f32 v5, -v3, v4, 1.0
	v_fmac_f32_e32 v4, v5, v4
	v_div_scale_f32 v5, vcc_lo, 1.0, v2, 1.0
	v_mul_f32_e32 v6, v5, v4
	v_fma_f32 v13, -v3, v6, v5
	v_fmac_f32_e32 v6, v13, v4
	v_fma_f32 v3, -v3, v6, v5
	v_div_fmas_f32 v3, v3, v4, v6
	v_div_fixup_f32 v2, v3, v2, 1.0
	v_fmaak_f32 v3, 0, v2, 0x3daaaaab
	v_fmaak_f32 v3, v2, v3, 0xbcaccacd
	;; [unrolled: 1-line block ×7, first 2 shown]
	v_mul_f32_e32 v2, v2, v3
.LBB35_92:
	s_or_b32 exec_lo, exec_lo, s4
	v_cmp_gt_f32_e32 vcc_lo, 0x800000, v14
	v_div_scale_f32 v3, null, v14, v14, -0.5
	v_div_scale_f32 v13, s4, -0.5, v14, -0.5
	v_cndmask_b32_e64 v4, 0, 32, vcc_lo
	v_rcp_f32_e32 v5, v3
	v_ldexp_f32 v4, v14, v4
	v_log_f32_e32 v4, v4
	v_fma_f32 v6, -v3, v5, 1.0
	v_fmac_f32_e32 v5, v6, v5
	v_mul_f32_e32 v6, 0x3f317217, v4
	v_mul_f32_e32 v15, v13, v5
	v_cmp_gt_f32_e64 s5, 0x7f800000, |v4|
	v_fma_f32 v6, 0x3f317217, v4, -v6
	v_fma_f32 v16, -v3, v15, v13
	v_fmamk_f32 v6, v4, 0x3377d1cf, v6
	v_fmac_f32_e32 v15, v16, v5
	v_fmac_f32_e32 v6, 0x3f317217, v4
	v_fma_f32 v3, -v3, v15, v13
	v_cndmask_b32_e64 v4, v4, v6, s5
	v_cndmask_b32_e64 v6, 0, 0x41b17218, vcc_lo
	s_mov_b32 vcc_lo, s4
	v_div_fmas_f32 v3, v3, v5, v15
	v_sub_f32_e32 v4, v4, v6
	v_div_fixup_f32 v3, v3, v14, -0.5
	v_add_f32_e32 v3, v4, v3
	v_sub_f32_e32 v2, v3, v2
	v_add_f32_e32 v1, v1, v2
	v_bfe_u32 v2, v1, 16, 1
	v_cmp_o_f32_e32 vcc_lo, v1, v1
	v_add3_u32 v2, v1, v2, 0x7fff
                                        ; implicit-def: $vgpr1
	v_and_b32_e32 v2, 0xffff0000, v2
	v_cndmask_b32_e32 v13, 0x7fc00000, v2, vcc_lo
.LBB35_93:
	s_andn2_saveexec_b32 s4, s16
; %bb.94:
	v_add_f32_e32 v1, 0x40101cb7, v1
	v_bfe_u32 v2, v1, 16, 1
	v_cmp_o_f32_e32 vcc_lo, v1, v1
	v_add3_u32 v2, v1, v2, 0x7fff
	v_and_b32_e32 v2, 0xffff0000, v2
	v_cndmask_b32_e32 v13, 0x7fc00000, v2, vcc_lo
; %bb.95:
	s_or_b32 exec_lo, exec_lo, s4
.LBB35_96:
	s_or_b32 exec_lo, exec_lo, s15
                                        ; implicit-def: $vgpr14
.LBB35_97:
	s_andn2_saveexec_b32 s4, s14
; %bb.98:
	v_xor_b32_e32 v1, 0x80000000, v14
	s_mov_b32 s5, 0x7f800000
	v_and_or_b32 v13, 0x80000000, v1, s5
; %bb.99:
	s_or_b32 exec_lo, exec_lo, s4
	s_waitcnt vmcnt(1)
	v_lshlrev_b32_e32 v15, 16, v12
                                        ; implicit-def: $vgpr14
	s_mov_b32 s4, exec_lo
	v_cmpx_neq_f32_e32 0, v15
	s_xor_b32 s14, exec_lo, s4
	s_cbranch_execz .LBB35_121
; %bb.100:
	v_mov_b32_e32 v1, 0
	s_mov_b32 s4, -1
	s_mov_b32 s15, exec_lo
	v_cmpx_gt_f32_e32 0, v15
	s_cbranch_execz .LBB35_108
; %bb.101:
	v_trunc_f32_e32 v1, v15
	s_mov_b32 s5, 0
	v_cmp_neq_f32_e32 vcc_lo, v1, v15
	v_mov_b32_e32 v1, 0
	s_and_saveexec_b32 s16, vcc_lo
	s_cbranch_execz .LBB35_107
; %bb.102:
	v_cvt_f64_f32_e32 v[1:2], v15
	s_mov_b32 s5, 0xc00921fb
	s_mov_b32 s4, 0x54442d18
	s_mov_b32 s17, exec_lo
                                        ; implicit-def: $vgpr14
                                        ; implicit-def: $vgpr5_vgpr6
	v_trunc_f64_e32 v[3:4], v[1:2]
	v_cmp_neq_f64_e64 vcc_lo, 0x7ff00000, |v[1:2]|
	v_add_f64 v[3:4], v[1:2], -v[3:4]
	v_mul_f64 v[3:4], |v[3:4]|, s[4:5]
	v_cndmask_b32_e32 v2, 0x80000000, v4, vcc_lo
	v_cndmask_b32_e32 v1, 0, v3, vcc_lo
                                        ; implicit-def: $vgpr3_vgpr4
	v_cmpx_ngt_f64_e64 0x41d00000, |v[1:2]|
	s_xor_b32 s17, exec_lo, s17
	s_cbranch_execz .LBB35_104
; %bb.103:
	v_ldexp_f64 v[3:4], |v[1:2]|, 0xffffff80
	v_cmp_le_f64_e64 vcc_lo, 0x7b000000, |v[1:2]|
	v_trig_preop_f64 v[5:6], |v[1:2]|, 0
	v_and_b32_e32 v14, 0x7fffffff, v2
	v_trig_preop_f64 v[16:17], |v[1:2]|, 1
	v_trig_preop_f64 v[26:27], |v[1:2]|, 2
	v_mov_b32_e32 v34, 0
	s_mov_b32 s5, 0x3ff921fb
	s_mov_b32 s18, 0x33145c07
	;; [unrolled: 1-line block ×3, first 2 shown]
	v_cndmask_b32_e32 v4, v14, v4, vcc_lo
	v_cndmask_b32_e32 v3, v1, v3, vcc_lo
	v_mul_f64 v[18:19], v[5:6], v[3:4]
	v_mul_f64 v[20:21], v[16:17], v[3:4]
	;; [unrolled: 1-line block ×3, first 2 shown]
	v_fma_f64 v[5:6], v[5:6], v[3:4], -v[18:19]
	v_fma_f64 v[16:17], v[16:17], v[3:4], -v[20:21]
	;; [unrolled: 1-line block ×3, first 2 shown]
	v_add_f64 v[22:23], v[20:21], v[5:6]
	v_add_f64 v[24:25], v[22:23], -v[20:21]
	v_add_f64 v[30:31], v[18:19], v[22:23]
	v_add_f64 v[28:29], v[22:23], -v[24:25]
	v_add_f64 v[5:6], v[5:6], -v[24:25]
	v_ldexp_f64 v[24:25], v[30:31], -2
	v_add_f64 v[18:19], v[30:31], -v[18:19]
	v_add_f64 v[20:21], v[20:21], -v[28:29]
	v_add_f64 v[28:29], v[32:33], v[16:17]
	v_cmp_neq_f64_e64 vcc_lo, 0x7ff00000, |v[24:25]|
	v_add_f64 v[18:19], v[22:23], -v[18:19]
	v_add_f64 v[5:6], v[5:6], v[20:21]
	v_fract_f64_e32 v[20:21], v[24:25]
	v_add_f64 v[22:23], v[28:29], v[5:6]
	v_ldexp_f64 v[20:21], v[20:21], 2
	v_add_f64 v[24:25], v[18:19], v[22:23]
	v_cndmask_b32_e32 v21, 0, v21, vcc_lo
	v_cndmask_b32_e32 v20, 0, v20, vcc_lo
	v_add_f64 v[30:31], v[24:25], v[20:21]
	v_add_f64 v[18:19], v[24:25], -v[18:19]
	v_cmp_gt_f64_e32 vcc_lo, 0, v[30:31]
	v_add_f64 v[30:31], v[28:29], -v[32:33]
	v_add_f64 v[18:19], v[22:23], -v[18:19]
	v_cndmask_b32_e64 v35, 0, 0x40100000, vcc_lo
	v_add_f64 v[39:40], v[28:29], -v[30:31]
	v_add_f64 v[16:17], v[16:17], -v[30:31]
	v_add_f64 v[20:21], v[20:21], v[34:35]
	v_add_f64 v[35:36], v[22:23], -v[28:29]
	v_add_f64 v[30:31], v[32:33], -v[39:40]
	v_add_f64 v[37:38], v[24:25], v[20:21]
	;; [unrolled: 3-line block ×3, first 2 shown]
	v_cvt_i32_f64_e32 v14, v[37:38]
	v_add_f64 v[28:29], v[28:29], -v[41:42]
	v_cvt_f64_i32_e32 v[35:36], v14
	v_add_f64 v[5:6], v[5:6], v[28:29]
	v_add_f64 v[20:21], v[20:21], -v[35:36]
	v_add_f64 v[5:6], v[16:17], v[5:6]
	v_add_f64 v[16:17], v[24:25], v[20:21]
	;; [unrolled: 1-line block ×3, first 2 shown]
	v_add_f64 v[5:6], v[16:17], -v[20:21]
	v_cmp_le_f64_e32 vcc_lo, 0.5, v[16:17]
	v_add_f64 v[3:4], v[18:19], v[3:4]
	v_add_f64 v[5:6], v[24:25], -v[5:6]
	v_cndmask_b32_e64 v35, 0, 0x3ff00000, vcc_lo
	v_add_co_ci_u32_e64 v14, null, 0, v14, vcc_lo
	v_add_f64 v[3:4], v[3:4], v[5:6]
	v_add_f64 v[5:6], v[16:17], -v[34:35]
	v_add_f64 v[16:17], v[5:6], v[3:4]
	v_mul_f64 v[18:19], v[16:17], s[4:5]
	v_add_f64 v[5:6], v[16:17], -v[5:6]
	v_fma_f64 v[20:21], v[16:17], s[4:5], -v[18:19]
	v_add_f64 v[3:4], v[3:4], -v[5:6]
	v_fma_f64 v[5:6], v[16:17], s[18:19], v[20:21]
	v_fma_f64 v[5:6], v[3:4], s[4:5], v[5:6]
	v_add_f64 v[3:4], v[18:19], v[5:6]
	v_add_f64 v[16:17], v[3:4], -v[18:19]
	v_add_f64 v[5:6], v[5:6], -v[16:17]
.LBB35_104:
	s_andn2_saveexec_b32 s4, s17
	s_cbranch_execz .LBB35_106
; %bb.105:
	s_mov_b32 s18, 0x6dc9c883
	s_mov_b32 s19, 0x3fe45f30
	s_mov_b32 s21, 0xbc91a626
	v_mul_f64 v[3:4], |v[1:2]|, s[18:19]
	s_mov_b32 s18, 0x54442d18
	s_mov_b32 s19, 0xbff921fb
	;; [unrolled: 1-line block ×3, first 2 shown]
	v_rndne_f64_e32 v[16:17], v[3:4]
	v_fma_f64 v[3:4], v[16:17], s[18:19], |v[1:2]|
	v_mul_f64 v[5:6], v[16:17], s[20:21]
	s_mov_b32 s18, 0x252049c0
	s_mov_b32 s19, 0xb97b839a
	v_cvt_i32_f64_e32 v14, v[16:17]
	v_fma_f64 v[20:21], v[16:17], s[20:21], v[3:4]
	v_add_f64 v[18:19], v[3:4], v[5:6]
	s_mov_b32 s21, 0x3c91a626
	v_add_f64 v[3:4], v[3:4], -v[18:19]
	v_add_f64 v[18:19], v[18:19], -v[20:21]
	v_add_f64 v[3:4], v[3:4], v[5:6]
	v_fma_f64 v[5:6], v[16:17], s[20:21], v[5:6]
	v_add_f64 v[3:4], v[18:19], v[3:4]
	v_add_f64 v[3:4], v[3:4], -v[5:6]
	v_fma_f64 v[5:6], v[16:17], s[18:19], v[3:4]
	v_add_f64 v[3:4], v[20:21], v[5:6]
	v_add_f64 v[18:19], v[3:4], -v[20:21]
	v_add_f64 v[5:6], v[5:6], -v[18:19]
.LBB35_106:
	s_or_b32 exec_lo, exec_lo, s4
	v_mul_f64 v[16:17], v[3:4], v[3:4]
	v_add_f64 v[18:19], v[5:6], v[5:6]
	s_mov_b32 s18, 0xa9a29f71
	s_mov_b32 s20, 0xc751c08c
	s_mov_b32 s19, 0xbf078809
	s_mov_b32 s21, 0x3ef5e089
	v_cmp_class_f64_e64 s4, v[1:2], 0x1f8
	v_and_b32_e32 v14, 1, v14
	v_and_b32_e32 v2, 0x80000000, v2
	v_sub_f32_e32 v15, 1.0, v15
	s_mov_b32 s5, exec_lo
	v_cmp_eq_u32_e32 vcc_lo, 0, v14
	v_fma_f64 v[20:21], v[3:4], v[3:4], -v[16:17]
	v_fma_f64 v[18:19], v[3:4], v[18:19], v[20:21]
	v_add_f64 v[16:17], v[16:17], v[18:19]
	v_fma_f64 v[18:19], v[16:17], s[20:21], s[18:19]
	s_mov_b32 s18, 0x90a8aae0
	s_mov_b32 s19, 0x3f17746f
	v_fma_f64 v[18:19], v[16:17], v[18:19], s[18:19]
	s_mov_b32 s18, 0xa6fbf144
	s_mov_b32 s19, 0xbefbb44d
	;; [unrolled: 3-line block ×13, first 2 shown]
	v_mul_f64 v[16:17], v[16:17], v[18:19]
	v_mul_f64 v[18:19], v[3:4], v[16:17]
	v_add_f64 v[20:21], v[3:4], v[18:19]
	v_fma_f64 v[16:17], v[3:4], v[16:17], -v[18:19]
	v_add_f64 v[3:4], v[20:21], -v[3:4]
	v_add_f64 v[5:6], v[5:6], v[16:17]
	v_add_f64 v[3:4], v[18:19], -v[3:4]
	v_add_f64 v[3:4], v[5:6], v[3:4]
	v_add_f64 v[5:6], v[20:21], v[3:4]
	v_rcp_f64_e32 v[16:17], v[5:6]
	v_fma_f64 v[18:19], -v[5:6], v[16:17], 1.0
	v_fma_f64 v[16:17], v[18:19], v[16:17], v[16:17]
	v_fma_f64 v[18:19], -v[5:6], v[16:17], 1.0
	v_fma_f64 v[16:17], v[18:19], v[16:17], v[16:17]
	v_add_f64 v[18:19], v[5:6], -v[20:21]
	v_mul_f64 v[20:21], v[5:6], v[16:17]
	v_add_f64 v[3:4], v[3:4], -v[18:19]
	v_fma_f64 v[18:19], v[16:17], v[5:6], -v[20:21]
	v_fma_f64 v[3:4], v[16:17], v[3:4], v[18:19]
	v_add_f64 v[18:19], v[20:21], v[3:4]
	v_add_f64 v[22:23], -v[18:19], 1.0
	v_add_f64 v[20:21], v[18:19], -v[20:21]
	v_add_f64 v[24:25], -v[22:23], 1.0
	v_add_f64 v[3:4], v[20:21], -v[3:4]
	v_add_f64 v[18:19], v[24:25], -v[18:19]
	v_add_f64 v[3:4], v[3:4], v[18:19]
	v_add_f64 v[3:4], v[22:23], v[3:4]
	v_mul_f64 v[3:4], v[16:17], v[3:4]
	v_add_f64 v[3:4], v[16:17], v[3:4]
	v_xor_b32_e32 v1, 0x80000000, v4
	v_cndmask_b32_e32 v3, v3, v5, vcc_lo
	v_cndmask_b32_e32 v1, v1, v6, vcc_lo
	v_xor_b32_e32 v2, v1, v2
	v_cndmask_b32_e64 v1, 0, v3, s4
	v_cndmask_b32_e64 v2, 0x7ff80000, v2, s4
	v_div_scale_f64 v[3:4], null, v[1:2], v[1:2], s[18:19]
	v_rcp_f64_e32 v[5:6], v[3:4]
	v_fma_f64 v[16:17], -v[3:4], v[5:6], 1.0
	v_fma_f64 v[5:6], v[5:6], v[16:17], v[5:6]
	v_fma_f64 v[16:17], -v[3:4], v[5:6], 1.0
	v_fma_f64 v[5:6], v[5:6], v[16:17], v[5:6]
	v_div_scale_f64 v[16:17], vcc_lo, s[18:19], v[1:2], s[18:19]
	v_mul_f64 v[18:19], v[16:17], v[5:6]
	v_fma_f64 v[3:4], -v[3:4], v[18:19], v[16:17]
	v_div_fmas_f64 v[3:4], v[3:4], v[5:6], v[18:19]
	v_div_fixup_f64 v[1:2], v[3:4], v[1:2], s[18:19]
	v_cvt_f32_f64_e32 v1, v[1:2]
.LBB35_107:
	s_or_b32 exec_lo, exec_lo, s16
	s_orn2_b32 s4, s5, exec_lo
.LBB35_108:
	s_or_b32 exec_lo, exec_lo, s15
	v_mov_b32_e32 v14, 0x7fc0
	s_and_saveexec_b32 s5, s4
	s_cbranch_execz .LBB35_120
; %bb.109:
	s_mov_b32 s4, exec_lo
	v_cmpx_gt_f32_e32 0x41200000, v15
	s_cbranch_execz .LBB35_113
; %bb.110:
	s_mov_b32 s15, 0
	.p2align	6
.LBB35_111:                             ; =>This Inner Loop Header: Depth=1
	v_div_scale_f32 v2, null, v15, v15, 1.0
	v_div_scale_f32 v5, vcc_lo, 1.0, v15, 1.0
	v_rcp_f32_e32 v3, v2
	v_fma_f32 v4, -v2, v3, 1.0
	v_fmac_f32_e32 v3, v4, v3
	v_mul_f32_e32 v4, v5, v3
	v_fma_f32 v6, -v2, v4, v5
	v_fmac_f32_e32 v4, v6, v3
	v_fma_f32 v2, -v2, v4, v5
	v_div_fmas_f32 v2, v2, v3, v4
	v_div_fixup_f32 v2, v2, v15, 1.0
	v_add_f32_e32 v15, 1.0, v15
	v_sub_f32_e32 v1, v1, v2
	v_cmp_ngt_f32_e32 vcc_lo, 0x41200000, v15
	s_or_b32 s15, vcc_lo, s15
	s_andn2_b32 exec_lo, exec_lo, s15
	s_cbranch_execnz .LBB35_111
; %bb.112:
	s_or_b32 exec_lo, exec_lo, s15
.LBB35_113:
	s_or_b32 exec_lo, exec_lo, s4
                                        ; implicit-def: $vgpr14
	s_mov_b32 s4, exec_lo
	v_cmpx_neq_f32_e32 0x41200000, v15
	s_xor_b32 s15, exec_lo, s4
	s_cbranch_execz .LBB35_117
; %bb.114:
	v_cvt_f64_f32_e32 v[2:3], v15
	s_mov_b32 s16, 0x85d8a000
	s_mov_b32 s17, 0x43763457
	v_cmp_gt_f64_e32 vcc_lo, s[16:17], v[2:3]
	v_mov_b32_e32 v2, 0
	s_and_saveexec_b32 s4, vcc_lo
	s_cbranch_execz .LBB35_116
; %bb.115:
	v_mul_f32_e32 v2, v15, v15
	v_div_scale_f32 v3, null, v2, v2, 1.0
	v_rcp_f32_e32 v4, v3
	v_fma_f32 v5, -v3, v4, 1.0
	v_fmac_f32_e32 v4, v5, v4
	v_div_scale_f32 v5, vcc_lo, 1.0, v2, 1.0
	v_mul_f32_e32 v6, v5, v4
	v_fma_f32 v14, -v3, v6, v5
	v_fmac_f32_e32 v6, v14, v4
	v_fma_f32 v3, -v3, v6, v5
	v_div_fmas_f32 v3, v3, v4, v6
	v_div_fixup_f32 v2, v3, v2, 1.0
	v_fmaak_f32 v3, 0, v2, 0x3daaaaab
	v_fmaak_f32 v3, v2, v3, 0xbcaccacd
	;; [unrolled: 1-line block ×7, first 2 shown]
	v_mul_f32_e32 v2, v2, v3
.LBB35_116:
	s_or_b32 exec_lo, exec_lo, s4
	v_cmp_gt_f32_e32 vcc_lo, 0x800000, v15
	v_div_scale_f32 v3, null, v15, v15, -0.5
	v_div_scale_f32 v14, s4, -0.5, v15, -0.5
	v_cndmask_b32_e64 v4, 0, 32, vcc_lo
	v_rcp_f32_e32 v5, v3
	v_ldexp_f32 v4, v15, v4
	v_log_f32_e32 v4, v4
	v_fma_f32 v6, -v3, v5, 1.0
	v_fmac_f32_e32 v5, v6, v5
	v_mul_f32_e32 v6, 0x3f317217, v4
	v_mul_f32_e32 v16, v14, v5
	v_fma_f32 v6, 0x3f317217, v4, -v6
	v_fma_f32 v17, -v3, v16, v14
	v_fmamk_f32 v6, v4, 0x3377d1cf, v6
	v_fmac_f32_e32 v16, v17, v5
	v_cndmask_b32_e64 v17, 0, 0x41b17218, vcc_lo
	v_cmp_gt_f32_e64 vcc_lo, 0x7f800000, |v4|
	v_fmac_f32_e32 v6, 0x3f317217, v4
	v_fma_f32 v3, -v3, v16, v14
	v_cndmask_b32_e32 v4, v4, v6, vcc_lo
	s_mov_b32 vcc_lo, s4
	v_div_fmas_f32 v3, v3, v5, v16
	v_sub_f32_e32 v4, v4, v17
	v_div_fixup_f32 v3, v3, v15, -0.5
	v_add_f32_e32 v3, v4, v3
	v_sub_f32_e32 v2, v3, v2
	v_add_f32_e32 v1, v1, v2
	v_bfe_u32 v2, v1, 16, 1
	v_cmp_o_f32_e32 vcc_lo, v1, v1
	v_add3_u32 v1, v1, v2, 0x7fff
	v_mov_b32_e32 v2, 0x7fc0
	v_cndmask_b32_sdwa v14, v2, v1, vcc_lo dst_sel:DWORD dst_unused:UNUSED_PAD src0_sel:DWORD src1_sel:WORD_1
                                        ; implicit-def: $vgpr1
.LBB35_117:
	s_andn2_saveexec_b32 s4, s15
; %bb.118:
	v_add_f32_e32 v1, 0x40101cb7, v1
	v_bfe_u32 v2, v1, 16, 1
	v_cmp_o_f32_e32 vcc_lo, v1, v1
	v_add3_u32 v1, v1, v2, 0x7fff
	v_mov_b32_e32 v2, 0x7fc0
	v_cndmask_b32_sdwa v14, v2, v1, vcc_lo dst_sel:DWORD dst_unused:UNUSED_PAD src0_sel:DWORD src1_sel:WORD_1
; %bb.119:
	s_or_b32 exec_lo, exec_lo, s4
.LBB35_120:
	s_or_b32 exec_lo, exec_lo, s5
                                        ; implicit-def: $vgpr15
.LBB35_121:
	s_andn2_saveexec_b32 s4, s14
; %bb.122:
	v_xor_b32_e32 v1, 0x80000000, v15
	s_mov_b32 s5, 0x7f800000
	v_and_or_b32 v1, 0x80000000, v1, s5
	v_lshrrev_b32_e32 v14, 16, v1
; %bb.123:
	s_or_b32 exec_lo, exec_lo, s4
	v_and_b32_e32 v15, 0xffff0000, v12
                                        ; implicit-def: $vgpr12
	s_mov_b32 s4, exec_lo
	v_cmpx_neq_f32_e32 0, v15
	s_xor_b32 s14, exec_lo, s4
	s_cbranch_execz .LBB35_145
; %bb.124:
	v_mov_b32_e32 v1, 0
	s_mov_b32 s4, -1
	s_mov_b32 s15, exec_lo
	v_cmpx_gt_f32_e32 0, v15
	s_cbranch_execz .LBB35_132
; %bb.125:
	v_trunc_f32_e32 v1, v15
	s_mov_b32 s5, 0
	v_cmp_neq_f32_e32 vcc_lo, v1, v15
	v_mov_b32_e32 v1, 0
	s_and_saveexec_b32 s16, vcc_lo
	s_cbranch_execz .LBB35_131
; %bb.126:
	v_cvt_f64_f32_e32 v[1:2], v15
	s_mov_b32 s5, 0xc00921fb
	s_mov_b32 s4, 0x54442d18
	s_mov_b32 s17, exec_lo
                                        ; implicit-def: $vgpr12
                                        ; implicit-def: $vgpr5_vgpr6
	v_trunc_f64_e32 v[3:4], v[1:2]
	v_cmp_neq_f64_e64 vcc_lo, 0x7ff00000, |v[1:2]|
	v_add_f64 v[3:4], v[1:2], -v[3:4]
	v_mul_f64 v[3:4], |v[3:4]|, s[4:5]
	v_cndmask_b32_e32 v2, 0x80000000, v4, vcc_lo
	v_cndmask_b32_e32 v1, 0, v3, vcc_lo
                                        ; implicit-def: $vgpr3_vgpr4
	v_cmpx_ngt_f64_e64 0x41d00000, |v[1:2]|
	s_xor_b32 s17, exec_lo, s17
	s_cbranch_execz .LBB35_128
; %bb.127:
	v_ldexp_f64 v[3:4], |v[1:2]|, 0xffffff80
	v_cmp_le_f64_e64 vcc_lo, 0x7b000000, |v[1:2]|
	v_trig_preop_f64 v[5:6], |v[1:2]|, 0
	v_and_b32_e32 v12, 0x7fffffff, v2
	v_trig_preop_f64 v[16:17], |v[1:2]|, 1
	v_trig_preop_f64 v[26:27], |v[1:2]|, 2
	v_mov_b32_e32 v34, 0
	s_mov_b32 s5, 0x3ff921fb
	s_mov_b32 s18, 0x33145c07
	;; [unrolled: 1-line block ×3, first 2 shown]
	v_cndmask_b32_e32 v4, v12, v4, vcc_lo
	v_cndmask_b32_e32 v3, v1, v3, vcc_lo
	v_mul_f64 v[18:19], v[5:6], v[3:4]
	v_mul_f64 v[20:21], v[16:17], v[3:4]
	;; [unrolled: 1-line block ×3, first 2 shown]
	v_fma_f64 v[5:6], v[5:6], v[3:4], -v[18:19]
	v_fma_f64 v[16:17], v[16:17], v[3:4], -v[20:21]
	v_fma_f64 v[3:4], v[26:27], v[3:4], -v[32:33]
	v_add_f64 v[22:23], v[20:21], v[5:6]
	v_add_f64 v[24:25], v[22:23], -v[20:21]
	v_add_f64 v[30:31], v[18:19], v[22:23]
	v_add_f64 v[28:29], v[22:23], -v[24:25]
	v_add_f64 v[5:6], v[5:6], -v[24:25]
	v_ldexp_f64 v[24:25], v[30:31], -2
	v_add_f64 v[18:19], v[30:31], -v[18:19]
	v_add_f64 v[20:21], v[20:21], -v[28:29]
	v_add_f64 v[28:29], v[32:33], v[16:17]
	v_cmp_neq_f64_e64 vcc_lo, 0x7ff00000, |v[24:25]|
	v_add_f64 v[18:19], v[22:23], -v[18:19]
	v_add_f64 v[5:6], v[5:6], v[20:21]
	v_fract_f64_e32 v[20:21], v[24:25]
	v_add_f64 v[22:23], v[28:29], v[5:6]
	v_ldexp_f64 v[20:21], v[20:21], 2
	v_add_f64 v[24:25], v[18:19], v[22:23]
	v_cndmask_b32_e32 v21, 0, v21, vcc_lo
	v_cndmask_b32_e32 v20, 0, v20, vcc_lo
	v_add_f64 v[30:31], v[24:25], v[20:21]
	v_add_f64 v[18:19], v[24:25], -v[18:19]
	v_cmp_gt_f64_e32 vcc_lo, 0, v[30:31]
	v_add_f64 v[30:31], v[28:29], -v[32:33]
	v_add_f64 v[18:19], v[22:23], -v[18:19]
	v_cndmask_b32_e64 v35, 0, 0x40100000, vcc_lo
	v_add_f64 v[39:40], v[28:29], -v[30:31]
	v_add_f64 v[16:17], v[16:17], -v[30:31]
	v_add_f64 v[20:21], v[20:21], v[34:35]
	v_add_f64 v[35:36], v[22:23], -v[28:29]
	v_add_f64 v[30:31], v[32:33], -v[39:40]
	v_add_f64 v[37:38], v[24:25], v[20:21]
	;; [unrolled: 3-line block ×3, first 2 shown]
	v_cvt_i32_f64_e32 v12, v[37:38]
	v_add_f64 v[28:29], v[28:29], -v[41:42]
	v_cvt_f64_i32_e32 v[35:36], v12
	v_add_f64 v[5:6], v[5:6], v[28:29]
	v_add_f64 v[20:21], v[20:21], -v[35:36]
	v_add_f64 v[5:6], v[16:17], v[5:6]
	v_add_f64 v[16:17], v[24:25], v[20:21]
	;; [unrolled: 1-line block ×3, first 2 shown]
	v_add_f64 v[5:6], v[16:17], -v[20:21]
	v_cmp_le_f64_e32 vcc_lo, 0.5, v[16:17]
	v_add_f64 v[3:4], v[18:19], v[3:4]
	v_add_f64 v[5:6], v[24:25], -v[5:6]
	v_cndmask_b32_e64 v35, 0, 0x3ff00000, vcc_lo
	v_add_co_ci_u32_e64 v12, null, 0, v12, vcc_lo
	v_add_f64 v[3:4], v[3:4], v[5:6]
	v_add_f64 v[5:6], v[16:17], -v[34:35]
	v_add_f64 v[16:17], v[5:6], v[3:4]
	v_mul_f64 v[18:19], v[16:17], s[4:5]
	v_add_f64 v[5:6], v[16:17], -v[5:6]
	v_fma_f64 v[20:21], v[16:17], s[4:5], -v[18:19]
	v_add_f64 v[3:4], v[3:4], -v[5:6]
	v_fma_f64 v[5:6], v[16:17], s[18:19], v[20:21]
	v_fma_f64 v[5:6], v[3:4], s[4:5], v[5:6]
	v_add_f64 v[3:4], v[18:19], v[5:6]
	v_add_f64 v[16:17], v[3:4], -v[18:19]
	v_add_f64 v[5:6], v[5:6], -v[16:17]
.LBB35_128:
	s_andn2_saveexec_b32 s4, s17
	s_cbranch_execz .LBB35_130
; %bb.129:
	s_mov_b32 s18, 0x6dc9c883
	s_mov_b32 s19, 0x3fe45f30
	;; [unrolled: 1-line block ×3, first 2 shown]
	v_mul_f64 v[3:4], |v[1:2]|, s[18:19]
	s_mov_b32 s18, 0x54442d18
	s_mov_b32 s19, 0xbff921fb
	;; [unrolled: 1-line block ×3, first 2 shown]
	v_rndne_f64_e32 v[16:17], v[3:4]
	v_fma_f64 v[3:4], v[16:17], s[18:19], |v[1:2]|
	v_mul_f64 v[5:6], v[16:17], s[20:21]
	s_mov_b32 s18, 0x252049c0
	s_mov_b32 s19, 0xb97b839a
	v_cvt_i32_f64_e32 v12, v[16:17]
	v_fma_f64 v[20:21], v[16:17], s[20:21], v[3:4]
	v_add_f64 v[18:19], v[3:4], v[5:6]
	s_mov_b32 s21, 0x3c91a626
	v_add_f64 v[3:4], v[3:4], -v[18:19]
	v_add_f64 v[18:19], v[18:19], -v[20:21]
	v_add_f64 v[3:4], v[3:4], v[5:6]
	v_fma_f64 v[5:6], v[16:17], s[20:21], v[5:6]
	v_add_f64 v[3:4], v[18:19], v[3:4]
	v_add_f64 v[3:4], v[3:4], -v[5:6]
	v_fma_f64 v[5:6], v[16:17], s[18:19], v[3:4]
	v_add_f64 v[3:4], v[20:21], v[5:6]
	v_add_f64 v[18:19], v[3:4], -v[20:21]
	v_add_f64 v[5:6], v[5:6], -v[18:19]
.LBB35_130:
	s_or_b32 exec_lo, exec_lo, s4
	v_mul_f64 v[16:17], v[3:4], v[3:4]
	v_add_f64 v[18:19], v[5:6], v[5:6]
	s_mov_b32 s18, 0xa9a29f71
	s_mov_b32 s20, 0xc751c08c
	;; [unrolled: 1-line block ×4, first 2 shown]
	v_cmp_class_f64_e64 s4, v[1:2], 0x1f8
	v_and_b32_e32 v12, 1, v12
	v_and_b32_e32 v2, 0x80000000, v2
	v_sub_f32_e32 v15, 1.0, v15
	s_mov_b32 s5, exec_lo
	v_cmp_eq_u32_e32 vcc_lo, 0, v12
	v_fma_f64 v[20:21], v[3:4], v[3:4], -v[16:17]
	v_fma_f64 v[18:19], v[3:4], v[18:19], v[20:21]
	v_add_f64 v[16:17], v[16:17], v[18:19]
	v_fma_f64 v[18:19], v[16:17], s[20:21], s[18:19]
	s_mov_b32 s18, 0x90a8aae0
	s_mov_b32 s19, 0x3f17746f
	v_fma_f64 v[18:19], v[16:17], v[18:19], s[18:19]
	s_mov_b32 s18, 0xa6fbf144
	s_mov_b32 s19, 0xbefbb44d
	;; [unrolled: 3-line block ×13, first 2 shown]
	v_mul_f64 v[16:17], v[16:17], v[18:19]
	v_mul_f64 v[18:19], v[3:4], v[16:17]
	v_add_f64 v[20:21], v[3:4], v[18:19]
	v_fma_f64 v[16:17], v[3:4], v[16:17], -v[18:19]
	v_add_f64 v[3:4], v[20:21], -v[3:4]
	v_add_f64 v[5:6], v[5:6], v[16:17]
	v_add_f64 v[3:4], v[18:19], -v[3:4]
	v_add_f64 v[3:4], v[5:6], v[3:4]
	v_add_f64 v[5:6], v[20:21], v[3:4]
	v_rcp_f64_e32 v[16:17], v[5:6]
	v_fma_f64 v[18:19], -v[5:6], v[16:17], 1.0
	v_fma_f64 v[16:17], v[18:19], v[16:17], v[16:17]
	v_fma_f64 v[18:19], -v[5:6], v[16:17], 1.0
	v_fma_f64 v[16:17], v[18:19], v[16:17], v[16:17]
	v_add_f64 v[18:19], v[5:6], -v[20:21]
	v_mul_f64 v[20:21], v[5:6], v[16:17]
	v_add_f64 v[3:4], v[3:4], -v[18:19]
	v_fma_f64 v[18:19], v[16:17], v[5:6], -v[20:21]
	v_fma_f64 v[3:4], v[16:17], v[3:4], v[18:19]
	v_add_f64 v[18:19], v[20:21], v[3:4]
	v_add_f64 v[22:23], -v[18:19], 1.0
	v_add_f64 v[20:21], v[18:19], -v[20:21]
	v_add_f64 v[24:25], -v[22:23], 1.0
	v_add_f64 v[3:4], v[20:21], -v[3:4]
	v_add_f64 v[18:19], v[24:25], -v[18:19]
	v_add_f64 v[3:4], v[3:4], v[18:19]
	v_add_f64 v[3:4], v[22:23], v[3:4]
	v_mul_f64 v[3:4], v[16:17], v[3:4]
	v_add_f64 v[3:4], v[16:17], v[3:4]
	v_xor_b32_e32 v1, 0x80000000, v4
	v_cndmask_b32_e32 v3, v3, v5, vcc_lo
	v_cndmask_b32_e32 v1, v1, v6, vcc_lo
	v_xor_b32_e32 v2, v1, v2
	v_cndmask_b32_e64 v1, 0, v3, s4
	v_cndmask_b32_e64 v2, 0x7ff80000, v2, s4
	v_div_scale_f64 v[3:4], null, v[1:2], v[1:2], s[18:19]
	v_rcp_f64_e32 v[5:6], v[3:4]
	v_fma_f64 v[16:17], -v[3:4], v[5:6], 1.0
	v_fma_f64 v[5:6], v[5:6], v[16:17], v[5:6]
	v_fma_f64 v[16:17], -v[3:4], v[5:6], 1.0
	v_fma_f64 v[5:6], v[5:6], v[16:17], v[5:6]
	v_div_scale_f64 v[16:17], vcc_lo, s[18:19], v[1:2], s[18:19]
	v_mul_f64 v[18:19], v[16:17], v[5:6]
	v_fma_f64 v[3:4], -v[3:4], v[18:19], v[16:17]
	v_div_fmas_f64 v[3:4], v[3:4], v[5:6], v[18:19]
	v_div_fixup_f64 v[1:2], v[3:4], v[1:2], s[18:19]
	v_cvt_f32_f64_e32 v1, v[1:2]
.LBB35_131:
	s_or_b32 exec_lo, exec_lo, s16
	s_orn2_b32 s4, s5, exec_lo
.LBB35_132:
	s_or_b32 exec_lo, exec_lo, s15
	v_mov_b32_e32 v12, 0x7fc00000
	s_and_saveexec_b32 s15, s4
	s_cbranch_execz .LBB35_144
; %bb.133:
	s_mov_b32 s4, exec_lo
	v_cmpx_gt_f32_e32 0x41200000, v15
	s_cbranch_execz .LBB35_137
; %bb.134:
	s_mov_b32 s5, 0
	.p2align	6
.LBB35_135:                             ; =>This Inner Loop Header: Depth=1
	v_div_scale_f32 v2, null, v15, v15, 1.0
	v_div_scale_f32 v5, vcc_lo, 1.0, v15, 1.0
	v_rcp_f32_e32 v3, v2
	v_fma_f32 v4, -v2, v3, 1.0
	v_fmac_f32_e32 v3, v4, v3
	v_mul_f32_e32 v4, v5, v3
	v_fma_f32 v6, -v2, v4, v5
	v_fmac_f32_e32 v4, v6, v3
	v_fma_f32 v2, -v2, v4, v5
	v_div_fmas_f32 v2, v2, v3, v4
	v_div_fixup_f32 v2, v2, v15, 1.0
	v_add_f32_e32 v15, 1.0, v15
	v_sub_f32_e32 v1, v1, v2
	v_cmp_ngt_f32_e32 vcc_lo, 0x41200000, v15
	s_or_b32 s5, vcc_lo, s5
	s_andn2_b32 exec_lo, exec_lo, s5
	s_cbranch_execnz .LBB35_135
; %bb.136:
	s_or_b32 exec_lo, exec_lo, s5
.LBB35_137:
	s_or_b32 exec_lo, exec_lo, s4
                                        ; implicit-def: $vgpr12
	s_mov_b32 s4, exec_lo
	v_cmpx_neq_f32_e32 0x41200000, v15
	s_xor_b32 s16, exec_lo, s4
	s_cbranch_execz .LBB35_141
; %bb.138:
	v_cvt_f64_f32_e32 v[2:3], v15
	s_mov_b32 s4, 0x85d8a000
	s_mov_b32 s5, 0x43763457
	v_cmp_gt_f64_e32 vcc_lo, s[4:5], v[2:3]
	v_mov_b32_e32 v2, 0
	s_and_saveexec_b32 s4, vcc_lo
	s_cbranch_execz .LBB35_140
; %bb.139:
	v_mul_f32_e32 v2, v15, v15
	v_div_scale_f32 v3, null, v2, v2, 1.0
	v_rcp_f32_e32 v4, v3
	v_fma_f32 v5, -v3, v4, 1.0
	v_fmac_f32_e32 v4, v5, v4
	v_div_scale_f32 v5, vcc_lo, 1.0, v2, 1.0
	v_mul_f32_e32 v6, v5, v4
	v_fma_f32 v12, -v3, v6, v5
	v_fmac_f32_e32 v6, v12, v4
	v_fma_f32 v3, -v3, v6, v5
	v_div_fmas_f32 v3, v3, v4, v6
	v_div_fixup_f32 v2, v3, v2, 1.0
	v_fmaak_f32 v3, 0, v2, 0x3daaaaab
	v_fmaak_f32 v3, v2, v3, 0xbcaccacd
	;; [unrolled: 1-line block ×7, first 2 shown]
	v_mul_f32_e32 v2, v2, v3
.LBB35_140:
	s_or_b32 exec_lo, exec_lo, s4
	v_cmp_gt_f32_e32 vcc_lo, 0x800000, v15
	v_div_scale_f32 v3, null, v15, v15, -0.5
	v_div_scale_f32 v12, s4, -0.5, v15, -0.5
	v_cndmask_b32_e64 v4, 0, 32, vcc_lo
	v_rcp_f32_e32 v5, v3
	v_ldexp_f32 v4, v15, v4
	v_log_f32_e32 v4, v4
	v_fma_f32 v6, -v3, v5, 1.0
	v_fmac_f32_e32 v5, v6, v5
	v_mul_f32_e32 v6, 0x3f317217, v4
	v_mul_f32_e32 v16, v12, v5
	v_cmp_gt_f32_e64 s5, 0x7f800000, |v4|
	v_fma_f32 v6, 0x3f317217, v4, -v6
	v_fma_f32 v17, -v3, v16, v12
	v_fmamk_f32 v6, v4, 0x3377d1cf, v6
	v_fmac_f32_e32 v16, v17, v5
	v_fmac_f32_e32 v6, 0x3f317217, v4
	v_fma_f32 v3, -v3, v16, v12
	v_cndmask_b32_e64 v4, v4, v6, s5
	v_cndmask_b32_e64 v6, 0, 0x41b17218, vcc_lo
	s_mov_b32 vcc_lo, s4
	v_div_fmas_f32 v3, v3, v5, v16
	v_sub_f32_e32 v4, v4, v6
	v_div_fixup_f32 v3, v3, v15, -0.5
	v_add_f32_e32 v3, v4, v3
	v_sub_f32_e32 v2, v3, v2
	v_add_f32_e32 v1, v1, v2
	v_bfe_u32 v2, v1, 16, 1
	v_cmp_o_f32_e32 vcc_lo, v1, v1
	v_add3_u32 v2, v1, v2, 0x7fff
                                        ; implicit-def: $vgpr1
	v_and_b32_e32 v2, 0xffff0000, v2
	v_cndmask_b32_e32 v12, 0x7fc00000, v2, vcc_lo
.LBB35_141:
	s_andn2_saveexec_b32 s4, s16
; %bb.142:
	v_add_f32_e32 v1, 0x40101cb7, v1
	v_bfe_u32 v2, v1, 16, 1
	v_cmp_o_f32_e32 vcc_lo, v1, v1
	v_add3_u32 v2, v1, v2, 0x7fff
	v_and_b32_e32 v2, 0xffff0000, v2
	v_cndmask_b32_e32 v12, 0x7fc00000, v2, vcc_lo
; %bb.143:
	s_or_b32 exec_lo, exec_lo, s4
.LBB35_144:
	s_or_b32 exec_lo, exec_lo, s15
                                        ; implicit-def: $vgpr15
.LBB35_145:
	s_andn2_saveexec_b32 s4, s14
; %bb.146:
	v_xor_b32_e32 v1, 0x80000000, v15
	s_mov_b32 s5, 0x7f800000
	v_and_or_b32 v12, 0x80000000, v1, s5
; %bb.147:
	s_or_b32 exec_lo, exec_lo, s4
	s_waitcnt vmcnt(0)
	v_lshlrev_b32_e32 v16, 16, v9
                                        ; implicit-def: $vgpr15
	s_mov_b32 s4, exec_lo
	v_cmpx_neq_f32_e32 0, v16
	s_xor_b32 s14, exec_lo, s4
	s_cbranch_execz .LBB35_169
; %bb.148:
	v_mov_b32_e32 v1, 0
	s_mov_b32 s4, -1
	s_mov_b32 s15, exec_lo
	v_cmpx_gt_f32_e32 0, v16
	s_cbranch_execz .LBB35_156
; %bb.149:
	v_trunc_f32_e32 v1, v16
	s_mov_b32 s5, 0
	v_cmp_neq_f32_e32 vcc_lo, v1, v16
	v_mov_b32_e32 v1, 0
	s_and_saveexec_b32 s16, vcc_lo
	s_cbranch_execz .LBB35_155
; %bb.150:
	v_cvt_f64_f32_e32 v[1:2], v16
	s_mov_b32 s5, 0xc00921fb
	s_mov_b32 s4, 0x54442d18
	s_mov_b32 s17, exec_lo
                                        ; implicit-def: $vgpr15
                                        ; implicit-def: $vgpr5_vgpr6
	v_trunc_f64_e32 v[3:4], v[1:2]
	v_cmp_neq_f64_e64 vcc_lo, 0x7ff00000, |v[1:2]|
	v_add_f64 v[3:4], v[1:2], -v[3:4]
	v_mul_f64 v[3:4], |v[3:4]|, s[4:5]
	v_cndmask_b32_e32 v2, 0x80000000, v4, vcc_lo
	v_cndmask_b32_e32 v1, 0, v3, vcc_lo
                                        ; implicit-def: $vgpr3_vgpr4
	v_cmpx_ngt_f64_e64 0x41d00000, |v[1:2]|
	s_xor_b32 s17, exec_lo, s17
	s_cbranch_execz .LBB35_152
; %bb.151:
	v_ldexp_f64 v[3:4], |v[1:2]|, 0xffffff80
	v_cmp_le_f64_e64 vcc_lo, 0x7b000000, |v[1:2]|
	v_trig_preop_f64 v[5:6], |v[1:2]|, 0
	v_and_b32_e32 v15, 0x7fffffff, v2
	v_trig_preop_f64 v[17:18], |v[1:2]|, 1
	v_trig_preop_f64 v[27:28], |v[1:2]|, 2
	v_mov_b32_e32 v35, 0
	s_mov_b32 s5, 0x3ff921fb
	s_mov_b32 s18, 0x33145c07
	;; [unrolled: 1-line block ×3, first 2 shown]
	v_cndmask_b32_e32 v4, v15, v4, vcc_lo
	v_cndmask_b32_e32 v3, v1, v3, vcc_lo
	v_mul_f64 v[19:20], v[5:6], v[3:4]
	v_mul_f64 v[21:22], v[17:18], v[3:4]
	;; [unrolled: 1-line block ×3, first 2 shown]
	v_fma_f64 v[5:6], v[5:6], v[3:4], -v[19:20]
	v_fma_f64 v[17:18], v[17:18], v[3:4], -v[21:22]
	;; [unrolled: 1-line block ×3, first 2 shown]
	v_add_f64 v[23:24], v[21:22], v[5:6]
	v_add_f64 v[25:26], v[23:24], -v[21:22]
	v_add_f64 v[31:32], v[19:20], v[23:24]
	v_add_f64 v[29:30], v[23:24], -v[25:26]
	v_add_f64 v[5:6], v[5:6], -v[25:26]
	v_ldexp_f64 v[25:26], v[31:32], -2
	v_add_f64 v[19:20], v[31:32], -v[19:20]
	v_add_f64 v[21:22], v[21:22], -v[29:30]
	v_add_f64 v[29:30], v[33:34], v[17:18]
	v_cmp_neq_f64_e64 vcc_lo, 0x7ff00000, |v[25:26]|
	v_add_f64 v[19:20], v[23:24], -v[19:20]
	v_add_f64 v[5:6], v[5:6], v[21:22]
	v_fract_f64_e32 v[21:22], v[25:26]
	v_add_f64 v[23:24], v[29:30], v[5:6]
	v_ldexp_f64 v[21:22], v[21:22], 2
	v_add_f64 v[25:26], v[19:20], v[23:24]
	v_cndmask_b32_e32 v22, 0, v22, vcc_lo
	v_cndmask_b32_e32 v21, 0, v21, vcc_lo
	v_add_f64 v[31:32], v[25:26], v[21:22]
	v_add_f64 v[19:20], v[25:26], -v[19:20]
	v_cmp_gt_f64_e32 vcc_lo, 0, v[31:32]
	v_add_f64 v[31:32], v[29:30], -v[33:34]
	v_add_f64 v[19:20], v[23:24], -v[19:20]
	v_cndmask_b32_e64 v36, 0, 0x40100000, vcc_lo
	v_add_f64 v[40:41], v[29:30], -v[31:32]
	v_add_f64 v[17:18], v[17:18], -v[31:32]
	v_add_f64 v[21:22], v[21:22], v[35:36]
	v_add_f64 v[36:37], v[23:24], -v[29:30]
	v_add_f64 v[31:32], v[33:34], -v[40:41]
	v_add_f64 v[38:39], v[25:26], v[21:22]
	;; [unrolled: 3-line block ×3, first 2 shown]
	v_cvt_i32_f64_e32 v15, v[38:39]
	v_add_f64 v[29:30], v[29:30], -v[42:43]
	v_cvt_f64_i32_e32 v[36:37], v15
	v_add_f64 v[5:6], v[5:6], v[29:30]
	v_add_f64 v[21:22], v[21:22], -v[36:37]
	v_add_f64 v[5:6], v[17:18], v[5:6]
	v_add_f64 v[17:18], v[25:26], v[21:22]
	;; [unrolled: 1-line block ×3, first 2 shown]
	v_add_f64 v[5:6], v[17:18], -v[21:22]
	v_cmp_le_f64_e32 vcc_lo, 0.5, v[17:18]
	v_add_f64 v[3:4], v[19:20], v[3:4]
	v_add_f64 v[5:6], v[25:26], -v[5:6]
	v_cndmask_b32_e64 v36, 0, 0x3ff00000, vcc_lo
	v_add_co_ci_u32_e64 v15, null, 0, v15, vcc_lo
	v_add_f64 v[3:4], v[3:4], v[5:6]
	v_add_f64 v[5:6], v[17:18], -v[35:36]
	v_add_f64 v[17:18], v[5:6], v[3:4]
	v_mul_f64 v[19:20], v[17:18], s[4:5]
	v_add_f64 v[5:6], v[17:18], -v[5:6]
	v_fma_f64 v[21:22], v[17:18], s[4:5], -v[19:20]
	v_add_f64 v[3:4], v[3:4], -v[5:6]
	v_fma_f64 v[5:6], v[17:18], s[18:19], v[21:22]
	v_fma_f64 v[5:6], v[3:4], s[4:5], v[5:6]
	v_add_f64 v[3:4], v[19:20], v[5:6]
	v_add_f64 v[17:18], v[3:4], -v[19:20]
	v_add_f64 v[5:6], v[5:6], -v[17:18]
.LBB35_152:
	s_andn2_saveexec_b32 s4, s17
	s_cbranch_execz .LBB35_154
; %bb.153:
	s_mov_b32 s18, 0x6dc9c883
	s_mov_b32 s19, 0x3fe45f30
	;; [unrolled: 1-line block ×3, first 2 shown]
	v_mul_f64 v[3:4], |v[1:2]|, s[18:19]
	s_mov_b32 s18, 0x54442d18
	s_mov_b32 s19, 0xbff921fb
	;; [unrolled: 1-line block ×3, first 2 shown]
	v_rndne_f64_e32 v[17:18], v[3:4]
	v_fma_f64 v[3:4], v[17:18], s[18:19], |v[1:2]|
	v_mul_f64 v[5:6], v[17:18], s[20:21]
	s_mov_b32 s18, 0x252049c0
	s_mov_b32 s19, 0xb97b839a
	v_cvt_i32_f64_e32 v15, v[17:18]
	v_fma_f64 v[21:22], v[17:18], s[20:21], v[3:4]
	v_add_f64 v[19:20], v[3:4], v[5:6]
	s_mov_b32 s21, 0x3c91a626
	v_add_f64 v[3:4], v[3:4], -v[19:20]
	v_add_f64 v[19:20], v[19:20], -v[21:22]
	v_add_f64 v[3:4], v[3:4], v[5:6]
	v_fma_f64 v[5:6], v[17:18], s[20:21], v[5:6]
	v_add_f64 v[3:4], v[19:20], v[3:4]
	v_add_f64 v[3:4], v[3:4], -v[5:6]
	v_fma_f64 v[5:6], v[17:18], s[18:19], v[3:4]
	v_add_f64 v[3:4], v[21:22], v[5:6]
	v_add_f64 v[19:20], v[3:4], -v[21:22]
	v_add_f64 v[5:6], v[5:6], -v[19:20]
.LBB35_154:
	s_or_b32 exec_lo, exec_lo, s4
	v_mul_f64 v[17:18], v[3:4], v[3:4]
	v_add_f64 v[19:20], v[5:6], v[5:6]
	s_mov_b32 s18, 0xa9a29f71
	s_mov_b32 s20, 0xc751c08c
	;; [unrolled: 1-line block ×4, first 2 shown]
	v_cmp_class_f64_e64 s4, v[1:2], 0x1f8
	v_and_b32_e32 v15, 1, v15
	v_and_b32_e32 v2, 0x80000000, v2
	v_sub_f32_e32 v16, 1.0, v16
	s_mov_b32 s5, exec_lo
	v_cmp_eq_u32_e32 vcc_lo, 0, v15
	v_fma_f64 v[21:22], v[3:4], v[3:4], -v[17:18]
	v_fma_f64 v[19:20], v[3:4], v[19:20], v[21:22]
	v_add_f64 v[17:18], v[17:18], v[19:20]
	v_fma_f64 v[19:20], v[17:18], s[20:21], s[18:19]
	s_mov_b32 s18, 0x90a8aae0
	s_mov_b32 s19, 0x3f17746f
	v_fma_f64 v[19:20], v[17:18], v[19:20], s[18:19]
	s_mov_b32 s18, 0xa6fbf144
	s_mov_b32 s19, 0xbefbb44d
	;; [unrolled: 3-line block ×13, first 2 shown]
	v_mul_f64 v[17:18], v[17:18], v[19:20]
	v_mul_f64 v[19:20], v[3:4], v[17:18]
	v_add_f64 v[21:22], v[3:4], v[19:20]
	v_fma_f64 v[17:18], v[3:4], v[17:18], -v[19:20]
	v_add_f64 v[3:4], v[21:22], -v[3:4]
	v_add_f64 v[5:6], v[5:6], v[17:18]
	v_add_f64 v[3:4], v[19:20], -v[3:4]
	v_add_f64 v[3:4], v[5:6], v[3:4]
	v_add_f64 v[5:6], v[21:22], v[3:4]
	v_rcp_f64_e32 v[17:18], v[5:6]
	v_fma_f64 v[19:20], -v[5:6], v[17:18], 1.0
	v_fma_f64 v[17:18], v[19:20], v[17:18], v[17:18]
	v_fma_f64 v[19:20], -v[5:6], v[17:18], 1.0
	v_fma_f64 v[17:18], v[19:20], v[17:18], v[17:18]
	v_add_f64 v[19:20], v[5:6], -v[21:22]
	v_mul_f64 v[21:22], v[5:6], v[17:18]
	v_add_f64 v[3:4], v[3:4], -v[19:20]
	v_fma_f64 v[19:20], v[17:18], v[5:6], -v[21:22]
	v_fma_f64 v[3:4], v[17:18], v[3:4], v[19:20]
	v_add_f64 v[19:20], v[21:22], v[3:4]
	v_add_f64 v[23:24], -v[19:20], 1.0
	v_add_f64 v[21:22], v[19:20], -v[21:22]
	v_add_f64 v[25:26], -v[23:24], 1.0
	v_add_f64 v[3:4], v[21:22], -v[3:4]
	v_add_f64 v[19:20], v[25:26], -v[19:20]
	v_add_f64 v[3:4], v[3:4], v[19:20]
	v_add_f64 v[3:4], v[23:24], v[3:4]
	v_mul_f64 v[3:4], v[17:18], v[3:4]
	v_add_f64 v[3:4], v[17:18], v[3:4]
	v_xor_b32_e32 v1, 0x80000000, v4
	v_cndmask_b32_e32 v3, v3, v5, vcc_lo
	v_cndmask_b32_e32 v1, v1, v6, vcc_lo
	v_xor_b32_e32 v2, v1, v2
	v_cndmask_b32_e64 v1, 0, v3, s4
	v_cndmask_b32_e64 v2, 0x7ff80000, v2, s4
	v_div_scale_f64 v[3:4], null, v[1:2], v[1:2], s[18:19]
	v_rcp_f64_e32 v[5:6], v[3:4]
	v_fma_f64 v[17:18], -v[3:4], v[5:6], 1.0
	v_fma_f64 v[5:6], v[5:6], v[17:18], v[5:6]
	v_fma_f64 v[17:18], -v[3:4], v[5:6], 1.0
	v_fma_f64 v[5:6], v[5:6], v[17:18], v[5:6]
	v_div_scale_f64 v[17:18], vcc_lo, s[18:19], v[1:2], s[18:19]
	v_mul_f64 v[19:20], v[17:18], v[5:6]
	v_fma_f64 v[3:4], -v[3:4], v[19:20], v[17:18]
	v_div_fmas_f64 v[3:4], v[3:4], v[5:6], v[19:20]
	v_div_fixup_f64 v[1:2], v[3:4], v[1:2], s[18:19]
	v_cvt_f32_f64_e32 v1, v[1:2]
.LBB35_155:
	s_or_b32 exec_lo, exec_lo, s16
	s_orn2_b32 s4, s5, exec_lo
.LBB35_156:
	s_or_b32 exec_lo, exec_lo, s15
	v_mov_b32_e32 v15, 0x7fc0
	s_and_saveexec_b32 s5, s4
	s_cbranch_execz .LBB35_168
; %bb.157:
	s_mov_b32 s4, exec_lo
	v_cmpx_gt_f32_e32 0x41200000, v16
	s_cbranch_execz .LBB35_161
; %bb.158:
	s_mov_b32 s15, 0
	.p2align	6
.LBB35_159:                             ; =>This Inner Loop Header: Depth=1
	v_div_scale_f32 v2, null, v16, v16, 1.0
	v_div_scale_f32 v5, vcc_lo, 1.0, v16, 1.0
	v_rcp_f32_e32 v3, v2
	v_fma_f32 v4, -v2, v3, 1.0
	v_fmac_f32_e32 v3, v4, v3
	v_mul_f32_e32 v4, v5, v3
	v_fma_f32 v6, -v2, v4, v5
	v_fmac_f32_e32 v4, v6, v3
	v_fma_f32 v2, -v2, v4, v5
	v_div_fmas_f32 v2, v2, v3, v4
	v_div_fixup_f32 v2, v2, v16, 1.0
	v_add_f32_e32 v16, 1.0, v16
	v_sub_f32_e32 v1, v1, v2
	v_cmp_ngt_f32_e32 vcc_lo, 0x41200000, v16
	s_or_b32 s15, vcc_lo, s15
	s_andn2_b32 exec_lo, exec_lo, s15
	s_cbranch_execnz .LBB35_159
; %bb.160:
	s_or_b32 exec_lo, exec_lo, s15
.LBB35_161:
	s_or_b32 exec_lo, exec_lo, s4
                                        ; implicit-def: $vgpr15
	s_mov_b32 s4, exec_lo
	v_cmpx_neq_f32_e32 0x41200000, v16
	s_xor_b32 s15, exec_lo, s4
	s_cbranch_execz .LBB35_165
; %bb.162:
	v_cvt_f64_f32_e32 v[2:3], v16
	s_mov_b32 s16, 0x85d8a000
	s_mov_b32 s17, 0x43763457
	v_cmp_gt_f64_e32 vcc_lo, s[16:17], v[2:3]
	v_mov_b32_e32 v2, 0
	s_and_saveexec_b32 s4, vcc_lo
	s_cbranch_execz .LBB35_164
; %bb.163:
	v_mul_f32_e32 v2, v16, v16
	v_div_scale_f32 v3, null, v2, v2, 1.0
	v_rcp_f32_e32 v4, v3
	v_fma_f32 v5, -v3, v4, 1.0
	v_fmac_f32_e32 v4, v5, v4
	v_div_scale_f32 v5, vcc_lo, 1.0, v2, 1.0
	v_mul_f32_e32 v6, v5, v4
	v_fma_f32 v15, -v3, v6, v5
	v_fmac_f32_e32 v6, v15, v4
	v_fma_f32 v3, -v3, v6, v5
	v_div_fmas_f32 v3, v3, v4, v6
	v_div_fixup_f32 v2, v3, v2, 1.0
	v_fmaak_f32 v3, 0, v2, 0x3daaaaab
	v_fmaak_f32 v3, v2, v3, 0xbcaccacd
	;; [unrolled: 1-line block ×7, first 2 shown]
	v_mul_f32_e32 v2, v2, v3
.LBB35_164:
	s_or_b32 exec_lo, exec_lo, s4
	v_cmp_gt_f32_e32 vcc_lo, 0x800000, v16
	v_div_scale_f32 v3, null, v16, v16, -0.5
	v_div_scale_f32 v15, s4, -0.5, v16, -0.5
	v_cndmask_b32_e64 v4, 0, 32, vcc_lo
	v_rcp_f32_e32 v5, v3
	v_ldexp_f32 v4, v16, v4
	v_log_f32_e32 v4, v4
	v_fma_f32 v6, -v3, v5, 1.0
	v_fmac_f32_e32 v5, v6, v5
	v_mul_f32_e32 v6, 0x3f317217, v4
	v_mul_f32_e32 v17, v15, v5
	v_fma_f32 v6, 0x3f317217, v4, -v6
	v_fma_f32 v18, -v3, v17, v15
	v_fmamk_f32 v6, v4, 0x3377d1cf, v6
	v_fmac_f32_e32 v17, v18, v5
	v_cndmask_b32_e64 v18, 0, 0x41b17218, vcc_lo
	v_cmp_gt_f32_e64 vcc_lo, 0x7f800000, |v4|
	v_fmac_f32_e32 v6, 0x3f317217, v4
	v_fma_f32 v3, -v3, v17, v15
	v_cndmask_b32_e32 v4, v4, v6, vcc_lo
	s_mov_b32 vcc_lo, s4
	v_div_fmas_f32 v3, v3, v5, v17
	v_sub_f32_e32 v4, v4, v18
	v_div_fixup_f32 v3, v3, v16, -0.5
	v_add_f32_e32 v3, v4, v3
	v_sub_f32_e32 v2, v3, v2
	v_add_f32_e32 v1, v1, v2
	v_bfe_u32 v2, v1, 16, 1
	v_cmp_o_f32_e32 vcc_lo, v1, v1
	v_add3_u32 v1, v1, v2, 0x7fff
	v_mov_b32_e32 v2, 0x7fc0
	v_cndmask_b32_sdwa v15, v2, v1, vcc_lo dst_sel:DWORD dst_unused:UNUSED_PAD src0_sel:DWORD src1_sel:WORD_1
                                        ; implicit-def: $vgpr1
.LBB35_165:
	s_andn2_saveexec_b32 s4, s15
; %bb.166:
	v_add_f32_e32 v1, 0x40101cb7, v1
	v_bfe_u32 v2, v1, 16, 1
	v_cmp_o_f32_e32 vcc_lo, v1, v1
	v_add3_u32 v1, v1, v2, 0x7fff
	v_mov_b32_e32 v2, 0x7fc0
	v_cndmask_b32_sdwa v15, v2, v1, vcc_lo dst_sel:DWORD dst_unused:UNUSED_PAD src0_sel:DWORD src1_sel:WORD_1
; %bb.167:
	s_or_b32 exec_lo, exec_lo, s4
.LBB35_168:
	s_or_b32 exec_lo, exec_lo, s5
                                        ; implicit-def: $vgpr16
.LBB35_169:
	s_andn2_saveexec_b32 s4, s14
; %bb.170:
	v_xor_b32_e32 v1, 0x80000000, v16
	s_mov_b32 s5, 0x7f800000
	v_and_or_b32 v1, 0x80000000, v1, s5
	v_lshrrev_b32_e32 v15, 16, v1
; %bb.171:
	s_or_b32 exec_lo, exec_lo, s4
	v_and_b32_e32 v9, 0xffff0000, v9
                                        ; implicit-def: $vgpr2
	s_mov_b32 s4, exec_lo
	v_cmpx_neq_f32_e32 0, v9
	s_xor_b32 s14, exec_lo, s4
	s_cbranch_execz .LBB35_193
; %bb.172:
	v_mov_b32_e32 v1, 0
	s_mov_b32 s4, -1
	s_mov_b32 s15, exec_lo
	v_cmpx_gt_f32_e32 0, v9
	s_cbranch_execz .LBB35_180
; %bb.173:
	v_trunc_f32_e32 v1, v9
	s_mov_b32 s5, 0
	v_cmp_neq_f32_e32 vcc_lo, v1, v9
	v_mov_b32_e32 v1, 0
	s_and_saveexec_b32 s16, vcc_lo
	s_cbranch_execz .LBB35_179
; %bb.174:
	v_cvt_f64_f32_e32 v[1:2], v9
	s_mov_b32 s5, 0xc00921fb
	s_mov_b32 s4, 0x54442d18
	s_mov_b32 s17, exec_lo
                                        ; implicit-def: $vgpr16
                                        ; implicit-def: $vgpr5_vgpr6
	v_trunc_f64_e32 v[3:4], v[1:2]
	v_cmp_neq_f64_e64 vcc_lo, 0x7ff00000, |v[1:2]|
	v_add_f64 v[3:4], v[1:2], -v[3:4]
	v_mul_f64 v[3:4], |v[3:4]|, s[4:5]
	v_cndmask_b32_e32 v2, 0x80000000, v4, vcc_lo
	v_cndmask_b32_e32 v1, 0, v3, vcc_lo
                                        ; implicit-def: $vgpr3_vgpr4
	v_cmpx_ngt_f64_e64 0x41d00000, |v[1:2]|
	s_xor_b32 s17, exec_lo, s17
	s_cbranch_execz .LBB35_176
; %bb.175:
	v_ldexp_f64 v[3:4], |v[1:2]|, 0xffffff80
	v_cmp_le_f64_e64 vcc_lo, 0x7b000000, |v[1:2]|
	v_trig_preop_f64 v[5:6], |v[1:2]|, 0
	v_and_b32_e32 v16, 0x7fffffff, v2
	v_trig_preop_f64 v[26:27], |v[1:2]|, 2
	v_mov_b32_e32 v34, 0
	s_mov_b32 s5, 0x3ff921fb
	s_mov_b32 s18, 0x33145c07
	;; [unrolled: 1-line block ×3, first 2 shown]
	v_cndmask_b32_e32 v4, v16, v4, vcc_lo
	v_cndmask_b32_e32 v3, v1, v3, vcc_lo
	v_trig_preop_f64 v[16:17], |v[1:2]|, 1
	v_mul_f64 v[18:19], v[5:6], v[3:4]
	v_mul_f64 v[32:33], v[26:27], v[3:4]
	v_mul_f64 v[20:21], v[16:17], v[3:4]
	v_fma_f64 v[5:6], v[5:6], v[3:4], -v[18:19]
	v_fma_f64 v[16:17], v[16:17], v[3:4], -v[20:21]
	;; [unrolled: 1-line block ×3, first 2 shown]
	v_add_f64 v[22:23], v[20:21], v[5:6]
	v_add_f64 v[24:25], v[22:23], -v[20:21]
	v_add_f64 v[30:31], v[18:19], v[22:23]
	v_add_f64 v[28:29], v[22:23], -v[24:25]
	v_add_f64 v[5:6], v[5:6], -v[24:25]
	v_ldexp_f64 v[24:25], v[30:31], -2
	v_add_f64 v[18:19], v[30:31], -v[18:19]
	v_add_f64 v[20:21], v[20:21], -v[28:29]
	v_add_f64 v[28:29], v[32:33], v[16:17]
	v_cmp_neq_f64_e64 vcc_lo, 0x7ff00000, |v[24:25]|
	v_add_f64 v[18:19], v[22:23], -v[18:19]
	v_add_f64 v[5:6], v[5:6], v[20:21]
	v_fract_f64_e32 v[20:21], v[24:25]
	v_add_f64 v[22:23], v[28:29], v[5:6]
	v_ldexp_f64 v[20:21], v[20:21], 2
	v_add_f64 v[24:25], v[18:19], v[22:23]
	v_cndmask_b32_e32 v21, 0, v21, vcc_lo
	v_cndmask_b32_e32 v20, 0, v20, vcc_lo
	v_add_f64 v[30:31], v[24:25], v[20:21]
	v_add_f64 v[18:19], v[24:25], -v[18:19]
	v_cmp_gt_f64_e32 vcc_lo, 0, v[30:31]
	v_add_f64 v[30:31], v[28:29], -v[32:33]
	v_cndmask_b32_e64 v35, 0, 0x40100000, vcc_lo
	v_add_f64 v[39:40], v[28:29], -v[30:31]
	v_add_f64 v[16:17], v[16:17], -v[30:31]
	v_add_f64 v[20:21], v[20:21], v[34:35]
	v_add_f64 v[35:36], v[22:23], -v[28:29]
	v_add_f64 v[30:31], v[32:33], -v[39:40]
	v_add_f64 v[37:38], v[24:25], v[20:21]
	;; [unrolled: 3-line block ×3, first 2 shown]
	v_cvt_i32_f64_e32 v37, v[37:38]
	v_add_f64 v[28:29], v[28:29], -v[41:42]
	v_cvt_f64_i32_e32 v[35:36], v37
	v_add_f64 v[5:6], v[5:6], v[28:29]
	v_add_f64 v[20:21], v[20:21], -v[35:36]
	v_add_f64 v[5:6], v[16:17], v[5:6]
	v_add_f64 v[16:17], v[22:23], -v[18:19]
	v_add_f64 v[26:27], v[24:25], v[20:21]
	v_add_f64 v[3:4], v[3:4], v[5:6]
	v_add_f64 v[5:6], v[26:27], -v[20:21]
	v_cmp_le_f64_e32 vcc_lo, 0.5, v[26:27]
	v_add_f64 v[3:4], v[16:17], v[3:4]
	v_add_f64 v[5:6], v[24:25], -v[5:6]
	v_cndmask_b32_e64 v35, 0, 0x3ff00000, vcc_lo
	v_add_co_ci_u32_e64 v16, null, 0, v37, vcc_lo
	v_add_f64 v[3:4], v[3:4], v[5:6]
	v_add_f64 v[5:6], v[26:27], -v[34:35]
	v_add_f64 v[17:18], v[5:6], v[3:4]
	v_mul_f64 v[19:20], v[17:18], s[4:5]
	v_add_f64 v[5:6], v[17:18], -v[5:6]
	v_fma_f64 v[21:22], v[17:18], s[4:5], -v[19:20]
	v_add_f64 v[3:4], v[3:4], -v[5:6]
	v_fma_f64 v[5:6], v[17:18], s[18:19], v[21:22]
	v_fma_f64 v[5:6], v[3:4], s[4:5], v[5:6]
	v_add_f64 v[3:4], v[19:20], v[5:6]
	v_add_f64 v[17:18], v[3:4], -v[19:20]
	v_add_f64 v[5:6], v[5:6], -v[17:18]
.LBB35_176:
	s_andn2_saveexec_b32 s4, s17
	s_cbranch_execz .LBB35_178
; %bb.177:
	s_mov_b32 s18, 0x6dc9c883
	s_mov_b32 s19, 0x3fe45f30
	;; [unrolled: 1-line block ×3, first 2 shown]
	v_mul_f64 v[3:4], |v[1:2]|, s[18:19]
	s_mov_b32 s18, 0x54442d18
	s_mov_b32 s19, 0xbff921fb
	;; [unrolled: 1-line block ×3, first 2 shown]
	v_rndne_f64_e32 v[16:17], v[3:4]
	v_fma_f64 v[3:4], v[16:17], s[18:19], |v[1:2]|
	v_mul_f64 v[5:6], v[16:17], s[20:21]
	s_mov_b32 s18, 0x252049c0
	s_mov_b32 s19, 0xb97b839a
	v_fma_f64 v[20:21], v[16:17], s[20:21], v[3:4]
	v_add_f64 v[18:19], v[3:4], v[5:6]
	s_mov_b32 s21, 0x3c91a626
	v_add_f64 v[3:4], v[3:4], -v[18:19]
	v_add_f64 v[18:19], v[18:19], -v[20:21]
	v_add_f64 v[3:4], v[3:4], v[5:6]
	v_fma_f64 v[5:6], v[16:17], s[20:21], v[5:6]
	v_add_f64 v[3:4], v[18:19], v[3:4]
	v_add_f64 v[3:4], v[3:4], -v[5:6]
	v_fma_f64 v[5:6], v[16:17], s[18:19], v[3:4]
	v_cvt_i32_f64_e32 v16, v[16:17]
	v_add_f64 v[3:4], v[20:21], v[5:6]
	v_add_f64 v[18:19], v[3:4], -v[20:21]
	v_add_f64 v[5:6], v[5:6], -v[18:19]
.LBB35_178:
	s_or_b32 exec_lo, exec_lo, s4
	v_mul_f64 v[17:18], v[3:4], v[3:4]
	v_add_f64 v[19:20], v[5:6], v[5:6]
	s_mov_b32 s18, 0xa9a29f71
	s_mov_b32 s20, 0xc751c08c
	;; [unrolled: 1-line block ×4, first 2 shown]
	v_cmp_class_f64_e64 s4, v[1:2], 0x1f8
	v_and_b32_e32 v16, 1, v16
	v_and_b32_e32 v2, 0x80000000, v2
	v_sub_f32_e32 v9, 1.0, v9
	s_mov_b32 s5, exec_lo
	v_cmp_eq_u32_e32 vcc_lo, 0, v16
	v_fma_f64 v[21:22], v[3:4], v[3:4], -v[17:18]
	v_fma_f64 v[19:20], v[3:4], v[19:20], v[21:22]
	v_add_f64 v[17:18], v[17:18], v[19:20]
	v_fma_f64 v[19:20], v[17:18], s[20:21], s[18:19]
	s_mov_b32 s18, 0x90a8aae0
	s_mov_b32 s19, 0x3f17746f
	v_fma_f64 v[19:20], v[17:18], v[19:20], s[18:19]
	s_mov_b32 s18, 0xa6fbf144
	s_mov_b32 s19, 0xbefbb44d
	;; [unrolled: 3-line block ×13, first 2 shown]
	v_mul_f64 v[17:18], v[17:18], v[19:20]
	v_mul_f64 v[19:20], v[3:4], v[17:18]
	v_add_f64 v[21:22], v[3:4], v[19:20]
	v_fma_f64 v[17:18], v[3:4], v[17:18], -v[19:20]
	v_add_f64 v[3:4], v[21:22], -v[3:4]
	v_add_f64 v[5:6], v[5:6], v[17:18]
	v_add_f64 v[3:4], v[19:20], -v[3:4]
	v_add_f64 v[3:4], v[5:6], v[3:4]
	v_add_f64 v[5:6], v[21:22], v[3:4]
	v_rcp_f64_e32 v[17:18], v[5:6]
	v_fma_f64 v[19:20], -v[5:6], v[17:18], 1.0
	v_fma_f64 v[17:18], v[19:20], v[17:18], v[17:18]
	v_fma_f64 v[19:20], -v[5:6], v[17:18], 1.0
	v_fma_f64 v[17:18], v[19:20], v[17:18], v[17:18]
	v_add_f64 v[19:20], v[5:6], -v[21:22]
	v_mul_f64 v[21:22], v[5:6], v[17:18]
	v_add_f64 v[3:4], v[3:4], -v[19:20]
	v_fma_f64 v[19:20], v[17:18], v[5:6], -v[21:22]
	v_fma_f64 v[3:4], v[17:18], v[3:4], v[19:20]
	v_add_f64 v[19:20], v[21:22], v[3:4]
	v_add_f64 v[23:24], -v[19:20], 1.0
	v_add_f64 v[21:22], v[19:20], -v[21:22]
	v_add_f64 v[25:26], -v[23:24], 1.0
	v_add_f64 v[3:4], v[21:22], -v[3:4]
	v_add_f64 v[19:20], v[25:26], -v[19:20]
	v_add_f64 v[3:4], v[3:4], v[19:20]
	v_add_f64 v[3:4], v[23:24], v[3:4]
	v_mul_f64 v[3:4], v[17:18], v[3:4]
	v_add_f64 v[3:4], v[17:18], v[3:4]
	v_xor_b32_e32 v1, 0x80000000, v4
	v_cndmask_b32_e32 v3, v3, v5, vcc_lo
	v_cndmask_b32_e32 v1, v1, v6, vcc_lo
	v_xor_b32_e32 v2, v1, v2
	v_cndmask_b32_e64 v1, 0, v3, s4
	v_cndmask_b32_e64 v2, 0x7ff80000, v2, s4
	v_div_scale_f64 v[3:4], null, v[1:2], v[1:2], s[18:19]
	v_rcp_f64_e32 v[5:6], v[3:4]
	v_fma_f64 v[16:17], -v[3:4], v[5:6], 1.0
	v_fma_f64 v[5:6], v[5:6], v[16:17], v[5:6]
	v_fma_f64 v[16:17], -v[3:4], v[5:6], 1.0
	v_fma_f64 v[5:6], v[5:6], v[16:17], v[5:6]
	v_div_scale_f64 v[16:17], vcc_lo, s[18:19], v[1:2], s[18:19]
	v_mul_f64 v[18:19], v[16:17], v[5:6]
	v_fma_f64 v[3:4], -v[3:4], v[18:19], v[16:17]
	v_div_fmas_f64 v[3:4], v[3:4], v[5:6], v[18:19]
	v_div_fixup_f64 v[1:2], v[3:4], v[1:2], s[18:19]
	v_cvt_f32_f64_e32 v1, v[1:2]
.LBB35_179:
	s_or_b32 exec_lo, exec_lo, s16
	s_orn2_b32 s4, s5, exec_lo
.LBB35_180:
	s_or_b32 exec_lo, exec_lo, s15
	v_mov_b32_e32 v2, 0x7fc00000
	s_and_saveexec_b32 s15, s4
	s_cbranch_execz .LBB35_192
; %bb.181:
	s_mov_b32 s4, exec_lo
	v_cmpx_gt_f32_e32 0x41200000, v9
	s_cbranch_execz .LBB35_185
; %bb.182:
	s_mov_b32 s5, 0
	.p2align	6
.LBB35_183:                             ; =>This Inner Loop Header: Depth=1
	v_div_scale_f32 v2, null, v9, v9, 1.0
	v_div_scale_f32 v5, vcc_lo, 1.0, v9, 1.0
	v_rcp_f32_e32 v3, v2
	v_fma_f32 v4, -v2, v3, 1.0
	v_fmac_f32_e32 v3, v4, v3
	v_mul_f32_e32 v4, v5, v3
	v_fma_f32 v6, -v2, v4, v5
	v_fmac_f32_e32 v4, v6, v3
	v_fma_f32 v2, -v2, v4, v5
	v_div_fmas_f32 v2, v2, v3, v4
	v_div_fixup_f32 v2, v2, v9, 1.0
	v_add_f32_e32 v9, 1.0, v9
	v_sub_f32_e32 v1, v1, v2
	v_cmp_ngt_f32_e32 vcc_lo, 0x41200000, v9
	s_or_b32 s5, vcc_lo, s5
	s_andn2_b32 exec_lo, exec_lo, s5
	s_cbranch_execnz .LBB35_183
; %bb.184:
	s_or_b32 exec_lo, exec_lo, s5
.LBB35_185:
	s_or_b32 exec_lo, exec_lo, s4
                                        ; implicit-def: $vgpr2
	s_mov_b32 s4, exec_lo
	v_cmpx_neq_f32_e32 0x41200000, v9
	s_xor_b32 s16, exec_lo, s4
	s_cbranch_execz .LBB35_189
; %bb.186:
	v_cvt_f64_f32_e32 v[2:3], v9
	s_mov_b32 s4, 0x85d8a000
	s_mov_b32 s5, 0x43763457
	v_cmp_gt_f64_e32 vcc_lo, s[4:5], v[2:3]
	v_mov_b32_e32 v2, 0
	s_and_saveexec_b32 s4, vcc_lo
	s_cbranch_execz .LBB35_188
; %bb.187:
	v_mul_f32_e32 v2, v9, v9
	v_div_scale_f32 v3, null, v2, v2, 1.0
	v_rcp_f32_e32 v4, v3
	v_fma_f32 v5, -v3, v4, 1.0
	v_fmac_f32_e32 v4, v5, v4
	v_div_scale_f32 v5, vcc_lo, 1.0, v2, 1.0
	v_mul_f32_e32 v6, v5, v4
	v_fma_f32 v16, -v3, v6, v5
	v_fmac_f32_e32 v6, v16, v4
	v_fma_f32 v3, -v3, v6, v5
	v_div_fmas_f32 v3, v3, v4, v6
	v_div_fixup_f32 v2, v3, v2, 1.0
	v_fmaak_f32 v3, 0, v2, 0x3daaaaab
	v_fmaak_f32 v3, v2, v3, 0xbcaccacd
	;; [unrolled: 1-line block ×7, first 2 shown]
	v_mul_f32_e32 v2, v2, v3
.LBB35_188:
	s_or_b32 exec_lo, exec_lo, s4
	v_cmp_gt_f32_e32 vcc_lo, 0x800000, v9
	v_div_scale_f32 v3, null, v9, v9, -0.5
	v_div_scale_f32 v16, s4, -0.5, v9, -0.5
	v_cndmask_b32_e64 v4, 0, 32, vcc_lo
	v_rcp_f32_e32 v5, v3
	v_ldexp_f32 v4, v9, v4
	v_log_f32_e32 v4, v4
	v_fma_f32 v6, -v3, v5, 1.0
	v_fmac_f32_e32 v5, v6, v5
	v_mul_f32_e32 v6, 0x3f317217, v4
	v_mul_f32_e32 v17, v16, v5
	v_cmp_gt_f32_e64 s5, 0x7f800000, |v4|
	v_fma_f32 v6, 0x3f317217, v4, -v6
	v_fma_f32 v18, -v3, v17, v16
	v_fmamk_f32 v6, v4, 0x3377d1cf, v6
	v_fmac_f32_e32 v17, v18, v5
	v_fmac_f32_e32 v6, 0x3f317217, v4
	v_fma_f32 v3, -v3, v17, v16
	v_cndmask_b32_e64 v4, v4, v6, s5
	v_cndmask_b32_e64 v6, 0, 0x41b17218, vcc_lo
	s_mov_b32 vcc_lo, s4
	v_div_fmas_f32 v3, v3, v5, v17
	v_sub_f32_e32 v4, v4, v6
	v_div_fixup_f32 v3, v3, v9, -0.5
	v_add_f32_e32 v3, v4, v3
	v_sub_f32_e32 v2, v3, v2
	v_add_f32_e32 v1, v1, v2
	v_bfe_u32 v2, v1, 16, 1
	v_cmp_o_f32_e32 vcc_lo, v1, v1
	v_add3_u32 v2, v1, v2, 0x7fff
                                        ; implicit-def: $vgpr1
	v_and_b32_e32 v2, 0xffff0000, v2
	v_cndmask_b32_e32 v2, 0x7fc00000, v2, vcc_lo
.LBB35_189:
	s_andn2_saveexec_b32 s4, s16
; %bb.190:
	v_add_f32_e32 v1, 0x40101cb7, v1
	v_bfe_u32 v2, v1, 16, 1
	v_cmp_o_f32_e32 vcc_lo, v1, v1
	v_add3_u32 v2, v1, v2, 0x7fff
	v_and_b32_e32 v2, 0xffff0000, v2
	v_cndmask_b32_e32 v2, 0x7fc00000, v2, vcc_lo
; %bb.191:
	s_or_b32 exec_lo, exec_lo, s4
.LBB35_192:
	s_or_b32 exec_lo, exec_lo, s15
                                        ; implicit-def: $vgpr9
.LBB35_193:
	s_andn2_saveexec_b32 s4, s14
; %bb.194:
	v_xor_b32_e32 v1, 0x80000000, v9
	s_mov_b32 s5, 0x7f800000
	v_and_or_b32 v2, 0x80000000, v1, s5
; %bb.195:
	s_or_b32 exec_lo, exec_lo, s4
	s_add_u32 s4, s8, s12
	s_addc_u32 s5, s9, s13
	v_add_co_u32 v3, s12, s4, v7
	v_add_co_ci_u32_e64 v4, null, s5, 0, s12
	v_or_b32_e32 v6, v10, v8
	v_add_co_u32 v3, vcc_lo, 0x800, v3
	v_or_b32_e32 v5, v13, v11
	v_or_b32_e32 v1, v12, v14
	v_add_co_ci_u32_e64 v4, null, 0, v4, vcc_lo
	v_or_b32_e32 v2, v2, v15
	global_store_dword v7, v6, s[4:5]
	global_store_dword v7, v5, s[4:5] offset:1024
	global_store_dword v[3:4], v1, off
	global_store_dword v[3:4], v2, off offset:1024
	s_branch .LBB35_2
.LBB35_196:
	v_mov_b32_e32 v31, v0
	v_mov_b32_e32 v0, s8
	;; [unrolled: 1-line block ×6, first 2 shown]
	s_getpc_b64 s[4:5]
	s_add_u32 s4, s4, _ZN2at6native25elementwise_kernel_helperILb0EZZZNS0_19digamma_kernel_cudaERNS_18TensorIteratorBaseEENKUlvE_clEvENKUlvE2_clEvEUlN3c108BFloat16EE_NS0_6memory8policies11unroll_baseILi256ESt5arrayIPcLm2EE23TrivialOffsetCalculatorILi1EjESG_NS9_15LoadWithoutCastENS9_16StoreWithoutCastELi8ELi1EEEEEvT0_T1_@rel32@lo+4
	s_addc_u32 s5, s5, _ZN2at6native25elementwise_kernel_helperILb0EZZZNS0_19digamma_kernel_cudaERNS_18TensorIteratorBaseEENKUlvE_clEvENKUlvE2_clEvEUlN3c108BFloat16EE_NS0_6memory8policies11unroll_baseILi256ESt5arrayIPcLm2EE23TrivialOffsetCalculatorILi1EjESG_NS9_15LoadWithoutCastENS9_16StoreWithoutCastELi8ELi1EEEEEvT0_T1_@rel32@hi+12
	s_mov_b32 s12, s6
	s_swappc_b64 s[30:31], s[4:5]
	s_endpgm
	.section	.rodata,"a",@progbits
	.p2align	6, 0x0
	.amdhsa_kernel _ZN2at6native29vectorized_elementwise_kernelILi2EZZZNS0_19digamma_kernel_cudaERNS_18TensorIteratorBaseEENKUlvE_clEvENKUlvE2_clEvEUlN3c108BFloat16EE_St5arrayIPcLm2EEEEviT0_T1_
		.amdhsa_group_segment_fixed_size 0
		.amdhsa_private_segment_fixed_size 0
		.amdhsa_kernarg_size 24
		.amdhsa_user_sgpr_count 6
		.amdhsa_user_sgpr_private_segment_buffer 1
		.amdhsa_user_sgpr_dispatch_ptr 0
		.amdhsa_user_sgpr_queue_ptr 0
		.amdhsa_user_sgpr_kernarg_segment_ptr 1
		.amdhsa_user_sgpr_dispatch_id 0
		.amdhsa_user_sgpr_flat_scratch_init 0
		.amdhsa_user_sgpr_private_segment_size 0
		.amdhsa_wavefront_size32 1
		.amdhsa_uses_dynamic_stack 0
		.amdhsa_system_sgpr_private_segment_wavefront_offset 0
		.amdhsa_system_sgpr_workgroup_id_x 1
		.amdhsa_system_sgpr_workgroup_id_y 0
		.amdhsa_system_sgpr_workgroup_id_z 0
		.amdhsa_system_sgpr_workgroup_info 0
		.amdhsa_system_vgpr_workitem_id 0
		.amdhsa_next_free_vgpr 66
		.amdhsa_next_free_sgpr 33
		.amdhsa_reserve_vcc 1
		.amdhsa_reserve_flat_scratch 0
		.amdhsa_float_round_mode_32 0
		.amdhsa_float_round_mode_16_64 0
		.amdhsa_float_denorm_mode_32 3
		.amdhsa_float_denorm_mode_16_64 3
		.amdhsa_dx10_clamp 1
		.amdhsa_ieee_mode 1
		.amdhsa_fp16_overflow 0
		.amdhsa_workgroup_processor_mode 1
		.amdhsa_memory_ordered 1
		.amdhsa_forward_progress 1
		.amdhsa_shared_vgpr_count 0
		.amdhsa_exception_fp_ieee_invalid_op 0
		.amdhsa_exception_fp_denorm_src 0
		.amdhsa_exception_fp_ieee_div_zero 0
		.amdhsa_exception_fp_ieee_overflow 0
		.amdhsa_exception_fp_ieee_underflow 0
		.amdhsa_exception_fp_ieee_inexact 0
		.amdhsa_exception_int_div_zero 0
	.end_amdhsa_kernel
	.section	.text._ZN2at6native29vectorized_elementwise_kernelILi2EZZZNS0_19digamma_kernel_cudaERNS_18TensorIteratorBaseEENKUlvE_clEvENKUlvE2_clEvEUlN3c108BFloat16EE_St5arrayIPcLm2EEEEviT0_T1_,"axG",@progbits,_ZN2at6native29vectorized_elementwise_kernelILi2EZZZNS0_19digamma_kernel_cudaERNS_18TensorIteratorBaseEENKUlvE_clEvENKUlvE2_clEvEUlN3c108BFloat16EE_St5arrayIPcLm2EEEEviT0_T1_,comdat
.Lfunc_end35:
	.size	_ZN2at6native29vectorized_elementwise_kernelILi2EZZZNS0_19digamma_kernel_cudaERNS_18TensorIteratorBaseEENKUlvE_clEvENKUlvE2_clEvEUlN3c108BFloat16EE_St5arrayIPcLm2EEEEviT0_T1_, .Lfunc_end35-_ZN2at6native29vectorized_elementwise_kernelILi2EZZZNS0_19digamma_kernel_cudaERNS_18TensorIteratorBaseEENKUlvE_clEvENKUlvE2_clEvEUlN3c108BFloat16EE_St5arrayIPcLm2EEEEviT0_T1_
                                        ; -- End function
	.set _ZN2at6native29vectorized_elementwise_kernelILi2EZZZNS0_19digamma_kernel_cudaERNS_18TensorIteratorBaseEENKUlvE_clEvENKUlvE2_clEvEUlN3c108BFloat16EE_St5arrayIPcLm2EEEEviT0_T1_.num_vgpr, max(44, .L_ZN2at6native25elementwise_kernel_helperILb0EZZZNS0_19digamma_kernel_cudaERNS_18TensorIteratorBaseEENKUlvE_clEvENKUlvE2_clEvEUlN3c108BFloat16EE_NS0_6memory8policies11unroll_baseILi256ESt5arrayIPcLm2EE23TrivialOffsetCalculatorILi1EjESG_NS9_15LoadWithoutCastENS9_16StoreWithoutCastELi8ELi1EEEEEvT0_T1_.num_vgpr)
	.set _ZN2at6native29vectorized_elementwise_kernelILi2EZZZNS0_19digamma_kernel_cudaERNS_18TensorIteratorBaseEENKUlvE_clEvENKUlvE2_clEvEUlN3c108BFloat16EE_St5arrayIPcLm2EEEEviT0_T1_.num_agpr, max(0, .L_ZN2at6native25elementwise_kernel_helperILb0EZZZNS0_19digamma_kernel_cudaERNS_18TensorIteratorBaseEENKUlvE_clEvENKUlvE2_clEvEUlN3c108BFloat16EE_NS0_6memory8policies11unroll_baseILi256ESt5arrayIPcLm2EE23TrivialOffsetCalculatorILi1EjESG_NS9_15LoadWithoutCastENS9_16StoreWithoutCastELi8ELi1EEEEEvT0_T1_.num_agpr)
	.set _ZN2at6native29vectorized_elementwise_kernelILi2EZZZNS0_19digamma_kernel_cudaERNS_18TensorIteratorBaseEENKUlvE_clEvENKUlvE2_clEvEUlN3c108BFloat16EE_St5arrayIPcLm2EEEEviT0_T1_.numbered_sgpr, max(33, .L_ZN2at6native25elementwise_kernel_helperILb0EZZZNS0_19digamma_kernel_cudaERNS_18TensorIteratorBaseEENKUlvE_clEvENKUlvE2_clEvEUlN3c108BFloat16EE_NS0_6memory8policies11unroll_baseILi256ESt5arrayIPcLm2EE23TrivialOffsetCalculatorILi1EjESG_NS9_15LoadWithoutCastENS9_16StoreWithoutCastELi8ELi1EEEEEvT0_T1_.numbered_sgpr)
	.set _ZN2at6native29vectorized_elementwise_kernelILi2EZZZNS0_19digamma_kernel_cudaERNS_18TensorIteratorBaseEENKUlvE_clEvENKUlvE2_clEvEUlN3c108BFloat16EE_St5arrayIPcLm2EEEEviT0_T1_.num_named_barrier, max(0, .L_ZN2at6native25elementwise_kernel_helperILb0EZZZNS0_19digamma_kernel_cudaERNS_18TensorIteratorBaseEENKUlvE_clEvENKUlvE2_clEvEUlN3c108BFloat16EE_NS0_6memory8policies11unroll_baseILi256ESt5arrayIPcLm2EE23TrivialOffsetCalculatorILi1EjESG_NS9_15LoadWithoutCastENS9_16StoreWithoutCastELi8ELi1EEEEEvT0_T1_.num_named_barrier)
	.set _ZN2at6native29vectorized_elementwise_kernelILi2EZZZNS0_19digamma_kernel_cudaERNS_18TensorIteratorBaseEENKUlvE_clEvENKUlvE2_clEvEUlN3c108BFloat16EE_St5arrayIPcLm2EEEEviT0_T1_.private_seg_size, 0+max(.L_ZN2at6native25elementwise_kernel_helperILb0EZZZNS0_19digamma_kernel_cudaERNS_18TensorIteratorBaseEENKUlvE_clEvENKUlvE2_clEvEUlN3c108BFloat16EE_NS0_6memory8policies11unroll_baseILi256ESt5arrayIPcLm2EE23TrivialOffsetCalculatorILi1EjESG_NS9_15LoadWithoutCastENS9_16StoreWithoutCastELi8ELi1EEEEEvT0_T1_.private_seg_size)
	.set _ZN2at6native29vectorized_elementwise_kernelILi2EZZZNS0_19digamma_kernel_cudaERNS_18TensorIteratorBaseEENKUlvE_clEvENKUlvE2_clEvEUlN3c108BFloat16EE_St5arrayIPcLm2EEEEviT0_T1_.uses_vcc, or(1, .L_ZN2at6native25elementwise_kernel_helperILb0EZZZNS0_19digamma_kernel_cudaERNS_18TensorIteratorBaseEENKUlvE_clEvENKUlvE2_clEvEUlN3c108BFloat16EE_NS0_6memory8policies11unroll_baseILi256ESt5arrayIPcLm2EE23TrivialOffsetCalculatorILi1EjESG_NS9_15LoadWithoutCastENS9_16StoreWithoutCastELi8ELi1EEEEEvT0_T1_.uses_vcc)
	.set _ZN2at6native29vectorized_elementwise_kernelILi2EZZZNS0_19digamma_kernel_cudaERNS_18TensorIteratorBaseEENKUlvE_clEvENKUlvE2_clEvEUlN3c108BFloat16EE_St5arrayIPcLm2EEEEviT0_T1_.uses_flat_scratch, or(0, .L_ZN2at6native25elementwise_kernel_helperILb0EZZZNS0_19digamma_kernel_cudaERNS_18TensorIteratorBaseEENKUlvE_clEvENKUlvE2_clEvEUlN3c108BFloat16EE_NS0_6memory8policies11unroll_baseILi256ESt5arrayIPcLm2EE23TrivialOffsetCalculatorILi1EjESG_NS9_15LoadWithoutCastENS9_16StoreWithoutCastELi8ELi1EEEEEvT0_T1_.uses_flat_scratch)
	.set _ZN2at6native29vectorized_elementwise_kernelILi2EZZZNS0_19digamma_kernel_cudaERNS_18TensorIteratorBaseEENKUlvE_clEvENKUlvE2_clEvEUlN3c108BFloat16EE_St5arrayIPcLm2EEEEviT0_T1_.has_dyn_sized_stack, or(0, .L_ZN2at6native25elementwise_kernel_helperILb0EZZZNS0_19digamma_kernel_cudaERNS_18TensorIteratorBaseEENKUlvE_clEvENKUlvE2_clEvEUlN3c108BFloat16EE_NS0_6memory8policies11unroll_baseILi256ESt5arrayIPcLm2EE23TrivialOffsetCalculatorILi1EjESG_NS9_15LoadWithoutCastENS9_16StoreWithoutCastELi8ELi1EEEEEvT0_T1_.has_dyn_sized_stack)
	.set _ZN2at6native29vectorized_elementwise_kernelILi2EZZZNS0_19digamma_kernel_cudaERNS_18TensorIteratorBaseEENKUlvE_clEvENKUlvE2_clEvEUlN3c108BFloat16EE_St5arrayIPcLm2EEEEviT0_T1_.has_recursion, or(0, .L_ZN2at6native25elementwise_kernel_helperILb0EZZZNS0_19digamma_kernel_cudaERNS_18TensorIteratorBaseEENKUlvE_clEvENKUlvE2_clEvEUlN3c108BFloat16EE_NS0_6memory8policies11unroll_baseILi256ESt5arrayIPcLm2EE23TrivialOffsetCalculatorILi1EjESG_NS9_15LoadWithoutCastENS9_16StoreWithoutCastELi8ELi1EEEEEvT0_T1_.has_recursion)
	.set _ZN2at6native29vectorized_elementwise_kernelILi2EZZZNS0_19digamma_kernel_cudaERNS_18TensorIteratorBaseEENKUlvE_clEvENKUlvE2_clEvEUlN3c108BFloat16EE_St5arrayIPcLm2EEEEviT0_T1_.has_indirect_call, or(0, .L_ZN2at6native25elementwise_kernel_helperILb0EZZZNS0_19digamma_kernel_cudaERNS_18TensorIteratorBaseEENKUlvE_clEvENKUlvE2_clEvEUlN3c108BFloat16EE_NS0_6memory8policies11unroll_baseILi256ESt5arrayIPcLm2EE23TrivialOffsetCalculatorILi1EjESG_NS9_15LoadWithoutCastENS9_16StoreWithoutCastELi8ELi1EEEEEvT0_T1_.has_indirect_call)
	.section	.AMDGPU.csdata,"",@progbits
; Kernel info:
; codeLenInByte = 19788
; TotalNumSgprs: 35
; NumVgprs: 66
; ScratchSize: 0
; MemoryBound: 0
; FloatMode: 240
; IeeeMode: 1
; LDSByteSize: 0 bytes/workgroup (compile time only)
; SGPRBlocks: 0
; VGPRBlocks: 8
; NumSGPRsForWavesPerEU: 35
; NumVGPRsForWavesPerEU: 66
; Occupancy: 12
; WaveLimiterHint : 1
; COMPUTE_PGM_RSRC2:SCRATCH_EN: 0
; COMPUTE_PGM_RSRC2:USER_SGPR: 6
; COMPUTE_PGM_RSRC2:TRAP_HANDLER: 0
; COMPUTE_PGM_RSRC2:TGID_X_EN: 1
; COMPUTE_PGM_RSRC2:TGID_Y_EN: 0
; COMPUTE_PGM_RSRC2:TGID_Z_EN: 0
; COMPUTE_PGM_RSRC2:TIDIG_COMP_CNT: 0
	.section	.text._ZN2at6native27unrolled_elementwise_kernelIZZZNS0_19digamma_kernel_cudaERNS_18TensorIteratorBaseEENKUlvE_clEvENKUlvE2_clEvEUlN3c108BFloat16EE_St5arrayIPcLm2EELi4E23TrivialOffsetCalculatorILi1EjESD_NS0_6memory15LoadWithoutCastENSE_16StoreWithoutCastEEEviT_T0_T2_T3_T4_T5_,"axG",@progbits,_ZN2at6native27unrolled_elementwise_kernelIZZZNS0_19digamma_kernel_cudaERNS_18TensorIteratorBaseEENKUlvE_clEvENKUlvE2_clEvEUlN3c108BFloat16EE_St5arrayIPcLm2EELi4E23TrivialOffsetCalculatorILi1EjESD_NS0_6memory15LoadWithoutCastENSE_16StoreWithoutCastEEEviT_T0_T2_T3_T4_T5_,comdat
	.globl	_ZN2at6native27unrolled_elementwise_kernelIZZZNS0_19digamma_kernel_cudaERNS_18TensorIteratorBaseEENKUlvE_clEvENKUlvE2_clEvEUlN3c108BFloat16EE_St5arrayIPcLm2EELi4E23TrivialOffsetCalculatorILi1EjESD_NS0_6memory15LoadWithoutCastENSE_16StoreWithoutCastEEEviT_T0_T2_T3_T4_T5_ ; -- Begin function _ZN2at6native27unrolled_elementwise_kernelIZZZNS0_19digamma_kernel_cudaERNS_18TensorIteratorBaseEENKUlvE_clEvENKUlvE2_clEvEUlN3c108BFloat16EE_St5arrayIPcLm2EELi4E23TrivialOffsetCalculatorILi1EjESD_NS0_6memory15LoadWithoutCastENSE_16StoreWithoutCastEEEviT_T0_T2_T3_T4_T5_
	.p2align	8
	.type	_ZN2at6native27unrolled_elementwise_kernelIZZZNS0_19digamma_kernel_cudaERNS_18TensorIteratorBaseEENKUlvE_clEvENKUlvE2_clEvEUlN3c108BFloat16EE_St5arrayIPcLm2EELi4E23TrivialOffsetCalculatorILi1EjESD_NS0_6memory15LoadWithoutCastENSE_16StoreWithoutCastEEEviT_T0_T2_T3_T4_T5_,@function
_ZN2at6native27unrolled_elementwise_kernelIZZZNS0_19digamma_kernel_cudaERNS_18TensorIteratorBaseEENKUlvE_clEvENKUlvE2_clEvEUlN3c108BFloat16EE_St5arrayIPcLm2EELi4E23TrivialOffsetCalculatorILi1EjESD_NS0_6memory15LoadWithoutCastENSE_16StoreWithoutCastEEEviT_T0_T2_T3_T4_T5_: ; @_ZN2at6native27unrolled_elementwise_kernelIZZZNS0_19digamma_kernel_cudaERNS_18TensorIteratorBaseEENKUlvE_clEvENKUlvE2_clEvEUlN3c108BFloat16EE_St5arrayIPcLm2EELi4E23TrivialOffsetCalculatorILi1EjESD_NS0_6memory15LoadWithoutCastENSE_16StoreWithoutCastEEEviT_T0_T2_T3_T4_T5_
; %bb.0:
	s_clause 0x1
	s_load_dword s0, s[4:5], 0x0
	s_load_dwordx4 s[8:11], s[4:5], 0x8
	s_lshl_b32 s4, s6, 10
	v_mov_b32_e32 v13, 0
	v_mov_b32_e32 v12, 0
	v_or_b32_e32 v1, s4, v0
	v_or_b32_e32 v8, 0x100, v0
	v_mov_b32_e32 v2, v0
	s_waitcnt lgkmcnt(0)
	s_sub_i32 s5, s0, s4
	v_cmp_gt_i32_e64 s0, s5, v0
	s_and_saveexec_b32 s1, s0
	s_cbranch_execz .LBB36_2
; %bb.1:
	v_mov_b32_e32 v2, 0
	v_lshlrev_b64 v[2:3], 1, v[1:2]
	v_add_co_u32 v2, vcc_lo, s10, v2
	v_add_co_ci_u32_e64 v3, null, s11, v3, vcc_lo
	global_load_ushort v3, v[2:3], off
	v_or_b32_e32 v2, 0x100, v0
	s_waitcnt vmcnt(0)
	v_lshlrev_b32_e32 v12, 16, v3
.LBB36_2:
	s_or_b32 exec_lo, exec_lo, s1
	s_mov_b32 s1, exec_lo
	v_cmpx_gt_i32_e64 s5, v2
	s_cbranch_execz .LBB36_4
; %bb.3:
	v_add_nc_u32_e32 v3, s4, v2
	v_mov_b32_e32 v4, 0
	v_add_nc_u32_e32 v2, 0x100, v2
	v_lshlrev_b64 v[3:4], 1, v[3:4]
	v_add_co_u32 v3, vcc_lo, s10, v3
	v_add_co_ci_u32_e64 v4, null, s11, v4, vcc_lo
	global_load_ushort v3, v[3:4], off
	s_waitcnt vmcnt(0)
	v_lshlrev_b32_e32 v13, 16, v3
.LBB36_4:
	s_or_b32 exec_lo, exec_lo, s1
	v_mov_b32_e32 v9, 0
	v_mov_b32_e32 v11, 0
	s_mov_b32 s1, exec_lo
	v_cmpx_gt_i32_e64 s5, v2
	s_cbranch_execz .LBB36_8
; %bb.5:
	v_add_nc_u32_e32 v3, s4, v2
	v_mov_b32_e32 v4, 0
	v_add_nc_u32_e32 v2, 0x100, v2
	v_lshlrev_b64 v[3:4], 1, v[3:4]
	v_add_co_u32 v3, vcc_lo, s10, v3
	v_add_co_ci_u32_e64 v4, null, s11, v4, vcc_lo
	global_load_ushort v3, v[3:4], off
	s_waitcnt vmcnt(0)
	v_lshlrev_b32_e32 v11, 16, v3
	s_or_b32 exec_lo, exec_lo, s1
	s_mov_b32 s1, exec_lo
	v_cmpx_gt_i32_e64 s5, v2
	s_cbranch_execnz .LBB36_9
.LBB36_6:
	s_or_b32 exec_lo, exec_lo, s1
                                        ; implicit-def: $vgpr10
	s_and_saveexec_b32 s6, s0
	s_cbranch_execnz .LBB36_10
.LBB36_7:
	s_or_b32 exec_lo, exec_lo, s6
	s_mov_b32 s6, exec_lo
                                        ; implicit-def: $vgpr12
	v_cmpx_gt_i32_e64 s5, v8
	s_cbranch_execz .LBB36_60
	s_branch .LBB36_35
.LBB36_8:
	s_or_b32 exec_lo, exec_lo, s1
	s_mov_b32 s1, exec_lo
	v_cmpx_gt_i32_e64 s5, v2
	s_cbranch_execz .LBB36_6
.LBB36_9:
	v_add_nc_u32_e32 v2, s4, v2
	v_mov_b32_e32 v3, 0
	v_lshlrev_b64 v[2:3], 1, v[2:3]
	v_add_co_u32 v2, vcc_lo, s10, v2
	v_add_co_ci_u32_e64 v3, null, s11, v3, vcc_lo
	global_load_ushort v2, v[2:3], off
	s_waitcnt vmcnt(0)
	v_lshlrev_b32_e32 v9, 16, v2
	s_or_b32 exec_lo, exec_lo, s1
                                        ; implicit-def: $vgpr10
	s_and_saveexec_b32 s6, s0
	s_cbranch_execz .LBB36_7
.LBB36_10:
                                        ; implicit-def: $vgpr10
	s_mov_b32 s1, exec_lo
	v_cmpx_neq_f32_e32 0, v12
	s_xor_b32 s7, exec_lo, s1
	s_cbranch_execz .LBB36_32
; %bb.11:
	v_mov_b32_e32 v2, 0
	s_mov_b32 s1, -1
	s_mov_b32 s10, exec_lo
	v_cmpx_gt_f32_e32 0, v12
	s_cbranch_execz .LBB36_19
; %bb.12:
	v_trunc_f32_e32 v2, v12
	s_mov_b32 s2, 0
	v_cmp_neq_f32_e32 vcc_lo, v2, v12
	v_mov_b32_e32 v2, 0
	s_and_saveexec_b32 s11, vcc_lo
	s_cbranch_execz .LBB36_18
; %bb.13:
	v_cvt_f64_f32_e32 v[2:3], v12
	s_mov_b32 s3, 0xc00921fb
	s_mov_b32 s2, 0x54442d18
                                        ; implicit-def: $vgpr10
                                        ; implicit-def: $vgpr6_vgpr7
	v_trunc_f64_e32 v[4:5], v[2:3]
	v_cmp_neq_f64_e64 vcc_lo, 0x7ff00000, |v[2:3]|
	v_add_f64 v[4:5], v[2:3], -v[4:5]
	v_mul_f64 v[4:5], |v[4:5]|, s[2:3]
	v_cndmask_b32_e32 v3, 0x80000000, v5, vcc_lo
	v_cndmask_b32_e32 v2, 0, v4, vcc_lo
                                        ; implicit-def: $vgpr4_vgpr5
	v_cmp_ngt_f64_e64 s1, 0x41d00000, |v[2:3]|
	s_and_saveexec_b32 s3, s1
	s_xor_b32 s1, exec_lo, s3
	s_cbranch_execz .LBB36_15
; %bb.14:
	v_ldexp_f64 v[4:5], |v[2:3]|, 0xffffff80
	v_cmp_le_f64_e64 vcc_lo, 0x7b000000, |v[2:3]|
	v_trig_preop_f64 v[6:7], |v[2:3]|, 0
	v_and_b32_e32 v10, 0x7fffffff, v3
	v_trig_preop_f64 v[14:15], |v[2:3]|, 1
	v_trig_preop_f64 v[24:25], |v[2:3]|, 2
	v_mov_b32_e32 v32, 0
	s_mov_b32 s3, 0x3ff921fb
	s_mov_b32 s12, 0x33145c07
	;; [unrolled: 1-line block ×3, first 2 shown]
	v_cndmask_b32_e32 v5, v10, v5, vcc_lo
	v_cndmask_b32_e32 v4, v2, v4, vcc_lo
	v_mul_f64 v[16:17], v[6:7], v[4:5]
	v_mul_f64 v[18:19], v[14:15], v[4:5]
	;; [unrolled: 1-line block ×3, first 2 shown]
	v_fma_f64 v[6:7], v[6:7], v[4:5], -v[16:17]
	v_fma_f64 v[14:15], v[14:15], v[4:5], -v[18:19]
	;; [unrolled: 1-line block ×3, first 2 shown]
	v_add_f64 v[20:21], v[18:19], v[6:7]
	v_add_f64 v[22:23], v[20:21], -v[18:19]
	v_add_f64 v[28:29], v[16:17], v[20:21]
	v_add_f64 v[26:27], v[20:21], -v[22:23]
	v_add_f64 v[6:7], v[6:7], -v[22:23]
	v_ldexp_f64 v[22:23], v[28:29], -2
	v_add_f64 v[16:17], v[28:29], -v[16:17]
	v_add_f64 v[18:19], v[18:19], -v[26:27]
	v_add_f64 v[26:27], v[30:31], v[14:15]
	v_cmp_neq_f64_e64 vcc_lo, 0x7ff00000, |v[22:23]|
	v_add_f64 v[16:17], v[20:21], -v[16:17]
	v_add_f64 v[6:7], v[6:7], v[18:19]
	v_fract_f64_e32 v[18:19], v[22:23]
	v_add_f64 v[20:21], v[26:27], v[6:7]
	v_ldexp_f64 v[18:19], v[18:19], 2
	v_add_f64 v[22:23], v[16:17], v[20:21]
	v_cndmask_b32_e32 v19, 0, v19, vcc_lo
	v_cndmask_b32_e32 v18, 0, v18, vcc_lo
	v_add_f64 v[28:29], v[22:23], v[18:19]
	v_add_f64 v[16:17], v[22:23], -v[16:17]
	v_cmp_gt_f64_e32 vcc_lo, 0, v[28:29]
	v_add_f64 v[28:29], v[26:27], -v[30:31]
	v_add_f64 v[16:17], v[20:21], -v[16:17]
	v_cndmask_b32_e64 v33, 0, 0x40100000, vcc_lo
	v_add_f64 v[37:38], v[26:27], -v[28:29]
	v_add_f64 v[14:15], v[14:15], -v[28:29]
	v_add_f64 v[18:19], v[18:19], v[32:33]
	v_add_f64 v[33:34], v[20:21], -v[26:27]
	v_add_f64 v[28:29], v[30:31], -v[37:38]
	v_add_f64 v[35:36], v[22:23], v[18:19]
	;; [unrolled: 3-line block ×3, first 2 shown]
	v_cvt_i32_f64_e32 v10, v[35:36]
	v_add_f64 v[26:27], v[26:27], -v[39:40]
	v_cvt_f64_i32_e32 v[33:34], v10
	v_add_f64 v[6:7], v[6:7], v[26:27]
	v_add_f64 v[18:19], v[18:19], -v[33:34]
	v_add_f64 v[6:7], v[14:15], v[6:7]
	v_add_f64 v[14:15], v[22:23], v[18:19]
	;; [unrolled: 1-line block ×3, first 2 shown]
	v_add_f64 v[6:7], v[14:15], -v[18:19]
	v_cmp_le_f64_e32 vcc_lo, 0.5, v[14:15]
	v_add_f64 v[4:5], v[16:17], v[4:5]
	v_add_f64 v[6:7], v[22:23], -v[6:7]
	v_cndmask_b32_e64 v33, 0, 0x3ff00000, vcc_lo
	v_add_co_ci_u32_e64 v10, null, 0, v10, vcc_lo
	v_add_f64 v[4:5], v[4:5], v[6:7]
	v_add_f64 v[6:7], v[14:15], -v[32:33]
	v_add_f64 v[14:15], v[6:7], v[4:5]
	v_mul_f64 v[16:17], v[14:15], s[2:3]
	v_add_f64 v[6:7], v[14:15], -v[6:7]
	v_fma_f64 v[18:19], v[14:15], s[2:3], -v[16:17]
	v_add_f64 v[4:5], v[4:5], -v[6:7]
	v_fma_f64 v[6:7], v[14:15], s[12:13], v[18:19]
	v_fma_f64 v[6:7], v[4:5], s[2:3], v[6:7]
	v_add_f64 v[4:5], v[16:17], v[6:7]
	v_add_f64 v[14:15], v[4:5], -v[16:17]
	v_add_f64 v[6:7], v[6:7], -v[14:15]
.LBB36_15:
	s_andn2_saveexec_b32 s1, s1
	s_cbranch_execz .LBB36_17
; %bb.16:
	s_mov_b32 s2, 0x6dc9c883
	s_mov_b32 s3, 0x3fe45f30
	;; [unrolled: 1-line block ×3, first 2 shown]
	v_mul_f64 v[4:5], |v[2:3]|, s[2:3]
	s_mov_b32 s2, 0x54442d18
	s_mov_b32 s3, 0xbff921fb
	;; [unrolled: 1-line block ×3, first 2 shown]
	v_rndne_f64_e32 v[14:15], v[4:5]
	v_fma_f64 v[4:5], v[14:15], s[2:3], |v[2:3]|
	v_mul_f64 v[6:7], v[14:15], s[12:13]
	s_mov_b32 s2, 0x252049c0
	s_mov_b32 s3, 0xb97b839a
	v_cvt_i32_f64_e32 v10, v[14:15]
	v_fma_f64 v[18:19], v[14:15], s[12:13], v[4:5]
	v_add_f64 v[16:17], v[4:5], v[6:7]
	s_mov_b32 s13, 0x3c91a626
	v_add_f64 v[4:5], v[4:5], -v[16:17]
	v_add_f64 v[16:17], v[16:17], -v[18:19]
	v_add_f64 v[4:5], v[4:5], v[6:7]
	v_fma_f64 v[6:7], v[14:15], s[12:13], v[6:7]
	v_add_f64 v[4:5], v[16:17], v[4:5]
	v_add_f64 v[4:5], v[4:5], -v[6:7]
	v_fma_f64 v[6:7], v[14:15], s[2:3], v[4:5]
	v_add_f64 v[4:5], v[18:19], v[6:7]
	v_add_f64 v[16:17], v[4:5], -v[18:19]
	v_add_f64 v[6:7], v[6:7], -v[16:17]
.LBB36_17:
	s_or_b32 exec_lo, exec_lo, s1
	v_mul_f64 v[14:15], v[4:5], v[4:5]
	v_add_f64 v[16:17], v[6:7], v[6:7]
	s_mov_b32 s12, 0xa9a29f71
	s_mov_b32 s14, 0xc751c08c
	;; [unrolled: 1-line block ×4, first 2 shown]
	v_cmp_class_f64_e64 s1, v[2:3], 0x1f8
	v_and_b32_e32 v10, 1, v10
	v_and_b32_e32 v3, 0x80000000, v3
	v_sub_f32_e32 v12, 1.0, v12
	s_mov_b32 s2, exec_lo
	v_cmp_eq_u32_e32 vcc_lo, 0, v10
	v_fma_f64 v[18:19], v[4:5], v[4:5], -v[14:15]
	v_fma_f64 v[16:17], v[4:5], v[16:17], v[18:19]
	v_add_f64 v[14:15], v[14:15], v[16:17]
	v_fma_f64 v[16:17], v[14:15], s[14:15], s[12:13]
	s_mov_b32 s12, 0x90a8aae0
	s_mov_b32 s13, 0x3f17746f
	v_fma_f64 v[16:17], v[14:15], v[16:17], s[12:13]
	s_mov_b32 s12, 0xa6fbf144
	s_mov_b32 s13, 0xbefbb44d
	v_fma_f64 v[16:17], v[14:15], v[16:17], s[12:13]
	s_mov_b32 s12, 0xa7943acf
	s_mov_b32 s13, 0x3f21e634
	v_fma_f64 v[16:17], v[14:15], v[16:17], s[12:13]
	s_mov_b32 s12, 0xdeb68feb
	s_mov_b32 s13, 0x3f2d250f
	v_fma_f64 v[16:17], v[14:15], v[16:17], s[12:13]
	s_mov_b32 s12, 0xb58c4d95
	s_mov_b32 s13, 0x3f437fd9
	v_fma_f64 v[16:17], v[14:15], v[16:17], s[12:13]
	s_mov_b32 s12, 0x15120e2c
	s_mov_b32 s13, 0x3f57d5af
	v_fma_f64 v[16:17], v[14:15], v[16:17], s[12:13]
	s_mov_b32 s12, 0xe09491df
	s_mov_b32 s13, 0x3f6d6d93
	v_fma_f64 v[16:17], v[14:15], v[16:17], s[12:13]
	s_mov_b32 s12, 0x2033784d
	s_mov_b32 s13, 0x3f8226e1
	v_fma_f64 v[16:17], v[14:15], v[16:17], s[12:13]
	s_mov_b32 s12, 0x9ac36ae2
	s_mov_b32 s13, 0x3f9664f4
	v_fma_f64 v[16:17], v[14:15], v[16:17], s[12:13]
	s_mov_b32 s12, 0x1b451c21
	s_mov_b32 s13, 0x3faba1ba
	v_fma_f64 v[16:17], v[14:15], v[16:17], s[12:13]
	s_mov_b32 s12, 0x111185b7
	s_mov_b32 s13, 0x3fc11111
	v_fma_f64 v[16:17], v[14:15], v[16:17], s[12:13]
	s_mov_b32 s12, 0x555554ee
	s_mov_b32 s13, 0x3fd55555
	v_fma_f64 v[16:17], v[14:15], v[16:17], s[12:13]
	s_mov_b32 s12, 0x54442d18
	s_mov_b32 s13, 0xc00921fb
	v_mul_f64 v[14:15], v[14:15], v[16:17]
	v_mul_f64 v[16:17], v[4:5], v[14:15]
	v_add_f64 v[18:19], v[4:5], v[16:17]
	v_fma_f64 v[14:15], v[4:5], v[14:15], -v[16:17]
	v_add_f64 v[4:5], v[18:19], -v[4:5]
	v_add_f64 v[6:7], v[6:7], v[14:15]
	v_add_f64 v[4:5], v[16:17], -v[4:5]
	v_add_f64 v[4:5], v[6:7], v[4:5]
	v_add_f64 v[6:7], v[18:19], v[4:5]
	v_rcp_f64_e32 v[14:15], v[6:7]
	v_fma_f64 v[16:17], -v[6:7], v[14:15], 1.0
	v_fma_f64 v[14:15], v[16:17], v[14:15], v[14:15]
	v_fma_f64 v[16:17], -v[6:7], v[14:15], 1.0
	v_fma_f64 v[14:15], v[16:17], v[14:15], v[14:15]
	v_add_f64 v[16:17], v[6:7], -v[18:19]
	v_mul_f64 v[18:19], v[6:7], v[14:15]
	v_add_f64 v[4:5], v[4:5], -v[16:17]
	v_fma_f64 v[16:17], v[14:15], v[6:7], -v[18:19]
	v_fma_f64 v[4:5], v[14:15], v[4:5], v[16:17]
	v_add_f64 v[16:17], v[18:19], v[4:5]
	v_add_f64 v[20:21], -v[16:17], 1.0
	v_add_f64 v[18:19], v[16:17], -v[18:19]
	v_add_f64 v[22:23], -v[20:21], 1.0
	v_add_f64 v[4:5], v[18:19], -v[4:5]
	v_add_f64 v[16:17], v[22:23], -v[16:17]
	v_add_f64 v[4:5], v[4:5], v[16:17]
	v_add_f64 v[4:5], v[20:21], v[4:5]
	v_mul_f64 v[4:5], v[14:15], v[4:5]
	v_add_f64 v[4:5], v[14:15], v[4:5]
	v_xor_b32_e32 v2, 0x80000000, v5
	v_cndmask_b32_e32 v4, v4, v6, vcc_lo
	v_cndmask_b32_e32 v2, v2, v7, vcc_lo
	v_xor_b32_e32 v3, v2, v3
	v_cndmask_b32_e64 v2, 0, v4, s1
	v_cndmask_b32_e64 v3, 0x7ff80000, v3, s1
	v_div_scale_f64 v[4:5], null, v[2:3], v[2:3], s[12:13]
	v_rcp_f64_e32 v[6:7], v[4:5]
	v_fma_f64 v[14:15], -v[4:5], v[6:7], 1.0
	v_fma_f64 v[6:7], v[6:7], v[14:15], v[6:7]
	v_fma_f64 v[14:15], -v[4:5], v[6:7], 1.0
	v_fma_f64 v[6:7], v[6:7], v[14:15], v[6:7]
	v_div_scale_f64 v[14:15], vcc_lo, s[12:13], v[2:3], s[12:13]
	v_mul_f64 v[16:17], v[14:15], v[6:7]
	v_fma_f64 v[4:5], -v[4:5], v[16:17], v[14:15]
	v_div_fmas_f64 v[4:5], v[4:5], v[6:7], v[16:17]
	v_div_fixup_f64 v[2:3], v[4:5], v[2:3], s[12:13]
	v_cvt_f32_f64_e32 v2, v[2:3]
.LBB36_18:
	s_or_b32 exec_lo, exec_lo, s11
	s_orn2_b32 s1, s2, exec_lo
.LBB36_19:
	s_or_b32 exec_lo, exec_lo, s10
	v_mov_b32_e32 v10, 0x7fc0
	s_and_saveexec_b32 s2, s1
	s_cbranch_execz .LBB36_31
; %bb.20:
	s_mov_b32 s1, exec_lo
	v_cmpx_gt_f32_e32 0x41200000, v12
	s_cbranch_execz .LBB36_24
; %bb.21:
	s_mov_b32 s3, 0
	.p2align	6
.LBB36_22:                              ; =>This Inner Loop Header: Depth=1
	v_div_scale_f32 v3, null, v12, v12, 1.0
	v_div_scale_f32 v6, vcc_lo, 1.0, v12, 1.0
	v_rcp_f32_e32 v4, v3
	v_fma_f32 v5, -v3, v4, 1.0
	v_fmac_f32_e32 v4, v5, v4
	v_mul_f32_e32 v5, v6, v4
	v_fma_f32 v7, -v3, v5, v6
	v_fmac_f32_e32 v5, v7, v4
	v_fma_f32 v3, -v3, v5, v6
	v_div_fmas_f32 v3, v3, v4, v5
	v_div_fixup_f32 v3, v3, v12, 1.0
	v_add_f32_e32 v12, 1.0, v12
	v_sub_f32_e32 v2, v2, v3
	v_cmp_ngt_f32_e32 vcc_lo, 0x41200000, v12
	s_or_b32 s3, vcc_lo, s3
	s_andn2_b32 exec_lo, exec_lo, s3
	s_cbranch_execnz .LBB36_22
; %bb.23:
	s_or_b32 exec_lo, exec_lo, s3
.LBB36_24:
	s_or_b32 exec_lo, exec_lo, s1
                                        ; implicit-def: $vgpr10
	s_mov_b32 s1, exec_lo
	v_cmpx_neq_f32_e32 0x41200000, v12
	s_xor_b32 s3, exec_lo, s1
	s_cbranch_execz .LBB36_28
; %bb.25:
	v_cvt_f64_f32_e32 v[3:4], v12
	s_mov_b32 s10, 0x85d8a000
	s_mov_b32 s11, 0x43763457
	v_cmp_gt_f64_e32 vcc_lo, s[10:11], v[3:4]
	v_mov_b32_e32 v3, 0
	s_and_saveexec_b32 s1, vcc_lo
	s_cbranch_execz .LBB36_27
; %bb.26:
	v_mul_f32_e32 v3, v12, v12
	v_div_scale_f32 v4, null, v3, v3, 1.0
	v_rcp_f32_e32 v5, v4
	v_fma_f32 v6, -v4, v5, 1.0
	v_fmac_f32_e32 v5, v6, v5
	v_div_scale_f32 v6, vcc_lo, 1.0, v3, 1.0
	v_mul_f32_e32 v7, v6, v5
	v_fma_f32 v10, -v4, v7, v6
	v_fmac_f32_e32 v7, v10, v5
	v_fma_f32 v4, -v4, v7, v6
	v_div_fmas_f32 v4, v4, v5, v7
	v_div_fixup_f32 v3, v4, v3, 1.0
	v_fmaak_f32 v4, 0, v3, 0x3daaaaab
	v_fmaak_f32 v4, v3, v4, 0xbcaccacd
	;; [unrolled: 1-line block ×7, first 2 shown]
	v_mul_f32_e32 v3, v3, v4
.LBB36_27:
	s_or_b32 exec_lo, exec_lo, s1
	v_cmp_gt_f32_e32 vcc_lo, 0x800000, v12
	v_div_scale_f32 v4, null, v12, v12, -0.5
	v_div_scale_f32 v10, s1, -0.5, v12, -0.5
	v_cndmask_b32_e64 v5, 0, 32, vcc_lo
	v_rcp_f32_e32 v6, v4
	v_ldexp_f32 v5, v12, v5
	v_log_f32_e32 v5, v5
	v_fma_f32 v7, -v4, v6, 1.0
	v_fmac_f32_e32 v6, v7, v6
	v_mul_f32_e32 v7, 0x3f317217, v5
	v_mul_f32_e32 v14, v10, v6
	v_fma_f32 v7, 0x3f317217, v5, -v7
	v_fma_f32 v15, -v4, v14, v10
	v_fmamk_f32 v7, v5, 0x3377d1cf, v7
	v_fmac_f32_e32 v14, v15, v6
	v_cndmask_b32_e64 v15, 0, 0x41b17218, vcc_lo
	v_cmp_gt_f32_e64 vcc_lo, 0x7f800000, |v5|
	v_fmac_f32_e32 v7, 0x3f317217, v5
	v_fma_f32 v4, -v4, v14, v10
	v_cndmask_b32_e32 v5, v5, v7, vcc_lo
	s_mov_b32 vcc_lo, s1
	v_div_fmas_f32 v4, v4, v6, v14
	v_sub_f32_e32 v5, v5, v15
	v_div_fixup_f32 v4, v4, v12, -0.5
	v_add_f32_e32 v4, v5, v4
	v_sub_f32_e32 v3, v4, v3
	v_add_f32_e32 v2, v2, v3
	v_bfe_u32 v3, v2, 16, 1
	v_cmp_o_f32_e32 vcc_lo, v2, v2
	v_add3_u32 v2, v2, v3, 0x7fff
	v_mov_b32_e32 v3, 0x7fc0
	v_cndmask_b32_sdwa v10, v3, v2, vcc_lo dst_sel:DWORD dst_unused:UNUSED_PAD src0_sel:DWORD src1_sel:WORD_1
                                        ; implicit-def: $vgpr2
.LBB36_28:
	s_andn2_saveexec_b32 s1, s3
; %bb.29:
	v_add_f32_e32 v2, 0x40101cb7, v2
	v_bfe_u32 v3, v2, 16, 1
	v_cmp_o_f32_e32 vcc_lo, v2, v2
	v_add3_u32 v2, v2, v3, 0x7fff
	v_mov_b32_e32 v3, 0x7fc0
	v_cndmask_b32_sdwa v10, v3, v2, vcc_lo dst_sel:DWORD dst_unused:UNUSED_PAD src0_sel:DWORD src1_sel:WORD_1
; %bb.30:
	s_or_b32 exec_lo, exec_lo, s1
.LBB36_31:
	s_or_b32 exec_lo, exec_lo, s2
                                        ; implicit-def: $vgpr12
.LBB36_32:
	s_andn2_saveexec_b32 s1, s7
; %bb.33:
	v_xor_b32_e32 v2, 0x80000000, v12
	s_mov_b32 s2, 0x7f800000
	v_and_or_b32 v2, 0x80000000, v2, s2
	v_lshrrev_b32_e32 v10, 16, v2
; %bb.34:
	s_or_b32 exec_lo, exec_lo, s1
	s_or_b32 exec_lo, exec_lo, s6
	s_mov_b32 s6, exec_lo
                                        ; implicit-def: $vgpr12
	v_cmpx_gt_i32_e64 s5, v8
	s_cbranch_execz .LBB36_60
.LBB36_35:
                                        ; implicit-def: $vgpr12
	s_mov_b32 s1, exec_lo
	v_cmpx_neq_f32_e32 0, v13
	s_xor_b32 s7, exec_lo, s1
	s_cbranch_execz .LBB36_57
; %bb.36:
	v_mov_b32_e32 v2, 0
	s_mov_b32 s1, -1
	s_mov_b32 s10, exec_lo
	v_cmpx_gt_f32_e32 0, v13
	s_cbranch_execz .LBB36_44
; %bb.37:
	v_trunc_f32_e32 v2, v13
	s_mov_b32 s2, 0
	v_cmp_neq_f32_e32 vcc_lo, v2, v13
	v_mov_b32_e32 v2, 0
	s_and_saveexec_b32 s11, vcc_lo
	s_cbranch_execz .LBB36_43
; %bb.38:
	v_cvt_f64_f32_e32 v[2:3], v13
	s_mov_b32 s3, 0xc00921fb
	s_mov_b32 s2, 0x54442d18
                                        ; implicit-def: $vgpr12
                                        ; implicit-def: $vgpr6_vgpr7
	v_trunc_f64_e32 v[4:5], v[2:3]
	v_cmp_neq_f64_e64 vcc_lo, 0x7ff00000, |v[2:3]|
	v_add_f64 v[4:5], v[2:3], -v[4:5]
	v_mul_f64 v[4:5], |v[4:5]|, s[2:3]
	v_cndmask_b32_e32 v3, 0x80000000, v5, vcc_lo
	v_cndmask_b32_e32 v2, 0, v4, vcc_lo
                                        ; implicit-def: $vgpr4_vgpr5
	v_cmp_ngt_f64_e64 s1, 0x41d00000, |v[2:3]|
	s_and_saveexec_b32 s3, s1
	s_xor_b32 s1, exec_lo, s3
	s_cbranch_execz .LBB36_40
; %bb.39:
	v_ldexp_f64 v[4:5], |v[2:3]|, 0xffffff80
	v_cmp_le_f64_e64 vcc_lo, 0x7b000000, |v[2:3]|
	v_trig_preop_f64 v[6:7], |v[2:3]|, 0
	v_and_b32_e32 v12, 0x7fffffff, v3
	v_trig_preop_f64 v[14:15], |v[2:3]|, 1
	v_trig_preop_f64 v[24:25], |v[2:3]|, 2
	v_mov_b32_e32 v32, 0
	s_mov_b32 s3, 0x3ff921fb
	s_mov_b32 s12, 0x33145c07
	;; [unrolled: 1-line block ×3, first 2 shown]
	v_cndmask_b32_e32 v5, v12, v5, vcc_lo
	v_cndmask_b32_e32 v4, v2, v4, vcc_lo
	v_mul_f64 v[16:17], v[6:7], v[4:5]
	v_mul_f64 v[18:19], v[14:15], v[4:5]
	;; [unrolled: 1-line block ×3, first 2 shown]
	v_fma_f64 v[6:7], v[6:7], v[4:5], -v[16:17]
	v_fma_f64 v[14:15], v[14:15], v[4:5], -v[18:19]
	;; [unrolled: 1-line block ×3, first 2 shown]
	v_add_f64 v[20:21], v[18:19], v[6:7]
	v_add_f64 v[22:23], v[20:21], -v[18:19]
	v_add_f64 v[28:29], v[16:17], v[20:21]
	v_add_f64 v[26:27], v[20:21], -v[22:23]
	v_add_f64 v[6:7], v[6:7], -v[22:23]
	v_ldexp_f64 v[22:23], v[28:29], -2
	v_add_f64 v[16:17], v[28:29], -v[16:17]
	v_add_f64 v[18:19], v[18:19], -v[26:27]
	v_add_f64 v[26:27], v[30:31], v[14:15]
	v_cmp_neq_f64_e64 vcc_lo, 0x7ff00000, |v[22:23]|
	v_add_f64 v[16:17], v[20:21], -v[16:17]
	v_add_f64 v[6:7], v[6:7], v[18:19]
	v_fract_f64_e32 v[18:19], v[22:23]
	v_add_f64 v[20:21], v[26:27], v[6:7]
	v_ldexp_f64 v[18:19], v[18:19], 2
	v_add_f64 v[22:23], v[16:17], v[20:21]
	v_cndmask_b32_e32 v19, 0, v19, vcc_lo
	v_cndmask_b32_e32 v18, 0, v18, vcc_lo
	v_add_f64 v[28:29], v[22:23], v[18:19]
	v_add_f64 v[16:17], v[22:23], -v[16:17]
	v_cmp_gt_f64_e32 vcc_lo, 0, v[28:29]
	v_add_f64 v[28:29], v[26:27], -v[30:31]
	v_add_f64 v[16:17], v[20:21], -v[16:17]
	v_cndmask_b32_e64 v33, 0, 0x40100000, vcc_lo
	v_add_f64 v[37:38], v[26:27], -v[28:29]
	v_add_f64 v[14:15], v[14:15], -v[28:29]
	v_add_f64 v[18:19], v[18:19], v[32:33]
	v_add_f64 v[33:34], v[20:21], -v[26:27]
	v_add_f64 v[28:29], v[30:31], -v[37:38]
	v_add_f64 v[35:36], v[22:23], v[18:19]
	;; [unrolled: 3-line block ×3, first 2 shown]
	v_cvt_i32_f64_e32 v12, v[35:36]
	v_add_f64 v[26:27], v[26:27], -v[39:40]
	v_cvt_f64_i32_e32 v[33:34], v12
	v_add_f64 v[6:7], v[6:7], v[26:27]
	v_add_f64 v[18:19], v[18:19], -v[33:34]
	v_add_f64 v[6:7], v[14:15], v[6:7]
	v_add_f64 v[14:15], v[22:23], v[18:19]
	;; [unrolled: 1-line block ×3, first 2 shown]
	v_add_f64 v[6:7], v[14:15], -v[18:19]
	v_cmp_le_f64_e32 vcc_lo, 0.5, v[14:15]
	v_add_f64 v[4:5], v[16:17], v[4:5]
	v_add_f64 v[6:7], v[22:23], -v[6:7]
	v_cndmask_b32_e64 v33, 0, 0x3ff00000, vcc_lo
	v_add_co_ci_u32_e64 v12, null, 0, v12, vcc_lo
	v_add_f64 v[4:5], v[4:5], v[6:7]
	v_add_f64 v[6:7], v[14:15], -v[32:33]
	v_add_f64 v[14:15], v[6:7], v[4:5]
	v_mul_f64 v[16:17], v[14:15], s[2:3]
	v_add_f64 v[6:7], v[14:15], -v[6:7]
	v_fma_f64 v[18:19], v[14:15], s[2:3], -v[16:17]
	v_add_f64 v[4:5], v[4:5], -v[6:7]
	v_fma_f64 v[6:7], v[14:15], s[12:13], v[18:19]
	v_fma_f64 v[6:7], v[4:5], s[2:3], v[6:7]
	v_add_f64 v[4:5], v[16:17], v[6:7]
	v_add_f64 v[14:15], v[4:5], -v[16:17]
	v_add_f64 v[6:7], v[6:7], -v[14:15]
.LBB36_40:
	s_andn2_saveexec_b32 s1, s1
	s_cbranch_execz .LBB36_42
; %bb.41:
	s_mov_b32 s2, 0x6dc9c883
	s_mov_b32 s3, 0x3fe45f30
	;; [unrolled: 1-line block ×3, first 2 shown]
	v_mul_f64 v[4:5], |v[2:3]|, s[2:3]
	s_mov_b32 s2, 0x54442d18
	s_mov_b32 s3, 0xbff921fb
	;; [unrolled: 1-line block ×3, first 2 shown]
	v_rndne_f64_e32 v[14:15], v[4:5]
	v_fma_f64 v[4:5], v[14:15], s[2:3], |v[2:3]|
	v_mul_f64 v[6:7], v[14:15], s[12:13]
	s_mov_b32 s2, 0x252049c0
	s_mov_b32 s3, 0xb97b839a
	v_cvt_i32_f64_e32 v12, v[14:15]
	v_fma_f64 v[18:19], v[14:15], s[12:13], v[4:5]
	v_add_f64 v[16:17], v[4:5], v[6:7]
	s_mov_b32 s13, 0x3c91a626
	v_add_f64 v[4:5], v[4:5], -v[16:17]
	v_add_f64 v[16:17], v[16:17], -v[18:19]
	v_add_f64 v[4:5], v[4:5], v[6:7]
	v_fma_f64 v[6:7], v[14:15], s[12:13], v[6:7]
	v_add_f64 v[4:5], v[16:17], v[4:5]
	v_add_f64 v[4:5], v[4:5], -v[6:7]
	v_fma_f64 v[6:7], v[14:15], s[2:3], v[4:5]
	v_add_f64 v[4:5], v[18:19], v[6:7]
	v_add_f64 v[16:17], v[4:5], -v[18:19]
	v_add_f64 v[6:7], v[6:7], -v[16:17]
.LBB36_42:
	s_or_b32 exec_lo, exec_lo, s1
	v_mul_f64 v[14:15], v[4:5], v[4:5]
	v_add_f64 v[16:17], v[6:7], v[6:7]
	s_mov_b32 s12, 0xa9a29f71
	s_mov_b32 s14, 0xc751c08c
	;; [unrolled: 1-line block ×4, first 2 shown]
	v_cmp_class_f64_e64 s1, v[2:3], 0x1f8
	v_and_b32_e32 v12, 1, v12
	v_and_b32_e32 v3, 0x80000000, v3
	v_sub_f32_e32 v13, 1.0, v13
	s_mov_b32 s2, exec_lo
	v_cmp_eq_u32_e32 vcc_lo, 0, v12
	v_fma_f64 v[18:19], v[4:5], v[4:5], -v[14:15]
	v_fma_f64 v[16:17], v[4:5], v[16:17], v[18:19]
	v_add_f64 v[14:15], v[14:15], v[16:17]
	v_fma_f64 v[16:17], v[14:15], s[14:15], s[12:13]
	s_mov_b32 s12, 0x90a8aae0
	s_mov_b32 s13, 0x3f17746f
	v_fma_f64 v[16:17], v[14:15], v[16:17], s[12:13]
	s_mov_b32 s12, 0xa6fbf144
	s_mov_b32 s13, 0xbefbb44d
	;; [unrolled: 3-line block ×13, first 2 shown]
	v_mul_f64 v[14:15], v[14:15], v[16:17]
	v_mul_f64 v[16:17], v[4:5], v[14:15]
	v_add_f64 v[18:19], v[4:5], v[16:17]
	v_fma_f64 v[14:15], v[4:5], v[14:15], -v[16:17]
	v_add_f64 v[4:5], v[18:19], -v[4:5]
	v_add_f64 v[6:7], v[6:7], v[14:15]
	v_add_f64 v[4:5], v[16:17], -v[4:5]
	v_add_f64 v[4:5], v[6:7], v[4:5]
	v_add_f64 v[6:7], v[18:19], v[4:5]
	v_rcp_f64_e32 v[14:15], v[6:7]
	v_fma_f64 v[16:17], -v[6:7], v[14:15], 1.0
	v_fma_f64 v[14:15], v[16:17], v[14:15], v[14:15]
	v_fma_f64 v[16:17], -v[6:7], v[14:15], 1.0
	v_fma_f64 v[14:15], v[16:17], v[14:15], v[14:15]
	v_add_f64 v[16:17], v[6:7], -v[18:19]
	v_mul_f64 v[18:19], v[6:7], v[14:15]
	v_add_f64 v[4:5], v[4:5], -v[16:17]
	v_fma_f64 v[16:17], v[14:15], v[6:7], -v[18:19]
	v_fma_f64 v[4:5], v[14:15], v[4:5], v[16:17]
	v_add_f64 v[16:17], v[18:19], v[4:5]
	v_add_f64 v[20:21], -v[16:17], 1.0
	v_add_f64 v[18:19], v[16:17], -v[18:19]
	v_add_f64 v[22:23], -v[20:21], 1.0
	v_add_f64 v[4:5], v[18:19], -v[4:5]
	v_add_f64 v[16:17], v[22:23], -v[16:17]
	v_add_f64 v[4:5], v[4:5], v[16:17]
	v_add_f64 v[4:5], v[20:21], v[4:5]
	v_mul_f64 v[4:5], v[14:15], v[4:5]
	v_add_f64 v[4:5], v[14:15], v[4:5]
	v_xor_b32_e32 v2, 0x80000000, v5
	v_cndmask_b32_e32 v4, v4, v6, vcc_lo
	v_cndmask_b32_e32 v2, v2, v7, vcc_lo
	v_xor_b32_e32 v3, v2, v3
	v_cndmask_b32_e64 v2, 0, v4, s1
	v_cndmask_b32_e64 v3, 0x7ff80000, v3, s1
	v_div_scale_f64 v[4:5], null, v[2:3], v[2:3], s[12:13]
	v_rcp_f64_e32 v[6:7], v[4:5]
	v_fma_f64 v[14:15], -v[4:5], v[6:7], 1.0
	v_fma_f64 v[6:7], v[6:7], v[14:15], v[6:7]
	v_fma_f64 v[14:15], -v[4:5], v[6:7], 1.0
	v_fma_f64 v[6:7], v[6:7], v[14:15], v[6:7]
	v_div_scale_f64 v[14:15], vcc_lo, s[12:13], v[2:3], s[12:13]
	v_mul_f64 v[16:17], v[14:15], v[6:7]
	v_fma_f64 v[4:5], -v[4:5], v[16:17], v[14:15]
	v_div_fmas_f64 v[4:5], v[4:5], v[6:7], v[16:17]
	v_div_fixup_f64 v[2:3], v[4:5], v[2:3], s[12:13]
	v_cvt_f32_f64_e32 v2, v[2:3]
.LBB36_43:
	s_or_b32 exec_lo, exec_lo, s11
	s_orn2_b32 s1, s2, exec_lo
.LBB36_44:
	s_or_b32 exec_lo, exec_lo, s10
	v_mov_b32_e32 v12, 0x7fc0
	s_and_saveexec_b32 s2, s1
	s_cbranch_execz .LBB36_56
; %bb.45:
	s_mov_b32 s1, exec_lo
	v_cmpx_gt_f32_e32 0x41200000, v13
	s_cbranch_execz .LBB36_49
; %bb.46:
	s_mov_b32 s3, 0
	.p2align	6
.LBB36_47:                              ; =>This Inner Loop Header: Depth=1
	v_div_scale_f32 v3, null, v13, v13, 1.0
	v_div_scale_f32 v6, vcc_lo, 1.0, v13, 1.0
	v_rcp_f32_e32 v4, v3
	v_fma_f32 v5, -v3, v4, 1.0
	v_fmac_f32_e32 v4, v5, v4
	v_mul_f32_e32 v5, v6, v4
	v_fma_f32 v7, -v3, v5, v6
	v_fmac_f32_e32 v5, v7, v4
	v_fma_f32 v3, -v3, v5, v6
	v_div_fmas_f32 v3, v3, v4, v5
	v_div_fixup_f32 v3, v3, v13, 1.0
	v_add_f32_e32 v13, 1.0, v13
	v_sub_f32_e32 v2, v2, v3
	v_cmp_ngt_f32_e32 vcc_lo, 0x41200000, v13
	s_or_b32 s3, vcc_lo, s3
	s_andn2_b32 exec_lo, exec_lo, s3
	s_cbranch_execnz .LBB36_47
; %bb.48:
	s_or_b32 exec_lo, exec_lo, s3
.LBB36_49:
	s_or_b32 exec_lo, exec_lo, s1
                                        ; implicit-def: $vgpr12
	s_mov_b32 s1, exec_lo
	v_cmpx_neq_f32_e32 0x41200000, v13
	s_xor_b32 s3, exec_lo, s1
	s_cbranch_execz .LBB36_53
; %bb.50:
	v_cvt_f64_f32_e32 v[3:4], v13
	s_mov_b32 s10, 0x85d8a000
	s_mov_b32 s11, 0x43763457
	v_cmp_gt_f64_e32 vcc_lo, s[10:11], v[3:4]
	v_mov_b32_e32 v3, 0
	s_and_saveexec_b32 s1, vcc_lo
	s_cbranch_execz .LBB36_52
; %bb.51:
	v_mul_f32_e32 v3, v13, v13
	v_div_scale_f32 v4, null, v3, v3, 1.0
	v_rcp_f32_e32 v5, v4
	v_fma_f32 v6, -v4, v5, 1.0
	v_fmac_f32_e32 v5, v6, v5
	v_div_scale_f32 v6, vcc_lo, 1.0, v3, 1.0
	v_mul_f32_e32 v7, v6, v5
	v_fma_f32 v12, -v4, v7, v6
	v_fmac_f32_e32 v7, v12, v5
	v_fma_f32 v4, -v4, v7, v6
	v_div_fmas_f32 v4, v4, v5, v7
	v_div_fixup_f32 v3, v4, v3, 1.0
	v_fmaak_f32 v4, 0, v3, 0x3daaaaab
	v_fmaak_f32 v4, v3, v4, 0xbcaccacd
	v_fmaak_f32 v4, v3, v4, 0x3bf83e10
	v_fmaak_f32 v4, v3, v4, 0xbb888889
	v_fmaak_f32 v4, v3, v4, 0x3b820821
	v_fmaak_f32 v4, v3, v4, 0xbc088889
	v_fmaak_f32 v4, v3, v4, 0x3daaaaab
	v_mul_f32_e32 v3, v3, v4
.LBB36_52:
	s_or_b32 exec_lo, exec_lo, s1
	v_cmp_gt_f32_e32 vcc_lo, 0x800000, v13
	v_div_scale_f32 v4, null, v13, v13, -0.5
	v_div_scale_f32 v12, s1, -0.5, v13, -0.5
	v_cndmask_b32_e64 v5, 0, 32, vcc_lo
	v_rcp_f32_e32 v6, v4
	v_ldexp_f32 v5, v13, v5
	v_log_f32_e32 v5, v5
	v_fma_f32 v7, -v4, v6, 1.0
	v_fmac_f32_e32 v6, v7, v6
	v_mul_f32_e32 v7, 0x3f317217, v5
	v_mul_f32_e32 v14, v12, v6
	v_fma_f32 v7, 0x3f317217, v5, -v7
	v_fma_f32 v15, -v4, v14, v12
	v_fmamk_f32 v7, v5, 0x3377d1cf, v7
	v_fmac_f32_e32 v14, v15, v6
	v_cndmask_b32_e64 v15, 0, 0x41b17218, vcc_lo
	v_cmp_gt_f32_e64 vcc_lo, 0x7f800000, |v5|
	v_fmac_f32_e32 v7, 0x3f317217, v5
	v_fma_f32 v4, -v4, v14, v12
	v_cndmask_b32_e32 v5, v5, v7, vcc_lo
	s_mov_b32 vcc_lo, s1
	v_div_fmas_f32 v4, v4, v6, v14
	v_sub_f32_e32 v5, v5, v15
	v_div_fixup_f32 v4, v4, v13, -0.5
	v_add_f32_e32 v4, v5, v4
	v_sub_f32_e32 v3, v4, v3
	v_add_f32_e32 v2, v2, v3
	v_bfe_u32 v3, v2, 16, 1
	v_cmp_o_f32_e32 vcc_lo, v2, v2
	v_add3_u32 v2, v2, v3, 0x7fff
	v_mov_b32_e32 v3, 0x7fc0
	v_cndmask_b32_sdwa v12, v3, v2, vcc_lo dst_sel:DWORD dst_unused:UNUSED_PAD src0_sel:DWORD src1_sel:WORD_1
                                        ; implicit-def: $vgpr2
.LBB36_53:
	s_andn2_saveexec_b32 s1, s3
; %bb.54:
	v_add_f32_e32 v2, 0x40101cb7, v2
	v_bfe_u32 v3, v2, 16, 1
	v_cmp_o_f32_e32 vcc_lo, v2, v2
	v_add3_u32 v2, v2, v3, 0x7fff
	v_mov_b32_e32 v3, 0x7fc0
	v_cndmask_b32_sdwa v12, v3, v2, vcc_lo dst_sel:DWORD dst_unused:UNUSED_PAD src0_sel:DWORD src1_sel:WORD_1
; %bb.55:
	s_or_b32 exec_lo, exec_lo, s1
.LBB36_56:
	s_or_b32 exec_lo, exec_lo, s2
                                        ; implicit-def: $vgpr13
.LBB36_57:
	s_andn2_saveexec_b32 s1, s7
; %bb.58:
	v_xor_b32_e32 v2, 0x80000000, v13
	s_mov_b32 s2, 0x7f800000
	v_and_or_b32 v2, 0x80000000, v2, s2
	v_lshrrev_b32_e32 v12, 16, v2
; %bb.59:
	s_or_b32 exec_lo, exec_lo, s1
.LBB36_60:
	s_or_b32 exec_lo, exec_lo, s6
	v_or_b32_e32 v2, 0x200, v0
	s_mov_b32 s6, exec_lo
                                        ; implicit-def: $vgpr13
	v_cmpx_gt_i32_e64 s5, v2
	s_cbranch_execz .LBB36_86
; %bb.61:
                                        ; implicit-def: $vgpr13
	s_mov_b32 s1, exec_lo
	v_cmpx_neq_f32_e32 0, v11
	s_xor_b32 s7, exec_lo, s1
	s_cbranch_execz .LBB36_83
; %bb.62:
	v_mov_b32_e32 v2, 0
	s_mov_b32 s1, -1
	s_mov_b32 s10, exec_lo
	v_cmpx_gt_f32_e32 0, v11
	s_cbranch_execz .LBB36_70
; %bb.63:
	v_trunc_f32_e32 v2, v11
	s_mov_b32 s2, 0
	v_cmp_neq_f32_e32 vcc_lo, v2, v11
	v_mov_b32_e32 v2, 0
	s_and_saveexec_b32 s11, vcc_lo
	s_cbranch_execz .LBB36_69
; %bb.64:
	v_cvt_f64_f32_e32 v[2:3], v11
	s_mov_b32 s3, 0xc00921fb
	s_mov_b32 s2, 0x54442d18
                                        ; implicit-def: $vgpr13
                                        ; implicit-def: $vgpr6_vgpr7
	v_trunc_f64_e32 v[4:5], v[2:3]
	v_cmp_neq_f64_e64 vcc_lo, 0x7ff00000, |v[2:3]|
	v_add_f64 v[4:5], v[2:3], -v[4:5]
	v_mul_f64 v[4:5], |v[4:5]|, s[2:3]
	v_cndmask_b32_e32 v3, 0x80000000, v5, vcc_lo
	v_cndmask_b32_e32 v2, 0, v4, vcc_lo
                                        ; implicit-def: $vgpr4_vgpr5
	v_cmp_ngt_f64_e64 s1, 0x41d00000, |v[2:3]|
	s_and_saveexec_b32 s3, s1
	s_xor_b32 s1, exec_lo, s3
	s_cbranch_execz .LBB36_66
; %bb.65:
	v_ldexp_f64 v[4:5], |v[2:3]|, 0xffffff80
	v_cmp_le_f64_e64 vcc_lo, 0x7b000000, |v[2:3]|
	v_trig_preop_f64 v[6:7], |v[2:3]|, 0
	v_and_b32_e32 v13, 0x7fffffff, v3
	v_trig_preop_f64 v[23:24], |v[2:3]|, 2
	v_mov_b32_e32 v31, 0
	s_mov_b32 s3, 0x3ff921fb
	s_mov_b32 s12, 0x33145c07
	;; [unrolled: 1-line block ×3, first 2 shown]
	v_cndmask_b32_e32 v5, v13, v5, vcc_lo
	v_cndmask_b32_e32 v4, v2, v4, vcc_lo
	v_trig_preop_f64 v[13:14], |v[2:3]|, 1
	v_mul_f64 v[15:16], v[6:7], v[4:5]
	v_mul_f64 v[29:30], v[23:24], v[4:5]
	;; [unrolled: 1-line block ×3, first 2 shown]
	v_fma_f64 v[6:7], v[6:7], v[4:5], -v[15:16]
	v_fma_f64 v[13:14], v[13:14], v[4:5], -v[17:18]
	;; [unrolled: 1-line block ×3, first 2 shown]
	v_add_f64 v[19:20], v[17:18], v[6:7]
	v_add_f64 v[21:22], v[19:20], -v[17:18]
	v_add_f64 v[27:28], v[15:16], v[19:20]
	v_add_f64 v[25:26], v[19:20], -v[21:22]
	v_add_f64 v[6:7], v[6:7], -v[21:22]
	v_ldexp_f64 v[21:22], v[27:28], -2
	v_add_f64 v[15:16], v[27:28], -v[15:16]
	v_add_f64 v[17:18], v[17:18], -v[25:26]
	v_add_f64 v[25:26], v[29:30], v[13:14]
	v_cmp_neq_f64_e64 vcc_lo, 0x7ff00000, |v[21:22]|
	v_add_f64 v[15:16], v[19:20], -v[15:16]
	v_add_f64 v[6:7], v[6:7], v[17:18]
	v_fract_f64_e32 v[17:18], v[21:22]
	v_add_f64 v[19:20], v[25:26], v[6:7]
	v_ldexp_f64 v[17:18], v[17:18], 2
	v_add_f64 v[21:22], v[15:16], v[19:20]
	v_cndmask_b32_e32 v18, 0, v18, vcc_lo
	v_cndmask_b32_e32 v17, 0, v17, vcc_lo
	v_add_f64 v[27:28], v[21:22], v[17:18]
	v_add_f64 v[15:16], v[21:22], -v[15:16]
	v_cmp_gt_f64_e32 vcc_lo, 0, v[27:28]
	v_add_f64 v[27:28], v[25:26], -v[29:30]
	v_cndmask_b32_e64 v32, 0, 0x40100000, vcc_lo
	v_add_f64 v[36:37], v[25:26], -v[27:28]
	v_add_f64 v[13:14], v[13:14], -v[27:28]
	v_add_f64 v[17:18], v[17:18], v[31:32]
	v_add_f64 v[32:33], v[19:20], -v[25:26]
	v_add_f64 v[27:28], v[29:30], -v[36:37]
	v_add_f64 v[34:35], v[21:22], v[17:18]
	;; [unrolled: 3-line block ×3, first 2 shown]
	v_cvt_i32_f64_e32 v34, v[34:35]
	v_add_f64 v[25:26], v[25:26], -v[38:39]
	v_cvt_f64_i32_e32 v[32:33], v34
	v_add_f64 v[6:7], v[6:7], v[25:26]
	v_add_f64 v[17:18], v[17:18], -v[32:33]
	v_add_f64 v[6:7], v[13:14], v[6:7]
	v_add_f64 v[13:14], v[19:20], -v[15:16]
	v_add_f64 v[23:24], v[21:22], v[17:18]
	v_add_f64 v[4:5], v[4:5], v[6:7]
	v_add_f64 v[6:7], v[23:24], -v[17:18]
	v_cmp_le_f64_e32 vcc_lo, 0.5, v[23:24]
	v_add_f64 v[4:5], v[13:14], v[4:5]
	v_add_f64 v[6:7], v[21:22], -v[6:7]
	v_cndmask_b32_e64 v32, 0, 0x3ff00000, vcc_lo
	v_add_co_ci_u32_e64 v13, null, 0, v34, vcc_lo
	v_add_f64 v[4:5], v[4:5], v[6:7]
	v_add_f64 v[6:7], v[23:24], -v[31:32]
	v_add_f64 v[14:15], v[6:7], v[4:5]
	v_mul_f64 v[16:17], v[14:15], s[2:3]
	v_add_f64 v[6:7], v[14:15], -v[6:7]
	v_fma_f64 v[18:19], v[14:15], s[2:3], -v[16:17]
	v_add_f64 v[4:5], v[4:5], -v[6:7]
	v_fma_f64 v[6:7], v[14:15], s[12:13], v[18:19]
	v_fma_f64 v[6:7], v[4:5], s[2:3], v[6:7]
	v_add_f64 v[4:5], v[16:17], v[6:7]
	v_add_f64 v[14:15], v[4:5], -v[16:17]
	v_add_f64 v[6:7], v[6:7], -v[14:15]
.LBB36_66:
	s_andn2_saveexec_b32 s1, s1
	s_cbranch_execz .LBB36_68
; %bb.67:
	s_mov_b32 s2, 0x6dc9c883
	s_mov_b32 s3, 0x3fe45f30
	;; [unrolled: 1-line block ×3, first 2 shown]
	v_mul_f64 v[4:5], |v[2:3]|, s[2:3]
	s_mov_b32 s2, 0x54442d18
	s_mov_b32 s3, 0xbff921fb
	;; [unrolled: 1-line block ×3, first 2 shown]
	v_rndne_f64_e32 v[13:14], v[4:5]
	v_fma_f64 v[4:5], v[13:14], s[2:3], |v[2:3]|
	v_mul_f64 v[6:7], v[13:14], s[12:13]
	s_mov_b32 s2, 0x252049c0
	s_mov_b32 s3, 0xb97b839a
	v_fma_f64 v[17:18], v[13:14], s[12:13], v[4:5]
	v_add_f64 v[15:16], v[4:5], v[6:7]
	s_mov_b32 s13, 0x3c91a626
	v_add_f64 v[4:5], v[4:5], -v[15:16]
	v_add_f64 v[15:16], v[15:16], -v[17:18]
	v_add_f64 v[4:5], v[4:5], v[6:7]
	v_fma_f64 v[6:7], v[13:14], s[12:13], v[6:7]
	v_add_f64 v[4:5], v[15:16], v[4:5]
	v_add_f64 v[4:5], v[4:5], -v[6:7]
	v_fma_f64 v[6:7], v[13:14], s[2:3], v[4:5]
	v_cvt_i32_f64_e32 v13, v[13:14]
	v_add_f64 v[4:5], v[17:18], v[6:7]
	v_add_f64 v[15:16], v[4:5], -v[17:18]
	v_add_f64 v[6:7], v[6:7], -v[15:16]
.LBB36_68:
	s_or_b32 exec_lo, exec_lo, s1
	v_mul_f64 v[14:15], v[4:5], v[4:5]
	v_add_f64 v[16:17], v[6:7], v[6:7]
	s_mov_b32 s12, 0xa9a29f71
	s_mov_b32 s14, 0xc751c08c
	;; [unrolled: 1-line block ×4, first 2 shown]
	v_cmp_class_f64_e64 s1, v[2:3], 0x1f8
	v_and_b32_e32 v13, 1, v13
	v_and_b32_e32 v3, 0x80000000, v3
	v_sub_f32_e32 v11, 1.0, v11
	s_mov_b32 s2, exec_lo
	v_cmp_eq_u32_e32 vcc_lo, 0, v13
	v_fma_f64 v[18:19], v[4:5], v[4:5], -v[14:15]
	v_fma_f64 v[16:17], v[4:5], v[16:17], v[18:19]
	v_add_f64 v[14:15], v[14:15], v[16:17]
	v_fma_f64 v[16:17], v[14:15], s[14:15], s[12:13]
	s_mov_b32 s12, 0x90a8aae0
	s_mov_b32 s13, 0x3f17746f
	v_fma_f64 v[16:17], v[14:15], v[16:17], s[12:13]
	s_mov_b32 s12, 0xa6fbf144
	s_mov_b32 s13, 0xbefbb44d
	;; [unrolled: 3-line block ×13, first 2 shown]
	v_mul_f64 v[14:15], v[14:15], v[16:17]
	v_mul_f64 v[16:17], v[4:5], v[14:15]
	v_add_f64 v[18:19], v[4:5], v[16:17]
	v_fma_f64 v[14:15], v[4:5], v[14:15], -v[16:17]
	v_add_f64 v[4:5], v[18:19], -v[4:5]
	v_add_f64 v[6:7], v[6:7], v[14:15]
	v_add_f64 v[4:5], v[16:17], -v[4:5]
	v_add_f64 v[4:5], v[6:7], v[4:5]
	v_add_f64 v[6:7], v[18:19], v[4:5]
	v_rcp_f64_e32 v[14:15], v[6:7]
	v_fma_f64 v[16:17], -v[6:7], v[14:15], 1.0
	v_fma_f64 v[14:15], v[16:17], v[14:15], v[14:15]
	v_fma_f64 v[16:17], -v[6:7], v[14:15], 1.0
	v_fma_f64 v[14:15], v[16:17], v[14:15], v[14:15]
	v_add_f64 v[16:17], v[6:7], -v[18:19]
	v_mul_f64 v[18:19], v[6:7], v[14:15]
	v_add_f64 v[4:5], v[4:5], -v[16:17]
	v_fma_f64 v[16:17], v[14:15], v[6:7], -v[18:19]
	v_fma_f64 v[4:5], v[14:15], v[4:5], v[16:17]
	v_add_f64 v[16:17], v[18:19], v[4:5]
	v_add_f64 v[20:21], -v[16:17], 1.0
	v_add_f64 v[18:19], v[16:17], -v[18:19]
	v_add_f64 v[22:23], -v[20:21], 1.0
	v_add_f64 v[4:5], v[18:19], -v[4:5]
	v_add_f64 v[16:17], v[22:23], -v[16:17]
	v_add_f64 v[4:5], v[4:5], v[16:17]
	v_add_f64 v[4:5], v[20:21], v[4:5]
	v_mul_f64 v[4:5], v[14:15], v[4:5]
	v_add_f64 v[4:5], v[14:15], v[4:5]
	v_xor_b32_e32 v2, 0x80000000, v5
	v_cndmask_b32_e32 v4, v4, v6, vcc_lo
	v_cndmask_b32_e32 v2, v2, v7, vcc_lo
	v_xor_b32_e32 v3, v2, v3
	v_cndmask_b32_e64 v2, 0, v4, s1
	v_cndmask_b32_e64 v3, 0x7ff80000, v3, s1
	v_div_scale_f64 v[4:5], null, v[2:3], v[2:3], s[12:13]
	v_rcp_f64_e32 v[6:7], v[4:5]
	v_fma_f64 v[13:14], -v[4:5], v[6:7], 1.0
	v_fma_f64 v[6:7], v[6:7], v[13:14], v[6:7]
	v_fma_f64 v[13:14], -v[4:5], v[6:7], 1.0
	v_fma_f64 v[6:7], v[6:7], v[13:14], v[6:7]
	v_div_scale_f64 v[13:14], vcc_lo, s[12:13], v[2:3], s[12:13]
	v_mul_f64 v[15:16], v[13:14], v[6:7]
	v_fma_f64 v[4:5], -v[4:5], v[15:16], v[13:14]
	v_div_fmas_f64 v[4:5], v[4:5], v[6:7], v[15:16]
	v_div_fixup_f64 v[2:3], v[4:5], v[2:3], s[12:13]
	v_cvt_f32_f64_e32 v2, v[2:3]
.LBB36_69:
	s_or_b32 exec_lo, exec_lo, s11
	s_orn2_b32 s1, s2, exec_lo
.LBB36_70:
	s_or_b32 exec_lo, exec_lo, s10
	v_mov_b32_e32 v13, 0x7fc0
	s_and_saveexec_b32 s2, s1
	s_cbranch_execz .LBB36_82
; %bb.71:
	s_mov_b32 s1, exec_lo
	v_cmpx_gt_f32_e32 0x41200000, v11
	s_cbranch_execz .LBB36_75
; %bb.72:
	s_mov_b32 s3, 0
	.p2align	6
.LBB36_73:                              ; =>This Inner Loop Header: Depth=1
	v_div_scale_f32 v3, null, v11, v11, 1.0
	v_div_scale_f32 v6, vcc_lo, 1.0, v11, 1.0
	v_rcp_f32_e32 v4, v3
	v_fma_f32 v5, -v3, v4, 1.0
	v_fmac_f32_e32 v4, v5, v4
	v_mul_f32_e32 v5, v6, v4
	v_fma_f32 v7, -v3, v5, v6
	v_fmac_f32_e32 v5, v7, v4
	v_fma_f32 v3, -v3, v5, v6
	v_div_fmas_f32 v3, v3, v4, v5
	v_div_fixup_f32 v3, v3, v11, 1.0
	v_add_f32_e32 v11, 1.0, v11
	v_sub_f32_e32 v2, v2, v3
	v_cmp_ngt_f32_e32 vcc_lo, 0x41200000, v11
	s_or_b32 s3, vcc_lo, s3
	s_andn2_b32 exec_lo, exec_lo, s3
	s_cbranch_execnz .LBB36_73
; %bb.74:
	s_or_b32 exec_lo, exec_lo, s3
.LBB36_75:
	s_or_b32 exec_lo, exec_lo, s1
                                        ; implicit-def: $vgpr13
	s_mov_b32 s1, exec_lo
	v_cmpx_neq_f32_e32 0x41200000, v11
	s_xor_b32 s3, exec_lo, s1
	s_cbranch_execz .LBB36_79
; %bb.76:
	v_cvt_f64_f32_e32 v[3:4], v11
	s_mov_b32 s10, 0x85d8a000
	s_mov_b32 s11, 0x43763457
	v_cmp_gt_f64_e32 vcc_lo, s[10:11], v[3:4]
	v_mov_b32_e32 v3, 0
	s_and_saveexec_b32 s1, vcc_lo
	s_cbranch_execz .LBB36_78
; %bb.77:
	v_mul_f32_e32 v3, v11, v11
	v_div_scale_f32 v4, null, v3, v3, 1.0
	v_rcp_f32_e32 v5, v4
	v_fma_f32 v6, -v4, v5, 1.0
	v_fmac_f32_e32 v5, v6, v5
	v_div_scale_f32 v6, vcc_lo, 1.0, v3, 1.0
	v_mul_f32_e32 v7, v6, v5
	v_fma_f32 v13, -v4, v7, v6
	v_fmac_f32_e32 v7, v13, v5
	v_fma_f32 v4, -v4, v7, v6
	v_div_fmas_f32 v4, v4, v5, v7
	v_div_fixup_f32 v3, v4, v3, 1.0
	v_fmaak_f32 v4, 0, v3, 0x3daaaaab
	v_fmaak_f32 v4, v3, v4, 0xbcaccacd
	v_fmaak_f32 v4, v3, v4, 0x3bf83e10
	v_fmaak_f32 v4, v3, v4, 0xbb888889
	v_fmaak_f32 v4, v3, v4, 0x3b820821
	v_fmaak_f32 v4, v3, v4, 0xbc088889
	v_fmaak_f32 v4, v3, v4, 0x3daaaaab
	v_mul_f32_e32 v3, v3, v4
.LBB36_78:
	s_or_b32 exec_lo, exec_lo, s1
	v_cmp_gt_f32_e32 vcc_lo, 0x800000, v11
	v_div_scale_f32 v4, null, v11, v11, -0.5
	v_div_scale_f32 v13, s1, -0.5, v11, -0.5
	v_cndmask_b32_e64 v5, 0, 32, vcc_lo
	v_rcp_f32_e32 v6, v4
	v_ldexp_f32 v5, v11, v5
	v_log_f32_e32 v5, v5
	v_fma_f32 v7, -v4, v6, 1.0
	v_fmac_f32_e32 v6, v7, v6
	v_mul_f32_e32 v7, 0x3f317217, v5
	v_mul_f32_e32 v14, v13, v6
	v_fma_f32 v7, 0x3f317217, v5, -v7
	v_fma_f32 v15, -v4, v14, v13
	v_fmamk_f32 v7, v5, 0x3377d1cf, v7
	v_fmac_f32_e32 v14, v15, v6
	v_cndmask_b32_e64 v15, 0, 0x41b17218, vcc_lo
	v_cmp_gt_f32_e64 vcc_lo, 0x7f800000, |v5|
	v_fmac_f32_e32 v7, 0x3f317217, v5
	v_fma_f32 v4, -v4, v14, v13
	v_cndmask_b32_e32 v5, v5, v7, vcc_lo
	s_mov_b32 vcc_lo, s1
	v_div_fmas_f32 v4, v4, v6, v14
	v_sub_f32_e32 v5, v5, v15
	v_div_fixup_f32 v4, v4, v11, -0.5
	v_add_f32_e32 v4, v5, v4
	v_sub_f32_e32 v3, v4, v3
	v_add_f32_e32 v2, v2, v3
	v_bfe_u32 v3, v2, 16, 1
	v_cmp_o_f32_e32 vcc_lo, v2, v2
	v_add3_u32 v2, v2, v3, 0x7fff
	v_mov_b32_e32 v3, 0x7fc0
	v_cndmask_b32_sdwa v13, v3, v2, vcc_lo dst_sel:DWORD dst_unused:UNUSED_PAD src0_sel:DWORD src1_sel:WORD_1
                                        ; implicit-def: $vgpr2
.LBB36_79:
	s_andn2_saveexec_b32 s1, s3
; %bb.80:
	v_add_f32_e32 v2, 0x40101cb7, v2
	v_bfe_u32 v3, v2, 16, 1
	v_cmp_o_f32_e32 vcc_lo, v2, v2
	v_add3_u32 v2, v2, v3, 0x7fff
	v_mov_b32_e32 v3, 0x7fc0
	v_cndmask_b32_sdwa v13, v3, v2, vcc_lo dst_sel:DWORD dst_unused:UNUSED_PAD src0_sel:DWORD src1_sel:WORD_1
; %bb.81:
	s_or_b32 exec_lo, exec_lo, s1
.LBB36_82:
	s_or_b32 exec_lo, exec_lo, s2
                                        ; implicit-def: $vgpr11
.LBB36_83:
	s_andn2_saveexec_b32 s1, s7
; %bb.84:
	v_xor_b32_e32 v2, 0x80000000, v11
	s_mov_b32 s2, 0x7f800000
	v_and_or_b32 v2, 0x80000000, v2, s2
	v_lshrrev_b32_e32 v13, 16, v2
; %bb.85:
	s_or_b32 exec_lo, exec_lo, s1
.LBB36_86:
	s_or_b32 exec_lo, exec_lo, s6
	v_or_b32_e32 v2, 0x300, v0
	s_mov_b32 s6, exec_lo
                                        ; implicit-def: $vgpr3
	v_cmpx_gt_i32_e64 s5, v2
	s_cbranch_execz .LBB36_116
; %bb.87:
                                        ; implicit-def: $vgpr3
	s_mov_b32 s1, exec_lo
	v_cmpx_neq_f32_e32 0, v9
	s_xor_b32 s7, exec_lo, s1
	s_cbranch_execz .LBB36_109
; %bb.88:
	v_mov_b32_e32 v2, 0
	s_mov_b32 s1, -1
	s_mov_b32 s10, exec_lo
	v_cmpx_gt_f32_e32 0, v9
	s_cbranch_execz .LBB36_96
; %bb.89:
	v_trunc_f32_e32 v2, v9
	s_mov_b32 s2, 0
	v_cmp_neq_f32_e32 vcc_lo, v2, v9
	v_mov_b32_e32 v2, 0
	s_and_saveexec_b32 s11, vcc_lo
	s_cbranch_execz .LBB36_95
; %bb.90:
	v_cvt_f64_f32_e32 v[2:3], v9
	s_mov_b32 s3, 0xc00921fb
	s_mov_b32 s2, 0x54442d18
                                        ; implicit-def: $vgpr11
                                        ; implicit-def: $vgpr6_vgpr7
	v_trunc_f64_e32 v[4:5], v[2:3]
	v_cmp_neq_f64_e64 vcc_lo, 0x7ff00000, |v[2:3]|
	v_add_f64 v[4:5], v[2:3], -v[4:5]
	v_mul_f64 v[4:5], |v[4:5]|, s[2:3]
	v_cndmask_b32_e32 v3, 0x80000000, v5, vcc_lo
	v_cndmask_b32_e32 v2, 0, v4, vcc_lo
                                        ; implicit-def: $vgpr4_vgpr5
	v_cmp_ngt_f64_e64 s1, 0x41d00000, |v[2:3]|
	s_and_saveexec_b32 s3, s1
	s_xor_b32 s1, exec_lo, s3
	s_cbranch_execz .LBB36_92
; %bb.91:
	v_ldexp_f64 v[4:5], |v[2:3]|, 0xffffff80
	v_cmp_le_f64_e64 vcc_lo, 0x7b000000, |v[2:3]|
	v_trig_preop_f64 v[6:7], |v[2:3]|, 0
	v_and_b32_e32 v11, 0x7fffffff, v3
	v_trig_preop_f64 v[14:15], |v[2:3]|, 1
	v_trig_preop_f64 v[24:25], |v[2:3]|, 2
	v_mov_b32_e32 v32, 0
	s_mov_b32 s3, 0x3ff921fb
	s_mov_b32 s12, 0x33145c07
	;; [unrolled: 1-line block ×3, first 2 shown]
	v_cndmask_b32_e32 v5, v11, v5, vcc_lo
	v_cndmask_b32_e32 v4, v2, v4, vcc_lo
	v_mul_f64 v[16:17], v[6:7], v[4:5]
	v_mul_f64 v[18:19], v[14:15], v[4:5]
	;; [unrolled: 1-line block ×3, first 2 shown]
	v_fma_f64 v[6:7], v[6:7], v[4:5], -v[16:17]
	v_fma_f64 v[14:15], v[14:15], v[4:5], -v[18:19]
	;; [unrolled: 1-line block ×3, first 2 shown]
	v_add_f64 v[20:21], v[18:19], v[6:7]
	v_add_f64 v[22:23], v[20:21], -v[18:19]
	v_add_f64 v[28:29], v[16:17], v[20:21]
	v_add_f64 v[26:27], v[20:21], -v[22:23]
	v_add_f64 v[6:7], v[6:7], -v[22:23]
	v_ldexp_f64 v[22:23], v[28:29], -2
	v_add_f64 v[16:17], v[28:29], -v[16:17]
	v_add_f64 v[18:19], v[18:19], -v[26:27]
	v_add_f64 v[26:27], v[30:31], v[14:15]
	v_cmp_neq_f64_e64 vcc_lo, 0x7ff00000, |v[22:23]|
	v_add_f64 v[16:17], v[20:21], -v[16:17]
	v_add_f64 v[6:7], v[6:7], v[18:19]
	v_fract_f64_e32 v[18:19], v[22:23]
	v_add_f64 v[20:21], v[26:27], v[6:7]
	v_ldexp_f64 v[18:19], v[18:19], 2
	v_add_f64 v[22:23], v[16:17], v[20:21]
	v_cndmask_b32_e32 v19, 0, v19, vcc_lo
	v_cndmask_b32_e32 v18, 0, v18, vcc_lo
	v_add_f64 v[28:29], v[22:23], v[18:19]
	v_add_f64 v[16:17], v[22:23], -v[16:17]
	v_cmp_gt_f64_e32 vcc_lo, 0, v[28:29]
	v_add_f64 v[28:29], v[26:27], -v[30:31]
	v_add_f64 v[16:17], v[20:21], -v[16:17]
	v_cndmask_b32_e64 v33, 0, 0x40100000, vcc_lo
	v_add_f64 v[37:38], v[26:27], -v[28:29]
	v_add_f64 v[14:15], v[14:15], -v[28:29]
	v_add_f64 v[18:19], v[18:19], v[32:33]
	v_add_f64 v[33:34], v[20:21], -v[26:27]
	v_add_f64 v[28:29], v[30:31], -v[37:38]
	v_add_f64 v[35:36], v[22:23], v[18:19]
	;; [unrolled: 3-line block ×3, first 2 shown]
	v_cvt_i32_f64_e32 v11, v[35:36]
	v_add_f64 v[26:27], v[26:27], -v[39:40]
	v_cvt_f64_i32_e32 v[33:34], v11
	v_add_f64 v[6:7], v[6:7], v[26:27]
	v_add_f64 v[18:19], v[18:19], -v[33:34]
	v_add_f64 v[6:7], v[14:15], v[6:7]
	v_add_f64 v[14:15], v[22:23], v[18:19]
	;; [unrolled: 1-line block ×3, first 2 shown]
	v_add_f64 v[6:7], v[14:15], -v[18:19]
	v_cmp_le_f64_e32 vcc_lo, 0.5, v[14:15]
	v_add_f64 v[4:5], v[16:17], v[4:5]
	v_add_f64 v[6:7], v[22:23], -v[6:7]
	v_cndmask_b32_e64 v33, 0, 0x3ff00000, vcc_lo
	v_add_co_ci_u32_e64 v11, null, 0, v11, vcc_lo
	v_add_f64 v[4:5], v[4:5], v[6:7]
	v_add_f64 v[6:7], v[14:15], -v[32:33]
	v_add_f64 v[14:15], v[6:7], v[4:5]
	v_mul_f64 v[16:17], v[14:15], s[2:3]
	v_add_f64 v[6:7], v[14:15], -v[6:7]
	v_fma_f64 v[18:19], v[14:15], s[2:3], -v[16:17]
	v_add_f64 v[4:5], v[4:5], -v[6:7]
	v_fma_f64 v[6:7], v[14:15], s[12:13], v[18:19]
	v_fma_f64 v[6:7], v[4:5], s[2:3], v[6:7]
	v_add_f64 v[4:5], v[16:17], v[6:7]
	v_add_f64 v[14:15], v[4:5], -v[16:17]
	v_add_f64 v[6:7], v[6:7], -v[14:15]
.LBB36_92:
	s_andn2_saveexec_b32 s1, s1
	s_cbranch_execz .LBB36_94
; %bb.93:
	s_mov_b32 s2, 0x6dc9c883
	s_mov_b32 s3, 0x3fe45f30
	;; [unrolled: 1-line block ×3, first 2 shown]
	v_mul_f64 v[4:5], |v[2:3]|, s[2:3]
	s_mov_b32 s2, 0x54442d18
	s_mov_b32 s3, 0xbff921fb
	;; [unrolled: 1-line block ×3, first 2 shown]
	v_rndne_f64_e32 v[14:15], v[4:5]
	v_fma_f64 v[4:5], v[14:15], s[2:3], |v[2:3]|
	v_mul_f64 v[6:7], v[14:15], s[12:13]
	s_mov_b32 s2, 0x252049c0
	s_mov_b32 s3, 0xb97b839a
	v_cvt_i32_f64_e32 v11, v[14:15]
	v_fma_f64 v[18:19], v[14:15], s[12:13], v[4:5]
	v_add_f64 v[16:17], v[4:5], v[6:7]
	s_mov_b32 s13, 0x3c91a626
	v_add_f64 v[4:5], v[4:5], -v[16:17]
	v_add_f64 v[16:17], v[16:17], -v[18:19]
	v_add_f64 v[4:5], v[4:5], v[6:7]
	v_fma_f64 v[6:7], v[14:15], s[12:13], v[6:7]
	v_add_f64 v[4:5], v[16:17], v[4:5]
	v_add_f64 v[4:5], v[4:5], -v[6:7]
	v_fma_f64 v[6:7], v[14:15], s[2:3], v[4:5]
	v_add_f64 v[4:5], v[18:19], v[6:7]
	v_add_f64 v[16:17], v[4:5], -v[18:19]
	v_add_f64 v[6:7], v[6:7], -v[16:17]
.LBB36_94:
	s_or_b32 exec_lo, exec_lo, s1
	v_mul_f64 v[14:15], v[4:5], v[4:5]
	v_add_f64 v[16:17], v[6:7], v[6:7]
	s_mov_b32 s12, 0xa9a29f71
	s_mov_b32 s14, 0xc751c08c
	;; [unrolled: 1-line block ×4, first 2 shown]
	v_cmp_class_f64_e64 s1, v[2:3], 0x1f8
	v_and_b32_e32 v11, 1, v11
	v_and_b32_e32 v3, 0x80000000, v3
	v_sub_f32_e32 v9, 1.0, v9
	s_mov_b32 s2, exec_lo
	v_cmp_eq_u32_e32 vcc_lo, 0, v11
	v_fma_f64 v[18:19], v[4:5], v[4:5], -v[14:15]
	v_fma_f64 v[16:17], v[4:5], v[16:17], v[18:19]
	v_add_f64 v[14:15], v[14:15], v[16:17]
	v_fma_f64 v[16:17], v[14:15], s[14:15], s[12:13]
	s_mov_b32 s12, 0x90a8aae0
	s_mov_b32 s13, 0x3f17746f
	v_fma_f64 v[16:17], v[14:15], v[16:17], s[12:13]
	s_mov_b32 s12, 0xa6fbf144
	s_mov_b32 s13, 0xbefbb44d
	;; [unrolled: 3-line block ×13, first 2 shown]
	v_mul_f64 v[14:15], v[14:15], v[16:17]
	v_mul_f64 v[16:17], v[4:5], v[14:15]
	v_add_f64 v[18:19], v[4:5], v[16:17]
	v_fma_f64 v[14:15], v[4:5], v[14:15], -v[16:17]
	v_add_f64 v[4:5], v[18:19], -v[4:5]
	v_add_f64 v[6:7], v[6:7], v[14:15]
	v_add_f64 v[4:5], v[16:17], -v[4:5]
	v_add_f64 v[4:5], v[6:7], v[4:5]
	v_add_f64 v[6:7], v[18:19], v[4:5]
	v_rcp_f64_e32 v[14:15], v[6:7]
	v_fma_f64 v[16:17], -v[6:7], v[14:15], 1.0
	v_fma_f64 v[14:15], v[16:17], v[14:15], v[14:15]
	v_fma_f64 v[16:17], -v[6:7], v[14:15], 1.0
	v_fma_f64 v[14:15], v[16:17], v[14:15], v[14:15]
	v_add_f64 v[16:17], v[6:7], -v[18:19]
	v_mul_f64 v[18:19], v[6:7], v[14:15]
	v_add_f64 v[4:5], v[4:5], -v[16:17]
	v_fma_f64 v[16:17], v[14:15], v[6:7], -v[18:19]
	v_fma_f64 v[4:5], v[14:15], v[4:5], v[16:17]
	v_add_f64 v[16:17], v[18:19], v[4:5]
	v_add_f64 v[20:21], -v[16:17], 1.0
	v_add_f64 v[18:19], v[16:17], -v[18:19]
	v_add_f64 v[22:23], -v[20:21], 1.0
	v_add_f64 v[4:5], v[18:19], -v[4:5]
	v_add_f64 v[16:17], v[22:23], -v[16:17]
	v_add_f64 v[4:5], v[4:5], v[16:17]
	v_add_f64 v[4:5], v[20:21], v[4:5]
	v_mul_f64 v[4:5], v[14:15], v[4:5]
	v_add_f64 v[4:5], v[14:15], v[4:5]
	v_xor_b32_e32 v2, 0x80000000, v5
	v_cndmask_b32_e32 v4, v4, v6, vcc_lo
	v_cndmask_b32_e32 v2, v2, v7, vcc_lo
	v_xor_b32_e32 v3, v2, v3
	v_cndmask_b32_e64 v2, 0, v4, s1
	v_cndmask_b32_e64 v3, 0x7ff80000, v3, s1
	v_div_scale_f64 v[4:5], null, v[2:3], v[2:3], s[12:13]
	v_rcp_f64_e32 v[6:7], v[4:5]
	v_fma_f64 v[14:15], -v[4:5], v[6:7], 1.0
	v_fma_f64 v[6:7], v[6:7], v[14:15], v[6:7]
	v_fma_f64 v[14:15], -v[4:5], v[6:7], 1.0
	v_fma_f64 v[6:7], v[6:7], v[14:15], v[6:7]
	v_div_scale_f64 v[14:15], vcc_lo, s[12:13], v[2:3], s[12:13]
	v_mul_f64 v[16:17], v[14:15], v[6:7]
	v_fma_f64 v[4:5], -v[4:5], v[16:17], v[14:15]
	v_div_fmas_f64 v[4:5], v[4:5], v[6:7], v[16:17]
	v_div_fixup_f64 v[2:3], v[4:5], v[2:3], s[12:13]
	v_cvt_f32_f64_e32 v2, v[2:3]
.LBB36_95:
	s_or_b32 exec_lo, exec_lo, s11
	s_orn2_b32 s1, s2, exec_lo
.LBB36_96:
	s_or_b32 exec_lo, exec_lo, s10
	v_mov_b32_e32 v3, 0x7fc0
	s_and_saveexec_b32 s2, s1
	s_cbranch_execz .LBB36_108
; %bb.97:
	s_mov_b32 s1, exec_lo
	v_cmpx_gt_f32_e32 0x41200000, v9
	s_cbranch_execz .LBB36_101
; %bb.98:
	s_mov_b32 s3, 0
	.p2align	6
.LBB36_99:                              ; =>This Inner Loop Header: Depth=1
	v_div_scale_f32 v3, null, v9, v9, 1.0
	v_div_scale_f32 v6, vcc_lo, 1.0, v9, 1.0
	v_rcp_f32_e32 v4, v3
	v_fma_f32 v5, -v3, v4, 1.0
	v_fmac_f32_e32 v4, v5, v4
	v_mul_f32_e32 v5, v6, v4
	v_fma_f32 v7, -v3, v5, v6
	v_fmac_f32_e32 v5, v7, v4
	v_fma_f32 v3, -v3, v5, v6
	v_div_fmas_f32 v3, v3, v4, v5
	v_div_fixup_f32 v3, v3, v9, 1.0
	v_add_f32_e32 v9, 1.0, v9
	v_sub_f32_e32 v2, v2, v3
	v_cmp_ngt_f32_e32 vcc_lo, 0x41200000, v9
	s_or_b32 s3, vcc_lo, s3
	s_andn2_b32 exec_lo, exec_lo, s3
	s_cbranch_execnz .LBB36_99
; %bb.100:
	s_or_b32 exec_lo, exec_lo, s3
.LBB36_101:
	s_or_b32 exec_lo, exec_lo, s1
                                        ; implicit-def: $vgpr3
	s_mov_b32 s1, exec_lo
	v_cmpx_neq_f32_e32 0x41200000, v9
	s_xor_b32 s3, exec_lo, s1
	s_cbranch_execz .LBB36_105
; %bb.102:
	v_cvt_f64_f32_e32 v[3:4], v9
	s_mov_b32 s10, 0x85d8a000
	s_mov_b32 s11, 0x43763457
	v_cmp_gt_f64_e32 vcc_lo, s[10:11], v[3:4]
	v_mov_b32_e32 v3, 0
	s_and_saveexec_b32 s1, vcc_lo
	s_cbranch_execz .LBB36_104
; %bb.103:
	v_mul_f32_e32 v3, v9, v9
	v_div_scale_f32 v4, null, v3, v3, 1.0
	v_rcp_f32_e32 v5, v4
	v_fma_f32 v6, -v4, v5, 1.0
	v_fmac_f32_e32 v5, v6, v5
	v_div_scale_f32 v6, vcc_lo, 1.0, v3, 1.0
	v_mul_f32_e32 v7, v6, v5
	v_fma_f32 v11, -v4, v7, v6
	v_fmac_f32_e32 v7, v11, v5
	v_fma_f32 v4, -v4, v7, v6
	v_div_fmas_f32 v4, v4, v5, v7
	v_div_fixup_f32 v3, v4, v3, 1.0
	v_fmaak_f32 v4, 0, v3, 0x3daaaaab
	v_fmaak_f32 v4, v3, v4, 0xbcaccacd
	;; [unrolled: 1-line block ×7, first 2 shown]
	v_mul_f32_e32 v3, v3, v4
.LBB36_104:
	s_or_b32 exec_lo, exec_lo, s1
	v_cmp_gt_f32_e32 vcc_lo, 0x800000, v9
	v_div_scale_f32 v4, null, v9, v9, -0.5
	v_div_scale_f32 v11, s1, -0.5, v9, -0.5
	v_cndmask_b32_e64 v5, 0, 32, vcc_lo
	v_rcp_f32_e32 v6, v4
	v_ldexp_f32 v5, v9, v5
	v_log_f32_e32 v5, v5
	v_fma_f32 v7, -v4, v6, 1.0
	v_fmac_f32_e32 v6, v7, v6
	v_mul_f32_e32 v7, 0x3f317217, v5
	v_mul_f32_e32 v14, v11, v6
	v_fma_f32 v7, 0x3f317217, v5, -v7
	v_fma_f32 v15, -v4, v14, v11
	v_fmamk_f32 v7, v5, 0x3377d1cf, v7
	v_fmac_f32_e32 v14, v15, v6
	v_cndmask_b32_e64 v15, 0, 0x41b17218, vcc_lo
	v_cmp_gt_f32_e64 vcc_lo, 0x7f800000, |v5|
	v_fmac_f32_e32 v7, 0x3f317217, v5
	v_fma_f32 v4, -v4, v14, v11
	v_cndmask_b32_e32 v5, v5, v7, vcc_lo
	s_mov_b32 vcc_lo, s1
	v_div_fmas_f32 v4, v4, v6, v14
	v_sub_f32_e32 v5, v5, v15
	v_div_fixup_f32 v4, v4, v9, -0.5
	v_add_f32_e32 v4, v5, v4
	v_sub_f32_e32 v3, v4, v3
	v_add_f32_e32 v2, v2, v3
	v_bfe_u32 v3, v2, 16, 1
	v_cmp_o_f32_e32 vcc_lo, v2, v2
	v_add3_u32 v2, v2, v3, 0x7fff
	v_mov_b32_e32 v3, 0x7fc0
	v_cndmask_b32_sdwa v3, v3, v2, vcc_lo dst_sel:DWORD dst_unused:UNUSED_PAD src0_sel:DWORD src1_sel:WORD_1
                                        ; implicit-def: $vgpr2
.LBB36_105:
	s_andn2_saveexec_b32 s1, s3
; %bb.106:
	v_add_f32_e32 v2, 0x40101cb7, v2
	v_bfe_u32 v3, v2, 16, 1
	v_cmp_o_f32_e32 vcc_lo, v2, v2
	v_add3_u32 v2, v2, v3, 0x7fff
	v_mov_b32_e32 v3, 0x7fc0
	v_cndmask_b32_sdwa v3, v3, v2, vcc_lo dst_sel:DWORD dst_unused:UNUSED_PAD src0_sel:DWORD src1_sel:WORD_1
; %bb.107:
	s_or_b32 exec_lo, exec_lo, s1
.LBB36_108:
	s_or_b32 exec_lo, exec_lo, s2
                                        ; implicit-def: $vgpr9
.LBB36_109:
	s_andn2_saveexec_b32 s1, s7
; %bb.110:
	v_xor_b32_e32 v2, 0x80000000, v9
	s_mov_b32 s2, 0x7f800000
	v_and_or_b32 v2, 0x80000000, v2, s2
	v_lshrrev_b32_e32 v3, 16, v2
; %bb.111:
	s_or_b32 exec_lo, exec_lo, s1
	s_or_b32 exec_lo, exec_lo, s6
	s_and_saveexec_b32 s1, s0
	s_xor_b32 s0, exec_lo, s1
	s_cbranch_execnz .LBB36_117
.LBB36_112:
	s_or_b32 exec_lo, exec_lo, s0
	s_mov_b32 s0, exec_lo
	v_cmpx_gt_i32_e64 s5, v0
	s_cbranch_execz .LBB36_118
.LBB36_113:
	v_add_nc_u32_e32 v1, s4, v0
	v_mov_b32_e32 v2, 0
	v_add_nc_u32_e32 v0, 0x100, v0
	v_lshlrev_b64 v[1:2], 1, v[1:2]
	v_add_co_u32 v1, vcc_lo, s8, v1
	v_add_co_ci_u32_e64 v2, null, s9, v2, vcc_lo
	global_store_short v[1:2], v12, off
	s_or_b32 exec_lo, exec_lo, s0
	s_mov_b32 s0, exec_lo
	v_cmpx_gt_i32_e64 s5, v0
	s_cbranch_execnz .LBB36_119
.LBB36_114:
	s_or_b32 exec_lo, exec_lo, s0
	s_mov_b32 s0, exec_lo
	v_cmpx_gt_i32_e64 s5, v0
	s_cbranch_execz .LBB36_120
.LBB36_115:
	v_add_nc_u32_e32 v0, s4, v0
	v_mov_b32_e32 v1, 0
	v_lshlrev_b64 v[0:1], 1, v[0:1]
	v_add_co_u32 v0, vcc_lo, s8, v0
	v_add_co_ci_u32_e64 v1, null, s9, v1, vcc_lo
	global_store_short v[0:1], v3, off
	s_endpgm
.LBB36_116:
	s_or_b32 exec_lo, exec_lo, s6
	s_and_saveexec_b32 s1, s0
	s_xor_b32 s0, exec_lo, s1
	s_cbranch_execz .LBB36_112
.LBB36_117:
	v_mov_b32_e32 v2, 0
	v_lshlrev_b64 v[0:1], 1, v[1:2]
	v_add_co_u32 v4, vcc_lo, s8, v0
	v_add_co_ci_u32_e64 v5, null, s9, v1, vcc_lo
	v_mov_b32_e32 v0, v8
	global_store_short v[4:5], v10, off
	s_or_b32 exec_lo, exec_lo, s0
	s_mov_b32 s0, exec_lo
	v_cmpx_gt_i32_e64 s5, v0
	s_cbranch_execnz .LBB36_113
.LBB36_118:
	s_or_b32 exec_lo, exec_lo, s0
	s_mov_b32 s0, exec_lo
	v_cmpx_gt_i32_e64 s5, v0
	s_cbranch_execz .LBB36_114
.LBB36_119:
	v_add_nc_u32_e32 v1, s4, v0
	v_mov_b32_e32 v2, 0
	v_add_nc_u32_e32 v0, 0x100, v0
	v_lshlrev_b64 v[1:2], 1, v[1:2]
	v_add_co_u32 v1, vcc_lo, s8, v1
	v_add_co_ci_u32_e64 v2, null, s9, v2, vcc_lo
	global_store_short v[1:2], v13, off
	s_or_b32 exec_lo, exec_lo, s0
	s_mov_b32 s0, exec_lo
	v_cmpx_gt_i32_e64 s5, v0
	s_cbranch_execnz .LBB36_115
.LBB36_120:
	s_endpgm
	.section	.rodata,"a",@progbits
	.p2align	6, 0x0
	.amdhsa_kernel _ZN2at6native27unrolled_elementwise_kernelIZZZNS0_19digamma_kernel_cudaERNS_18TensorIteratorBaseEENKUlvE_clEvENKUlvE2_clEvEUlN3c108BFloat16EE_St5arrayIPcLm2EELi4E23TrivialOffsetCalculatorILi1EjESD_NS0_6memory15LoadWithoutCastENSE_16StoreWithoutCastEEEviT_T0_T2_T3_T4_T5_
		.amdhsa_group_segment_fixed_size 0
		.amdhsa_private_segment_fixed_size 0
		.amdhsa_kernarg_size 28
		.amdhsa_user_sgpr_count 6
		.amdhsa_user_sgpr_private_segment_buffer 1
		.amdhsa_user_sgpr_dispatch_ptr 0
		.amdhsa_user_sgpr_queue_ptr 0
		.amdhsa_user_sgpr_kernarg_segment_ptr 1
		.amdhsa_user_sgpr_dispatch_id 0
		.amdhsa_user_sgpr_flat_scratch_init 0
		.amdhsa_user_sgpr_private_segment_size 0
		.amdhsa_wavefront_size32 1
		.amdhsa_uses_dynamic_stack 0
		.amdhsa_system_sgpr_private_segment_wavefront_offset 0
		.amdhsa_system_sgpr_workgroup_id_x 1
		.amdhsa_system_sgpr_workgroup_id_y 0
		.amdhsa_system_sgpr_workgroup_id_z 0
		.amdhsa_system_sgpr_workgroup_info 0
		.amdhsa_system_vgpr_workitem_id 0
		.amdhsa_next_free_vgpr 41
		.amdhsa_next_free_sgpr 16
		.amdhsa_reserve_vcc 1
		.amdhsa_reserve_flat_scratch 0
		.amdhsa_float_round_mode_32 0
		.amdhsa_float_round_mode_16_64 0
		.amdhsa_float_denorm_mode_32 3
		.amdhsa_float_denorm_mode_16_64 3
		.amdhsa_dx10_clamp 1
		.amdhsa_ieee_mode 1
		.amdhsa_fp16_overflow 0
		.amdhsa_workgroup_processor_mode 1
		.amdhsa_memory_ordered 1
		.amdhsa_forward_progress 1
		.amdhsa_shared_vgpr_count 0
		.amdhsa_exception_fp_ieee_invalid_op 0
		.amdhsa_exception_fp_denorm_src 0
		.amdhsa_exception_fp_ieee_div_zero 0
		.amdhsa_exception_fp_ieee_overflow 0
		.amdhsa_exception_fp_ieee_underflow 0
		.amdhsa_exception_fp_ieee_inexact 0
		.amdhsa_exception_int_div_zero 0
	.end_amdhsa_kernel
	.section	.text._ZN2at6native27unrolled_elementwise_kernelIZZZNS0_19digamma_kernel_cudaERNS_18TensorIteratorBaseEENKUlvE_clEvENKUlvE2_clEvEUlN3c108BFloat16EE_St5arrayIPcLm2EELi4E23TrivialOffsetCalculatorILi1EjESD_NS0_6memory15LoadWithoutCastENSE_16StoreWithoutCastEEEviT_T0_T2_T3_T4_T5_,"axG",@progbits,_ZN2at6native27unrolled_elementwise_kernelIZZZNS0_19digamma_kernel_cudaERNS_18TensorIteratorBaseEENKUlvE_clEvENKUlvE2_clEvEUlN3c108BFloat16EE_St5arrayIPcLm2EELi4E23TrivialOffsetCalculatorILi1EjESD_NS0_6memory15LoadWithoutCastENSE_16StoreWithoutCastEEEviT_T0_T2_T3_T4_T5_,comdat
.Lfunc_end36:
	.size	_ZN2at6native27unrolled_elementwise_kernelIZZZNS0_19digamma_kernel_cudaERNS_18TensorIteratorBaseEENKUlvE_clEvENKUlvE2_clEvEUlN3c108BFloat16EE_St5arrayIPcLm2EELi4E23TrivialOffsetCalculatorILi1EjESD_NS0_6memory15LoadWithoutCastENSE_16StoreWithoutCastEEEviT_T0_T2_T3_T4_T5_, .Lfunc_end36-_ZN2at6native27unrolled_elementwise_kernelIZZZNS0_19digamma_kernel_cudaERNS_18TensorIteratorBaseEENKUlvE_clEvENKUlvE2_clEvEUlN3c108BFloat16EE_St5arrayIPcLm2EELi4E23TrivialOffsetCalculatorILi1EjESD_NS0_6memory15LoadWithoutCastENSE_16StoreWithoutCastEEEviT_T0_T2_T3_T4_T5_
                                        ; -- End function
	.set _ZN2at6native27unrolled_elementwise_kernelIZZZNS0_19digamma_kernel_cudaERNS_18TensorIteratorBaseEENKUlvE_clEvENKUlvE2_clEvEUlN3c108BFloat16EE_St5arrayIPcLm2EELi4E23TrivialOffsetCalculatorILi1EjESD_NS0_6memory15LoadWithoutCastENSE_16StoreWithoutCastEEEviT_T0_T2_T3_T4_T5_.num_vgpr, 41
	.set _ZN2at6native27unrolled_elementwise_kernelIZZZNS0_19digamma_kernel_cudaERNS_18TensorIteratorBaseEENKUlvE_clEvENKUlvE2_clEvEUlN3c108BFloat16EE_St5arrayIPcLm2EELi4E23TrivialOffsetCalculatorILi1EjESD_NS0_6memory15LoadWithoutCastENSE_16StoreWithoutCastEEEviT_T0_T2_T3_T4_T5_.num_agpr, 0
	.set _ZN2at6native27unrolled_elementwise_kernelIZZZNS0_19digamma_kernel_cudaERNS_18TensorIteratorBaseEENKUlvE_clEvENKUlvE2_clEvEUlN3c108BFloat16EE_St5arrayIPcLm2EELi4E23TrivialOffsetCalculatorILi1EjESD_NS0_6memory15LoadWithoutCastENSE_16StoreWithoutCastEEEviT_T0_T2_T3_T4_T5_.numbered_sgpr, 16
	.set _ZN2at6native27unrolled_elementwise_kernelIZZZNS0_19digamma_kernel_cudaERNS_18TensorIteratorBaseEENKUlvE_clEvENKUlvE2_clEvEUlN3c108BFloat16EE_St5arrayIPcLm2EELi4E23TrivialOffsetCalculatorILi1EjESD_NS0_6memory15LoadWithoutCastENSE_16StoreWithoutCastEEEviT_T0_T2_T3_T4_T5_.num_named_barrier, 0
	.set _ZN2at6native27unrolled_elementwise_kernelIZZZNS0_19digamma_kernel_cudaERNS_18TensorIteratorBaseEENKUlvE_clEvENKUlvE2_clEvEUlN3c108BFloat16EE_St5arrayIPcLm2EELi4E23TrivialOffsetCalculatorILi1EjESD_NS0_6memory15LoadWithoutCastENSE_16StoreWithoutCastEEEviT_T0_T2_T3_T4_T5_.private_seg_size, 0
	.set _ZN2at6native27unrolled_elementwise_kernelIZZZNS0_19digamma_kernel_cudaERNS_18TensorIteratorBaseEENKUlvE_clEvENKUlvE2_clEvEUlN3c108BFloat16EE_St5arrayIPcLm2EELi4E23TrivialOffsetCalculatorILi1EjESD_NS0_6memory15LoadWithoutCastENSE_16StoreWithoutCastEEEviT_T0_T2_T3_T4_T5_.uses_vcc, 1
	.set _ZN2at6native27unrolled_elementwise_kernelIZZZNS0_19digamma_kernel_cudaERNS_18TensorIteratorBaseEENKUlvE_clEvENKUlvE2_clEvEUlN3c108BFloat16EE_St5arrayIPcLm2EELi4E23TrivialOffsetCalculatorILi1EjESD_NS0_6memory15LoadWithoutCastENSE_16StoreWithoutCastEEEviT_T0_T2_T3_T4_T5_.uses_flat_scratch, 0
	.set _ZN2at6native27unrolled_elementwise_kernelIZZZNS0_19digamma_kernel_cudaERNS_18TensorIteratorBaseEENKUlvE_clEvENKUlvE2_clEvEUlN3c108BFloat16EE_St5arrayIPcLm2EELi4E23TrivialOffsetCalculatorILi1EjESD_NS0_6memory15LoadWithoutCastENSE_16StoreWithoutCastEEEviT_T0_T2_T3_T4_T5_.has_dyn_sized_stack, 0
	.set _ZN2at6native27unrolled_elementwise_kernelIZZZNS0_19digamma_kernel_cudaERNS_18TensorIteratorBaseEENKUlvE_clEvENKUlvE2_clEvEUlN3c108BFloat16EE_St5arrayIPcLm2EELi4E23TrivialOffsetCalculatorILi1EjESD_NS0_6memory15LoadWithoutCastENSE_16StoreWithoutCastEEEviT_T0_T2_T3_T4_T5_.has_recursion, 0
	.set _ZN2at6native27unrolled_elementwise_kernelIZZZNS0_19digamma_kernel_cudaERNS_18TensorIteratorBaseEENKUlvE_clEvENKUlvE2_clEvEUlN3c108BFloat16EE_St5arrayIPcLm2EELi4E23TrivialOffsetCalculatorILi1EjESD_NS0_6memory15LoadWithoutCastENSE_16StoreWithoutCastEEEviT_T0_T2_T3_T4_T5_.has_indirect_call, 0
	.section	.AMDGPU.csdata,"",@progbits
; Kernel info:
; codeLenInByte = 10628
; TotalNumSgprs: 18
; NumVgprs: 41
; ScratchSize: 0
; MemoryBound: 0
; FloatMode: 240
; IeeeMode: 1
; LDSByteSize: 0 bytes/workgroup (compile time only)
; SGPRBlocks: 0
; VGPRBlocks: 5
; NumSGPRsForWavesPerEU: 18
; NumVGPRsForWavesPerEU: 41
; Occupancy: 16
; WaveLimiterHint : 0
; COMPUTE_PGM_RSRC2:SCRATCH_EN: 0
; COMPUTE_PGM_RSRC2:USER_SGPR: 6
; COMPUTE_PGM_RSRC2:TRAP_HANDLER: 0
; COMPUTE_PGM_RSRC2:TGID_X_EN: 1
; COMPUTE_PGM_RSRC2:TGID_Y_EN: 0
; COMPUTE_PGM_RSRC2:TGID_Z_EN: 0
; COMPUTE_PGM_RSRC2:TIDIG_COMP_CNT: 0
	.section	.text._ZN2at6native32elementwise_kernel_manual_unrollILi128ELi8EZNS0_22gpu_kernel_impl_nocastIZZZNS0_19digamma_kernel_cudaERNS_18TensorIteratorBaseEENKUlvE_clEvENKUlvE2_clEvEUlN3c108BFloat16EE_EEvS4_RKT_EUlibE_EEviT1_,"axG",@progbits,_ZN2at6native32elementwise_kernel_manual_unrollILi128ELi8EZNS0_22gpu_kernel_impl_nocastIZZZNS0_19digamma_kernel_cudaERNS_18TensorIteratorBaseEENKUlvE_clEvENKUlvE2_clEvEUlN3c108BFloat16EE_EEvS4_RKT_EUlibE_EEviT1_,comdat
	.globl	_ZN2at6native32elementwise_kernel_manual_unrollILi128ELi8EZNS0_22gpu_kernel_impl_nocastIZZZNS0_19digamma_kernel_cudaERNS_18TensorIteratorBaseEENKUlvE_clEvENKUlvE2_clEvEUlN3c108BFloat16EE_EEvS4_RKT_EUlibE_EEviT1_ ; -- Begin function _ZN2at6native32elementwise_kernel_manual_unrollILi128ELi8EZNS0_22gpu_kernel_impl_nocastIZZZNS0_19digamma_kernel_cudaERNS_18TensorIteratorBaseEENKUlvE_clEvENKUlvE2_clEvEUlN3c108BFloat16EE_EEvS4_RKT_EUlibE_EEviT1_
	.p2align	8
	.type	_ZN2at6native32elementwise_kernel_manual_unrollILi128ELi8EZNS0_22gpu_kernel_impl_nocastIZZZNS0_19digamma_kernel_cudaERNS_18TensorIteratorBaseEENKUlvE_clEvENKUlvE2_clEvEUlN3c108BFloat16EE_EEvS4_RKT_EUlibE_EEviT1_,@function
_ZN2at6native32elementwise_kernel_manual_unrollILi128ELi8EZNS0_22gpu_kernel_impl_nocastIZZZNS0_19digamma_kernel_cudaERNS_18TensorIteratorBaseEENKUlvE_clEvENKUlvE2_clEvEUlN3c108BFloat16EE_EEvS4_RKT_EUlibE_EEviT1_: ; @_ZN2at6native32elementwise_kernel_manual_unrollILi128ELi8EZNS0_22gpu_kernel_impl_nocastIZZZNS0_19digamma_kernel_cudaERNS_18TensorIteratorBaseEENKUlvE_clEvENKUlvE2_clEvEUlN3c108BFloat16EE_EEvS4_RKT_EUlibE_EEviT1_
; %bb.0:
	s_clause 0x1
	s_load_dword s22, s[4:5], 0x8
	s_load_dword s27, s[4:5], 0x0
	v_lshl_or_b32 v7, s6, 10, v0
	s_add_u32 s2, s4, 8
	s_addc_u32 s3, s5, 0
	s_mov_b32 s0, exec_lo
	v_or_b32_e32 v25, 0x380, v7
	s_waitcnt lgkmcnt(0)
	s_add_i32 s23, s22, -1
	s_cmp_gt_u32 s23, 1
	s_cselect_b32 s24, -1, 0
	v_cmpx_le_i32_e64 s27, v25
	s_xor_b32 s25, exec_lo, s0
	s_cbranch_execz .LBB37_7
; %bb.1:
	s_clause 0x3
	s_load_dwordx4 s[12:15], s[2:3], 0x4
	s_load_dwordx2 s[16:17], s[2:3], 0x14
	s_load_dwordx4 s[8:11], s[2:3], 0xc4
	s_load_dwordx4 s[4:7], s[2:3], 0x148
	s_cmp_lg_u32 s22, 0
	s_mov_b32 s30, exec_lo
	s_cselect_b32 s29, -1, 0
	s_add_u32 s18, s2, 0xc4
	s_addc_u32 s19, s3, 0
	s_min_u32 s28, s23, 15
	s_cmp_gt_u32 s22, 1
	s_cselect_b32 s26, -1, 0
	v_cmpx_gt_i32_e64 s27, v7
	s_cbranch_execz .LBB37_14
; %bb.2:
	s_andn2_b32 vcc_lo, exec_lo, s24
	s_cbranch_vccnz .LBB37_21
; %bb.3:
	s_andn2_b32 vcc_lo, exec_lo, s29
	s_cbranch_vccnz .LBB37_321
; %bb.4:
	s_add_i32 s33, s28, 1
	s_cmp_eq_u32 s23, 2
	s_cbranch_scc1 .LBB37_323
; %bb.5:
	v_mov_b32_e32 v2, 0
	v_mov_b32_e32 v0, 0
	;; [unrolled: 1-line block ×3, first 2 shown]
	s_and_b32 s31, s33, 28
	s_mov_b32 s34, 0
	s_mov_b64 s[0:1], s[2:3]
	s_mov_b64 s[20:21], s[18:19]
.LBB37_6:                               ; =>This Inner Loop Header: Depth=1
	s_clause 0x1
	s_load_dwordx8 s[36:43], s[0:1], 0x4
	s_load_dwordx4 s[52:55], s[0:1], 0x24
	s_load_dwordx8 s[44:51], s[20:21], 0x0
	s_add_u32 s0, s0, 48
	s_addc_u32 s1, s1, 0
	s_add_i32 s34, s34, 4
	s_add_u32 s20, s20, 32
	s_addc_u32 s21, s21, 0
	s_cmp_lg_u32 s31, s34
	s_waitcnt lgkmcnt(0)
	v_mul_hi_u32 v3, s37, v1
	v_add_nc_u32_e32 v3, v1, v3
	v_lshrrev_b32_e32 v3, s38, v3
	v_mul_hi_u32 v4, s40, v3
	v_mul_lo_u32 v6, v3, s36
	v_add_nc_u32_e32 v4, v3, v4
	v_sub_nc_u32_e32 v1, v1, v6
	v_lshrrev_b32_e32 v4, s41, v4
	v_mul_lo_u32 v6, v1, s44
	v_mul_lo_u32 v9, v1, s45
	v_mul_hi_u32 v5, s43, v4
	v_add_nc_u32_e32 v5, v4, v5
	v_lshrrev_b32_e32 v5, s52, v5
	v_mul_hi_u32 v8, s54, v5
	v_mul_lo_u32 v10, v5, s42
	v_add_nc_u32_e32 v1, v5, v8
	v_mul_lo_u32 v8, v4, s39
	v_sub_nc_u32_e32 v4, v4, v10
	v_lshrrev_b32_e32 v1, s55, v1
	v_mul_lo_u32 v10, v4, s48
	v_mul_lo_u32 v4, v4, s49
	v_sub_nc_u32_e32 v3, v3, v8
	v_mul_lo_u32 v11, v1, s53
	v_mul_lo_u32 v8, v3, s46
	;; [unrolled: 1-line block ×3, first 2 shown]
	v_sub_nc_u32_e32 v5, v5, v11
	v_add3_u32 v0, v6, v0, v8
	v_mul_lo_u32 v11, v5, s50
	v_mul_lo_u32 v5, v5, s51
	v_add3_u32 v2, v9, v2, v3
	v_add3_u32 v0, v10, v0, v11
	;; [unrolled: 1-line block ×3, first 2 shown]
	s_cbranch_scc1 .LBB37_6
	s_branch .LBB37_324
.LBB37_7:
	s_andn2_saveexec_b32 s0, s25
	s_cbranch_execz .LBB37_557
.LBB37_8:
	v_cndmask_b32_e64 v8, 0, 1, s24
	s_andn2_b32 vcc_lo, exec_lo, s24
	s_cbranch_vccnz .LBB37_20
; %bb.9:
	s_cmp_lg_u32 s22, 0
	s_waitcnt lgkmcnt(0)
	s_mov_b32 s6, 0
	s_cbranch_scc0 .LBB37_23
; %bb.10:
	s_min_u32 s8, s23, 15
	s_add_i32 s8, s8, 1
	s_cmp_eq_u32 s23, 2
	s_cbranch_scc1 .LBB37_24
; %bb.11:
	v_mov_b32_e32 v23, 0
	v_mov_b32_e32 v0, 0
	;; [unrolled: 1-line block ×3, first 2 shown]
	s_and_b32 s7, s8, 28
	s_add_u32 s0, s2, 0xc4
	s_addc_u32 s1, s3, 0
	s_mov_b32 s9, 0
	s_mov_b64 s[4:5], s[2:3]
.LBB37_12:                              ; =>This Inner Loop Header: Depth=1
	s_clause 0x1
	s_load_dwordx8 s[12:19], s[4:5], 0x4
	s_load_dwordx4 s[36:39], s[4:5], 0x24
	s_load_dwordx8 s[24:31], s[0:1], 0x0
	s_add_u32 s4, s4, 48
	s_addc_u32 s5, s5, 0
	s_add_i32 s9, s9, 4
	s_add_u32 s0, s0, 32
	s_addc_u32 s1, s1, 0
	s_cmp_lg_u32 s7, s9
	s_waitcnt lgkmcnt(0)
	v_mul_hi_u32 v2, s13, v1
	v_add_nc_u32_e32 v2, v1, v2
	v_lshrrev_b32_e32 v2, s14, v2
	v_mul_hi_u32 v3, s16, v2
	v_mul_lo_u32 v5, v2, s12
	v_add_nc_u32_e32 v3, v2, v3
	v_sub_nc_u32_e32 v1, v1, v5
	v_lshrrev_b32_e32 v3, s17, v3
	v_mul_lo_u32 v5, v1, s24
	v_mul_lo_u32 v9, v1, s25
	v_mul_hi_u32 v4, s19, v3
	v_add_nc_u32_e32 v4, v3, v4
	v_lshrrev_b32_e32 v4, s36, v4
	v_mul_hi_u32 v6, s38, v4
	v_mul_lo_u32 v10, v4, s18
	v_add_nc_u32_e32 v1, v4, v6
	v_mul_lo_u32 v6, v3, s15
	v_sub_nc_u32_e32 v3, v3, v10
	v_lshrrev_b32_e32 v1, s39, v1
	v_mul_lo_u32 v10, v3, s28
	v_mul_lo_u32 v3, v3, s29
	v_sub_nc_u32_e32 v2, v2, v6
	v_mul_lo_u32 v11, v1, s37
	v_mul_lo_u32 v6, v2, s26
	;; [unrolled: 1-line block ×3, first 2 shown]
	v_sub_nc_u32_e32 v4, v4, v11
	v_add3_u32 v0, v5, v0, v6
	v_mul_lo_u32 v11, v4, s30
	v_mul_lo_u32 v4, v4, s31
	v_add3_u32 v2, v9, v23, v2
	v_add3_u32 v0, v10, v0, v11
	;; [unrolled: 1-line block ×3, first 2 shown]
	s_cbranch_scc1 .LBB37_12
; %bb.13:
	s_and_b32 s8, s8, 3
	s_cmp_eq_u32 s8, 0
	s_cbranch_scc0 .LBB37_25
	s_branch .LBB37_27
.LBB37_14:
	s_or_b32 exec_lo, exec_lo, s30
	s_mov_b32 s30, exec_lo
	v_cmpx_gt_i32_e64 s27, v7
	s_cbranch_execz .LBB37_355
.LBB37_15:
	s_andn2_b32 vcc_lo, exec_lo, s24
	s_cbranch_vccnz .LBB37_22
; %bb.16:
	s_andn2_b32 vcc_lo, exec_lo, s29
	s_cbranch_vccnz .LBB37_322
; %bb.17:
	s_add_i32 s33, s28, 1
	s_cmp_eq_u32 s23, 2
	s_cbranch_scc1 .LBB37_363
; %bb.18:
	v_mov_b32_e32 v2, 0
	v_mov_b32_e32 v0, 0
	;; [unrolled: 1-line block ×3, first 2 shown]
	s_and_b32 s31, s33, 28
	s_mov_b32 s34, 0
	s_mov_b64 s[0:1], s[2:3]
	s_mov_b64 s[20:21], s[18:19]
.LBB37_19:                              ; =>This Inner Loop Header: Depth=1
	s_clause 0x1
	s_load_dwordx8 s[36:43], s[0:1], 0x4
	s_load_dwordx4 s[52:55], s[0:1], 0x24
	s_load_dwordx8 s[44:51], s[20:21], 0x0
	s_add_u32 s0, s0, 48
	s_addc_u32 s1, s1, 0
	s_add_i32 s34, s34, 4
	s_add_u32 s20, s20, 32
	s_addc_u32 s21, s21, 0
	s_cmp_eq_u32 s31, s34
	s_waitcnt lgkmcnt(0)
	v_mul_hi_u32 v3, s37, v1
	v_add_nc_u32_e32 v3, v1, v3
	v_lshrrev_b32_e32 v3, s38, v3
	v_mul_hi_u32 v4, s40, v3
	v_mul_lo_u32 v6, v3, s36
	v_add_nc_u32_e32 v4, v3, v4
	v_sub_nc_u32_e32 v1, v1, v6
	v_lshrrev_b32_e32 v4, s41, v4
	v_mul_lo_u32 v6, v1, s44
	v_mul_lo_u32 v9, v1, s45
	v_mul_hi_u32 v5, s43, v4
	v_add_nc_u32_e32 v5, v4, v5
	v_lshrrev_b32_e32 v5, s52, v5
	v_mul_hi_u32 v8, s54, v5
	v_mul_lo_u32 v10, v5, s42
	v_add_nc_u32_e32 v1, v5, v8
	v_mul_lo_u32 v8, v4, s39
	v_sub_nc_u32_e32 v4, v4, v10
	v_lshrrev_b32_e32 v1, s55, v1
	v_mul_lo_u32 v10, v4, s48
	v_mul_lo_u32 v4, v4, s49
	v_sub_nc_u32_e32 v3, v3, v8
	v_mul_lo_u32 v11, v1, s53
	v_mul_lo_u32 v8, v3, s46
	;; [unrolled: 1-line block ×3, first 2 shown]
	v_sub_nc_u32_e32 v5, v5, v11
	v_add3_u32 v0, v6, v0, v8
	v_mul_lo_u32 v11, v5, s50
	v_mul_lo_u32 v5, v5, s51
	v_add3_u32 v2, v9, v2, v3
	v_add3_u32 v0, v10, v0, v11
	;; [unrolled: 1-line block ×3, first 2 shown]
	s_cbranch_scc0 .LBB37_19
	s_branch .LBB37_364
.LBB37_20:
	s_waitcnt lgkmcnt(0)
	s_mov_b32 s6, -1
                                        ; implicit-def: $vgpr0
                                        ; implicit-def: $vgpr23
	s_branch .LBB37_27
.LBB37_21:
                                        ; implicit-def: $vgpr0
                                        ; implicit-def: $vgpr2
	s_branch .LBB37_328
.LBB37_22:
                                        ; implicit-def: $vgpr0
                                        ; implicit-def: $vgpr2
	s_branch .LBB37_368
.LBB37_23:
	v_mov_b32_e32 v0, 0
	v_mov_b32_e32 v23, 0
	s_branch .LBB37_27
.LBB37_24:
	v_mov_b32_e32 v0, 0
	v_mov_b32_e32 v23, 0
	;; [unrolled: 1-line block ×3, first 2 shown]
	s_mov_b32 s7, 0
	s_and_b32 s8, s8, 3
	s_cmp_eq_u32 s8, 0
	s_cbranch_scc1 .LBB37_27
.LBB37_25:
	s_lshl_b32 s0, s7, 3
	s_mul_i32 s4, s7, 12
	s_add_u32 s0, s2, s0
	s_addc_u32 s1, s3, 0
	s_add_u32 s0, s0, 0xc4
	s_addc_u32 s1, s1, 0
	;; [unrolled: 2-line block ×3, first 2 shown]
	.p2align	6
.LBB37_26:                              ; =>This Inner Loop Header: Depth=1
	s_clause 0x1
	s_load_dwordx2 s[10:11], s[4:5], 0x4
	s_load_dword s7, s[4:5], 0xc
	s_load_dwordx2 s[12:13], s[0:1], 0x0
	s_add_u32 s4, s4, 12
	s_addc_u32 s5, s5, 0
	s_add_u32 s0, s0, 8
	s_addc_u32 s1, s1, 0
	s_add_i32 s8, s8, -1
	s_cmp_lg_u32 s8, 0
	s_waitcnt lgkmcnt(0)
	v_mul_hi_u32 v2, s11, v1
	v_add_nc_u32_e32 v2, v1, v2
	v_lshrrev_b32_e32 v2, s7, v2
	v_mul_lo_u32 v3, v2, s10
	v_sub_nc_u32_e32 v3, v1, v3
	v_mad_u64_u32 v[0:1], null, v3, s12, v[0:1]
	v_mad_u64_u32 v[23:24], null, v3, s13, v[23:24]
	v_mov_b32_e32 v1, v2
	s_cbranch_scc1 .LBB37_26
.LBB37_27:
	s_andn2_b32 vcc_lo, exec_lo, s6
	s_cbranch_vccnz .LBB37_30
; %bb.28:
	s_clause 0x1
	s_load_dwordx4 s[4:7], s[2:3], 0x4
	s_load_dwordx2 s[0:1], s[2:3], 0xc4
	s_cmp_lt_u32 s22, 2
	s_waitcnt lgkmcnt(0)
	v_mul_hi_u32 v0, s5, v7
	v_add_nc_u32_e32 v0, v7, v0
	v_lshrrev_b32_e32 v1, s6, v0
	v_mul_lo_u32 v0, v1, s4
	v_sub_nc_u32_e32 v2, v7, v0
	v_mul_lo_u32 v0, v2, s0
	v_mul_lo_u32 v23, v2, s1
	s_cbranch_scc1 .LBB37_30
; %bb.29:
	s_clause 0x1
	s_load_dwordx4 s[4:7], s[2:3], 0x10
	s_load_dwordx2 s[0:1], s[2:3], 0xcc
	s_waitcnt lgkmcnt(0)
	v_mul_hi_u32 v2, s5, v1
	v_add_nc_u32_e32 v2, v1, v2
	v_lshrrev_b32_e32 v2, s6, v2
	v_mul_lo_u32 v2, v2, s4
	v_sub_nc_u32_e32 v2, v1, v2
	v_mad_u64_u32 v[0:1], null, v2, s0, v[0:1]
	v_mad_u64_u32 v[23:24], null, v2, s1, v[23:24]
.LBB37_30:
	v_cmp_ne_u32_e32 vcc_lo, 1, v8
	v_add_nc_u32_e32 v3, 0x80, v7
	s_cbranch_vccnz .LBB37_36
; %bb.31:
	s_cmp_lg_u32 s22, 0
	s_mov_b32 s6, 0
	s_cbranch_scc0 .LBB37_37
; %bb.32:
	s_min_u32 s8, s23, 15
	s_add_i32 s8, s8, 1
	s_cmp_eq_u32 s23, 2
	s_cbranch_scc1 .LBB37_38
; %bb.33:
	v_mov_b32_e32 v21, 0
	v_mov_b32_e32 v1, 0
	;; [unrolled: 1-line block ×3, first 2 shown]
	s_and_b32 s7, s8, 28
	s_add_u32 s0, s2, 0xc4
	s_addc_u32 s1, s3, 0
	s_mov_b32 s9, 0
	s_mov_b64 s[4:5], s[2:3]
.LBB37_34:                              ; =>This Inner Loop Header: Depth=1
	s_clause 0x1
	s_load_dwordx8 s[12:19], s[4:5], 0x4
	s_load_dwordx4 s[36:39], s[4:5], 0x24
	s_load_dwordx8 s[24:31], s[0:1], 0x0
	s_add_u32 s4, s4, 48
	s_addc_u32 s5, s5, 0
	s_add_i32 s9, s9, 4
	s_add_u32 s0, s0, 32
	s_addc_u32 s1, s1, 0
	s_cmp_lg_u32 s7, s9
	s_waitcnt lgkmcnt(0)
	v_mul_hi_u32 v4, s13, v2
	v_add_nc_u32_e32 v4, v2, v4
	v_lshrrev_b32_e32 v4, s14, v4
	v_mul_hi_u32 v5, s16, v4
	v_mul_lo_u32 v9, v4, s12
	v_add_nc_u32_e32 v5, v4, v5
	v_sub_nc_u32_e32 v2, v2, v9
	v_lshrrev_b32_e32 v5, s17, v5
	v_mul_lo_u32 v9, v2, s24
	v_mul_lo_u32 v11, v2, s25
	v_mul_hi_u32 v6, s19, v5
	v_add_nc_u32_e32 v6, v5, v6
	v_lshrrev_b32_e32 v6, s36, v6
	v_mul_hi_u32 v10, s38, v6
	v_mul_lo_u32 v12, v6, s18
	v_add_nc_u32_e32 v2, v6, v10
	v_mul_lo_u32 v10, v5, s15
	v_sub_nc_u32_e32 v5, v5, v12
	v_lshrrev_b32_e32 v2, s39, v2
	v_mul_lo_u32 v12, v5, s28
	v_mul_lo_u32 v5, v5, s29
	v_sub_nc_u32_e32 v4, v4, v10
	v_mul_lo_u32 v13, v2, s37
	v_mul_lo_u32 v10, v4, s26
	;; [unrolled: 1-line block ×3, first 2 shown]
	v_sub_nc_u32_e32 v6, v6, v13
	v_add3_u32 v1, v9, v1, v10
	v_mul_lo_u32 v13, v6, s30
	v_mul_lo_u32 v6, v6, s31
	v_add3_u32 v4, v11, v21, v4
	v_add3_u32 v1, v12, v1, v13
	;; [unrolled: 1-line block ×3, first 2 shown]
	s_cbranch_scc1 .LBB37_34
; %bb.35:
	s_and_b32 s8, s8, 3
	s_cmp_eq_u32 s8, 0
	s_cbranch_scc0 .LBB37_39
	s_branch .LBB37_41
.LBB37_36:
	s_mov_b32 s6, -1
                                        ; implicit-def: $vgpr1
                                        ; implicit-def: $vgpr21
	s_branch .LBB37_41
.LBB37_37:
	v_mov_b32_e32 v1, 0
	v_mov_b32_e32 v21, 0
	s_branch .LBB37_41
.LBB37_38:
	v_mov_b32_e32 v1, 0
	v_mov_b32_e32 v21, 0
	v_mov_b32_e32 v2, v3
	s_mov_b32 s7, 0
	s_and_b32 s8, s8, 3
	s_cmp_eq_u32 s8, 0
	s_cbranch_scc1 .LBB37_41
.LBB37_39:
	s_lshl_b32 s0, s7, 3
	s_mul_i32 s4, s7, 12
	s_add_u32 s0, s2, s0
	s_addc_u32 s1, s3, 0
	s_add_u32 s0, s0, 0xc4
	s_addc_u32 s1, s1, 0
	;; [unrolled: 2-line block ×3, first 2 shown]
	.p2align	6
.LBB37_40:                              ; =>This Inner Loop Header: Depth=1
	s_clause 0x1
	s_load_dwordx2 s[10:11], s[4:5], 0x4
	s_load_dword s7, s[4:5], 0xc
	s_load_dwordx2 s[12:13], s[0:1], 0x0
	s_add_u32 s4, s4, 12
	s_addc_u32 s5, s5, 0
	s_add_u32 s0, s0, 8
	s_addc_u32 s1, s1, 0
	s_add_i32 s8, s8, -1
	s_cmp_lg_u32 s8, 0
	s_waitcnt lgkmcnt(0)
	v_mul_hi_u32 v4, s11, v2
	v_add_nc_u32_e32 v4, v2, v4
	v_lshrrev_b32_e32 v4, s7, v4
	v_mul_lo_u32 v5, v4, s10
	v_sub_nc_u32_e32 v5, v2, v5
	v_mad_u64_u32 v[1:2], null, v5, s12, v[1:2]
	v_mad_u64_u32 v[21:22], null, v5, s13, v[21:22]
	v_mov_b32_e32 v2, v4
	s_cbranch_scc1 .LBB37_40
.LBB37_41:
	s_andn2_b32 vcc_lo, exec_lo, s6
	s_cbranch_vccnz .LBB37_44
; %bb.42:
	s_clause 0x1
	s_load_dwordx4 s[4:7], s[2:3], 0x4
	s_load_dwordx2 s[0:1], s[2:3], 0xc4
	s_cmp_lt_u32 s22, 2
	s_waitcnt lgkmcnt(0)
	v_mul_hi_u32 v1, s5, v3
	v_add_nc_u32_e32 v1, v3, v1
	v_lshrrev_b32_e32 v2, s6, v1
	v_mul_lo_u32 v1, v2, s4
	v_sub_nc_u32_e32 v3, v3, v1
	v_mul_lo_u32 v1, v3, s0
	v_mul_lo_u32 v21, v3, s1
	s_cbranch_scc1 .LBB37_44
; %bb.43:
	s_clause 0x1
	s_load_dwordx4 s[4:7], s[2:3], 0x10
	s_load_dwordx2 s[0:1], s[2:3], 0xcc
	s_waitcnt lgkmcnt(0)
	v_mul_hi_u32 v3, s5, v2
	v_add_nc_u32_e32 v3, v2, v3
	v_lshrrev_b32_e32 v3, s6, v3
	v_mul_lo_u32 v3, v3, s4
	v_sub_nc_u32_e32 v3, v2, v3
	v_mad_u64_u32 v[1:2], null, v3, s0, v[1:2]
	v_mad_u64_u32 v[21:22], null, v3, s1, v[21:22]
.LBB37_44:
	v_cmp_ne_u32_e32 vcc_lo, 1, v8
	v_add_nc_u32_e32 v4, 0x100, v7
	s_cbranch_vccnz .LBB37_50
; %bb.45:
	s_cmp_lg_u32 s22, 0
	s_mov_b32 s6, 0
	s_cbranch_scc0 .LBB37_51
; %bb.46:
	s_min_u32 s8, s23, 15
	s_add_i32 s8, s8, 1
	s_cmp_eq_u32 s23, 2
	s_cbranch_scc1 .LBB37_52
; %bb.47:
	v_mov_b32_e32 v19, 0
	v_mov_b32_e32 v2, 0
	;; [unrolled: 1-line block ×3, first 2 shown]
	s_and_b32 s7, s8, 28
	s_add_u32 s0, s2, 0xc4
	s_addc_u32 s1, s3, 0
	s_mov_b32 s9, 0
	s_mov_b64 s[4:5], s[2:3]
.LBB37_48:                              ; =>This Inner Loop Header: Depth=1
	s_clause 0x1
	s_load_dwordx8 s[12:19], s[4:5], 0x4
	s_load_dwordx4 s[36:39], s[4:5], 0x24
	s_load_dwordx8 s[24:31], s[0:1], 0x0
	s_add_u32 s4, s4, 48
	s_addc_u32 s5, s5, 0
	s_add_i32 s9, s9, 4
	s_add_u32 s0, s0, 32
	s_addc_u32 s1, s1, 0
	s_cmp_lg_u32 s7, s9
	s_waitcnt lgkmcnt(0)
	v_mul_hi_u32 v5, s13, v3
	v_add_nc_u32_e32 v5, v3, v5
	v_lshrrev_b32_e32 v5, s14, v5
	v_mul_hi_u32 v6, s16, v5
	v_mul_lo_u32 v10, v5, s12
	v_add_nc_u32_e32 v6, v5, v6
	v_sub_nc_u32_e32 v3, v3, v10
	v_lshrrev_b32_e32 v6, s17, v6
	v_mul_lo_u32 v10, v3, s24
	v_mul_lo_u32 v12, v3, s25
	v_mul_hi_u32 v9, s19, v6
	v_add_nc_u32_e32 v9, v6, v9
	v_lshrrev_b32_e32 v9, s36, v9
	v_mul_hi_u32 v11, s38, v9
	v_mul_lo_u32 v13, v9, s18
	v_add_nc_u32_e32 v3, v9, v11
	v_mul_lo_u32 v11, v6, s15
	v_sub_nc_u32_e32 v6, v6, v13
	v_lshrrev_b32_e32 v3, s39, v3
	v_mul_lo_u32 v13, v6, s28
	v_mul_lo_u32 v6, v6, s29
	v_sub_nc_u32_e32 v5, v5, v11
	v_mul_lo_u32 v14, v3, s37
	v_mul_lo_u32 v11, v5, s26
	;; [unrolled: 1-line block ×3, first 2 shown]
	v_sub_nc_u32_e32 v9, v9, v14
	v_add3_u32 v2, v10, v2, v11
	v_mul_lo_u32 v14, v9, s30
	v_mul_lo_u32 v9, v9, s31
	v_add3_u32 v5, v12, v19, v5
	v_add3_u32 v2, v13, v2, v14
	;; [unrolled: 1-line block ×3, first 2 shown]
	s_cbranch_scc1 .LBB37_48
; %bb.49:
	s_and_b32 s8, s8, 3
	s_cmp_eq_u32 s8, 0
	s_cbranch_scc0 .LBB37_53
	s_branch .LBB37_55
.LBB37_50:
	s_mov_b32 s6, -1
                                        ; implicit-def: $vgpr2
                                        ; implicit-def: $vgpr19
	s_branch .LBB37_55
.LBB37_51:
	v_mov_b32_e32 v2, 0
	v_mov_b32_e32 v19, 0
	s_branch .LBB37_55
.LBB37_52:
	v_mov_b32_e32 v2, 0
	v_mov_b32_e32 v19, 0
	;; [unrolled: 1-line block ×3, first 2 shown]
	s_mov_b32 s7, 0
	s_and_b32 s8, s8, 3
	s_cmp_eq_u32 s8, 0
	s_cbranch_scc1 .LBB37_55
.LBB37_53:
	s_lshl_b32 s0, s7, 3
	s_mul_i32 s4, s7, 12
	s_add_u32 s0, s2, s0
	s_addc_u32 s1, s3, 0
	s_add_u32 s0, s0, 0xc4
	s_addc_u32 s1, s1, 0
	;; [unrolled: 2-line block ×3, first 2 shown]
	.p2align	6
.LBB37_54:                              ; =>This Inner Loop Header: Depth=1
	s_clause 0x1
	s_load_dwordx2 s[10:11], s[4:5], 0x4
	s_load_dword s7, s[4:5], 0xc
	s_load_dwordx2 s[12:13], s[0:1], 0x0
	s_add_u32 s4, s4, 12
	s_addc_u32 s5, s5, 0
	s_add_u32 s0, s0, 8
	s_addc_u32 s1, s1, 0
	s_add_i32 s8, s8, -1
	s_cmp_lg_u32 s8, 0
	s_waitcnt lgkmcnt(0)
	v_mul_hi_u32 v5, s11, v3
	v_add_nc_u32_e32 v5, v3, v5
	v_lshrrev_b32_e32 v5, s7, v5
	v_mul_lo_u32 v6, v5, s10
	v_sub_nc_u32_e32 v6, v3, v6
	v_mad_u64_u32 v[2:3], null, v6, s12, v[2:3]
	v_mad_u64_u32 v[19:20], null, v6, s13, v[19:20]
	v_mov_b32_e32 v3, v5
	s_cbranch_scc1 .LBB37_54
.LBB37_55:
	s_andn2_b32 vcc_lo, exec_lo, s6
	s_cbranch_vccnz .LBB37_58
; %bb.56:
	s_clause 0x1
	s_load_dwordx4 s[4:7], s[2:3], 0x4
	s_load_dwordx2 s[0:1], s[2:3], 0xc4
	s_cmp_lt_u32 s22, 2
	s_waitcnt lgkmcnt(0)
	v_mul_hi_u32 v2, s5, v4
	v_add_nc_u32_e32 v2, v4, v2
	v_lshrrev_b32_e32 v3, s6, v2
	v_mul_lo_u32 v2, v3, s4
	v_sub_nc_u32_e32 v4, v4, v2
	v_mul_lo_u32 v2, v4, s0
	v_mul_lo_u32 v19, v4, s1
	s_cbranch_scc1 .LBB37_58
; %bb.57:
	s_clause 0x1
	s_load_dwordx4 s[4:7], s[2:3], 0x10
	s_load_dwordx2 s[0:1], s[2:3], 0xcc
	s_waitcnt lgkmcnt(0)
	v_mul_hi_u32 v4, s5, v3
	v_add_nc_u32_e32 v4, v3, v4
	v_lshrrev_b32_e32 v4, s6, v4
	v_mul_lo_u32 v4, v4, s4
	v_sub_nc_u32_e32 v4, v3, v4
	v_mad_u64_u32 v[2:3], null, v4, s0, v[2:3]
	v_mad_u64_u32 v[19:20], null, v4, s1, v[19:20]
.LBB37_58:
	v_cmp_ne_u32_e32 vcc_lo, 1, v8
	v_add_nc_u32_e32 v5, 0x180, v7
	s_cbranch_vccnz .LBB37_64
; %bb.59:
	s_cmp_lg_u32 s22, 0
	s_mov_b32 s6, 0
	s_cbranch_scc0 .LBB37_65
; %bb.60:
	s_min_u32 s8, s23, 15
	s_add_i32 s8, s8, 1
	s_cmp_eq_u32 s23, 2
	s_cbranch_scc1 .LBB37_66
; %bb.61:
	v_mov_b32_e32 v17, 0
	v_mov_b32_e32 v3, 0
	;; [unrolled: 1-line block ×3, first 2 shown]
	s_and_b32 s7, s8, 28
	s_add_u32 s0, s2, 0xc4
	s_addc_u32 s1, s3, 0
	s_mov_b32 s9, 0
	s_mov_b64 s[4:5], s[2:3]
.LBB37_62:                              ; =>This Inner Loop Header: Depth=1
	s_clause 0x1
	s_load_dwordx8 s[12:19], s[4:5], 0x4
	s_load_dwordx4 s[36:39], s[4:5], 0x24
	s_load_dwordx8 s[24:31], s[0:1], 0x0
	s_add_u32 s4, s4, 48
	s_addc_u32 s5, s5, 0
	s_add_i32 s9, s9, 4
	s_add_u32 s0, s0, 32
	s_addc_u32 s1, s1, 0
	s_cmp_lg_u32 s7, s9
	s_waitcnt lgkmcnt(0)
	v_mul_hi_u32 v6, s13, v4
	v_add_nc_u32_e32 v6, v4, v6
	v_lshrrev_b32_e32 v6, s14, v6
	v_mul_hi_u32 v9, s16, v6
	v_mul_lo_u32 v11, v6, s12
	v_add_nc_u32_e32 v9, v6, v9
	v_sub_nc_u32_e32 v4, v4, v11
	v_lshrrev_b32_e32 v9, s17, v9
	v_mul_lo_u32 v11, v4, s24
	v_mul_lo_u32 v13, v4, s25
	v_mul_hi_u32 v10, s19, v9
	v_add_nc_u32_e32 v10, v9, v10
	v_lshrrev_b32_e32 v10, s36, v10
	v_mul_hi_u32 v12, s38, v10
	v_mul_lo_u32 v14, v10, s18
	v_add_nc_u32_e32 v4, v10, v12
	v_mul_lo_u32 v12, v9, s15
	v_sub_nc_u32_e32 v9, v9, v14
	v_lshrrev_b32_e32 v4, s39, v4
	v_mul_lo_u32 v14, v9, s28
	v_mul_lo_u32 v9, v9, s29
	v_sub_nc_u32_e32 v6, v6, v12
	v_mul_lo_u32 v15, v4, s37
	v_mul_lo_u32 v12, v6, s26
	v_mul_lo_u32 v6, v6, s27
	v_sub_nc_u32_e32 v10, v10, v15
	v_add3_u32 v3, v11, v3, v12
	v_mul_lo_u32 v15, v10, s30
	v_mul_lo_u32 v10, v10, s31
	v_add3_u32 v6, v13, v17, v6
	v_add3_u32 v3, v14, v3, v15
	;; [unrolled: 1-line block ×3, first 2 shown]
	s_cbranch_scc1 .LBB37_62
; %bb.63:
	s_and_b32 s8, s8, 3
	s_cmp_eq_u32 s8, 0
	s_cbranch_scc0 .LBB37_67
	s_branch .LBB37_69
.LBB37_64:
	s_mov_b32 s6, -1
                                        ; implicit-def: $vgpr3
                                        ; implicit-def: $vgpr17
	s_branch .LBB37_69
.LBB37_65:
	v_mov_b32_e32 v3, 0
	v_mov_b32_e32 v17, 0
	s_branch .LBB37_69
.LBB37_66:
	v_mov_b32_e32 v3, 0
	v_mov_b32_e32 v17, 0
	;; [unrolled: 1-line block ×3, first 2 shown]
	s_mov_b32 s7, 0
	s_and_b32 s8, s8, 3
	s_cmp_eq_u32 s8, 0
	s_cbranch_scc1 .LBB37_69
.LBB37_67:
	s_lshl_b32 s0, s7, 3
	s_mul_i32 s4, s7, 12
	s_add_u32 s0, s2, s0
	s_addc_u32 s1, s3, 0
	s_add_u32 s0, s0, 0xc4
	s_addc_u32 s1, s1, 0
	;; [unrolled: 2-line block ×3, first 2 shown]
	.p2align	6
.LBB37_68:                              ; =>This Inner Loop Header: Depth=1
	s_clause 0x1
	s_load_dwordx2 s[10:11], s[4:5], 0x4
	s_load_dword s7, s[4:5], 0xc
	s_load_dwordx2 s[12:13], s[0:1], 0x0
	s_add_u32 s4, s4, 12
	s_addc_u32 s5, s5, 0
	s_add_u32 s0, s0, 8
	s_addc_u32 s1, s1, 0
	s_add_i32 s8, s8, -1
	s_cmp_lg_u32 s8, 0
	s_waitcnt lgkmcnt(0)
	v_mul_hi_u32 v6, s11, v4
	v_add_nc_u32_e32 v6, v4, v6
	v_lshrrev_b32_e32 v6, s7, v6
	v_mul_lo_u32 v9, v6, s10
	v_sub_nc_u32_e32 v9, v4, v9
	v_mad_u64_u32 v[3:4], null, v9, s12, v[3:4]
	v_mad_u64_u32 v[17:18], null, v9, s13, v[17:18]
	v_mov_b32_e32 v4, v6
	s_cbranch_scc1 .LBB37_68
.LBB37_69:
	s_andn2_b32 vcc_lo, exec_lo, s6
	s_cbranch_vccnz .LBB37_72
; %bb.70:
	s_clause 0x1
	s_load_dwordx4 s[4:7], s[2:3], 0x4
	s_load_dwordx2 s[0:1], s[2:3], 0xc4
	s_cmp_lt_u32 s22, 2
	s_waitcnt lgkmcnt(0)
	v_mul_hi_u32 v3, s5, v5
	v_add_nc_u32_e32 v3, v5, v3
	v_lshrrev_b32_e32 v4, s6, v3
	v_mul_lo_u32 v3, v4, s4
	v_sub_nc_u32_e32 v5, v5, v3
	v_mul_lo_u32 v3, v5, s0
	v_mul_lo_u32 v17, v5, s1
	s_cbranch_scc1 .LBB37_72
; %bb.71:
	s_clause 0x1
	s_load_dwordx4 s[4:7], s[2:3], 0x10
	s_load_dwordx2 s[0:1], s[2:3], 0xcc
	s_waitcnt lgkmcnt(0)
	v_mul_hi_u32 v5, s5, v4
	v_add_nc_u32_e32 v5, v4, v5
	v_lshrrev_b32_e32 v5, s6, v5
	v_mul_lo_u32 v5, v5, s4
	v_sub_nc_u32_e32 v5, v4, v5
	v_mad_u64_u32 v[3:4], null, v5, s0, v[3:4]
	v_mad_u64_u32 v[17:18], null, v5, s1, v[17:18]
.LBB37_72:
	v_cmp_ne_u32_e32 vcc_lo, 1, v8
	v_add_nc_u32_e32 v6, 0x200, v7
	s_cbranch_vccnz .LBB37_78
; %bb.73:
	s_cmp_lg_u32 s22, 0
	s_mov_b32 s6, 0
	s_cbranch_scc0 .LBB37_79
; %bb.74:
	s_min_u32 s8, s23, 15
	s_add_i32 s8, s8, 1
	s_cmp_eq_u32 s23, 2
	s_cbranch_scc1 .LBB37_80
; %bb.75:
	v_mov_b32_e32 v15, 0
	v_mov_b32_e32 v4, 0
	v_mov_b32_e32 v5, v6
	s_and_b32 s7, s8, 28
	s_add_u32 s0, s2, 0xc4
	s_addc_u32 s1, s3, 0
	s_mov_b32 s9, 0
	s_mov_b64 s[4:5], s[2:3]
.LBB37_76:                              ; =>This Inner Loop Header: Depth=1
	s_clause 0x1
	s_load_dwordx8 s[12:19], s[4:5], 0x4
	s_load_dwordx4 s[36:39], s[4:5], 0x24
	s_load_dwordx8 s[24:31], s[0:1], 0x0
	s_add_u32 s4, s4, 48
	s_addc_u32 s5, s5, 0
	s_add_i32 s9, s9, 4
	s_add_u32 s0, s0, 32
	s_addc_u32 s1, s1, 0
	s_cmp_lg_u32 s7, s9
	s_waitcnt lgkmcnt(0)
	v_mul_hi_u32 v9, s13, v5
	v_add_nc_u32_e32 v9, v5, v9
	v_lshrrev_b32_e32 v9, s14, v9
	v_mul_hi_u32 v10, s16, v9
	v_mul_lo_u32 v12, v9, s12
	v_add_nc_u32_e32 v10, v9, v10
	v_sub_nc_u32_e32 v5, v5, v12
	v_lshrrev_b32_e32 v10, s17, v10
	v_mul_lo_u32 v12, v5, s24
	v_mul_lo_u32 v14, v5, s25
	v_mul_hi_u32 v11, s19, v10
	v_add_nc_u32_e32 v11, v10, v11
	v_lshrrev_b32_e32 v11, s36, v11
	v_mul_hi_u32 v13, s38, v11
	v_mul_lo_u32 v16, v11, s18
	v_add_nc_u32_e32 v5, v11, v13
	v_mul_lo_u32 v13, v10, s15
	v_sub_nc_u32_e32 v10, v10, v16
	v_lshrrev_b32_e32 v5, s39, v5
	v_mul_lo_u32 v16, v10, s28
	v_mul_lo_u32 v10, v10, s29
	v_sub_nc_u32_e32 v9, v9, v13
	v_mul_lo_u32 v18, v5, s37
	v_mul_lo_u32 v13, v9, s26
	;; [unrolled: 1-line block ×3, first 2 shown]
	v_sub_nc_u32_e32 v11, v11, v18
	v_add3_u32 v4, v12, v4, v13
	v_mul_lo_u32 v18, v11, s30
	v_mul_lo_u32 v11, v11, s31
	v_add3_u32 v9, v14, v15, v9
	v_add3_u32 v4, v16, v4, v18
	;; [unrolled: 1-line block ×3, first 2 shown]
	s_cbranch_scc1 .LBB37_76
; %bb.77:
	s_and_b32 s8, s8, 3
	s_cmp_eq_u32 s8, 0
	s_cbranch_scc0 .LBB37_81
	s_branch .LBB37_83
.LBB37_78:
	s_mov_b32 s6, -1
                                        ; implicit-def: $vgpr4
                                        ; implicit-def: $vgpr15
	s_branch .LBB37_83
.LBB37_79:
	v_mov_b32_e32 v4, 0
	v_mov_b32_e32 v15, 0
	s_branch .LBB37_83
.LBB37_80:
	v_mov_b32_e32 v4, 0
	v_mov_b32_e32 v15, 0
	;; [unrolled: 1-line block ×3, first 2 shown]
	s_mov_b32 s7, 0
	s_and_b32 s8, s8, 3
	s_cmp_eq_u32 s8, 0
	s_cbranch_scc1 .LBB37_83
.LBB37_81:
	s_lshl_b32 s0, s7, 3
	s_mul_i32 s4, s7, 12
	s_add_u32 s0, s2, s0
	s_addc_u32 s1, s3, 0
	s_add_u32 s0, s0, 0xc4
	s_addc_u32 s1, s1, 0
	;; [unrolled: 2-line block ×3, first 2 shown]
	.p2align	6
.LBB37_82:                              ; =>This Inner Loop Header: Depth=1
	s_clause 0x1
	s_load_dwordx2 s[10:11], s[4:5], 0x4
	s_load_dword s7, s[4:5], 0xc
	s_load_dwordx2 s[12:13], s[0:1], 0x0
	s_add_u32 s4, s4, 12
	s_addc_u32 s5, s5, 0
	s_add_u32 s0, s0, 8
	s_addc_u32 s1, s1, 0
	s_add_i32 s8, s8, -1
	s_cmp_lg_u32 s8, 0
	s_waitcnt lgkmcnt(0)
	v_mul_hi_u32 v9, s11, v5
	v_add_nc_u32_e32 v9, v5, v9
	v_lshrrev_b32_e32 v9, s7, v9
	v_mul_lo_u32 v10, v9, s10
	v_sub_nc_u32_e32 v10, v5, v10
	v_mad_u64_u32 v[4:5], null, v10, s12, v[4:5]
	v_mad_u64_u32 v[15:16], null, v10, s13, v[15:16]
	v_mov_b32_e32 v5, v9
	s_cbranch_scc1 .LBB37_82
.LBB37_83:
	s_andn2_b32 vcc_lo, exec_lo, s6
	s_cbranch_vccnz .LBB37_86
; %bb.84:
	s_clause 0x1
	s_load_dwordx4 s[4:7], s[2:3], 0x4
	s_load_dwordx2 s[0:1], s[2:3], 0xc4
	s_cmp_lt_u32 s22, 2
	s_waitcnt lgkmcnt(0)
	v_mul_hi_u32 v4, s5, v6
	v_add_nc_u32_e32 v4, v6, v4
	v_lshrrev_b32_e32 v5, s6, v4
	v_mul_lo_u32 v4, v5, s4
	v_sub_nc_u32_e32 v6, v6, v4
	v_mul_lo_u32 v4, v6, s0
	v_mul_lo_u32 v15, v6, s1
	s_cbranch_scc1 .LBB37_86
; %bb.85:
	s_clause 0x1
	s_load_dwordx4 s[4:7], s[2:3], 0x10
	s_load_dwordx2 s[0:1], s[2:3], 0xcc
	s_waitcnt lgkmcnt(0)
	v_mul_hi_u32 v6, s5, v5
	v_add_nc_u32_e32 v6, v5, v6
	v_lshrrev_b32_e32 v6, s6, v6
	v_mul_lo_u32 v6, v6, s4
	v_sub_nc_u32_e32 v6, v5, v6
	v_mad_u64_u32 v[4:5], null, v6, s0, v[4:5]
	v_mad_u64_u32 v[15:16], null, v6, s1, v[15:16]
.LBB37_86:
	v_cmp_ne_u32_e32 vcc_lo, 1, v8
	v_add_nc_u32_e32 v9, 0x280, v7
	s_cbranch_vccnz .LBB37_92
; %bb.87:
	s_cmp_lg_u32 s22, 0
	s_mov_b32 s6, 0
	s_cbranch_scc0 .LBB37_93
; %bb.88:
	s_min_u32 s8, s23, 15
	s_add_i32 s8, s8, 1
	s_cmp_eq_u32 s23, 2
	s_cbranch_scc1 .LBB37_94
; %bb.89:
	v_mov_b32_e32 v13, 0
	v_mov_b32_e32 v5, 0
	;; [unrolled: 1-line block ×3, first 2 shown]
	s_and_b32 s7, s8, 28
	s_add_u32 s0, s2, 0xc4
	s_addc_u32 s1, s3, 0
	s_mov_b32 s9, 0
	s_mov_b64 s[4:5], s[2:3]
.LBB37_90:                              ; =>This Inner Loop Header: Depth=1
	s_clause 0x1
	s_load_dwordx8 s[12:19], s[4:5], 0x4
	s_load_dwordx4 s[36:39], s[4:5], 0x24
	s_load_dwordx8 s[24:31], s[0:1], 0x0
	s_add_u32 s4, s4, 48
	s_addc_u32 s5, s5, 0
	s_add_i32 s9, s9, 4
	s_add_u32 s0, s0, 32
	s_addc_u32 s1, s1, 0
	s_cmp_lg_u32 s7, s9
	s_waitcnt lgkmcnt(0)
	v_mul_hi_u32 v10, s13, v6
	v_add_nc_u32_e32 v10, v6, v10
	v_lshrrev_b32_e32 v10, s14, v10
	v_mul_hi_u32 v11, s16, v10
	v_mul_lo_u32 v14, v10, s12
	v_add_nc_u32_e32 v11, v10, v11
	v_sub_nc_u32_e32 v6, v6, v14
	v_lshrrev_b32_e32 v11, s17, v11
	v_mul_lo_u32 v14, v6, s24
	v_mul_lo_u32 v18, v6, s25
	v_mul_hi_u32 v12, s19, v11
	v_add_nc_u32_e32 v12, v11, v12
	v_lshrrev_b32_e32 v12, s36, v12
	v_mul_hi_u32 v16, s38, v12
	v_mul_lo_u32 v20, v12, s18
	v_add_nc_u32_e32 v6, v12, v16
	v_mul_lo_u32 v16, v11, s15
	v_sub_nc_u32_e32 v11, v11, v20
	v_lshrrev_b32_e32 v6, s39, v6
	v_mul_lo_u32 v20, v11, s28
	v_mul_lo_u32 v11, v11, s29
	v_sub_nc_u32_e32 v10, v10, v16
	v_mul_lo_u32 v22, v6, s37
	v_mul_lo_u32 v16, v10, s26
	;; [unrolled: 1-line block ×3, first 2 shown]
	v_sub_nc_u32_e32 v12, v12, v22
	v_add3_u32 v5, v14, v5, v16
	v_mul_lo_u32 v22, v12, s30
	v_mul_lo_u32 v12, v12, s31
	v_add3_u32 v10, v18, v13, v10
	v_add3_u32 v5, v20, v5, v22
	;; [unrolled: 1-line block ×3, first 2 shown]
	s_cbranch_scc1 .LBB37_90
; %bb.91:
	s_and_b32 s8, s8, 3
	s_cmp_eq_u32 s8, 0
	s_cbranch_scc0 .LBB37_95
	s_branch .LBB37_97
.LBB37_92:
	s_mov_b32 s6, -1
                                        ; implicit-def: $vgpr5
                                        ; implicit-def: $vgpr13
	s_branch .LBB37_97
.LBB37_93:
	v_mov_b32_e32 v5, 0
	v_mov_b32_e32 v13, 0
	s_branch .LBB37_97
.LBB37_94:
	v_mov_b32_e32 v5, 0
	v_mov_b32_e32 v13, 0
	;; [unrolled: 1-line block ×3, first 2 shown]
	s_mov_b32 s7, 0
	s_and_b32 s8, s8, 3
	s_cmp_eq_u32 s8, 0
	s_cbranch_scc1 .LBB37_97
.LBB37_95:
	s_lshl_b32 s0, s7, 3
	s_mul_i32 s4, s7, 12
	s_add_u32 s0, s2, s0
	s_addc_u32 s1, s3, 0
	s_add_u32 s0, s0, 0xc4
	s_addc_u32 s1, s1, 0
	;; [unrolled: 2-line block ×3, first 2 shown]
	.p2align	6
.LBB37_96:                              ; =>This Inner Loop Header: Depth=1
	s_clause 0x1
	s_load_dwordx2 s[10:11], s[4:5], 0x4
	s_load_dword s7, s[4:5], 0xc
	s_load_dwordx2 s[12:13], s[0:1], 0x0
	s_add_u32 s4, s4, 12
	s_addc_u32 s5, s5, 0
	s_add_u32 s0, s0, 8
	s_addc_u32 s1, s1, 0
	s_add_i32 s8, s8, -1
	s_cmp_lg_u32 s8, 0
	s_waitcnt lgkmcnt(0)
	v_mul_hi_u32 v10, s11, v6
	v_add_nc_u32_e32 v10, v6, v10
	v_lshrrev_b32_e32 v10, s7, v10
	v_mul_lo_u32 v11, v10, s10
	v_sub_nc_u32_e32 v11, v6, v11
	v_mad_u64_u32 v[5:6], null, v11, s12, v[5:6]
	v_mad_u64_u32 v[13:14], null, v11, s13, v[13:14]
	v_mov_b32_e32 v6, v10
	s_cbranch_scc1 .LBB37_96
.LBB37_97:
	s_andn2_b32 vcc_lo, exec_lo, s6
	s_cbranch_vccnz .LBB37_100
; %bb.98:
	s_clause 0x1
	s_load_dwordx4 s[4:7], s[2:3], 0x4
	s_load_dwordx2 s[0:1], s[2:3], 0xc4
	s_cmp_lt_u32 s22, 2
	s_waitcnt lgkmcnt(0)
	v_mul_hi_u32 v5, s5, v9
	v_add_nc_u32_e32 v5, v9, v5
	v_lshrrev_b32_e32 v6, s6, v5
	v_mul_lo_u32 v5, v6, s4
	v_sub_nc_u32_e32 v9, v9, v5
	v_mul_lo_u32 v5, v9, s0
	v_mul_lo_u32 v13, v9, s1
	s_cbranch_scc1 .LBB37_100
; %bb.99:
	s_clause 0x1
	s_load_dwordx4 s[4:7], s[2:3], 0x10
	s_load_dwordx2 s[0:1], s[2:3], 0xcc
	s_waitcnt lgkmcnt(0)
	v_mul_hi_u32 v9, s5, v6
	v_add_nc_u32_e32 v9, v6, v9
	v_lshrrev_b32_e32 v9, s6, v9
	v_mul_lo_u32 v9, v9, s4
	v_sub_nc_u32_e32 v9, v6, v9
	v_mad_u64_u32 v[5:6], null, v9, s0, v[5:6]
	v_mad_u64_u32 v[13:14], null, v9, s1, v[13:14]
.LBB37_100:
	v_cmp_ne_u32_e32 vcc_lo, 1, v8
	v_add_nc_u32_e32 v9, 0x300, v7
	s_cbranch_vccnz .LBB37_106
; %bb.101:
	s_cmp_lg_u32 s22, 0
	s_mov_b32 s6, 0
	s_cbranch_scc0 .LBB37_107
; %bb.102:
	s_min_u32 s8, s23, 15
	s_add_i32 s8, s8, 1
	s_cmp_eq_u32 s23, 2
	s_cbranch_scc1 .LBB37_108
; %bb.103:
	v_mov_b32_e32 v11, 0
	v_mov_b32_e32 v6, 0
	v_mov_b32_e32 v7, v9
	s_and_b32 s7, s8, 28
	s_add_u32 s0, s2, 0xc4
	s_addc_u32 s1, s3, 0
	s_mov_b32 s9, 0
	s_mov_b64 s[4:5], s[2:3]
.LBB37_104:                             ; =>This Inner Loop Header: Depth=1
	s_clause 0x1
	s_load_dwordx8 s[12:19], s[4:5], 0x4
	s_load_dwordx4 s[36:39], s[4:5], 0x24
	s_load_dwordx8 s[24:31], s[0:1], 0x0
	s_add_u32 s4, s4, 48
	s_addc_u32 s5, s5, 0
	s_add_i32 s9, s9, 4
	s_add_u32 s0, s0, 32
	s_addc_u32 s1, s1, 0
	s_cmp_lg_u32 s7, s9
	s_waitcnt lgkmcnt(0)
	v_mul_hi_u32 v10, s13, v7
	v_add_nc_u32_e32 v10, v7, v10
	v_lshrrev_b32_e32 v10, s14, v10
	v_mul_hi_u32 v12, s16, v10
	v_mul_lo_u32 v16, v10, s12
	v_add_nc_u32_e32 v12, v10, v12
	v_sub_nc_u32_e32 v7, v7, v16
	v_lshrrev_b32_e32 v12, s17, v12
	v_mul_lo_u32 v16, v7, s24
	v_mul_lo_u32 v20, v7, s25
	v_mul_hi_u32 v14, s19, v12
	v_add_nc_u32_e32 v14, v12, v14
	v_lshrrev_b32_e32 v14, s36, v14
	v_mul_hi_u32 v18, s38, v14
	v_mul_lo_u32 v22, v14, s18
	v_add_nc_u32_e32 v7, v14, v18
	v_mul_lo_u32 v18, v12, s15
	v_sub_nc_u32_e32 v12, v12, v22
	v_lshrrev_b32_e32 v7, s39, v7
	v_mul_lo_u32 v22, v12, s28
	v_mul_lo_u32 v12, v12, s29
	v_sub_nc_u32_e32 v10, v10, v18
	v_mul_lo_u32 v24, v7, s37
	v_mul_lo_u32 v18, v10, s26
	;; [unrolled: 1-line block ×3, first 2 shown]
	v_sub_nc_u32_e32 v14, v14, v24
	v_add3_u32 v6, v16, v6, v18
	v_mul_lo_u32 v24, v14, s30
	v_mul_lo_u32 v14, v14, s31
	v_add3_u32 v10, v20, v11, v10
	v_add3_u32 v6, v22, v6, v24
	;; [unrolled: 1-line block ×3, first 2 shown]
	s_cbranch_scc1 .LBB37_104
; %bb.105:
	s_and_b32 s8, s8, 3
	s_cmp_eq_u32 s8, 0
	s_cbranch_scc0 .LBB37_109
	s_branch .LBB37_111
.LBB37_106:
	s_mov_b32 s6, -1
                                        ; implicit-def: $vgpr6
                                        ; implicit-def: $vgpr11
	s_branch .LBB37_111
.LBB37_107:
	v_mov_b32_e32 v6, 0
	v_mov_b32_e32 v11, 0
	s_branch .LBB37_111
.LBB37_108:
	v_mov_b32_e32 v6, 0
	v_mov_b32_e32 v11, 0
	;; [unrolled: 1-line block ×3, first 2 shown]
	s_mov_b32 s7, 0
	s_and_b32 s8, s8, 3
	s_cmp_eq_u32 s8, 0
	s_cbranch_scc1 .LBB37_111
.LBB37_109:
	s_lshl_b32 s0, s7, 3
	s_mul_i32 s4, s7, 12
	s_add_u32 s0, s2, s0
	s_addc_u32 s1, s3, 0
	s_add_u32 s0, s0, 0xc4
	s_addc_u32 s1, s1, 0
	;; [unrolled: 2-line block ×3, first 2 shown]
	.p2align	6
.LBB37_110:                             ; =>This Inner Loop Header: Depth=1
	s_clause 0x1
	s_load_dwordx2 s[10:11], s[4:5], 0x4
	s_load_dword s7, s[4:5], 0xc
	s_load_dwordx2 s[12:13], s[0:1], 0x0
	s_add_u32 s4, s4, 12
	s_addc_u32 s5, s5, 0
	s_add_u32 s0, s0, 8
	s_addc_u32 s1, s1, 0
	s_add_i32 s8, s8, -1
	s_cmp_lg_u32 s8, 0
	s_waitcnt lgkmcnt(0)
	v_mul_hi_u32 v10, s11, v7
	v_add_nc_u32_e32 v10, v7, v10
	v_lshrrev_b32_e32 v10, s7, v10
	v_mul_lo_u32 v12, v10, s10
	v_sub_nc_u32_e32 v12, v7, v12
	v_mad_u64_u32 v[6:7], null, v12, s12, v[6:7]
	v_mad_u64_u32 v[11:12], null, v12, s13, v[11:12]
	v_mov_b32_e32 v7, v10
	s_cbranch_scc1 .LBB37_110
.LBB37_111:
	s_andn2_b32 vcc_lo, exec_lo, s6
	s_cbranch_vccnz .LBB37_114
; %bb.112:
	s_clause 0x1
	s_load_dwordx4 s[4:7], s[2:3], 0x4
	s_load_dwordx2 s[0:1], s[2:3], 0xc4
	s_cmp_lt_u32 s22, 2
	s_waitcnt lgkmcnt(0)
	v_mul_hi_u32 v6, s5, v9
	v_add_nc_u32_e32 v6, v9, v6
	v_lshrrev_b32_e32 v7, s6, v6
	v_mul_lo_u32 v6, v7, s4
	v_sub_nc_u32_e32 v9, v9, v6
	v_mul_lo_u32 v6, v9, s0
	v_mul_lo_u32 v11, v9, s1
	s_cbranch_scc1 .LBB37_114
; %bb.113:
	s_clause 0x1
	s_load_dwordx4 s[4:7], s[2:3], 0x10
	s_load_dwordx2 s[0:1], s[2:3], 0xcc
	s_waitcnt lgkmcnt(0)
	v_mul_hi_u32 v9, s5, v7
	v_add_nc_u32_e32 v9, v7, v9
	v_lshrrev_b32_e32 v9, s6, v9
	v_mul_lo_u32 v9, v9, s4
	v_sub_nc_u32_e32 v9, v7, v9
	v_mad_u64_u32 v[6:7], null, v9, s0, v[6:7]
	v_mad_u64_u32 v[11:12], null, v9, s1, v[11:12]
.LBB37_114:
	v_cmp_ne_u32_e32 vcc_lo, 1, v8
	s_cbranch_vccnz .LBB37_120
; %bb.115:
	s_cmp_lg_u32 s22, 0
	s_mov_b32 s6, 0
	s_cbranch_scc0 .LBB37_121
; %bb.116:
	s_min_u32 s8, s23, 15
	s_add_i32 s8, s8, 1
	s_cmp_eq_u32 s23, 2
	s_cbranch_scc1 .LBB37_122
; %bb.117:
	v_mov_b32_e32 v9, 0
	v_mov_b32_e32 v7, 0
	;; [unrolled: 1-line block ×3, first 2 shown]
	s_and_b32 s7, s8, 28
	s_add_u32 s0, s2, 0xc4
	s_addc_u32 s1, s3, 0
	s_mov_b32 s9, 0
	s_mov_b64 s[4:5], s[2:3]
.LBB37_118:                             ; =>This Inner Loop Header: Depth=1
	s_clause 0x1
	s_load_dwordx8 s[12:19], s[4:5], 0x4
	s_load_dwordx4 s[36:39], s[4:5], 0x24
	s_load_dwordx8 s[24:31], s[0:1], 0x0
	s_add_u32 s4, s4, 48
	s_addc_u32 s5, s5, 0
	s_add_i32 s9, s9, 4
	s_add_u32 s0, s0, 32
	s_addc_u32 s1, s1, 0
	s_cmp_lg_u32 s7, s9
	s_waitcnt lgkmcnt(0)
	v_mul_hi_u32 v10, s13, v8
	v_add_nc_u32_e32 v10, v8, v10
	v_lshrrev_b32_e32 v10, s14, v10
	v_mul_hi_u32 v12, s16, v10
	v_mul_lo_u32 v16, v10, s12
	v_add_nc_u32_e32 v12, v10, v12
	v_sub_nc_u32_e32 v8, v8, v16
	v_lshrrev_b32_e32 v12, s17, v12
	v_mul_lo_u32 v16, v8, s24
	v_mul_lo_u32 v20, v8, s25
	v_mul_hi_u32 v14, s19, v12
	v_add_nc_u32_e32 v14, v12, v14
	v_lshrrev_b32_e32 v14, s36, v14
	v_mul_hi_u32 v18, s38, v14
	v_mul_lo_u32 v22, v14, s18
	v_add_nc_u32_e32 v8, v14, v18
	v_mul_lo_u32 v18, v12, s15
	v_sub_nc_u32_e32 v12, v12, v22
	v_lshrrev_b32_e32 v8, s39, v8
	v_mul_lo_u32 v22, v12, s28
	v_mul_lo_u32 v12, v12, s29
	v_sub_nc_u32_e32 v10, v10, v18
	v_mul_lo_u32 v24, v8, s37
	v_mul_lo_u32 v18, v10, s26
	;; [unrolled: 1-line block ×3, first 2 shown]
	v_sub_nc_u32_e32 v14, v14, v24
	v_add3_u32 v7, v16, v7, v18
	v_mul_lo_u32 v24, v14, s30
	v_mul_lo_u32 v14, v14, s31
	v_add3_u32 v9, v20, v9, v10
	v_add3_u32 v7, v22, v7, v24
	;; [unrolled: 1-line block ×3, first 2 shown]
	s_cbranch_scc1 .LBB37_118
; %bb.119:
	s_and_b32 s8, s8, 3
	s_cmp_eq_u32 s8, 0
	s_cbranch_scc0 .LBB37_123
	s_branch .LBB37_125
.LBB37_120:
	s_mov_b32 s6, -1
                                        ; implicit-def: $vgpr7
                                        ; implicit-def: $vgpr9
	s_branch .LBB37_125
.LBB37_121:
	v_mov_b32_e32 v7, 0
	v_mov_b32_e32 v9, 0
	s_branch .LBB37_125
.LBB37_122:
	v_mov_b32_e32 v7, 0
	v_mov_b32_e32 v9, 0
	;; [unrolled: 1-line block ×3, first 2 shown]
	s_mov_b32 s7, 0
	s_and_b32 s8, s8, 3
	s_cmp_eq_u32 s8, 0
	s_cbranch_scc1 .LBB37_125
.LBB37_123:
	s_lshl_b32 s0, s7, 3
	s_mul_i32 s4, s7, 12
	s_add_u32 s0, s2, s0
	s_addc_u32 s1, s3, 0
	s_add_u32 s0, s0, 0xc4
	s_addc_u32 s1, s1, 0
	;; [unrolled: 2-line block ×3, first 2 shown]
	.p2align	6
.LBB37_124:                             ; =>This Inner Loop Header: Depth=1
	s_clause 0x1
	s_load_dwordx2 s[10:11], s[4:5], 0x4
	s_load_dword s7, s[4:5], 0xc
	s_load_dwordx2 s[12:13], s[0:1], 0x0
	s_add_u32 s4, s4, 12
	s_addc_u32 s5, s5, 0
	s_add_u32 s0, s0, 8
	s_addc_u32 s1, s1, 0
	s_add_i32 s8, s8, -1
	s_cmp_lg_u32 s8, 0
	s_waitcnt lgkmcnt(0)
	v_mul_hi_u32 v10, s11, v8
	v_add_nc_u32_e32 v10, v8, v10
	v_lshrrev_b32_e32 v12, s7, v10
	v_mul_lo_u32 v10, v12, s10
	v_sub_nc_u32_e32 v10, v8, v10
	v_mad_u64_u32 v[7:8], null, v10, s12, v[7:8]
	v_mad_u64_u32 v[9:10], null, v10, s13, v[9:10]
	v_mov_b32_e32 v8, v12
	s_cbranch_scc1 .LBB37_124
.LBB37_125:
	s_andn2_b32 vcc_lo, exec_lo, s6
	s_cbranch_vccnz .LBB37_128
; %bb.126:
	s_clause 0x1
	s_load_dwordx4 s[4:7], s[2:3], 0x4
	s_load_dwordx2 s[0:1], s[2:3], 0xc4
	s_cmp_lt_u32 s22, 2
	s_waitcnt lgkmcnt(0)
	v_mul_hi_u32 v7, s5, v25
	v_add_nc_u32_e32 v7, v25, v7
	v_lshrrev_b32_e32 v8, s6, v7
	v_mul_lo_u32 v7, v8, s4
	v_sub_nc_u32_e32 v9, v25, v7
	v_mul_lo_u32 v7, v9, s0
	v_mul_lo_u32 v9, v9, s1
	s_cbranch_scc1 .LBB37_128
; %bb.127:
	s_clause 0x1
	s_load_dwordx4 s[4:7], s[2:3], 0x10
	s_load_dwordx2 s[0:1], s[2:3], 0xcc
	s_waitcnt lgkmcnt(0)
	v_mul_hi_u32 v10, s5, v8
	v_add_nc_u32_e32 v10, v8, v10
	v_lshrrev_b32_e32 v10, s6, v10
	v_mul_lo_u32 v10, v10, s4
	v_sub_nc_u32_e32 v10, v8, v10
	v_mad_u64_u32 v[7:8], null, v10, s0, v[7:8]
	v_mad_u64_u32 v[9:10], null, v10, s1, v[9:10]
.LBB37_128:
	s_load_dwordx4 s[4:7], s[2:3], 0x148
                                        ; implicit-def: $vgpr26
	s_mov_b32 s0, exec_lo
	s_waitcnt lgkmcnt(0)
	global_load_ushort v8, v23, s[6:7]
	s_waitcnt vmcnt(0)
	v_lshlrev_b32_e32 v8, 16, v8
	v_cmpx_neq_f32_e32 0, v8
	s_xor_b32 s2, exec_lo, s0
	s_cbranch_execz .LBB37_150
; %bb.129:
	v_mov_b32_e32 v10, 0
	s_mov_b32 s0, -1
	s_mov_b32 s3, exec_lo
	v_cmpx_gt_f32_e32 0, v8
	s_cbranch_execz .LBB37_137
; %bb.130:
	v_trunc_f32_e32 v10, v8
	s_mov_b32 s1, 0
	v_cmp_neq_f32_e32 vcc_lo, v10, v8
	v_mov_b32_e32 v10, 0
	s_and_saveexec_b32 s8, vcc_lo
	s_cbranch_execz .LBB37_136
; %bb.131:
	v_cvt_f64_f32_e32 v[22:23], v8
	s_mov_b32 s1, 0xc00921fb
	s_mov_b32 s0, 0x54442d18
	s_mov_b32 s9, exec_lo
                                        ; implicit-def: $vgpr10
                                        ; implicit-def: $vgpr26_vgpr27
	v_trunc_f64_e32 v[24:25], v[22:23]
	v_cmp_neq_f64_e64 vcc_lo, 0x7ff00000, |v[22:23]|
	v_add_f64 v[24:25], v[22:23], -v[24:25]
	v_mul_f64 v[24:25], |v[24:25]|, s[0:1]
	v_cndmask_b32_e32 v23, 0x80000000, v25, vcc_lo
	v_cndmask_b32_e32 v22, 0, v24, vcc_lo
                                        ; implicit-def: $vgpr24_vgpr25
	v_cmpx_ngt_f64_e64 0x41d00000, |v[22:23]|
	s_xor_b32 s9, exec_lo, s9
	s_cbranch_execz .LBB37_133
; %bb.132:
	v_ldexp_f64 v[24:25], |v[22:23]|, 0xffffff80
	v_cmp_le_f64_e64 vcc_lo, 0x7b000000, |v[22:23]|
	v_trig_preop_f64 v[26:27], |v[22:23]|, 0
	v_and_b32_e32 v10, 0x7fffffff, v23
	v_trig_preop_f64 v[28:29], |v[22:23]|, 1
	v_trig_preop_f64 v[38:39], |v[22:23]|, 2
	v_mov_b32_e32 v46, 0
	s_mov_b32 s1, 0x3ff921fb
	s_mov_b32 s10, 0x33145c07
	;; [unrolled: 1-line block ×3, first 2 shown]
	v_cndmask_b32_e32 v25, v10, v25, vcc_lo
	v_cndmask_b32_e32 v24, v22, v24, vcc_lo
	v_mul_f64 v[30:31], v[26:27], v[24:25]
	v_mul_f64 v[32:33], v[28:29], v[24:25]
	;; [unrolled: 1-line block ×3, first 2 shown]
	v_fma_f64 v[26:27], v[26:27], v[24:25], -v[30:31]
	v_fma_f64 v[28:29], v[28:29], v[24:25], -v[32:33]
	;; [unrolled: 1-line block ×3, first 2 shown]
	v_add_f64 v[34:35], v[32:33], v[26:27]
	v_add_f64 v[36:37], v[34:35], -v[32:33]
	v_add_f64 v[42:43], v[30:31], v[34:35]
	v_add_f64 v[40:41], v[34:35], -v[36:37]
	v_add_f64 v[26:27], v[26:27], -v[36:37]
	v_ldexp_f64 v[36:37], v[42:43], -2
	v_add_f64 v[30:31], v[42:43], -v[30:31]
	v_add_f64 v[32:33], v[32:33], -v[40:41]
	v_add_f64 v[40:41], v[44:45], v[28:29]
	v_cmp_neq_f64_e64 vcc_lo, 0x7ff00000, |v[36:37]|
	v_add_f64 v[30:31], v[34:35], -v[30:31]
	v_add_f64 v[26:27], v[26:27], v[32:33]
	v_fract_f64_e32 v[32:33], v[36:37]
	v_add_f64 v[34:35], v[40:41], v[26:27]
	v_ldexp_f64 v[32:33], v[32:33], 2
	v_add_f64 v[36:37], v[30:31], v[34:35]
	v_cndmask_b32_e32 v33, 0, v33, vcc_lo
	v_cndmask_b32_e32 v32, 0, v32, vcc_lo
	v_add_f64 v[42:43], v[36:37], v[32:33]
	v_add_f64 v[30:31], v[36:37], -v[30:31]
	v_cmp_gt_f64_e32 vcc_lo, 0, v[42:43]
	v_add_f64 v[42:43], v[40:41], -v[44:45]
	v_add_f64 v[30:31], v[34:35], -v[30:31]
	v_cndmask_b32_e64 v47, 0, 0x40100000, vcc_lo
	v_add_f64 v[51:52], v[40:41], -v[42:43]
	v_add_f64 v[28:29], v[28:29], -v[42:43]
	v_add_f64 v[32:33], v[32:33], v[46:47]
	v_add_f64 v[47:48], v[34:35], -v[40:41]
	v_add_f64 v[42:43], v[44:45], -v[51:52]
	v_add_f64 v[49:50], v[36:37], v[32:33]
	;; [unrolled: 3-line block ×3, first 2 shown]
	v_cvt_i32_f64_e32 v10, v[49:50]
	v_add_f64 v[40:41], v[40:41], -v[53:54]
	v_cvt_f64_i32_e32 v[47:48], v10
	v_add_f64 v[26:27], v[26:27], v[40:41]
	v_add_f64 v[32:33], v[32:33], -v[47:48]
	v_add_f64 v[26:27], v[28:29], v[26:27]
	v_add_f64 v[28:29], v[36:37], v[32:33]
	;; [unrolled: 1-line block ×3, first 2 shown]
	v_add_f64 v[26:27], v[28:29], -v[32:33]
	v_cmp_le_f64_e32 vcc_lo, 0.5, v[28:29]
	v_add_f64 v[24:25], v[30:31], v[24:25]
	v_add_f64 v[26:27], v[36:37], -v[26:27]
	v_cndmask_b32_e64 v47, 0, 0x3ff00000, vcc_lo
	v_add_co_ci_u32_e64 v10, null, 0, v10, vcc_lo
	v_add_f64 v[24:25], v[24:25], v[26:27]
	v_add_f64 v[26:27], v[28:29], -v[46:47]
	v_add_f64 v[28:29], v[26:27], v[24:25]
	v_mul_f64 v[30:31], v[28:29], s[0:1]
	v_add_f64 v[26:27], v[28:29], -v[26:27]
	v_fma_f64 v[32:33], v[28:29], s[0:1], -v[30:31]
	v_add_f64 v[24:25], v[24:25], -v[26:27]
	v_fma_f64 v[26:27], v[28:29], s[10:11], v[32:33]
	v_fma_f64 v[26:27], v[24:25], s[0:1], v[26:27]
	v_add_f64 v[24:25], v[30:31], v[26:27]
	v_add_f64 v[28:29], v[24:25], -v[30:31]
	v_add_f64 v[26:27], v[26:27], -v[28:29]
.LBB37_133:
	s_andn2_saveexec_b32 s0, s9
	s_cbranch_execz .LBB37_135
; %bb.134:
	s_mov_b32 s10, 0x6dc9c883
	s_mov_b32 s11, 0x3fe45f30
	;; [unrolled: 1-line block ×3, first 2 shown]
	v_mul_f64 v[24:25], |v[22:23]|, s[10:11]
	s_mov_b32 s10, 0x54442d18
	s_mov_b32 s11, 0xbff921fb
	;; [unrolled: 1-line block ×3, first 2 shown]
	v_rndne_f64_e32 v[28:29], v[24:25]
	v_fma_f64 v[24:25], v[28:29], s[10:11], |v[22:23]|
	v_mul_f64 v[26:27], v[28:29], s[12:13]
	s_mov_b32 s10, 0x252049c0
	s_mov_b32 s11, 0xb97b839a
	v_cvt_i32_f64_e32 v10, v[28:29]
	v_fma_f64 v[32:33], v[28:29], s[12:13], v[24:25]
	v_add_f64 v[30:31], v[24:25], v[26:27]
	s_mov_b32 s13, 0x3c91a626
	v_add_f64 v[24:25], v[24:25], -v[30:31]
	v_add_f64 v[30:31], v[30:31], -v[32:33]
	v_add_f64 v[24:25], v[24:25], v[26:27]
	v_fma_f64 v[26:27], v[28:29], s[12:13], v[26:27]
	v_add_f64 v[24:25], v[30:31], v[24:25]
	v_add_f64 v[24:25], v[24:25], -v[26:27]
	v_fma_f64 v[26:27], v[28:29], s[10:11], v[24:25]
	v_add_f64 v[24:25], v[32:33], v[26:27]
	v_add_f64 v[30:31], v[24:25], -v[32:33]
	v_add_f64 v[26:27], v[26:27], -v[30:31]
.LBB37_135:
	s_or_b32 exec_lo, exec_lo, s0
	v_mul_f64 v[28:29], v[24:25], v[24:25]
	v_add_f64 v[30:31], v[26:27], v[26:27]
	s_mov_b32 s10, 0xa9a29f71
	s_mov_b32 s12, 0xc751c08c
	;; [unrolled: 1-line block ×4, first 2 shown]
	v_cmp_class_f64_e64 s0, v[22:23], 0x1f8
	v_and_b32_e32 v10, 1, v10
	v_and_b32_e32 v14, 0x80000000, v23
	v_sub_f32_e32 v8, 1.0, v8
	s_mov_b32 s1, exec_lo
	v_cmp_eq_u32_e32 vcc_lo, 0, v10
	v_fma_f64 v[32:33], v[24:25], v[24:25], -v[28:29]
	v_fma_f64 v[30:31], v[24:25], v[30:31], v[32:33]
	v_add_f64 v[28:29], v[28:29], v[30:31]
	v_fma_f64 v[30:31], v[28:29], s[12:13], s[10:11]
	s_mov_b32 s10, 0x90a8aae0
	s_mov_b32 s11, 0x3f17746f
	v_fma_f64 v[30:31], v[28:29], v[30:31], s[10:11]
	s_mov_b32 s10, 0xa6fbf144
	s_mov_b32 s11, 0xbefbb44d
	v_fma_f64 v[30:31], v[28:29], v[30:31], s[10:11]
	s_mov_b32 s10, 0xa7943acf
	s_mov_b32 s11, 0x3f21e634
	v_fma_f64 v[30:31], v[28:29], v[30:31], s[10:11]
	s_mov_b32 s10, 0xdeb68feb
	s_mov_b32 s11, 0x3f2d250f
	v_fma_f64 v[30:31], v[28:29], v[30:31], s[10:11]
	s_mov_b32 s10, 0xb58c4d95
	s_mov_b32 s11, 0x3f437fd9
	v_fma_f64 v[30:31], v[28:29], v[30:31], s[10:11]
	s_mov_b32 s10, 0x15120e2c
	s_mov_b32 s11, 0x3f57d5af
	v_fma_f64 v[30:31], v[28:29], v[30:31], s[10:11]
	s_mov_b32 s10, 0xe09491df
	s_mov_b32 s11, 0x3f6d6d93
	v_fma_f64 v[30:31], v[28:29], v[30:31], s[10:11]
	s_mov_b32 s10, 0x2033784d
	s_mov_b32 s11, 0x3f8226e1
	v_fma_f64 v[30:31], v[28:29], v[30:31], s[10:11]
	s_mov_b32 s10, 0x9ac36ae2
	s_mov_b32 s11, 0x3f9664f4
	v_fma_f64 v[30:31], v[28:29], v[30:31], s[10:11]
	s_mov_b32 s10, 0x1b451c21
	s_mov_b32 s11, 0x3faba1ba
	v_fma_f64 v[30:31], v[28:29], v[30:31], s[10:11]
	s_mov_b32 s10, 0x111185b7
	s_mov_b32 s11, 0x3fc11111
	v_fma_f64 v[30:31], v[28:29], v[30:31], s[10:11]
	s_mov_b32 s10, 0x555554ee
	s_mov_b32 s11, 0x3fd55555
	v_fma_f64 v[30:31], v[28:29], v[30:31], s[10:11]
	s_mov_b32 s10, 0x54442d18
	s_mov_b32 s11, 0xc00921fb
	v_mul_f64 v[28:29], v[28:29], v[30:31]
	v_mul_f64 v[30:31], v[24:25], v[28:29]
	v_add_f64 v[32:33], v[24:25], v[30:31]
	v_fma_f64 v[28:29], v[24:25], v[28:29], -v[30:31]
	v_add_f64 v[24:25], v[32:33], -v[24:25]
	v_add_f64 v[26:27], v[26:27], v[28:29]
	v_add_f64 v[24:25], v[30:31], -v[24:25]
	v_add_f64 v[24:25], v[26:27], v[24:25]
	v_add_f64 v[26:27], v[32:33], v[24:25]
	v_rcp_f64_e32 v[28:29], v[26:27]
	v_fma_f64 v[30:31], -v[26:27], v[28:29], 1.0
	v_fma_f64 v[28:29], v[30:31], v[28:29], v[28:29]
	v_fma_f64 v[30:31], -v[26:27], v[28:29], 1.0
	v_fma_f64 v[28:29], v[30:31], v[28:29], v[28:29]
	v_add_f64 v[30:31], v[26:27], -v[32:33]
	v_mul_f64 v[32:33], v[26:27], v[28:29]
	v_add_f64 v[24:25], v[24:25], -v[30:31]
	v_fma_f64 v[30:31], v[28:29], v[26:27], -v[32:33]
	v_fma_f64 v[24:25], v[28:29], v[24:25], v[30:31]
	v_add_f64 v[30:31], v[32:33], v[24:25]
	v_add_f64 v[34:35], -v[30:31], 1.0
	v_add_f64 v[32:33], v[30:31], -v[32:33]
	v_add_f64 v[36:37], -v[34:35], 1.0
	v_add_f64 v[24:25], v[32:33], -v[24:25]
	v_add_f64 v[30:31], v[36:37], -v[30:31]
	v_add_f64 v[24:25], v[24:25], v[30:31]
	v_add_f64 v[24:25], v[34:35], v[24:25]
	v_mul_f64 v[24:25], v[28:29], v[24:25]
	v_add_f64 v[24:25], v[28:29], v[24:25]
	v_xor_b32_e32 v12, 0x80000000, v25
	v_cndmask_b32_e32 v10, v24, v26, vcc_lo
	v_cndmask_b32_e32 v12, v12, v27, vcc_lo
	v_cndmask_b32_e64 v22, 0, v10, s0
	v_xor_b32_e32 v12, v12, v14
	v_cndmask_b32_e64 v23, 0x7ff80000, v12, s0
	v_div_scale_f64 v[24:25], null, v[22:23], v[22:23], s[10:11]
	v_rcp_f64_e32 v[26:27], v[24:25]
	v_fma_f64 v[28:29], -v[24:25], v[26:27], 1.0
	v_fma_f64 v[26:27], v[26:27], v[28:29], v[26:27]
	v_fma_f64 v[28:29], -v[24:25], v[26:27], 1.0
	v_fma_f64 v[26:27], v[26:27], v[28:29], v[26:27]
	v_div_scale_f64 v[28:29], vcc_lo, s[10:11], v[22:23], s[10:11]
	v_mul_f64 v[30:31], v[28:29], v[26:27]
	v_fma_f64 v[24:25], -v[24:25], v[30:31], v[28:29]
	v_div_fmas_f64 v[24:25], v[24:25], v[26:27], v[30:31]
	v_div_fixup_f64 v[22:23], v[24:25], v[22:23], s[10:11]
	v_cvt_f32_f64_e32 v10, v[22:23]
.LBB37_136:
	s_or_b32 exec_lo, exec_lo, s8
	s_orn2_b32 s0, s1, exec_lo
.LBB37_137:
	s_or_b32 exec_lo, exec_lo, s3
	v_mov_b32_e32 v26, 0x7fc0
	s_and_saveexec_b32 s1, s0
	s_cbranch_execz .LBB37_149
; %bb.138:
	s_mov_b32 s0, exec_lo
	v_cmpx_gt_f32_e32 0x41200000, v8
	s_cbranch_execz .LBB37_142
; %bb.139:
	s_mov_b32 s3, 0
	.p2align	6
.LBB37_140:                             ; =>This Inner Loop Header: Depth=1
	v_div_scale_f32 v12, null, v8, v8, 1.0
	v_div_scale_f32 v18, vcc_lo, 1.0, v8, 1.0
	v_rcp_f32_e32 v14, v12
	v_fma_f32 v16, -v12, v14, 1.0
	v_fmac_f32_e32 v14, v16, v14
	v_mul_f32_e32 v16, v18, v14
	v_fma_f32 v20, -v12, v16, v18
	v_fmac_f32_e32 v16, v20, v14
	v_fma_f32 v12, -v12, v16, v18
	v_div_fmas_f32 v12, v12, v14, v16
	v_div_fixup_f32 v12, v12, v8, 1.0
	v_add_f32_e32 v8, 1.0, v8
	v_sub_f32_e32 v10, v10, v12
	v_cmp_ngt_f32_e32 vcc_lo, 0x41200000, v8
	s_or_b32 s3, vcc_lo, s3
	s_andn2_b32 exec_lo, exec_lo, s3
	s_cbranch_execnz .LBB37_140
; %bb.141:
	s_or_b32 exec_lo, exec_lo, s3
.LBB37_142:
	s_or_b32 exec_lo, exec_lo, s0
                                        ; implicit-def: $vgpr26
	s_mov_b32 s0, exec_lo
	v_cmpx_neq_f32_e32 0x41200000, v8
	s_xor_b32 s3, exec_lo, s0
	s_cbranch_execz .LBB37_146
; %bb.143:
	v_cvt_f64_f32_e32 v[22:23], v8
	v_mov_b32_e32 v12, 0
	s_mov_b32 s8, 0x85d8a000
	s_mov_b32 s9, 0x43763457
	s_mov_b32 s0, exec_lo
	v_cmpx_gt_f64_e32 s[8:9], v[22:23]
	s_cbranch_execz .LBB37_145
; %bb.144:
	v_mul_f32_e32 v12, v8, v8
	v_div_scale_f32 v14, null, v12, v12, 1.0
	v_rcp_f32_e32 v16, v14
	v_fma_f32 v18, -v14, v16, 1.0
	v_fmac_f32_e32 v16, v18, v16
	v_div_scale_f32 v18, vcc_lo, 1.0, v12, 1.0
	v_mul_f32_e32 v20, v18, v16
	v_fma_f32 v22, -v14, v20, v18
	v_fmac_f32_e32 v20, v22, v16
	v_fma_f32 v14, -v14, v20, v18
	v_div_fmas_f32 v14, v14, v16, v20
	v_div_fixup_f32 v12, v14, v12, 1.0
	v_fmaak_f32 v14, 0, v12, 0x3daaaaab
	v_fmaak_f32 v14, v12, v14, 0xbcaccacd
	;; [unrolled: 1-line block ×7, first 2 shown]
	v_mul_f32_e32 v12, v12, v14
.LBB37_145:
	s_or_b32 exec_lo, exec_lo, s0
	v_cmp_gt_f32_e32 vcc_lo, 0x800000, v8
	v_div_scale_f32 v14, null, v8, v8, -0.5
	v_div_scale_f32 v22, s0, -0.5, v8, -0.5
	v_cndmask_b32_e64 v16, 0, 32, vcc_lo
	v_rcp_f32_e32 v18, v14
	v_ldexp_f32 v16, v8, v16
	v_log_f32_e32 v16, v16
	v_fma_f32 v20, -v14, v18, 1.0
	v_fmac_f32_e32 v18, v20, v18
	v_mul_f32_e32 v20, 0x3f317217, v16
	v_mul_f32_e32 v23, v22, v18
	v_fma_f32 v20, 0x3f317217, v16, -v20
	v_fma_f32 v24, -v14, v23, v22
	v_fmamk_f32 v20, v16, 0x3377d1cf, v20
	v_fmac_f32_e32 v23, v24, v18
	v_cndmask_b32_e64 v24, 0, 0x41b17218, vcc_lo
	v_cmp_gt_f32_e64 vcc_lo, 0x7f800000, |v16|
	v_fmac_f32_e32 v20, 0x3f317217, v16
	v_fma_f32 v14, -v14, v23, v22
	v_cndmask_b32_e32 v16, v16, v20, vcc_lo
	s_mov_b32 vcc_lo, s0
	v_div_fmas_f32 v14, v14, v18, v23
	v_sub_f32_e32 v16, v16, v24
	v_div_fixup_f32 v8, v14, v8, -0.5
	v_add_f32_e32 v8, v16, v8
	v_sub_f32_e32 v8, v8, v12
	v_add_f32_e32 v8, v10, v8
	v_bfe_u32 v10, v8, 16, 1
	v_cmp_o_f32_e32 vcc_lo, v8, v8
	v_add3_u32 v8, v8, v10, 0x7fff
	v_mov_b32_e32 v10, 0x7fc0
	v_cndmask_b32_sdwa v26, v10, v8, vcc_lo dst_sel:DWORD dst_unused:UNUSED_PAD src0_sel:DWORD src1_sel:WORD_1
                                        ; implicit-def: $vgpr10
.LBB37_146:
	s_andn2_saveexec_b32 s0, s3
; %bb.147:
	v_add_f32_e32 v8, 0x40101cb7, v10
	v_bfe_u32 v10, v8, 16, 1
	v_cmp_o_f32_e32 vcc_lo, v8, v8
	v_add3_u32 v8, v8, v10, 0x7fff
	v_mov_b32_e32 v10, 0x7fc0
	v_cndmask_b32_sdwa v26, v10, v8, vcc_lo dst_sel:DWORD dst_unused:UNUSED_PAD src0_sel:DWORD src1_sel:WORD_1
; %bb.148:
	s_or_b32 exec_lo, exec_lo, s0
.LBB37_149:
	s_or_b32 exec_lo, exec_lo, s1
                                        ; implicit-def: $vgpr8
.LBB37_150:
	s_andn2_saveexec_b32 s0, s2
; %bb.151:
	v_xor_b32_e32 v8, 0x80000000, v8
	s_mov_b32 s1, 0x7f800000
	v_and_or_b32 v8, 0x80000000, v8, s1
	v_lshrrev_b32_e32 v26, 16, v8
; %bb.152:
	s_or_b32 exec_lo, exec_lo, s0
	global_load_ushort v8, v21, s[6:7]
                                        ; implicit-def: $vgpr24
	s_mov_b32 s0, exec_lo
	s_waitcnt vmcnt(0)
	v_lshlrev_b32_e32 v8, 16, v8
	v_cmpx_neq_f32_e32 0, v8
	s_xor_b32 s2, exec_lo, s0
	s_cbranch_execz .LBB37_174
; %bb.153:
	v_mov_b32_e32 v10, 0
	s_mov_b32 s0, -1
	s_mov_b32 s3, exec_lo
	v_cmpx_gt_f32_e32 0, v8
	s_cbranch_execz .LBB37_161
; %bb.154:
	v_trunc_f32_e32 v10, v8
	s_mov_b32 s1, 0
	v_cmp_neq_f32_e32 vcc_lo, v10, v8
	v_mov_b32_e32 v10, 0
	s_and_saveexec_b32 s8, vcc_lo
	s_cbranch_execz .LBB37_160
; %bb.155:
	v_cvt_f64_f32_e32 v[20:21], v8
	s_mov_b32 s1, 0xc00921fb
	s_mov_b32 s0, 0x54442d18
	s_mov_b32 s9, exec_lo
                                        ; implicit-def: $vgpr10
                                        ; implicit-def: $vgpr24_vgpr25
	v_trunc_f64_e32 v[22:23], v[20:21]
	v_cmp_neq_f64_e64 vcc_lo, 0x7ff00000, |v[20:21]|
	v_add_f64 v[22:23], v[20:21], -v[22:23]
	v_mul_f64 v[22:23], |v[22:23]|, s[0:1]
	v_cndmask_b32_e32 v21, 0x80000000, v23, vcc_lo
	v_cndmask_b32_e32 v20, 0, v22, vcc_lo
                                        ; implicit-def: $vgpr22_vgpr23
	v_cmpx_ngt_f64_e64 0x41d00000, |v[20:21]|
	s_xor_b32 s9, exec_lo, s9
	s_cbranch_execz .LBB37_157
; %bb.156:
	v_ldexp_f64 v[22:23], |v[20:21]|, 0xffffff80
	v_cmp_le_f64_e64 vcc_lo, 0x7b000000, |v[20:21]|
	v_trig_preop_f64 v[24:25], |v[20:21]|, 0
	v_and_b32_e32 v10, 0x7fffffff, v21
	v_trig_preop_f64 v[27:28], |v[20:21]|, 1
	v_trig_preop_f64 v[37:38], |v[20:21]|, 2
	v_mov_b32_e32 v45, 0
	s_mov_b32 s1, 0x3ff921fb
	s_mov_b32 s10, 0x33145c07
	;; [unrolled: 1-line block ×3, first 2 shown]
	v_cndmask_b32_e32 v23, v10, v23, vcc_lo
	v_cndmask_b32_e32 v22, v20, v22, vcc_lo
	v_mul_f64 v[29:30], v[24:25], v[22:23]
	v_mul_f64 v[31:32], v[27:28], v[22:23]
	;; [unrolled: 1-line block ×3, first 2 shown]
	v_fma_f64 v[24:25], v[24:25], v[22:23], -v[29:30]
	v_fma_f64 v[27:28], v[27:28], v[22:23], -v[31:32]
	;; [unrolled: 1-line block ×3, first 2 shown]
	v_add_f64 v[33:34], v[31:32], v[24:25]
	v_add_f64 v[35:36], v[33:34], -v[31:32]
	v_add_f64 v[41:42], v[29:30], v[33:34]
	v_add_f64 v[39:40], v[33:34], -v[35:36]
	v_add_f64 v[24:25], v[24:25], -v[35:36]
	v_ldexp_f64 v[35:36], v[41:42], -2
	v_add_f64 v[29:30], v[41:42], -v[29:30]
	v_add_f64 v[31:32], v[31:32], -v[39:40]
	v_add_f64 v[39:40], v[43:44], v[27:28]
	v_cmp_neq_f64_e64 vcc_lo, 0x7ff00000, |v[35:36]|
	v_add_f64 v[29:30], v[33:34], -v[29:30]
	v_add_f64 v[24:25], v[24:25], v[31:32]
	v_fract_f64_e32 v[31:32], v[35:36]
	v_add_f64 v[33:34], v[39:40], v[24:25]
	v_ldexp_f64 v[31:32], v[31:32], 2
	v_add_f64 v[35:36], v[29:30], v[33:34]
	v_cndmask_b32_e32 v32, 0, v32, vcc_lo
	v_cndmask_b32_e32 v31, 0, v31, vcc_lo
	v_add_f64 v[41:42], v[35:36], v[31:32]
	v_add_f64 v[29:30], v[35:36], -v[29:30]
	v_cmp_gt_f64_e32 vcc_lo, 0, v[41:42]
	v_add_f64 v[41:42], v[39:40], -v[43:44]
	v_add_f64 v[29:30], v[33:34], -v[29:30]
	v_cndmask_b32_e64 v46, 0, 0x40100000, vcc_lo
	v_add_f64 v[50:51], v[39:40], -v[41:42]
	v_add_f64 v[27:28], v[27:28], -v[41:42]
	v_add_f64 v[31:32], v[31:32], v[45:46]
	v_add_f64 v[46:47], v[33:34], -v[39:40]
	v_add_f64 v[41:42], v[43:44], -v[50:51]
	v_add_f64 v[48:49], v[35:36], v[31:32]
	;; [unrolled: 3-line block ×3, first 2 shown]
	v_cvt_i32_f64_e32 v10, v[48:49]
	v_add_f64 v[39:40], v[39:40], -v[52:53]
	v_cvt_f64_i32_e32 v[46:47], v10
	v_add_f64 v[24:25], v[24:25], v[39:40]
	v_add_f64 v[31:32], v[31:32], -v[46:47]
	v_add_f64 v[24:25], v[27:28], v[24:25]
	v_add_f64 v[27:28], v[35:36], v[31:32]
	;; [unrolled: 1-line block ×3, first 2 shown]
	v_add_f64 v[24:25], v[27:28], -v[31:32]
	v_cmp_le_f64_e32 vcc_lo, 0.5, v[27:28]
	v_add_f64 v[22:23], v[29:30], v[22:23]
	v_add_f64 v[24:25], v[35:36], -v[24:25]
	v_cndmask_b32_e64 v46, 0, 0x3ff00000, vcc_lo
	v_add_co_ci_u32_e64 v10, null, 0, v10, vcc_lo
	v_add_f64 v[22:23], v[22:23], v[24:25]
	v_add_f64 v[24:25], v[27:28], -v[45:46]
	v_add_f64 v[27:28], v[24:25], v[22:23]
	v_mul_f64 v[29:30], v[27:28], s[0:1]
	v_add_f64 v[24:25], v[27:28], -v[24:25]
	v_fma_f64 v[31:32], v[27:28], s[0:1], -v[29:30]
	v_add_f64 v[22:23], v[22:23], -v[24:25]
	v_fma_f64 v[24:25], v[27:28], s[10:11], v[31:32]
	v_fma_f64 v[24:25], v[22:23], s[0:1], v[24:25]
	v_add_f64 v[22:23], v[29:30], v[24:25]
	v_add_f64 v[27:28], v[22:23], -v[29:30]
	v_add_f64 v[24:25], v[24:25], -v[27:28]
.LBB37_157:
	s_andn2_saveexec_b32 s0, s9
	s_cbranch_execz .LBB37_159
; %bb.158:
	s_mov_b32 s10, 0x6dc9c883
	s_mov_b32 s11, 0x3fe45f30
	;; [unrolled: 1-line block ×3, first 2 shown]
	v_mul_f64 v[22:23], |v[20:21]|, s[10:11]
	s_mov_b32 s10, 0x54442d18
	s_mov_b32 s11, 0xbff921fb
	;; [unrolled: 1-line block ×3, first 2 shown]
	v_rndne_f64_e32 v[27:28], v[22:23]
	v_fma_f64 v[22:23], v[27:28], s[10:11], |v[20:21]|
	v_mul_f64 v[24:25], v[27:28], s[12:13]
	s_mov_b32 s10, 0x252049c0
	s_mov_b32 s11, 0xb97b839a
	v_cvt_i32_f64_e32 v10, v[27:28]
	v_fma_f64 v[31:32], v[27:28], s[12:13], v[22:23]
	v_add_f64 v[29:30], v[22:23], v[24:25]
	s_mov_b32 s13, 0x3c91a626
	v_add_f64 v[22:23], v[22:23], -v[29:30]
	v_add_f64 v[29:30], v[29:30], -v[31:32]
	v_add_f64 v[22:23], v[22:23], v[24:25]
	v_fma_f64 v[24:25], v[27:28], s[12:13], v[24:25]
	v_add_f64 v[22:23], v[29:30], v[22:23]
	v_add_f64 v[22:23], v[22:23], -v[24:25]
	v_fma_f64 v[24:25], v[27:28], s[10:11], v[22:23]
	v_add_f64 v[22:23], v[31:32], v[24:25]
	v_add_f64 v[29:30], v[22:23], -v[31:32]
	v_add_f64 v[24:25], v[24:25], -v[29:30]
.LBB37_159:
	s_or_b32 exec_lo, exec_lo, s0
	v_mul_f64 v[27:28], v[22:23], v[22:23]
	v_add_f64 v[29:30], v[24:25], v[24:25]
	s_mov_b32 s10, 0xa9a29f71
	s_mov_b32 s12, 0xc751c08c
	;; [unrolled: 1-line block ×4, first 2 shown]
	v_cmp_class_f64_e64 s0, v[20:21], 0x1f8
	v_and_b32_e32 v10, 1, v10
	v_and_b32_e32 v14, 0x80000000, v21
	v_sub_f32_e32 v8, 1.0, v8
	s_mov_b32 s1, exec_lo
	v_cmp_eq_u32_e32 vcc_lo, 0, v10
	v_fma_f64 v[31:32], v[22:23], v[22:23], -v[27:28]
	v_fma_f64 v[29:30], v[22:23], v[29:30], v[31:32]
	v_add_f64 v[27:28], v[27:28], v[29:30]
	v_fma_f64 v[29:30], v[27:28], s[12:13], s[10:11]
	s_mov_b32 s10, 0x90a8aae0
	s_mov_b32 s11, 0x3f17746f
	v_fma_f64 v[29:30], v[27:28], v[29:30], s[10:11]
	s_mov_b32 s10, 0xa6fbf144
	s_mov_b32 s11, 0xbefbb44d
	;; [unrolled: 3-line block ×13, first 2 shown]
	v_mul_f64 v[27:28], v[27:28], v[29:30]
	v_mul_f64 v[29:30], v[22:23], v[27:28]
	v_add_f64 v[31:32], v[22:23], v[29:30]
	v_fma_f64 v[27:28], v[22:23], v[27:28], -v[29:30]
	v_add_f64 v[22:23], v[31:32], -v[22:23]
	v_add_f64 v[24:25], v[24:25], v[27:28]
	v_add_f64 v[22:23], v[29:30], -v[22:23]
	v_add_f64 v[22:23], v[24:25], v[22:23]
	v_add_f64 v[24:25], v[31:32], v[22:23]
	v_rcp_f64_e32 v[27:28], v[24:25]
	v_fma_f64 v[29:30], -v[24:25], v[27:28], 1.0
	v_fma_f64 v[27:28], v[29:30], v[27:28], v[27:28]
	v_fma_f64 v[29:30], -v[24:25], v[27:28], 1.0
	v_fma_f64 v[27:28], v[29:30], v[27:28], v[27:28]
	v_add_f64 v[29:30], v[24:25], -v[31:32]
	v_mul_f64 v[31:32], v[24:25], v[27:28]
	v_add_f64 v[22:23], v[22:23], -v[29:30]
	v_fma_f64 v[29:30], v[27:28], v[24:25], -v[31:32]
	v_fma_f64 v[22:23], v[27:28], v[22:23], v[29:30]
	v_add_f64 v[29:30], v[31:32], v[22:23]
	v_add_f64 v[33:34], -v[29:30], 1.0
	v_add_f64 v[31:32], v[29:30], -v[31:32]
	v_add_f64 v[35:36], -v[33:34], 1.0
	v_add_f64 v[22:23], v[31:32], -v[22:23]
	v_add_f64 v[29:30], v[35:36], -v[29:30]
	v_add_f64 v[22:23], v[22:23], v[29:30]
	v_add_f64 v[22:23], v[33:34], v[22:23]
	v_mul_f64 v[22:23], v[27:28], v[22:23]
	v_add_f64 v[22:23], v[27:28], v[22:23]
	v_xor_b32_e32 v12, 0x80000000, v23
	v_cndmask_b32_e32 v10, v22, v24, vcc_lo
	v_cndmask_b32_e32 v12, v12, v25, vcc_lo
	v_cndmask_b32_e64 v20, 0, v10, s0
	v_xor_b32_e32 v12, v12, v14
	v_cndmask_b32_e64 v21, 0x7ff80000, v12, s0
	v_div_scale_f64 v[22:23], null, v[20:21], v[20:21], s[10:11]
	v_rcp_f64_e32 v[24:25], v[22:23]
	v_fma_f64 v[27:28], -v[22:23], v[24:25], 1.0
	v_fma_f64 v[24:25], v[24:25], v[27:28], v[24:25]
	v_fma_f64 v[27:28], -v[22:23], v[24:25], 1.0
	v_fma_f64 v[24:25], v[24:25], v[27:28], v[24:25]
	v_div_scale_f64 v[27:28], vcc_lo, s[10:11], v[20:21], s[10:11]
	v_mul_f64 v[29:30], v[27:28], v[24:25]
	v_fma_f64 v[22:23], -v[22:23], v[29:30], v[27:28]
	v_div_fmas_f64 v[22:23], v[22:23], v[24:25], v[29:30]
	v_div_fixup_f64 v[20:21], v[22:23], v[20:21], s[10:11]
	v_cvt_f32_f64_e32 v10, v[20:21]
.LBB37_160:
	s_or_b32 exec_lo, exec_lo, s8
	s_orn2_b32 s0, s1, exec_lo
.LBB37_161:
	s_or_b32 exec_lo, exec_lo, s3
	v_mov_b32_e32 v24, 0x7fc0
	s_and_saveexec_b32 s1, s0
	s_cbranch_execz .LBB37_173
; %bb.162:
	s_mov_b32 s0, exec_lo
	v_cmpx_gt_f32_e32 0x41200000, v8
	s_cbranch_execz .LBB37_166
; %bb.163:
	s_mov_b32 s3, 0
	.p2align	6
.LBB37_164:                             ; =>This Inner Loop Header: Depth=1
	v_div_scale_f32 v12, null, v8, v8, 1.0
	v_div_scale_f32 v18, vcc_lo, 1.0, v8, 1.0
	v_rcp_f32_e32 v14, v12
	v_fma_f32 v16, -v12, v14, 1.0
	v_fmac_f32_e32 v14, v16, v14
	v_mul_f32_e32 v16, v18, v14
	v_fma_f32 v20, -v12, v16, v18
	v_fmac_f32_e32 v16, v20, v14
	v_fma_f32 v12, -v12, v16, v18
	v_div_fmas_f32 v12, v12, v14, v16
	v_div_fixup_f32 v12, v12, v8, 1.0
	v_add_f32_e32 v8, 1.0, v8
	v_sub_f32_e32 v10, v10, v12
	v_cmp_ngt_f32_e32 vcc_lo, 0x41200000, v8
	s_or_b32 s3, vcc_lo, s3
	s_andn2_b32 exec_lo, exec_lo, s3
	s_cbranch_execnz .LBB37_164
; %bb.165:
	s_or_b32 exec_lo, exec_lo, s3
.LBB37_166:
	s_or_b32 exec_lo, exec_lo, s0
                                        ; implicit-def: $vgpr24
	s_mov_b32 s0, exec_lo
	v_cmpx_neq_f32_e32 0x41200000, v8
	s_xor_b32 s3, exec_lo, s0
	s_cbranch_execz .LBB37_170
; %bb.167:
	v_cvt_f64_f32_e32 v[20:21], v8
	v_mov_b32_e32 v12, 0
	s_mov_b32 s8, 0x85d8a000
	s_mov_b32 s9, 0x43763457
	s_mov_b32 s0, exec_lo
	v_cmpx_gt_f64_e32 s[8:9], v[20:21]
	s_cbranch_execz .LBB37_169
; %bb.168:
	v_mul_f32_e32 v12, v8, v8
	v_div_scale_f32 v14, null, v12, v12, 1.0
	v_rcp_f32_e32 v16, v14
	v_fma_f32 v18, -v14, v16, 1.0
	v_fmac_f32_e32 v16, v18, v16
	v_div_scale_f32 v18, vcc_lo, 1.0, v12, 1.0
	v_mul_f32_e32 v20, v18, v16
	v_fma_f32 v21, -v14, v20, v18
	v_fmac_f32_e32 v20, v21, v16
	v_fma_f32 v14, -v14, v20, v18
	v_div_fmas_f32 v14, v14, v16, v20
	v_div_fixup_f32 v12, v14, v12, 1.0
	v_fmaak_f32 v14, 0, v12, 0x3daaaaab
	v_fmaak_f32 v14, v12, v14, 0xbcaccacd
	;; [unrolled: 1-line block ×7, first 2 shown]
	v_mul_f32_e32 v12, v12, v14
.LBB37_169:
	s_or_b32 exec_lo, exec_lo, s0
	v_cmp_gt_f32_e32 vcc_lo, 0x800000, v8
	v_div_scale_f32 v14, null, v8, v8, -0.5
	v_div_scale_f32 v21, s0, -0.5, v8, -0.5
	v_cndmask_b32_e64 v16, 0, 32, vcc_lo
	v_rcp_f32_e32 v18, v14
	v_ldexp_f32 v16, v8, v16
	v_log_f32_e32 v16, v16
	v_fma_f32 v20, -v14, v18, 1.0
	v_fmac_f32_e32 v18, v20, v18
	v_mul_f32_e32 v20, 0x3f317217, v16
	v_mul_f32_e32 v22, v21, v18
	v_fma_f32 v20, 0x3f317217, v16, -v20
	v_fma_f32 v23, -v14, v22, v21
	v_fmamk_f32 v20, v16, 0x3377d1cf, v20
	v_fmac_f32_e32 v22, v23, v18
	v_cndmask_b32_e64 v23, 0, 0x41b17218, vcc_lo
	v_cmp_gt_f32_e64 vcc_lo, 0x7f800000, |v16|
	v_fmac_f32_e32 v20, 0x3f317217, v16
	v_fma_f32 v14, -v14, v22, v21
	v_cndmask_b32_e32 v16, v16, v20, vcc_lo
	s_mov_b32 vcc_lo, s0
	v_div_fmas_f32 v14, v14, v18, v22
	v_sub_f32_e32 v16, v16, v23
	v_div_fixup_f32 v8, v14, v8, -0.5
	v_add_f32_e32 v8, v16, v8
	v_sub_f32_e32 v8, v8, v12
	v_add_f32_e32 v8, v10, v8
	v_bfe_u32 v10, v8, 16, 1
	v_cmp_o_f32_e32 vcc_lo, v8, v8
	v_add3_u32 v8, v8, v10, 0x7fff
	v_mov_b32_e32 v10, 0x7fc0
	v_cndmask_b32_sdwa v24, v10, v8, vcc_lo dst_sel:DWORD dst_unused:UNUSED_PAD src0_sel:DWORD src1_sel:WORD_1
                                        ; implicit-def: $vgpr10
.LBB37_170:
	s_andn2_saveexec_b32 s0, s3
; %bb.171:
	v_add_f32_e32 v8, 0x40101cb7, v10
	v_bfe_u32 v10, v8, 16, 1
	v_cmp_o_f32_e32 vcc_lo, v8, v8
	v_add3_u32 v8, v8, v10, 0x7fff
	v_mov_b32_e32 v10, 0x7fc0
	v_cndmask_b32_sdwa v24, v10, v8, vcc_lo dst_sel:DWORD dst_unused:UNUSED_PAD src0_sel:DWORD src1_sel:WORD_1
; %bb.172:
	s_or_b32 exec_lo, exec_lo, s0
.LBB37_173:
	s_or_b32 exec_lo, exec_lo, s1
                                        ; implicit-def: $vgpr8
.LBB37_174:
	s_andn2_saveexec_b32 s0, s2
; %bb.175:
	v_xor_b32_e32 v8, 0x80000000, v8
	s_mov_b32 s1, 0x7f800000
	v_and_or_b32 v8, 0x80000000, v8, s1
	v_lshrrev_b32_e32 v24, 16, v8
; %bb.176:
	s_or_b32 exec_lo, exec_lo, s0
	global_load_ushort v8, v19, s[6:7]
                                        ; implicit-def: $vgpr22
	s_mov_b32 s0, exec_lo
	s_waitcnt vmcnt(0)
	v_lshlrev_b32_e32 v8, 16, v8
	v_cmpx_neq_f32_e32 0, v8
	s_xor_b32 s2, exec_lo, s0
	s_cbranch_execz .LBB37_198
; %bb.177:
	v_mov_b32_e32 v10, 0
	s_mov_b32 s0, -1
	s_mov_b32 s3, exec_lo
	v_cmpx_gt_f32_e32 0, v8
	s_cbranch_execz .LBB37_185
; %bb.178:
	v_trunc_f32_e32 v10, v8
	s_mov_b32 s1, 0
	v_cmp_neq_f32_e32 vcc_lo, v10, v8
	v_mov_b32_e32 v10, 0
	s_and_saveexec_b32 s8, vcc_lo
	s_cbranch_execz .LBB37_184
; %bb.179:
	v_cvt_f64_f32_e32 v[18:19], v8
	s_mov_b32 s1, 0xc00921fb
	s_mov_b32 s0, 0x54442d18
	s_mov_b32 s9, exec_lo
                                        ; implicit-def: $vgpr10
                                        ; implicit-def: $vgpr22_vgpr23
	v_trunc_f64_e32 v[20:21], v[18:19]
	v_cmp_neq_f64_e64 vcc_lo, 0x7ff00000, |v[18:19]|
	v_add_f64 v[20:21], v[18:19], -v[20:21]
	v_mul_f64 v[20:21], |v[20:21]|, s[0:1]
	v_cndmask_b32_e32 v19, 0x80000000, v21, vcc_lo
	v_cndmask_b32_e32 v18, 0, v20, vcc_lo
                                        ; implicit-def: $vgpr20_vgpr21
	v_cmpx_ngt_f64_e64 0x41d00000, |v[18:19]|
	s_xor_b32 s9, exec_lo, s9
	s_cbranch_execz .LBB37_181
; %bb.180:
	v_ldexp_f64 v[20:21], |v[18:19]|, 0xffffff80
	v_cmp_le_f64_e64 vcc_lo, 0x7b000000, |v[18:19]|
	v_trig_preop_f64 v[22:23], |v[18:19]|, 0
	v_and_b32_e32 v10, 0x7fffffff, v19
	v_trig_preop_f64 v[27:28], |v[18:19]|, 1
	v_trig_preop_f64 v[37:38], |v[18:19]|, 2
	v_mov_b32_e32 v45, 0
	s_mov_b32 s1, 0x3ff921fb
	s_mov_b32 s10, 0x33145c07
	;; [unrolled: 1-line block ×3, first 2 shown]
	v_cndmask_b32_e32 v21, v10, v21, vcc_lo
	v_cndmask_b32_e32 v20, v18, v20, vcc_lo
	v_mul_f64 v[29:30], v[22:23], v[20:21]
	v_mul_f64 v[31:32], v[27:28], v[20:21]
	;; [unrolled: 1-line block ×3, first 2 shown]
	v_fma_f64 v[22:23], v[22:23], v[20:21], -v[29:30]
	v_fma_f64 v[27:28], v[27:28], v[20:21], -v[31:32]
	;; [unrolled: 1-line block ×3, first 2 shown]
	v_add_f64 v[33:34], v[31:32], v[22:23]
	v_add_f64 v[35:36], v[33:34], -v[31:32]
	v_add_f64 v[41:42], v[29:30], v[33:34]
	v_add_f64 v[39:40], v[33:34], -v[35:36]
	v_add_f64 v[22:23], v[22:23], -v[35:36]
	v_ldexp_f64 v[35:36], v[41:42], -2
	v_add_f64 v[29:30], v[41:42], -v[29:30]
	v_add_f64 v[31:32], v[31:32], -v[39:40]
	v_add_f64 v[39:40], v[43:44], v[27:28]
	v_cmp_neq_f64_e64 vcc_lo, 0x7ff00000, |v[35:36]|
	v_add_f64 v[29:30], v[33:34], -v[29:30]
	v_add_f64 v[22:23], v[22:23], v[31:32]
	v_fract_f64_e32 v[31:32], v[35:36]
	v_add_f64 v[33:34], v[39:40], v[22:23]
	v_ldexp_f64 v[31:32], v[31:32], 2
	v_add_f64 v[35:36], v[29:30], v[33:34]
	v_cndmask_b32_e32 v32, 0, v32, vcc_lo
	v_cndmask_b32_e32 v31, 0, v31, vcc_lo
	v_add_f64 v[41:42], v[35:36], v[31:32]
	v_add_f64 v[29:30], v[35:36], -v[29:30]
	v_cmp_gt_f64_e32 vcc_lo, 0, v[41:42]
	v_add_f64 v[41:42], v[39:40], -v[43:44]
	v_add_f64 v[29:30], v[33:34], -v[29:30]
	v_cndmask_b32_e64 v46, 0, 0x40100000, vcc_lo
	v_add_f64 v[50:51], v[39:40], -v[41:42]
	v_add_f64 v[27:28], v[27:28], -v[41:42]
	v_add_f64 v[31:32], v[31:32], v[45:46]
	v_add_f64 v[46:47], v[33:34], -v[39:40]
	v_add_f64 v[41:42], v[43:44], -v[50:51]
	v_add_f64 v[48:49], v[35:36], v[31:32]
	;; [unrolled: 3-line block ×3, first 2 shown]
	v_cvt_i32_f64_e32 v10, v[48:49]
	v_add_f64 v[39:40], v[39:40], -v[52:53]
	v_cvt_f64_i32_e32 v[46:47], v10
	v_add_f64 v[22:23], v[22:23], v[39:40]
	v_add_f64 v[31:32], v[31:32], -v[46:47]
	v_add_f64 v[22:23], v[27:28], v[22:23]
	v_add_f64 v[27:28], v[35:36], v[31:32]
	;; [unrolled: 1-line block ×3, first 2 shown]
	v_add_f64 v[22:23], v[27:28], -v[31:32]
	v_cmp_le_f64_e32 vcc_lo, 0.5, v[27:28]
	v_add_f64 v[20:21], v[29:30], v[20:21]
	v_add_f64 v[22:23], v[35:36], -v[22:23]
	v_cndmask_b32_e64 v46, 0, 0x3ff00000, vcc_lo
	v_add_co_ci_u32_e64 v10, null, 0, v10, vcc_lo
	v_add_f64 v[20:21], v[20:21], v[22:23]
	v_add_f64 v[22:23], v[27:28], -v[45:46]
	v_add_f64 v[27:28], v[22:23], v[20:21]
	v_mul_f64 v[29:30], v[27:28], s[0:1]
	v_add_f64 v[22:23], v[27:28], -v[22:23]
	v_fma_f64 v[31:32], v[27:28], s[0:1], -v[29:30]
	v_add_f64 v[20:21], v[20:21], -v[22:23]
	v_fma_f64 v[22:23], v[27:28], s[10:11], v[31:32]
	v_fma_f64 v[22:23], v[20:21], s[0:1], v[22:23]
	v_add_f64 v[20:21], v[29:30], v[22:23]
	v_add_f64 v[27:28], v[20:21], -v[29:30]
	v_add_f64 v[22:23], v[22:23], -v[27:28]
.LBB37_181:
	s_andn2_saveexec_b32 s0, s9
	s_cbranch_execz .LBB37_183
; %bb.182:
	s_mov_b32 s10, 0x6dc9c883
	s_mov_b32 s11, 0x3fe45f30
	;; [unrolled: 1-line block ×3, first 2 shown]
	v_mul_f64 v[20:21], |v[18:19]|, s[10:11]
	s_mov_b32 s10, 0x54442d18
	s_mov_b32 s11, 0xbff921fb
	;; [unrolled: 1-line block ×3, first 2 shown]
	v_rndne_f64_e32 v[27:28], v[20:21]
	v_fma_f64 v[20:21], v[27:28], s[10:11], |v[18:19]|
	v_mul_f64 v[22:23], v[27:28], s[12:13]
	s_mov_b32 s10, 0x252049c0
	s_mov_b32 s11, 0xb97b839a
	v_cvt_i32_f64_e32 v10, v[27:28]
	v_fma_f64 v[31:32], v[27:28], s[12:13], v[20:21]
	v_add_f64 v[29:30], v[20:21], v[22:23]
	s_mov_b32 s13, 0x3c91a626
	v_add_f64 v[20:21], v[20:21], -v[29:30]
	v_add_f64 v[29:30], v[29:30], -v[31:32]
	v_add_f64 v[20:21], v[20:21], v[22:23]
	v_fma_f64 v[22:23], v[27:28], s[12:13], v[22:23]
	v_add_f64 v[20:21], v[29:30], v[20:21]
	v_add_f64 v[20:21], v[20:21], -v[22:23]
	v_fma_f64 v[22:23], v[27:28], s[10:11], v[20:21]
	v_add_f64 v[20:21], v[31:32], v[22:23]
	v_add_f64 v[29:30], v[20:21], -v[31:32]
	v_add_f64 v[22:23], v[22:23], -v[29:30]
.LBB37_183:
	s_or_b32 exec_lo, exec_lo, s0
	v_mul_f64 v[27:28], v[20:21], v[20:21]
	v_add_f64 v[29:30], v[22:23], v[22:23]
	s_mov_b32 s10, 0xa9a29f71
	s_mov_b32 s12, 0xc751c08c
	;; [unrolled: 1-line block ×4, first 2 shown]
	v_cmp_class_f64_e64 s0, v[18:19], 0x1f8
	v_and_b32_e32 v10, 1, v10
	v_and_b32_e32 v14, 0x80000000, v19
	v_sub_f32_e32 v8, 1.0, v8
	s_mov_b32 s1, exec_lo
	v_cmp_eq_u32_e32 vcc_lo, 0, v10
	v_fma_f64 v[31:32], v[20:21], v[20:21], -v[27:28]
	v_fma_f64 v[29:30], v[20:21], v[29:30], v[31:32]
	v_add_f64 v[27:28], v[27:28], v[29:30]
	v_fma_f64 v[29:30], v[27:28], s[12:13], s[10:11]
	s_mov_b32 s10, 0x90a8aae0
	s_mov_b32 s11, 0x3f17746f
	v_fma_f64 v[29:30], v[27:28], v[29:30], s[10:11]
	s_mov_b32 s10, 0xa6fbf144
	s_mov_b32 s11, 0xbefbb44d
	;; [unrolled: 3-line block ×13, first 2 shown]
	v_mul_f64 v[27:28], v[27:28], v[29:30]
	v_mul_f64 v[29:30], v[20:21], v[27:28]
	v_add_f64 v[31:32], v[20:21], v[29:30]
	v_fma_f64 v[27:28], v[20:21], v[27:28], -v[29:30]
	v_add_f64 v[20:21], v[31:32], -v[20:21]
	v_add_f64 v[22:23], v[22:23], v[27:28]
	v_add_f64 v[20:21], v[29:30], -v[20:21]
	v_add_f64 v[20:21], v[22:23], v[20:21]
	v_add_f64 v[22:23], v[31:32], v[20:21]
	v_rcp_f64_e32 v[27:28], v[22:23]
	v_fma_f64 v[29:30], -v[22:23], v[27:28], 1.0
	v_fma_f64 v[27:28], v[29:30], v[27:28], v[27:28]
	v_fma_f64 v[29:30], -v[22:23], v[27:28], 1.0
	v_fma_f64 v[27:28], v[29:30], v[27:28], v[27:28]
	v_add_f64 v[29:30], v[22:23], -v[31:32]
	v_mul_f64 v[31:32], v[22:23], v[27:28]
	v_add_f64 v[20:21], v[20:21], -v[29:30]
	v_fma_f64 v[29:30], v[27:28], v[22:23], -v[31:32]
	v_fma_f64 v[20:21], v[27:28], v[20:21], v[29:30]
	v_add_f64 v[29:30], v[31:32], v[20:21]
	v_add_f64 v[33:34], -v[29:30], 1.0
	v_add_f64 v[31:32], v[29:30], -v[31:32]
	v_add_f64 v[35:36], -v[33:34], 1.0
	v_add_f64 v[20:21], v[31:32], -v[20:21]
	v_add_f64 v[29:30], v[35:36], -v[29:30]
	v_add_f64 v[20:21], v[20:21], v[29:30]
	v_add_f64 v[20:21], v[33:34], v[20:21]
	v_mul_f64 v[20:21], v[27:28], v[20:21]
	v_add_f64 v[20:21], v[27:28], v[20:21]
	v_xor_b32_e32 v12, 0x80000000, v21
	v_cndmask_b32_e32 v10, v20, v22, vcc_lo
	v_cndmask_b32_e32 v12, v12, v23, vcc_lo
	v_cndmask_b32_e64 v18, 0, v10, s0
	v_xor_b32_e32 v12, v12, v14
	v_cndmask_b32_e64 v19, 0x7ff80000, v12, s0
	v_div_scale_f64 v[20:21], null, v[18:19], v[18:19], s[10:11]
	v_rcp_f64_e32 v[22:23], v[20:21]
	v_fma_f64 v[27:28], -v[20:21], v[22:23], 1.0
	v_fma_f64 v[22:23], v[22:23], v[27:28], v[22:23]
	v_fma_f64 v[27:28], -v[20:21], v[22:23], 1.0
	v_fma_f64 v[22:23], v[22:23], v[27:28], v[22:23]
	v_div_scale_f64 v[27:28], vcc_lo, s[10:11], v[18:19], s[10:11]
	v_mul_f64 v[29:30], v[27:28], v[22:23]
	v_fma_f64 v[20:21], -v[20:21], v[29:30], v[27:28]
	v_div_fmas_f64 v[20:21], v[20:21], v[22:23], v[29:30]
	v_div_fixup_f64 v[18:19], v[20:21], v[18:19], s[10:11]
	v_cvt_f32_f64_e32 v10, v[18:19]
.LBB37_184:
	s_or_b32 exec_lo, exec_lo, s8
	s_orn2_b32 s0, s1, exec_lo
.LBB37_185:
	s_or_b32 exec_lo, exec_lo, s3
	v_mov_b32_e32 v22, 0x7fc0
	s_and_saveexec_b32 s1, s0
	s_cbranch_execz .LBB37_197
; %bb.186:
	s_mov_b32 s0, exec_lo
	v_cmpx_gt_f32_e32 0x41200000, v8
	s_cbranch_execz .LBB37_190
; %bb.187:
	s_mov_b32 s3, 0
	.p2align	6
.LBB37_188:                             ; =>This Inner Loop Header: Depth=1
	v_div_scale_f32 v12, null, v8, v8, 1.0
	v_div_scale_f32 v18, vcc_lo, 1.0, v8, 1.0
	v_rcp_f32_e32 v14, v12
	v_fma_f32 v16, -v12, v14, 1.0
	v_fmac_f32_e32 v14, v16, v14
	v_mul_f32_e32 v16, v18, v14
	v_fma_f32 v19, -v12, v16, v18
	v_fmac_f32_e32 v16, v19, v14
	v_fma_f32 v12, -v12, v16, v18
	v_div_fmas_f32 v12, v12, v14, v16
	v_div_fixup_f32 v12, v12, v8, 1.0
	v_add_f32_e32 v8, 1.0, v8
	v_sub_f32_e32 v10, v10, v12
	v_cmp_ngt_f32_e32 vcc_lo, 0x41200000, v8
	s_or_b32 s3, vcc_lo, s3
	s_andn2_b32 exec_lo, exec_lo, s3
	s_cbranch_execnz .LBB37_188
; %bb.189:
	s_or_b32 exec_lo, exec_lo, s3
.LBB37_190:
	s_or_b32 exec_lo, exec_lo, s0
                                        ; implicit-def: $vgpr22
	s_mov_b32 s0, exec_lo
	v_cmpx_neq_f32_e32 0x41200000, v8
	s_xor_b32 s3, exec_lo, s0
	s_cbranch_execz .LBB37_194
; %bb.191:
	v_cvt_f64_f32_e32 v[18:19], v8
	v_mov_b32_e32 v12, 0
	s_mov_b32 s8, 0x85d8a000
	s_mov_b32 s9, 0x43763457
	s_mov_b32 s0, exec_lo
	v_cmpx_gt_f64_e32 s[8:9], v[18:19]
	s_cbranch_execz .LBB37_193
; %bb.192:
	v_mul_f32_e32 v12, v8, v8
	v_div_scale_f32 v14, null, v12, v12, 1.0
	v_rcp_f32_e32 v16, v14
	v_fma_f32 v18, -v14, v16, 1.0
	v_fmac_f32_e32 v16, v18, v16
	v_div_scale_f32 v18, vcc_lo, 1.0, v12, 1.0
	v_mul_f32_e32 v19, v18, v16
	v_fma_f32 v20, -v14, v19, v18
	v_fmac_f32_e32 v19, v20, v16
	v_fma_f32 v14, -v14, v19, v18
	v_div_fmas_f32 v14, v14, v16, v19
	v_div_fixup_f32 v12, v14, v12, 1.0
	v_fmaak_f32 v14, 0, v12, 0x3daaaaab
	v_fmaak_f32 v14, v12, v14, 0xbcaccacd
	;; [unrolled: 1-line block ×7, first 2 shown]
	v_mul_f32_e32 v12, v12, v14
.LBB37_193:
	s_or_b32 exec_lo, exec_lo, s0
	v_cmp_gt_f32_e32 vcc_lo, 0x800000, v8
	v_div_scale_f32 v14, null, v8, v8, -0.5
	v_div_scale_f32 v20, s0, -0.5, v8, -0.5
	v_cndmask_b32_e64 v16, 0, 32, vcc_lo
	v_rcp_f32_e32 v18, v14
	v_ldexp_f32 v16, v8, v16
	v_log_f32_e32 v16, v16
	v_fma_f32 v19, -v14, v18, 1.0
	v_fmac_f32_e32 v18, v19, v18
	v_mul_f32_e32 v19, 0x3f317217, v16
	v_mul_f32_e32 v21, v20, v18
	v_fma_f32 v19, 0x3f317217, v16, -v19
	v_fma_f32 v22, -v14, v21, v20
	v_fmamk_f32 v19, v16, 0x3377d1cf, v19
	v_fmac_f32_e32 v21, v22, v18
	v_cndmask_b32_e64 v22, 0, 0x41b17218, vcc_lo
	v_cmp_gt_f32_e64 vcc_lo, 0x7f800000, |v16|
	v_fmac_f32_e32 v19, 0x3f317217, v16
	v_fma_f32 v14, -v14, v21, v20
	v_cndmask_b32_e32 v16, v16, v19, vcc_lo
	s_mov_b32 vcc_lo, s0
	v_div_fmas_f32 v14, v14, v18, v21
	v_sub_f32_e32 v16, v16, v22
	v_div_fixup_f32 v8, v14, v8, -0.5
	v_add_f32_e32 v8, v16, v8
	v_sub_f32_e32 v8, v8, v12
	v_add_f32_e32 v8, v10, v8
	v_bfe_u32 v10, v8, 16, 1
	v_cmp_o_f32_e32 vcc_lo, v8, v8
	v_add3_u32 v8, v8, v10, 0x7fff
	v_mov_b32_e32 v10, 0x7fc0
	v_cndmask_b32_sdwa v22, v10, v8, vcc_lo dst_sel:DWORD dst_unused:UNUSED_PAD src0_sel:DWORD src1_sel:WORD_1
                                        ; implicit-def: $vgpr10
.LBB37_194:
	s_andn2_saveexec_b32 s0, s3
; %bb.195:
	v_add_f32_e32 v8, 0x40101cb7, v10
	v_bfe_u32 v10, v8, 16, 1
	v_cmp_o_f32_e32 vcc_lo, v8, v8
	v_add3_u32 v8, v8, v10, 0x7fff
	v_mov_b32_e32 v10, 0x7fc0
	v_cndmask_b32_sdwa v22, v10, v8, vcc_lo dst_sel:DWORD dst_unused:UNUSED_PAD src0_sel:DWORD src1_sel:WORD_1
; %bb.196:
	s_or_b32 exec_lo, exec_lo, s0
.LBB37_197:
	s_or_b32 exec_lo, exec_lo, s1
                                        ; implicit-def: $vgpr8
.LBB37_198:
	s_andn2_saveexec_b32 s0, s2
; %bb.199:
	v_xor_b32_e32 v8, 0x80000000, v8
	s_mov_b32 s1, 0x7f800000
	v_and_or_b32 v8, 0x80000000, v8, s1
	v_lshrrev_b32_e32 v22, 16, v8
; %bb.200:
	s_or_b32 exec_lo, exec_lo, s0
	global_load_ushort v8, v17, s[6:7]
                                        ; implicit-def: $vgpr20
	s_mov_b32 s0, exec_lo
	s_waitcnt vmcnt(0)
	v_lshlrev_b32_e32 v8, 16, v8
	v_cmpx_neq_f32_e32 0, v8
	s_xor_b32 s2, exec_lo, s0
	s_cbranch_execz .LBB37_222
; %bb.201:
	v_mov_b32_e32 v10, 0
	s_mov_b32 s0, -1
	s_mov_b32 s3, exec_lo
	v_cmpx_gt_f32_e32 0, v8
	s_cbranch_execz .LBB37_209
; %bb.202:
	v_trunc_f32_e32 v10, v8
	s_mov_b32 s1, 0
	v_cmp_neq_f32_e32 vcc_lo, v10, v8
	v_mov_b32_e32 v10, 0
	s_and_saveexec_b32 s8, vcc_lo
	s_cbranch_execz .LBB37_208
; %bb.203:
	v_cvt_f64_f32_e32 v[16:17], v8
	s_mov_b32 s1, 0xc00921fb
	s_mov_b32 s0, 0x54442d18
	s_mov_b32 s9, exec_lo
                                        ; implicit-def: $vgpr10
                                        ; implicit-def: $vgpr20_vgpr21
	v_trunc_f64_e32 v[18:19], v[16:17]
	v_cmp_neq_f64_e64 vcc_lo, 0x7ff00000, |v[16:17]|
	v_add_f64 v[18:19], v[16:17], -v[18:19]
	v_mul_f64 v[18:19], |v[18:19]|, s[0:1]
	v_cndmask_b32_e32 v17, 0x80000000, v19, vcc_lo
	v_cndmask_b32_e32 v16, 0, v18, vcc_lo
                                        ; implicit-def: $vgpr18_vgpr19
	v_cmpx_ngt_f64_e64 0x41d00000, |v[16:17]|
	s_xor_b32 s9, exec_lo, s9
	s_cbranch_execz .LBB37_205
; %bb.204:
	v_ldexp_f64 v[18:19], |v[16:17]|, 0xffffff80
	v_cmp_le_f64_e64 vcc_lo, 0x7b000000, |v[16:17]|
	v_trig_preop_f64 v[20:21], |v[16:17]|, 0
	v_and_b32_e32 v10, 0x7fffffff, v17
	v_trig_preop_f64 v[27:28], |v[16:17]|, 1
	v_trig_preop_f64 v[37:38], |v[16:17]|, 2
	v_mov_b32_e32 v45, 0
	s_mov_b32 s1, 0x3ff921fb
	s_mov_b32 s10, 0x33145c07
	;; [unrolled: 1-line block ×3, first 2 shown]
	v_cndmask_b32_e32 v19, v10, v19, vcc_lo
	v_cndmask_b32_e32 v18, v16, v18, vcc_lo
	v_mul_f64 v[29:30], v[20:21], v[18:19]
	v_mul_f64 v[31:32], v[27:28], v[18:19]
	;; [unrolled: 1-line block ×3, first 2 shown]
	v_fma_f64 v[20:21], v[20:21], v[18:19], -v[29:30]
	v_fma_f64 v[27:28], v[27:28], v[18:19], -v[31:32]
	;; [unrolled: 1-line block ×3, first 2 shown]
	v_add_f64 v[33:34], v[31:32], v[20:21]
	v_add_f64 v[35:36], v[33:34], -v[31:32]
	v_add_f64 v[41:42], v[29:30], v[33:34]
	v_add_f64 v[39:40], v[33:34], -v[35:36]
	v_add_f64 v[20:21], v[20:21], -v[35:36]
	v_ldexp_f64 v[35:36], v[41:42], -2
	v_add_f64 v[29:30], v[41:42], -v[29:30]
	v_add_f64 v[31:32], v[31:32], -v[39:40]
	v_add_f64 v[39:40], v[43:44], v[27:28]
	v_cmp_neq_f64_e64 vcc_lo, 0x7ff00000, |v[35:36]|
	v_add_f64 v[29:30], v[33:34], -v[29:30]
	v_add_f64 v[20:21], v[20:21], v[31:32]
	v_fract_f64_e32 v[31:32], v[35:36]
	v_add_f64 v[33:34], v[39:40], v[20:21]
	v_ldexp_f64 v[31:32], v[31:32], 2
	v_add_f64 v[35:36], v[29:30], v[33:34]
	v_cndmask_b32_e32 v32, 0, v32, vcc_lo
	v_cndmask_b32_e32 v31, 0, v31, vcc_lo
	v_add_f64 v[41:42], v[35:36], v[31:32]
	v_add_f64 v[29:30], v[35:36], -v[29:30]
	v_cmp_gt_f64_e32 vcc_lo, 0, v[41:42]
	v_add_f64 v[41:42], v[39:40], -v[43:44]
	v_add_f64 v[29:30], v[33:34], -v[29:30]
	v_cndmask_b32_e64 v46, 0, 0x40100000, vcc_lo
	v_add_f64 v[50:51], v[39:40], -v[41:42]
	v_add_f64 v[27:28], v[27:28], -v[41:42]
	v_add_f64 v[31:32], v[31:32], v[45:46]
	v_add_f64 v[46:47], v[33:34], -v[39:40]
	v_add_f64 v[41:42], v[43:44], -v[50:51]
	v_add_f64 v[48:49], v[35:36], v[31:32]
	;; [unrolled: 3-line block ×3, first 2 shown]
	v_cvt_i32_f64_e32 v10, v[48:49]
	v_add_f64 v[39:40], v[39:40], -v[52:53]
	v_cvt_f64_i32_e32 v[46:47], v10
	v_add_f64 v[20:21], v[20:21], v[39:40]
	v_add_f64 v[31:32], v[31:32], -v[46:47]
	v_add_f64 v[20:21], v[27:28], v[20:21]
	v_add_f64 v[27:28], v[35:36], v[31:32]
	;; [unrolled: 1-line block ×3, first 2 shown]
	v_add_f64 v[20:21], v[27:28], -v[31:32]
	v_cmp_le_f64_e32 vcc_lo, 0.5, v[27:28]
	v_add_f64 v[18:19], v[29:30], v[18:19]
	v_add_f64 v[20:21], v[35:36], -v[20:21]
	v_cndmask_b32_e64 v46, 0, 0x3ff00000, vcc_lo
	v_add_co_ci_u32_e64 v10, null, 0, v10, vcc_lo
	v_add_f64 v[18:19], v[18:19], v[20:21]
	v_add_f64 v[20:21], v[27:28], -v[45:46]
	v_add_f64 v[27:28], v[20:21], v[18:19]
	v_mul_f64 v[29:30], v[27:28], s[0:1]
	v_add_f64 v[20:21], v[27:28], -v[20:21]
	v_fma_f64 v[31:32], v[27:28], s[0:1], -v[29:30]
	v_add_f64 v[18:19], v[18:19], -v[20:21]
	v_fma_f64 v[20:21], v[27:28], s[10:11], v[31:32]
	v_fma_f64 v[20:21], v[18:19], s[0:1], v[20:21]
	v_add_f64 v[18:19], v[29:30], v[20:21]
	v_add_f64 v[27:28], v[18:19], -v[29:30]
	v_add_f64 v[20:21], v[20:21], -v[27:28]
.LBB37_205:
	s_andn2_saveexec_b32 s0, s9
	s_cbranch_execz .LBB37_207
; %bb.206:
	s_mov_b32 s10, 0x6dc9c883
	s_mov_b32 s11, 0x3fe45f30
	;; [unrolled: 1-line block ×3, first 2 shown]
	v_mul_f64 v[18:19], |v[16:17]|, s[10:11]
	s_mov_b32 s10, 0x54442d18
	s_mov_b32 s11, 0xbff921fb
	;; [unrolled: 1-line block ×3, first 2 shown]
	v_rndne_f64_e32 v[27:28], v[18:19]
	v_fma_f64 v[18:19], v[27:28], s[10:11], |v[16:17]|
	v_mul_f64 v[20:21], v[27:28], s[12:13]
	s_mov_b32 s10, 0x252049c0
	s_mov_b32 s11, 0xb97b839a
	v_cvt_i32_f64_e32 v10, v[27:28]
	v_fma_f64 v[31:32], v[27:28], s[12:13], v[18:19]
	v_add_f64 v[29:30], v[18:19], v[20:21]
	s_mov_b32 s13, 0x3c91a626
	v_add_f64 v[18:19], v[18:19], -v[29:30]
	v_add_f64 v[29:30], v[29:30], -v[31:32]
	v_add_f64 v[18:19], v[18:19], v[20:21]
	v_fma_f64 v[20:21], v[27:28], s[12:13], v[20:21]
	v_add_f64 v[18:19], v[29:30], v[18:19]
	v_add_f64 v[18:19], v[18:19], -v[20:21]
	v_fma_f64 v[20:21], v[27:28], s[10:11], v[18:19]
	v_add_f64 v[18:19], v[31:32], v[20:21]
	v_add_f64 v[29:30], v[18:19], -v[31:32]
	v_add_f64 v[20:21], v[20:21], -v[29:30]
.LBB37_207:
	s_or_b32 exec_lo, exec_lo, s0
	v_mul_f64 v[27:28], v[18:19], v[18:19]
	v_add_f64 v[29:30], v[20:21], v[20:21]
	s_mov_b32 s10, 0xa9a29f71
	s_mov_b32 s12, 0xc751c08c
	;; [unrolled: 1-line block ×4, first 2 shown]
	v_cmp_class_f64_e64 s0, v[16:17], 0x1f8
	v_and_b32_e32 v10, 1, v10
	v_and_b32_e32 v14, 0x80000000, v17
	v_sub_f32_e32 v8, 1.0, v8
	s_mov_b32 s1, exec_lo
	v_cmp_eq_u32_e32 vcc_lo, 0, v10
	v_fma_f64 v[31:32], v[18:19], v[18:19], -v[27:28]
	v_fma_f64 v[29:30], v[18:19], v[29:30], v[31:32]
	v_add_f64 v[27:28], v[27:28], v[29:30]
	v_fma_f64 v[29:30], v[27:28], s[12:13], s[10:11]
	s_mov_b32 s10, 0x90a8aae0
	s_mov_b32 s11, 0x3f17746f
	v_fma_f64 v[29:30], v[27:28], v[29:30], s[10:11]
	s_mov_b32 s10, 0xa6fbf144
	s_mov_b32 s11, 0xbefbb44d
	;; [unrolled: 3-line block ×13, first 2 shown]
	v_mul_f64 v[27:28], v[27:28], v[29:30]
	v_mul_f64 v[29:30], v[18:19], v[27:28]
	v_add_f64 v[31:32], v[18:19], v[29:30]
	v_fma_f64 v[27:28], v[18:19], v[27:28], -v[29:30]
	v_add_f64 v[18:19], v[31:32], -v[18:19]
	v_add_f64 v[20:21], v[20:21], v[27:28]
	v_add_f64 v[18:19], v[29:30], -v[18:19]
	v_add_f64 v[18:19], v[20:21], v[18:19]
	v_add_f64 v[20:21], v[31:32], v[18:19]
	v_rcp_f64_e32 v[27:28], v[20:21]
	v_fma_f64 v[29:30], -v[20:21], v[27:28], 1.0
	v_fma_f64 v[27:28], v[29:30], v[27:28], v[27:28]
	v_fma_f64 v[29:30], -v[20:21], v[27:28], 1.0
	v_fma_f64 v[27:28], v[29:30], v[27:28], v[27:28]
	v_add_f64 v[29:30], v[20:21], -v[31:32]
	v_mul_f64 v[31:32], v[20:21], v[27:28]
	v_add_f64 v[18:19], v[18:19], -v[29:30]
	v_fma_f64 v[29:30], v[27:28], v[20:21], -v[31:32]
	v_fma_f64 v[18:19], v[27:28], v[18:19], v[29:30]
	v_add_f64 v[29:30], v[31:32], v[18:19]
	v_add_f64 v[33:34], -v[29:30], 1.0
	v_add_f64 v[31:32], v[29:30], -v[31:32]
	v_add_f64 v[35:36], -v[33:34], 1.0
	v_add_f64 v[18:19], v[31:32], -v[18:19]
	v_add_f64 v[29:30], v[35:36], -v[29:30]
	v_add_f64 v[18:19], v[18:19], v[29:30]
	v_add_f64 v[18:19], v[33:34], v[18:19]
	v_mul_f64 v[18:19], v[27:28], v[18:19]
	v_add_f64 v[18:19], v[27:28], v[18:19]
	v_xor_b32_e32 v12, 0x80000000, v19
	v_cndmask_b32_e32 v10, v18, v20, vcc_lo
	v_cndmask_b32_e32 v12, v12, v21, vcc_lo
	v_cndmask_b32_e64 v16, 0, v10, s0
	v_xor_b32_e32 v12, v12, v14
	v_cndmask_b32_e64 v17, 0x7ff80000, v12, s0
	v_div_scale_f64 v[18:19], null, v[16:17], v[16:17], s[10:11]
	v_rcp_f64_e32 v[20:21], v[18:19]
	v_fma_f64 v[27:28], -v[18:19], v[20:21], 1.0
	v_fma_f64 v[20:21], v[20:21], v[27:28], v[20:21]
	v_fma_f64 v[27:28], -v[18:19], v[20:21], 1.0
	v_fma_f64 v[20:21], v[20:21], v[27:28], v[20:21]
	v_div_scale_f64 v[27:28], vcc_lo, s[10:11], v[16:17], s[10:11]
	v_mul_f64 v[29:30], v[27:28], v[20:21]
	v_fma_f64 v[18:19], -v[18:19], v[29:30], v[27:28]
	v_div_fmas_f64 v[18:19], v[18:19], v[20:21], v[29:30]
	v_div_fixup_f64 v[16:17], v[18:19], v[16:17], s[10:11]
	v_cvt_f32_f64_e32 v10, v[16:17]
.LBB37_208:
	s_or_b32 exec_lo, exec_lo, s8
	s_orn2_b32 s0, s1, exec_lo
.LBB37_209:
	s_or_b32 exec_lo, exec_lo, s3
	v_mov_b32_e32 v20, 0x7fc0
	s_and_saveexec_b32 s1, s0
	s_cbranch_execz .LBB37_221
; %bb.210:
	s_mov_b32 s0, exec_lo
	v_cmpx_gt_f32_e32 0x41200000, v8
	s_cbranch_execz .LBB37_214
; %bb.211:
	s_mov_b32 s3, 0
	.p2align	6
.LBB37_212:                             ; =>This Inner Loop Header: Depth=1
	v_div_scale_f32 v12, null, v8, v8, 1.0
	v_div_scale_f32 v17, vcc_lo, 1.0, v8, 1.0
	v_rcp_f32_e32 v14, v12
	v_fma_f32 v16, -v12, v14, 1.0
	v_fmac_f32_e32 v14, v16, v14
	v_mul_f32_e32 v16, v17, v14
	v_fma_f32 v18, -v12, v16, v17
	v_fmac_f32_e32 v16, v18, v14
	v_fma_f32 v12, -v12, v16, v17
	v_div_fmas_f32 v12, v12, v14, v16
	v_div_fixup_f32 v12, v12, v8, 1.0
	v_add_f32_e32 v8, 1.0, v8
	v_sub_f32_e32 v10, v10, v12
	v_cmp_ngt_f32_e32 vcc_lo, 0x41200000, v8
	s_or_b32 s3, vcc_lo, s3
	s_andn2_b32 exec_lo, exec_lo, s3
	s_cbranch_execnz .LBB37_212
; %bb.213:
	s_or_b32 exec_lo, exec_lo, s3
.LBB37_214:
	s_or_b32 exec_lo, exec_lo, s0
                                        ; implicit-def: $vgpr20
	s_mov_b32 s0, exec_lo
	v_cmpx_neq_f32_e32 0x41200000, v8
	s_xor_b32 s3, exec_lo, s0
	s_cbranch_execz .LBB37_218
; %bb.215:
	v_cvt_f64_f32_e32 v[16:17], v8
	v_mov_b32_e32 v12, 0
	s_mov_b32 s8, 0x85d8a000
	s_mov_b32 s9, 0x43763457
	s_mov_b32 s0, exec_lo
	v_cmpx_gt_f64_e32 s[8:9], v[16:17]
	s_cbranch_execz .LBB37_217
; %bb.216:
	v_mul_f32_e32 v12, v8, v8
	v_div_scale_f32 v14, null, v12, v12, 1.0
	v_rcp_f32_e32 v16, v14
	v_fma_f32 v17, -v14, v16, 1.0
	v_fmac_f32_e32 v16, v17, v16
	v_div_scale_f32 v17, vcc_lo, 1.0, v12, 1.0
	v_mul_f32_e32 v18, v17, v16
	v_fma_f32 v19, -v14, v18, v17
	v_fmac_f32_e32 v18, v19, v16
	v_fma_f32 v14, -v14, v18, v17
	v_div_fmas_f32 v14, v14, v16, v18
	v_div_fixup_f32 v12, v14, v12, 1.0
	v_fmaak_f32 v14, 0, v12, 0x3daaaaab
	v_fmaak_f32 v14, v12, v14, 0xbcaccacd
	;; [unrolled: 1-line block ×7, first 2 shown]
	v_mul_f32_e32 v12, v12, v14
.LBB37_217:
	s_or_b32 exec_lo, exec_lo, s0
	v_cmp_gt_f32_e32 vcc_lo, 0x800000, v8
	v_div_scale_f32 v14, null, v8, v8, -0.5
	v_div_scale_f32 v19, s0, -0.5, v8, -0.5
	v_cndmask_b32_e64 v16, 0, 32, vcc_lo
	v_rcp_f32_e32 v17, v14
	v_ldexp_f32 v16, v8, v16
	v_log_f32_e32 v16, v16
	v_fma_f32 v18, -v14, v17, 1.0
	v_fmac_f32_e32 v17, v18, v17
	v_mul_f32_e32 v18, 0x3f317217, v16
	v_mul_f32_e32 v20, v19, v17
	v_fma_f32 v18, 0x3f317217, v16, -v18
	v_fma_f32 v21, -v14, v20, v19
	v_fmamk_f32 v18, v16, 0x3377d1cf, v18
	v_fmac_f32_e32 v20, v21, v17
	v_cndmask_b32_e64 v21, 0, 0x41b17218, vcc_lo
	v_cmp_gt_f32_e64 vcc_lo, 0x7f800000, |v16|
	v_fmac_f32_e32 v18, 0x3f317217, v16
	v_fma_f32 v14, -v14, v20, v19
	v_cndmask_b32_e32 v16, v16, v18, vcc_lo
	s_mov_b32 vcc_lo, s0
	v_div_fmas_f32 v14, v14, v17, v20
	v_sub_f32_e32 v16, v16, v21
	v_div_fixup_f32 v8, v14, v8, -0.5
	v_add_f32_e32 v8, v16, v8
	v_sub_f32_e32 v8, v8, v12
	v_add_f32_e32 v8, v10, v8
	v_bfe_u32 v10, v8, 16, 1
	v_cmp_o_f32_e32 vcc_lo, v8, v8
	v_add3_u32 v8, v8, v10, 0x7fff
	v_mov_b32_e32 v10, 0x7fc0
	v_cndmask_b32_sdwa v20, v10, v8, vcc_lo dst_sel:DWORD dst_unused:UNUSED_PAD src0_sel:DWORD src1_sel:WORD_1
                                        ; implicit-def: $vgpr10
.LBB37_218:
	s_andn2_saveexec_b32 s0, s3
; %bb.219:
	v_add_f32_e32 v8, 0x40101cb7, v10
	v_bfe_u32 v10, v8, 16, 1
	v_cmp_o_f32_e32 vcc_lo, v8, v8
	v_add3_u32 v8, v8, v10, 0x7fff
	v_mov_b32_e32 v10, 0x7fc0
	v_cndmask_b32_sdwa v20, v10, v8, vcc_lo dst_sel:DWORD dst_unused:UNUSED_PAD src0_sel:DWORD src1_sel:WORD_1
; %bb.220:
	s_or_b32 exec_lo, exec_lo, s0
.LBB37_221:
	s_or_b32 exec_lo, exec_lo, s1
                                        ; implicit-def: $vgpr8
.LBB37_222:
	s_andn2_saveexec_b32 s0, s2
; %bb.223:
	v_xor_b32_e32 v8, 0x80000000, v8
	s_mov_b32 s1, 0x7f800000
	v_and_or_b32 v8, 0x80000000, v8, s1
	v_lshrrev_b32_e32 v20, 16, v8
; %bb.224:
	s_or_b32 exec_lo, exec_lo, s0
	global_load_ushort v8, v15, s[6:7]
                                        ; implicit-def: $vgpr18
	s_mov_b32 s0, exec_lo
	s_waitcnt vmcnt(0)
	v_lshlrev_b32_e32 v8, 16, v8
	v_cmpx_neq_f32_e32 0, v8
	s_xor_b32 s2, exec_lo, s0
	s_cbranch_execz .LBB37_246
; %bb.225:
	v_mov_b32_e32 v10, 0
	s_mov_b32 s0, -1
	s_mov_b32 s3, exec_lo
	v_cmpx_gt_f32_e32 0, v8
	s_cbranch_execz .LBB37_233
; %bb.226:
	v_trunc_f32_e32 v10, v8
	s_mov_b32 s1, 0
	v_cmp_neq_f32_e32 vcc_lo, v10, v8
	v_mov_b32_e32 v10, 0
	s_and_saveexec_b32 s8, vcc_lo
	s_cbranch_execz .LBB37_232
; %bb.227:
	v_cvt_f64_f32_e32 v[14:15], v8
	s_mov_b32 s1, 0xc00921fb
	s_mov_b32 s0, 0x54442d18
	s_mov_b32 s9, exec_lo
                                        ; implicit-def: $vgpr10
                                        ; implicit-def: $vgpr18_vgpr19
	v_trunc_f64_e32 v[16:17], v[14:15]
	v_cmp_neq_f64_e64 vcc_lo, 0x7ff00000, |v[14:15]|
	v_add_f64 v[16:17], v[14:15], -v[16:17]
	v_mul_f64 v[16:17], |v[16:17]|, s[0:1]
	v_cndmask_b32_e32 v15, 0x80000000, v17, vcc_lo
	v_cndmask_b32_e32 v14, 0, v16, vcc_lo
                                        ; implicit-def: $vgpr16_vgpr17
	v_cmpx_ngt_f64_e64 0x41d00000, |v[14:15]|
	s_xor_b32 s9, exec_lo, s9
	s_cbranch_execz .LBB37_229
; %bb.228:
	v_ldexp_f64 v[16:17], |v[14:15]|, 0xffffff80
	v_cmp_le_f64_e64 vcc_lo, 0x7b000000, |v[14:15]|
	v_trig_preop_f64 v[18:19], |v[14:15]|, 0
	v_and_b32_e32 v10, 0x7fffffff, v15
	v_trig_preop_f64 v[27:28], |v[14:15]|, 1
	v_trig_preop_f64 v[37:38], |v[14:15]|, 2
	v_mov_b32_e32 v45, 0
	s_mov_b32 s1, 0x3ff921fb
	s_mov_b32 s10, 0x33145c07
	;; [unrolled: 1-line block ×3, first 2 shown]
	v_cndmask_b32_e32 v17, v10, v17, vcc_lo
	v_cndmask_b32_e32 v16, v14, v16, vcc_lo
	v_mul_f64 v[29:30], v[18:19], v[16:17]
	v_mul_f64 v[31:32], v[27:28], v[16:17]
	;; [unrolled: 1-line block ×3, first 2 shown]
	v_fma_f64 v[18:19], v[18:19], v[16:17], -v[29:30]
	v_fma_f64 v[27:28], v[27:28], v[16:17], -v[31:32]
	;; [unrolled: 1-line block ×3, first 2 shown]
	v_add_f64 v[33:34], v[31:32], v[18:19]
	v_add_f64 v[35:36], v[33:34], -v[31:32]
	v_add_f64 v[41:42], v[29:30], v[33:34]
	v_add_f64 v[39:40], v[33:34], -v[35:36]
	v_add_f64 v[18:19], v[18:19], -v[35:36]
	v_ldexp_f64 v[35:36], v[41:42], -2
	v_add_f64 v[29:30], v[41:42], -v[29:30]
	v_add_f64 v[31:32], v[31:32], -v[39:40]
	v_add_f64 v[39:40], v[43:44], v[27:28]
	v_cmp_neq_f64_e64 vcc_lo, 0x7ff00000, |v[35:36]|
	v_add_f64 v[29:30], v[33:34], -v[29:30]
	v_add_f64 v[18:19], v[18:19], v[31:32]
	v_fract_f64_e32 v[31:32], v[35:36]
	v_add_f64 v[33:34], v[39:40], v[18:19]
	v_ldexp_f64 v[31:32], v[31:32], 2
	v_add_f64 v[35:36], v[29:30], v[33:34]
	v_cndmask_b32_e32 v32, 0, v32, vcc_lo
	v_cndmask_b32_e32 v31, 0, v31, vcc_lo
	v_add_f64 v[41:42], v[35:36], v[31:32]
	v_add_f64 v[29:30], v[35:36], -v[29:30]
	v_cmp_gt_f64_e32 vcc_lo, 0, v[41:42]
	v_add_f64 v[41:42], v[39:40], -v[43:44]
	v_add_f64 v[29:30], v[33:34], -v[29:30]
	v_cndmask_b32_e64 v46, 0, 0x40100000, vcc_lo
	v_add_f64 v[50:51], v[39:40], -v[41:42]
	v_add_f64 v[27:28], v[27:28], -v[41:42]
	v_add_f64 v[31:32], v[31:32], v[45:46]
	v_add_f64 v[46:47], v[33:34], -v[39:40]
	v_add_f64 v[41:42], v[43:44], -v[50:51]
	v_add_f64 v[48:49], v[35:36], v[31:32]
	;; [unrolled: 3-line block ×3, first 2 shown]
	v_cvt_i32_f64_e32 v10, v[48:49]
	v_add_f64 v[39:40], v[39:40], -v[52:53]
	v_cvt_f64_i32_e32 v[46:47], v10
	v_add_f64 v[18:19], v[18:19], v[39:40]
	v_add_f64 v[31:32], v[31:32], -v[46:47]
	v_add_f64 v[18:19], v[27:28], v[18:19]
	v_add_f64 v[27:28], v[35:36], v[31:32]
	;; [unrolled: 1-line block ×3, first 2 shown]
	v_add_f64 v[18:19], v[27:28], -v[31:32]
	v_cmp_le_f64_e32 vcc_lo, 0.5, v[27:28]
	v_add_f64 v[16:17], v[29:30], v[16:17]
	v_add_f64 v[18:19], v[35:36], -v[18:19]
	v_cndmask_b32_e64 v46, 0, 0x3ff00000, vcc_lo
	v_add_co_ci_u32_e64 v10, null, 0, v10, vcc_lo
	v_add_f64 v[16:17], v[16:17], v[18:19]
	v_add_f64 v[18:19], v[27:28], -v[45:46]
	v_add_f64 v[27:28], v[18:19], v[16:17]
	v_mul_f64 v[29:30], v[27:28], s[0:1]
	v_add_f64 v[18:19], v[27:28], -v[18:19]
	v_fma_f64 v[31:32], v[27:28], s[0:1], -v[29:30]
	v_add_f64 v[16:17], v[16:17], -v[18:19]
	v_fma_f64 v[18:19], v[27:28], s[10:11], v[31:32]
	v_fma_f64 v[18:19], v[16:17], s[0:1], v[18:19]
	v_add_f64 v[16:17], v[29:30], v[18:19]
	v_add_f64 v[27:28], v[16:17], -v[29:30]
	v_add_f64 v[18:19], v[18:19], -v[27:28]
.LBB37_229:
	s_andn2_saveexec_b32 s0, s9
	s_cbranch_execz .LBB37_231
; %bb.230:
	s_mov_b32 s10, 0x6dc9c883
	s_mov_b32 s11, 0x3fe45f30
	;; [unrolled: 1-line block ×3, first 2 shown]
	v_mul_f64 v[16:17], |v[14:15]|, s[10:11]
	s_mov_b32 s10, 0x54442d18
	s_mov_b32 s11, 0xbff921fb
	;; [unrolled: 1-line block ×3, first 2 shown]
	v_rndne_f64_e32 v[27:28], v[16:17]
	v_fma_f64 v[16:17], v[27:28], s[10:11], |v[14:15]|
	v_mul_f64 v[18:19], v[27:28], s[12:13]
	s_mov_b32 s10, 0x252049c0
	s_mov_b32 s11, 0xb97b839a
	v_cvt_i32_f64_e32 v10, v[27:28]
	v_fma_f64 v[31:32], v[27:28], s[12:13], v[16:17]
	v_add_f64 v[29:30], v[16:17], v[18:19]
	s_mov_b32 s13, 0x3c91a626
	v_add_f64 v[16:17], v[16:17], -v[29:30]
	v_add_f64 v[29:30], v[29:30], -v[31:32]
	v_add_f64 v[16:17], v[16:17], v[18:19]
	v_fma_f64 v[18:19], v[27:28], s[12:13], v[18:19]
	v_add_f64 v[16:17], v[29:30], v[16:17]
	v_add_f64 v[16:17], v[16:17], -v[18:19]
	v_fma_f64 v[18:19], v[27:28], s[10:11], v[16:17]
	v_add_f64 v[16:17], v[31:32], v[18:19]
	v_add_f64 v[29:30], v[16:17], -v[31:32]
	v_add_f64 v[18:19], v[18:19], -v[29:30]
.LBB37_231:
	s_or_b32 exec_lo, exec_lo, s0
	v_mul_f64 v[27:28], v[16:17], v[16:17]
	v_add_f64 v[29:30], v[18:19], v[18:19]
	s_mov_b32 s10, 0xa9a29f71
	s_mov_b32 s12, 0xc751c08c
	;; [unrolled: 1-line block ×4, first 2 shown]
	v_cmp_class_f64_e64 s0, v[14:15], 0x1f8
	v_and_b32_e32 v10, 1, v10
	v_and_b32_e32 v14, 0x80000000, v15
	v_sub_f32_e32 v8, 1.0, v8
	s_mov_b32 s1, exec_lo
	v_cmp_eq_u32_e32 vcc_lo, 0, v10
	v_fma_f64 v[31:32], v[16:17], v[16:17], -v[27:28]
	v_fma_f64 v[29:30], v[16:17], v[29:30], v[31:32]
	v_add_f64 v[27:28], v[27:28], v[29:30]
	v_fma_f64 v[29:30], v[27:28], s[12:13], s[10:11]
	s_mov_b32 s10, 0x90a8aae0
	s_mov_b32 s11, 0x3f17746f
	v_fma_f64 v[29:30], v[27:28], v[29:30], s[10:11]
	s_mov_b32 s10, 0xa6fbf144
	s_mov_b32 s11, 0xbefbb44d
	;; [unrolled: 3-line block ×13, first 2 shown]
	v_mul_f64 v[27:28], v[27:28], v[29:30]
	v_mul_f64 v[29:30], v[16:17], v[27:28]
	v_add_f64 v[31:32], v[16:17], v[29:30]
	v_fma_f64 v[27:28], v[16:17], v[27:28], -v[29:30]
	v_add_f64 v[16:17], v[31:32], -v[16:17]
	v_add_f64 v[18:19], v[18:19], v[27:28]
	v_add_f64 v[16:17], v[29:30], -v[16:17]
	v_add_f64 v[16:17], v[18:19], v[16:17]
	v_add_f64 v[18:19], v[31:32], v[16:17]
	v_rcp_f64_e32 v[27:28], v[18:19]
	v_fma_f64 v[29:30], -v[18:19], v[27:28], 1.0
	v_fma_f64 v[27:28], v[29:30], v[27:28], v[27:28]
	v_fma_f64 v[29:30], -v[18:19], v[27:28], 1.0
	v_fma_f64 v[27:28], v[29:30], v[27:28], v[27:28]
	v_add_f64 v[29:30], v[18:19], -v[31:32]
	v_mul_f64 v[31:32], v[18:19], v[27:28]
	v_add_f64 v[16:17], v[16:17], -v[29:30]
	v_fma_f64 v[29:30], v[27:28], v[18:19], -v[31:32]
	v_fma_f64 v[16:17], v[27:28], v[16:17], v[29:30]
	v_add_f64 v[29:30], v[31:32], v[16:17]
	v_add_f64 v[33:34], -v[29:30], 1.0
	v_add_f64 v[31:32], v[29:30], -v[31:32]
	v_add_f64 v[35:36], -v[33:34], 1.0
	v_add_f64 v[16:17], v[31:32], -v[16:17]
	v_add_f64 v[29:30], v[35:36], -v[29:30]
	v_add_f64 v[16:17], v[16:17], v[29:30]
	v_add_f64 v[16:17], v[33:34], v[16:17]
	v_mul_f64 v[16:17], v[27:28], v[16:17]
	v_add_f64 v[16:17], v[27:28], v[16:17]
	v_xor_b32_e32 v12, 0x80000000, v17
	v_cndmask_b32_e32 v10, v16, v18, vcc_lo
	v_cndmask_b32_e32 v12, v12, v19, vcc_lo
	v_xor_b32_e32 v12, v12, v14
	v_cndmask_b32_e64 v14, 0, v10, s0
	v_cndmask_b32_e64 v15, 0x7ff80000, v12, s0
	v_div_scale_f64 v[16:17], null, v[14:15], v[14:15], s[10:11]
	v_rcp_f64_e32 v[18:19], v[16:17]
	v_fma_f64 v[27:28], -v[16:17], v[18:19], 1.0
	v_fma_f64 v[18:19], v[18:19], v[27:28], v[18:19]
	v_fma_f64 v[27:28], -v[16:17], v[18:19], 1.0
	v_fma_f64 v[18:19], v[18:19], v[27:28], v[18:19]
	v_div_scale_f64 v[27:28], vcc_lo, s[10:11], v[14:15], s[10:11]
	v_mul_f64 v[29:30], v[27:28], v[18:19]
	v_fma_f64 v[16:17], -v[16:17], v[29:30], v[27:28]
	v_div_fmas_f64 v[16:17], v[16:17], v[18:19], v[29:30]
	v_div_fixup_f64 v[14:15], v[16:17], v[14:15], s[10:11]
	v_cvt_f32_f64_e32 v10, v[14:15]
.LBB37_232:
	s_or_b32 exec_lo, exec_lo, s8
	s_orn2_b32 s0, s1, exec_lo
.LBB37_233:
	s_or_b32 exec_lo, exec_lo, s3
	v_mov_b32_e32 v18, 0x7fc0
	s_and_saveexec_b32 s1, s0
	s_cbranch_execz .LBB37_245
; %bb.234:
	s_mov_b32 s0, exec_lo
	v_cmpx_gt_f32_e32 0x41200000, v8
	s_cbranch_execz .LBB37_238
; %bb.235:
	s_mov_b32 s3, 0
	.p2align	6
.LBB37_236:                             ; =>This Inner Loop Header: Depth=1
	v_div_scale_f32 v12, null, v8, v8, 1.0
	v_div_scale_f32 v16, vcc_lo, 1.0, v8, 1.0
	v_rcp_f32_e32 v14, v12
	v_fma_f32 v15, -v12, v14, 1.0
	v_fmac_f32_e32 v14, v15, v14
	v_mul_f32_e32 v15, v16, v14
	v_fma_f32 v17, -v12, v15, v16
	v_fmac_f32_e32 v15, v17, v14
	v_fma_f32 v12, -v12, v15, v16
	v_div_fmas_f32 v12, v12, v14, v15
	v_div_fixup_f32 v12, v12, v8, 1.0
	v_add_f32_e32 v8, 1.0, v8
	v_sub_f32_e32 v10, v10, v12
	v_cmp_ngt_f32_e32 vcc_lo, 0x41200000, v8
	s_or_b32 s3, vcc_lo, s3
	s_andn2_b32 exec_lo, exec_lo, s3
	s_cbranch_execnz .LBB37_236
; %bb.237:
	s_or_b32 exec_lo, exec_lo, s3
.LBB37_238:
	s_or_b32 exec_lo, exec_lo, s0
                                        ; implicit-def: $vgpr18
	s_mov_b32 s0, exec_lo
	v_cmpx_neq_f32_e32 0x41200000, v8
	s_xor_b32 s3, exec_lo, s0
	s_cbranch_execz .LBB37_242
; %bb.239:
	v_cvt_f64_f32_e32 v[14:15], v8
	v_mov_b32_e32 v12, 0
	s_mov_b32 s8, 0x85d8a000
	s_mov_b32 s9, 0x43763457
	s_mov_b32 s0, exec_lo
	v_cmpx_gt_f64_e32 s[8:9], v[14:15]
	s_cbranch_execz .LBB37_241
; %bb.240:
	v_mul_f32_e32 v12, v8, v8
	v_div_scale_f32 v14, null, v12, v12, 1.0
	v_rcp_f32_e32 v15, v14
	v_fma_f32 v16, -v14, v15, 1.0
	v_fmac_f32_e32 v15, v16, v15
	v_div_scale_f32 v16, vcc_lo, 1.0, v12, 1.0
	v_mul_f32_e32 v17, v16, v15
	v_fma_f32 v18, -v14, v17, v16
	v_fmac_f32_e32 v17, v18, v15
	v_fma_f32 v14, -v14, v17, v16
	v_div_fmas_f32 v14, v14, v15, v17
	v_div_fixup_f32 v12, v14, v12, 1.0
	v_fmaak_f32 v14, 0, v12, 0x3daaaaab
	v_fmaak_f32 v14, v12, v14, 0xbcaccacd
	;; [unrolled: 1-line block ×7, first 2 shown]
	v_mul_f32_e32 v12, v12, v14
.LBB37_241:
	s_or_b32 exec_lo, exec_lo, s0
	v_cmp_gt_f32_e32 vcc_lo, 0x800000, v8
	v_div_scale_f32 v14, null, v8, v8, -0.5
	v_div_scale_f32 v18, s0, -0.5, v8, -0.5
	v_cndmask_b32_e64 v15, 0, 32, vcc_lo
	v_rcp_f32_e32 v16, v14
	v_ldexp_f32 v15, v8, v15
	v_log_f32_e32 v15, v15
	v_fma_f32 v17, -v14, v16, 1.0
	v_fmac_f32_e32 v16, v17, v16
	v_mul_f32_e32 v17, 0x3f317217, v15
	v_mul_f32_e32 v19, v18, v16
	v_fma_f32 v17, 0x3f317217, v15, -v17
	v_fma_f32 v21, -v14, v19, v18
	v_fmamk_f32 v17, v15, 0x3377d1cf, v17
	v_fmac_f32_e32 v19, v21, v16
	v_cndmask_b32_e64 v21, 0, 0x41b17218, vcc_lo
	v_cmp_gt_f32_e64 vcc_lo, 0x7f800000, |v15|
	v_fmac_f32_e32 v17, 0x3f317217, v15
	v_fma_f32 v14, -v14, v19, v18
	v_cndmask_b32_e32 v15, v15, v17, vcc_lo
	s_mov_b32 vcc_lo, s0
	v_div_fmas_f32 v14, v14, v16, v19
	v_sub_f32_e32 v15, v15, v21
	v_div_fixup_f32 v8, v14, v8, -0.5
	v_add_f32_e32 v8, v15, v8
	v_sub_f32_e32 v8, v8, v12
	v_add_f32_e32 v8, v10, v8
	v_bfe_u32 v10, v8, 16, 1
	v_cmp_o_f32_e32 vcc_lo, v8, v8
	v_add3_u32 v8, v8, v10, 0x7fff
	v_mov_b32_e32 v10, 0x7fc0
	v_cndmask_b32_sdwa v18, v10, v8, vcc_lo dst_sel:DWORD dst_unused:UNUSED_PAD src0_sel:DWORD src1_sel:WORD_1
                                        ; implicit-def: $vgpr10
.LBB37_242:
	s_andn2_saveexec_b32 s0, s3
; %bb.243:
	v_add_f32_e32 v8, 0x40101cb7, v10
	v_bfe_u32 v10, v8, 16, 1
	v_cmp_o_f32_e32 vcc_lo, v8, v8
	v_add3_u32 v8, v8, v10, 0x7fff
	v_mov_b32_e32 v10, 0x7fc0
	v_cndmask_b32_sdwa v18, v10, v8, vcc_lo dst_sel:DWORD dst_unused:UNUSED_PAD src0_sel:DWORD src1_sel:WORD_1
; %bb.244:
	s_or_b32 exec_lo, exec_lo, s0
.LBB37_245:
	s_or_b32 exec_lo, exec_lo, s1
                                        ; implicit-def: $vgpr8
.LBB37_246:
	s_andn2_saveexec_b32 s0, s2
; %bb.247:
	v_xor_b32_e32 v8, 0x80000000, v8
	s_mov_b32 s1, 0x7f800000
	v_and_or_b32 v8, 0x80000000, v8, s1
	v_lshrrev_b32_e32 v18, 16, v8
; %bb.248:
	s_or_b32 exec_lo, exec_lo, s0
	global_load_ushort v8, v13, s[6:7]
                                        ; implicit-def: $vgpr16
	s_mov_b32 s0, exec_lo
	s_waitcnt vmcnt(0)
	v_lshlrev_b32_e32 v8, 16, v8
	v_cmpx_neq_f32_e32 0, v8
	s_xor_b32 s2, exec_lo, s0
	s_cbranch_execz .LBB37_270
; %bb.249:
	v_mov_b32_e32 v10, 0
	s_mov_b32 s0, -1
	s_mov_b32 s3, exec_lo
	v_cmpx_gt_f32_e32 0, v8
	s_cbranch_execz .LBB37_257
; %bb.250:
	v_trunc_f32_e32 v10, v8
	s_mov_b32 s1, 0
	v_cmp_neq_f32_e32 vcc_lo, v10, v8
	v_mov_b32_e32 v10, 0
	s_and_saveexec_b32 s8, vcc_lo
	s_cbranch_execz .LBB37_256
; %bb.251:
	v_cvt_f64_f32_e32 v[12:13], v8
	s_mov_b32 s1, 0xc00921fb
	s_mov_b32 s0, 0x54442d18
	s_mov_b32 s9, exec_lo
                                        ; implicit-def: $vgpr10
                                        ; implicit-def: $vgpr16_vgpr17
	v_trunc_f64_e32 v[14:15], v[12:13]
	v_cmp_neq_f64_e64 vcc_lo, 0x7ff00000, |v[12:13]|
	v_add_f64 v[14:15], v[12:13], -v[14:15]
	v_mul_f64 v[14:15], |v[14:15]|, s[0:1]
	v_cndmask_b32_e32 v13, 0x80000000, v15, vcc_lo
	v_cndmask_b32_e32 v12, 0, v14, vcc_lo
                                        ; implicit-def: $vgpr14_vgpr15
	v_cmpx_ngt_f64_e64 0x41d00000, |v[12:13]|
	s_xor_b32 s9, exec_lo, s9
	s_cbranch_execz .LBB37_253
; %bb.252:
	v_ldexp_f64 v[14:15], |v[12:13]|, 0xffffff80
	v_cmp_le_f64_e64 vcc_lo, 0x7b000000, |v[12:13]|
	v_trig_preop_f64 v[16:17], |v[12:13]|, 0
	v_and_b32_e32 v10, 0x7fffffff, v13
	v_trig_preop_f64 v[27:28], |v[12:13]|, 1
	v_trig_preop_f64 v[37:38], |v[12:13]|, 2
	v_mov_b32_e32 v45, 0
	s_mov_b32 s1, 0x3ff921fb
	s_mov_b32 s10, 0x33145c07
	;; [unrolled: 1-line block ×3, first 2 shown]
	v_cndmask_b32_e32 v15, v10, v15, vcc_lo
	v_cndmask_b32_e32 v14, v12, v14, vcc_lo
	v_mul_f64 v[29:30], v[16:17], v[14:15]
	v_mul_f64 v[31:32], v[27:28], v[14:15]
	;; [unrolled: 1-line block ×3, first 2 shown]
	v_fma_f64 v[16:17], v[16:17], v[14:15], -v[29:30]
	v_fma_f64 v[27:28], v[27:28], v[14:15], -v[31:32]
	;; [unrolled: 1-line block ×3, first 2 shown]
	v_add_f64 v[33:34], v[31:32], v[16:17]
	v_add_f64 v[35:36], v[33:34], -v[31:32]
	v_add_f64 v[41:42], v[29:30], v[33:34]
	v_add_f64 v[39:40], v[33:34], -v[35:36]
	v_add_f64 v[16:17], v[16:17], -v[35:36]
	v_ldexp_f64 v[35:36], v[41:42], -2
	v_add_f64 v[29:30], v[41:42], -v[29:30]
	v_add_f64 v[31:32], v[31:32], -v[39:40]
	v_add_f64 v[39:40], v[43:44], v[27:28]
	v_cmp_neq_f64_e64 vcc_lo, 0x7ff00000, |v[35:36]|
	v_add_f64 v[29:30], v[33:34], -v[29:30]
	v_add_f64 v[16:17], v[16:17], v[31:32]
	v_fract_f64_e32 v[31:32], v[35:36]
	v_add_f64 v[33:34], v[39:40], v[16:17]
	v_ldexp_f64 v[31:32], v[31:32], 2
	v_add_f64 v[35:36], v[29:30], v[33:34]
	v_cndmask_b32_e32 v32, 0, v32, vcc_lo
	v_cndmask_b32_e32 v31, 0, v31, vcc_lo
	v_add_f64 v[41:42], v[35:36], v[31:32]
	v_add_f64 v[29:30], v[35:36], -v[29:30]
	v_cmp_gt_f64_e32 vcc_lo, 0, v[41:42]
	v_add_f64 v[41:42], v[39:40], -v[43:44]
	v_add_f64 v[29:30], v[33:34], -v[29:30]
	v_cndmask_b32_e64 v46, 0, 0x40100000, vcc_lo
	v_add_f64 v[50:51], v[39:40], -v[41:42]
	v_add_f64 v[27:28], v[27:28], -v[41:42]
	v_add_f64 v[31:32], v[31:32], v[45:46]
	v_add_f64 v[46:47], v[33:34], -v[39:40]
	v_add_f64 v[41:42], v[43:44], -v[50:51]
	v_add_f64 v[48:49], v[35:36], v[31:32]
	;; [unrolled: 3-line block ×3, first 2 shown]
	v_cvt_i32_f64_e32 v10, v[48:49]
	v_add_f64 v[39:40], v[39:40], -v[52:53]
	v_cvt_f64_i32_e32 v[46:47], v10
	v_add_f64 v[16:17], v[16:17], v[39:40]
	v_add_f64 v[31:32], v[31:32], -v[46:47]
	v_add_f64 v[16:17], v[27:28], v[16:17]
	v_add_f64 v[27:28], v[35:36], v[31:32]
	;; [unrolled: 1-line block ×3, first 2 shown]
	v_add_f64 v[16:17], v[27:28], -v[31:32]
	v_cmp_le_f64_e32 vcc_lo, 0.5, v[27:28]
	v_add_f64 v[14:15], v[29:30], v[14:15]
	v_add_f64 v[16:17], v[35:36], -v[16:17]
	v_cndmask_b32_e64 v46, 0, 0x3ff00000, vcc_lo
	v_add_co_ci_u32_e64 v10, null, 0, v10, vcc_lo
	v_add_f64 v[14:15], v[14:15], v[16:17]
	v_add_f64 v[16:17], v[27:28], -v[45:46]
	v_add_f64 v[27:28], v[16:17], v[14:15]
	v_mul_f64 v[29:30], v[27:28], s[0:1]
	v_add_f64 v[16:17], v[27:28], -v[16:17]
	v_fma_f64 v[31:32], v[27:28], s[0:1], -v[29:30]
	v_add_f64 v[14:15], v[14:15], -v[16:17]
	v_fma_f64 v[16:17], v[27:28], s[10:11], v[31:32]
	v_fma_f64 v[16:17], v[14:15], s[0:1], v[16:17]
	v_add_f64 v[14:15], v[29:30], v[16:17]
	v_add_f64 v[27:28], v[14:15], -v[29:30]
	v_add_f64 v[16:17], v[16:17], -v[27:28]
.LBB37_253:
	s_andn2_saveexec_b32 s0, s9
	s_cbranch_execz .LBB37_255
; %bb.254:
	s_mov_b32 s10, 0x6dc9c883
	s_mov_b32 s11, 0x3fe45f30
	;; [unrolled: 1-line block ×3, first 2 shown]
	v_mul_f64 v[14:15], |v[12:13]|, s[10:11]
	s_mov_b32 s10, 0x54442d18
	s_mov_b32 s11, 0xbff921fb
	s_mov_b32 s12, 0x33145c00
	v_rndne_f64_e32 v[27:28], v[14:15]
	v_fma_f64 v[14:15], v[27:28], s[10:11], |v[12:13]|
	v_mul_f64 v[16:17], v[27:28], s[12:13]
	s_mov_b32 s10, 0x252049c0
	s_mov_b32 s11, 0xb97b839a
	v_cvt_i32_f64_e32 v10, v[27:28]
	v_fma_f64 v[31:32], v[27:28], s[12:13], v[14:15]
	v_add_f64 v[29:30], v[14:15], v[16:17]
	s_mov_b32 s13, 0x3c91a626
	v_add_f64 v[14:15], v[14:15], -v[29:30]
	v_add_f64 v[29:30], v[29:30], -v[31:32]
	v_add_f64 v[14:15], v[14:15], v[16:17]
	v_fma_f64 v[16:17], v[27:28], s[12:13], v[16:17]
	v_add_f64 v[14:15], v[29:30], v[14:15]
	v_add_f64 v[14:15], v[14:15], -v[16:17]
	v_fma_f64 v[16:17], v[27:28], s[10:11], v[14:15]
	v_add_f64 v[14:15], v[31:32], v[16:17]
	v_add_f64 v[29:30], v[14:15], -v[31:32]
	v_add_f64 v[16:17], v[16:17], -v[29:30]
.LBB37_255:
	s_or_b32 exec_lo, exec_lo, s0
	v_mul_f64 v[27:28], v[14:15], v[14:15]
	v_add_f64 v[29:30], v[16:17], v[16:17]
	s_mov_b32 s10, 0xa9a29f71
	s_mov_b32 s12, 0xc751c08c
	;; [unrolled: 1-line block ×4, first 2 shown]
	v_cmp_class_f64_e64 s0, v[12:13], 0x1f8
	v_and_b32_e32 v10, 1, v10
	v_and_b32_e32 v13, 0x80000000, v13
	v_sub_f32_e32 v8, 1.0, v8
	s_mov_b32 s1, exec_lo
	v_cmp_eq_u32_e32 vcc_lo, 0, v10
	v_fma_f64 v[31:32], v[14:15], v[14:15], -v[27:28]
	v_fma_f64 v[29:30], v[14:15], v[29:30], v[31:32]
	v_add_f64 v[27:28], v[27:28], v[29:30]
	v_fma_f64 v[29:30], v[27:28], s[12:13], s[10:11]
	s_mov_b32 s10, 0x90a8aae0
	s_mov_b32 s11, 0x3f17746f
	v_fma_f64 v[29:30], v[27:28], v[29:30], s[10:11]
	s_mov_b32 s10, 0xa6fbf144
	s_mov_b32 s11, 0xbefbb44d
	;; [unrolled: 3-line block ×13, first 2 shown]
	v_mul_f64 v[27:28], v[27:28], v[29:30]
	v_mul_f64 v[29:30], v[14:15], v[27:28]
	v_add_f64 v[31:32], v[14:15], v[29:30]
	v_fma_f64 v[27:28], v[14:15], v[27:28], -v[29:30]
	v_add_f64 v[14:15], v[31:32], -v[14:15]
	v_add_f64 v[16:17], v[16:17], v[27:28]
	v_add_f64 v[14:15], v[29:30], -v[14:15]
	v_add_f64 v[14:15], v[16:17], v[14:15]
	v_add_f64 v[16:17], v[31:32], v[14:15]
	v_rcp_f64_e32 v[27:28], v[16:17]
	v_fma_f64 v[29:30], -v[16:17], v[27:28], 1.0
	v_fma_f64 v[27:28], v[29:30], v[27:28], v[27:28]
	v_fma_f64 v[29:30], -v[16:17], v[27:28], 1.0
	v_fma_f64 v[27:28], v[29:30], v[27:28], v[27:28]
	v_add_f64 v[29:30], v[16:17], -v[31:32]
	v_mul_f64 v[31:32], v[16:17], v[27:28]
	v_add_f64 v[14:15], v[14:15], -v[29:30]
	v_fma_f64 v[29:30], v[27:28], v[16:17], -v[31:32]
	v_fma_f64 v[14:15], v[27:28], v[14:15], v[29:30]
	v_add_f64 v[29:30], v[31:32], v[14:15]
	v_add_f64 v[33:34], -v[29:30], 1.0
	v_add_f64 v[31:32], v[29:30], -v[31:32]
	v_add_f64 v[35:36], -v[33:34], 1.0
	v_add_f64 v[14:15], v[31:32], -v[14:15]
	v_add_f64 v[29:30], v[35:36], -v[29:30]
	v_add_f64 v[14:15], v[14:15], v[29:30]
	v_add_f64 v[14:15], v[33:34], v[14:15]
	v_mul_f64 v[14:15], v[27:28], v[14:15]
	v_add_f64 v[14:15], v[27:28], v[14:15]
	v_xor_b32_e32 v12, 0x80000000, v15
	v_cndmask_b32_e32 v10, v14, v16, vcc_lo
	v_cndmask_b32_e32 v12, v12, v17, vcc_lo
	v_xor_b32_e32 v13, v12, v13
	v_cndmask_b32_e64 v12, 0, v10, s0
	v_cndmask_b32_e64 v13, 0x7ff80000, v13, s0
	v_div_scale_f64 v[14:15], null, v[12:13], v[12:13], s[10:11]
	v_rcp_f64_e32 v[16:17], v[14:15]
	v_fma_f64 v[27:28], -v[14:15], v[16:17], 1.0
	v_fma_f64 v[16:17], v[16:17], v[27:28], v[16:17]
	v_fma_f64 v[27:28], -v[14:15], v[16:17], 1.0
	v_fma_f64 v[16:17], v[16:17], v[27:28], v[16:17]
	v_div_scale_f64 v[27:28], vcc_lo, s[10:11], v[12:13], s[10:11]
	v_mul_f64 v[29:30], v[27:28], v[16:17]
	v_fma_f64 v[14:15], -v[14:15], v[29:30], v[27:28]
	v_div_fmas_f64 v[14:15], v[14:15], v[16:17], v[29:30]
	v_div_fixup_f64 v[12:13], v[14:15], v[12:13], s[10:11]
	v_cvt_f32_f64_e32 v10, v[12:13]
.LBB37_256:
	s_or_b32 exec_lo, exec_lo, s8
	s_orn2_b32 s0, s1, exec_lo
.LBB37_257:
	s_or_b32 exec_lo, exec_lo, s3
	v_mov_b32_e32 v16, 0x7fc0
	s_and_saveexec_b32 s1, s0
	s_cbranch_execz .LBB37_269
; %bb.258:
	s_mov_b32 s0, exec_lo
	v_cmpx_gt_f32_e32 0x41200000, v8
	s_cbranch_execz .LBB37_262
; %bb.259:
	s_mov_b32 s3, 0
	.p2align	6
.LBB37_260:                             ; =>This Inner Loop Header: Depth=1
	v_div_scale_f32 v12, null, v8, v8, 1.0
	v_div_scale_f32 v15, vcc_lo, 1.0, v8, 1.0
	v_rcp_f32_e32 v13, v12
	v_fma_f32 v14, -v12, v13, 1.0
	v_fmac_f32_e32 v13, v14, v13
	v_mul_f32_e32 v14, v15, v13
	v_fma_f32 v16, -v12, v14, v15
	v_fmac_f32_e32 v14, v16, v13
	v_fma_f32 v12, -v12, v14, v15
	v_div_fmas_f32 v12, v12, v13, v14
	v_div_fixup_f32 v12, v12, v8, 1.0
	v_add_f32_e32 v8, 1.0, v8
	v_sub_f32_e32 v10, v10, v12
	v_cmp_ngt_f32_e32 vcc_lo, 0x41200000, v8
	s_or_b32 s3, vcc_lo, s3
	s_andn2_b32 exec_lo, exec_lo, s3
	s_cbranch_execnz .LBB37_260
; %bb.261:
	s_or_b32 exec_lo, exec_lo, s3
.LBB37_262:
	s_or_b32 exec_lo, exec_lo, s0
                                        ; implicit-def: $vgpr16
	s_mov_b32 s0, exec_lo
	v_cmpx_neq_f32_e32 0x41200000, v8
	s_xor_b32 s3, exec_lo, s0
	s_cbranch_execz .LBB37_266
; %bb.263:
	v_cvt_f64_f32_e32 v[12:13], v8
	s_mov_b32 s8, 0x85d8a000
	s_mov_b32 s9, 0x43763457
	v_cmp_gt_f64_e32 vcc_lo, s[8:9], v[12:13]
	v_mov_b32_e32 v12, 0
	s_and_saveexec_b32 s0, vcc_lo
	s_cbranch_execz .LBB37_265
; %bb.264:
	v_mul_f32_e32 v12, v8, v8
	v_div_scale_f32 v13, null, v12, v12, 1.0
	v_rcp_f32_e32 v14, v13
	v_fma_f32 v15, -v13, v14, 1.0
	v_fmac_f32_e32 v14, v15, v14
	v_div_scale_f32 v15, vcc_lo, 1.0, v12, 1.0
	v_mul_f32_e32 v16, v15, v14
	v_fma_f32 v17, -v13, v16, v15
	v_fmac_f32_e32 v16, v17, v14
	v_fma_f32 v13, -v13, v16, v15
	v_div_fmas_f32 v13, v13, v14, v16
	v_div_fixup_f32 v12, v13, v12, 1.0
	v_fmaak_f32 v13, 0, v12, 0x3daaaaab
	v_fmaak_f32 v13, v12, v13, 0xbcaccacd
	;; [unrolled: 1-line block ×7, first 2 shown]
	v_mul_f32_e32 v12, v12, v13
.LBB37_265:
	s_or_b32 exec_lo, exec_lo, s0
	v_cmp_gt_f32_e32 vcc_lo, 0x800000, v8
	v_div_scale_f32 v13, null, v8, v8, -0.5
	v_div_scale_f32 v17, s0, -0.5, v8, -0.5
	v_cndmask_b32_e64 v14, 0, 32, vcc_lo
	v_rcp_f32_e32 v15, v13
	v_ldexp_f32 v14, v8, v14
	v_log_f32_e32 v14, v14
	v_fma_f32 v16, -v13, v15, 1.0
	v_fmac_f32_e32 v15, v16, v15
	v_mul_f32_e32 v16, 0x3f317217, v14
	v_mul_f32_e32 v19, v17, v15
	v_fma_f32 v16, 0x3f317217, v14, -v16
	v_fma_f32 v21, -v13, v19, v17
	v_fmamk_f32 v16, v14, 0x3377d1cf, v16
	v_fmac_f32_e32 v19, v21, v15
	v_cndmask_b32_e64 v21, 0, 0x41b17218, vcc_lo
	v_cmp_gt_f32_e64 vcc_lo, 0x7f800000, |v14|
	v_fmac_f32_e32 v16, 0x3f317217, v14
	v_fma_f32 v13, -v13, v19, v17
	v_cndmask_b32_e32 v14, v14, v16, vcc_lo
	s_mov_b32 vcc_lo, s0
	v_div_fmas_f32 v13, v13, v15, v19
	v_sub_f32_e32 v14, v14, v21
	v_div_fixup_f32 v8, v13, v8, -0.5
	v_add_f32_e32 v8, v14, v8
	v_sub_f32_e32 v8, v8, v12
	v_add_f32_e32 v8, v10, v8
	v_bfe_u32 v10, v8, 16, 1
	v_cmp_o_f32_e32 vcc_lo, v8, v8
	v_add3_u32 v8, v8, v10, 0x7fff
	v_mov_b32_e32 v10, 0x7fc0
	v_cndmask_b32_sdwa v16, v10, v8, vcc_lo dst_sel:DWORD dst_unused:UNUSED_PAD src0_sel:DWORD src1_sel:WORD_1
                                        ; implicit-def: $vgpr10
.LBB37_266:
	s_andn2_saveexec_b32 s0, s3
; %bb.267:
	v_add_f32_e32 v8, 0x40101cb7, v10
	v_bfe_u32 v10, v8, 16, 1
	v_cmp_o_f32_e32 vcc_lo, v8, v8
	v_add3_u32 v8, v8, v10, 0x7fff
	v_mov_b32_e32 v10, 0x7fc0
	v_cndmask_b32_sdwa v16, v10, v8, vcc_lo dst_sel:DWORD dst_unused:UNUSED_PAD src0_sel:DWORD src1_sel:WORD_1
; %bb.268:
	s_or_b32 exec_lo, exec_lo, s0
.LBB37_269:
	s_or_b32 exec_lo, exec_lo, s1
                                        ; implicit-def: $vgpr8
.LBB37_270:
	s_andn2_saveexec_b32 s0, s2
; %bb.271:
	v_xor_b32_e32 v8, 0x80000000, v8
	s_mov_b32 s1, 0x7f800000
	v_and_or_b32 v8, 0x80000000, v8, s1
	v_lshrrev_b32_e32 v16, 16, v8
; %bb.272:
	s_or_b32 exec_lo, exec_lo, s0
	global_load_ushort v8, v11, s[6:7]
                                        ; implicit-def: $vgpr14
	s_mov_b32 s0, exec_lo
	s_waitcnt vmcnt(0)
	v_lshlrev_b32_e32 v8, 16, v8
	v_cmpx_neq_f32_e32 0, v8
	s_xor_b32 s2, exec_lo, s0
	s_cbranch_execz .LBB37_294
; %bb.273:
	v_mov_b32_e32 v10, 0
	s_mov_b32 s0, -1
	s_mov_b32 s3, exec_lo
	v_cmpx_gt_f32_e32 0, v8
	s_cbranch_execz .LBB37_281
; %bb.274:
	v_trunc_f32_e32 v10, v8
	s_mov_b32 s1, 0
	v_cmp_neq_f32_e32 vcc_lo, v10, v8
	v_mov_b32_e32 v10, 0
	s_and_saveexec_b32 s8, vcc_lo
	s_cbranch_execz .LBB37_280
; %bb.275:
	v_cvt_f64_f32_e32 v[10:11], v8
	s_mov_b32 s1, 0xc00921fb
	s_mov_b32 s0, 0x54442d18
	s_mov_b32 s9, exec_lo
                                        ; implicit-def: $vgpr17
                                        ; implicit-def: $vgpr14_vgpr15
	v_trunc_f64_e32 v[12:13], v[10:11]
	v_cmp_neq_f64_e64 vcc_lo, 0x7ff00000, |v[10:11]|
	v_add_f64 v[12:13], v[10:11], -v[12:13]
	v_mul_f64 v[12:13], |v[12:13]|, s[0:1]
	v_cndmask_b32_e32 v11, 0x80000000, v13, vcc_lo
	v_cndmask_b32_e32 v10, 0, v12, vcc_lo
                                        ; implicit-def: $vgpr12_vgpr13
	v_cmpx_ngt_f64_e64 0x41d00000, |v[10:11]|
	s_xor_b32 s9, exec_lo, s9
	s_cbranch_execz .LBB37_277
; %bb.276:
	v_ldexp_f64 v[12:13], |v[10:11]|, 0xffffff80
	v_cmp_le_f64_e64 vcc_lo, 0x7b000000, |v[10:11]|
	v_trig_preop_f64 v[14:15], |v[10:11]|, 0
	v_and_b32_e32 v17, 0x7fffffff, v11
	v_trig_preop_f64 v[27:28], |v[10:11]|, 1
	v_trig_preop_f64 v[37:38], |v[10:11]|, 2
	v_mov_b32_e32 v45, 0
	s_mov_b32 s1, 0x3ff921fb
	s_mov_b32 s10, 0x33145c07
	;; [unrolled: 1-line block ×3, first 2 shown]
	v_cndmask_b32_e32 v13, v17, v13, vcc_lo
	v_cndmask_b32_e32 v12, v10, v12, vcc_lo
	v_mul_f64 v[29:30], v[14:15], v[12:13]
	v_mul_f64 v[31:32], v[27:28], v[12:13]
	;; [unrolled: 1-line block ×3, first 2 shown]
	v_fma_f64 v[14:15], v[14:15], v[12:13], -v[29:30]
	v_fma_f64 v[27:28], v[27:28], v[12:13], -v[31:32]
	;; [unrolled: 1-line block ×3, first 2 shown]
	v_add_f64 v[33:34], v[31:32], v[14:15]
	v_add_f64 v[35:36], v[33:34], -v[31:32]
	v_add_f64 v[41:42], v[29:30], v[33:34]
	v_add_f64 v[39:40], v[33:34], -v[35:36]
	v_add_f64 v[14:15], v[14:15], -v[35:36]
	v_ldexp_f64 v[35:36], v[41:42], -2
	v_add_f64 v[29:30], v[41:42], -v[29:30]
	v_add_f64 v[31:32], v[31:32], -v[39:40]
	v_add_f64 v[39:40], v[43:44], v[27:28]
	v_cmp_neq_f64_e64 vcc_lo, 0x7ff00000, |v[35:36]|
	v_add_f64 v[29:30], v[33:34], -v[29:30]
	v_add_f64 v[14:15], v[14:15], v[31:32]
	v_fract_f64_e32 v[31:32], v[35:36]
	v_add_f64 v[33:34], v[39:40], v[14:15]
	v_ldexp_f64 v[31:32], v[31:32], 2
	v_add_f64 v[35:36], v[29:30], v[33:34]
	v_cndmask_b32_e32 v32, 0, v32, vcc_lo
	v_cndmask_b32_e32 v31, 0, v31, vcc_lo
	v_add_f64 v[41:42], v[35:36], v[31:32]
	v_add_f64 v[29:30], v[35:36], -v[29:30]
	v_cmp_gt_f64_e32 vcc_lo, 0, v[41:42]
	v_add_f64 v[41:42], v[39:40], -v[43:44]
	v_add_f64 v[29:30], v[33:34], -v[29:30]
	v_cndmask_b32_e64 v46, 0, 0x40100000, vcc_lo
	v_add_f64 v[50:51], v[39:40], -v[41:42]
	v_add_f64 v[27:28], v[27:28], -v[41:42]
	v_add_f64 v[31:32], v[31:32], v[45:46]
	v_add_f64 v[46:47], v[33:34], -v[39:40]
	v_add_f64 v[41:42], v[43:44], -v[50:51]
	v_add_f64 v[48:49], v[35:36], v[31:32]
	;; [unrolled: 3-line block ×3, first 2 shown]
	v_cvt_i32_f64_e32 v17, v[48:49]
	v_add_f64 v[39:40], v[39:40], -v[52:53]
	v_cvt_f64_i32_e32 v[46:47], v17
	v_add_f64 v[14:15], v[14:15], v[39:40]
	v_add_f64 v[31:32], v[31:32], -v[46:47]
	v_add_f64 v[14:15], v[27:28], v[14:15]
	v_add_f64 v[27:28], v[35:36], v[31:32]
	;; [unrolled: 1-line block ×3, first 2 shown]
	v_add_f64 v[14:15], v[27:28], -v[31:32]
	v_cmp_le_f64_e32 vcc_lo, 0.5, v[27:28]
	v_add_f64 v[12:13], v[29:30], v[12:13]
	v_add_f64 v[14:15], v[35:36], -v[14:15]
	v_cndmask_b32_e64 v46, 0, 0x3ff00000, vcc_lo
	v_add_co_ci_u32_e64 v17, null, 0, v17, vcc_lo
	v_add_f64 v[12:13], v[12:13], v[14:15]
	v_add_f64 v[14:15], v[27:28], -v[45:46]
	v_add_f64 v[27:28], v[14:15], v[12:13]
	v_mul_f64 v[29:30], v[27:28], s[0:1]
	v_add_f64 v[14:15], v[27:28], -v[14:15]
	v_fma_f64 v[31:32], v[27:28], s[0:1], -v[29:30]
	v_add_f64 v[12:13], v[12:13], -v[14:15]
	v_fma_f64 v[14:15], v[27:28], s[10:11], v[31:32]
	v_fma_f64 v[14:15], v[12:13], s[0:1], v[14:15]
	v_add_f64 v[12:13], v[29:30], v[14:15]
	v_add_f64 v[27:28], v[12:13], -v[29:30]
	v_add_f64 v[14:15], v[14:15], -v[27:28]
.LBB37_277:
	s_andn2_saveexec_b32 s0, s9
	s_cbranch_execz .LBB37_279
; %bb.278:
	s_mov_b32 s10, 0x6dc9c883
	s_mov_b32 s11, 0x3fe45f30
	;; [unrolled: 1-line block ×3, first 2 shown]
	v_mul_f64 v[12:13], |v[10:11]|, s[10:11]
	s_mov_b32 s10, 0x54442d18
	s_mov_b32 s11, 0xbff921fb
	;; [unrolled: 1-line block ×3, first 2 shown]
	v_rndne_f64_e32 v[27:28], v[12:13]
	v_fma_f64 v[12:13], v[27:28], s[10:11], |v[10:11]|
	v_mul_f64 v[14:15], v[27:28], s[12:13]
	s_mov_b32 s10, 0x252049c0
	s_mov_b32 s11, 0xb97b839a
	v_cvt_i32_f64_e32 v17, v[27:28]
	v_fma_f64 v[31:32], v[27:28], s[12:13], v[12:13]
	v_add_f64 v[29:30], v[12:13], v[14:15]
	s_mov_b32 s13, 0x3c91a626
	v_add_f64 v[12:13], v[12:13], -v[29:30]
	v_add_f64 v[29:30], v[29:30], -v[31:32]
	v_add_f64 v[12:13], v[12:13], v[14:15]
	v_fma_f64 v[14:15], v[27:28], s[12:13], v[14:15]
	v_add_f64 v[12:13], v[29:30], v[12:13]
	v_add_f64 v[12:13], v[12:13], -v[14:15]
	v_fma_f64 v[14:15], v[27:28], s[10:11], v[12:13]
	v_add_f64 v[12:13], v[31:32], v[14:15]
	v_add_f64 v[29:30], v[12:13], -v[31:32]
	v_add_f64 v[14:15], v[14:15], -v[29:30]
.LBB37_279:
	s_or_b32 exec_lo, exec_lo, s0
	v_mul_f64 v[27:28], v[12:13], v[12:13]
	v_add_f64 v[29:30], v[14:15], v[14:15]
	s_mov_b32 s10, 0xa9a29f71
	s_mov_b32 s12, 0xc751c08c
	;; [unrolled: 1-line block ×4, first 2 shown]
	v_cmp_class_f64_e64 s0, v[10:11], 0x1f8
	v_and_b32_e32 v17, 1, v17
	v_and_b32_e32 v11, 0x80000000, v11
	v_sub_f32_e32 v8, 1.0, v8
	s_mov_b32 s1, exec_lo
	v_cmp_eq_u32_e32 vcc_lo, 0, v17
	v_fma_f64 v[31:32], v[12:13], v[12:13], -v[27:28]
	v_fma_f64 v[29:30], v[12:13], v[29:30], v[31:32]
	v_add_f64 v[27:28], v[27:28], v[29:30]
	v_fma_f64 v[29:30], v[27:28], s[12:13], s[10:11]
	s_mov_b32 s10, 0x90a8aae0
	s_mov_b32 s11, 0x3f17746f
	v_fma_f64 v[29:30], v[27:28], v[29:30], s[10:11]
	s_mov_b32 s10, 0xa6fbf144
	s_mov_b32 s11, 0xbefbb44d
	;; [unrolled: 3-line block ×13, first 2 shown]
	v_mul_f64 v[27:28], v[27:28], v[29:30]
	v_mul_f64 v[29:30], v[12:13], v[27:28]
	v_add_f64 v[31:32], v[12:13], v[29:30]
	v_fma_f64 v[27:28], v[12:13], v[27:28], -v[29:30]
	v_add_f64 v[12:13], v[31:32], -v[12:13]
	v_add_f64 v[14:15], v[14:15], v[27:28]
	v_add_f64 v[12:13], v[29:30], -v[12:13]
	v_add_f64 v[12:13], v[14:15], v[12:13]
	v_add_f64 v[14:15], v[31:32], v[12:13]
	v_rcp_f64_e32 v[27:28], v[14:15]
	v_fma_f64 v[29:30], -v[14:15], v[27:28], 1.0
	v_fma_f64 v[27:28], v[29:30], v[27:28], v[27:28]
	v_fma_f64 v[29:30], -v[14:15], v[27:28], 1.0
	v_fma_f64 v[27:28], v[29:30], v[27:28], v[27:28]
	v_add_f64 v[29:30], v[14:15], -v[31:32]
	v_mul_f64 v[31:32], v[14:15], v[27:28]
	v_add_f64 v[12:13], v[12:13], -v[29:30]
	v_fma_f64 v[29:30], v[27:28], v[14:15], -v[31:32]
	v_fma_f64 v[12:13], v[27:28], v[12:13], v[29:30]
	v_add_f64 v[29:30], v[31:32], v[12:13]
	v_add_f64 v[33:34], -v[29:30], 1.0
	v_add_f64 v[31:32], v[29:30], -v[31:32]
	v_add_f64 v[35:36], -v[33:34], 1.0
	v_add_f64 v[12:13], v[31:32], -v[12:13]
	v_add_f64 v[29:30], v[35:36], -v[29:30]
	v_add_f64 v[12:13], v[12:13], v[29:30]
	v_add_f64 v[12:13], v[33:34], v[12:13]
	v_mul_f64 v[12:13], v[27:28], v[12:13]
	v_add_f64 v[12:13], v[27:28], v[12:13]
	v_xor_b32_e32 v10, 0x80000000, v13
	v_cndmask_b32_e32 v12, v12, v14, vcc_lo
	v_cndmask_b32_e32 v10, v10, v15, vcc_lo
	v_xor_b32_e32 v11, v10, v11
	v_cndmask_b32_e64 v10, 0, v12, s0
	v_cndmask_b32_e64 v11, 0x7ff80000, v11, s0
	v_div_scale_f64 v[12:13], null, v[10:11], v[10:11], s[10:11]
	v_rcp_f64_e32 v[14:15], v[12:13]
	v_fma_f64 v[27:28], -v[12:13], v[14:15], 1.0
	v_fma_f64 v[14:15], v[14:15], v[27:28], v[14:15]
	v_fma_f64 v[27:28], -v[12:13], v[14:15], 1.0
	v_fma_f64 v[14:15], v[14:15], v[27:28], v[14:15]
	v_div_scale_f64 v[27:28], vcc_lo, s[10:11], v[10:11], s[10:11]
	v_mul_f64 v[29:30], v[27:28], v[14:15]
	v_fma_f64 v[12:13], -v[12:13], v[29:30], v[27:28]
	v_div_fmas_f64 v[12:13], v[12:13], v[14:15], v[29:30]
	v_div_fixup_f64 v[10:11], v[12:13], v[10:11], s[10:11]
	v_cvt_f32_f64_e32 v10, v[10:11]
.LBB37_280:
	s_or_b32 exec_lo, exec_lo, s8
	s_orn2_b32 s0, s1, exec_lo
.LBB37_281:
	s_or_b32 exec_lo, exec_lo, s3
	v_mov_b32_e32 v14, 0x7fc0
	s_and_saveexec_b32 s1, s0
	s_cbranch_execz .LBB37_293
; %bb.282:
	s_mov_b32 s0, exec_lo
	v_cmpx_gt_f32_e32 0x41200000, v8
	s_cbranch_execz .LBB37_286
; %bb.283:
	s_mov_b32 s3, 0
	.p2align	6
.LBB37_284:                             ; =>This Inner Loop Header: Depth=1
	v_div_scale_f32 v11, null, v8, v8, 1.0
	v_div_scale_f32 v14, vcc_lo, 1.0, v8, 1.0
	v_rcp_f32_e32 v12, v11
	v_fma_f32 v13, -v11, v12, 1.0
	v_fmac_f32_e32 v12, v13, v12
	v_mul_f32_e32 v13, v14, v12
	v_fma_f32 v15, -v11, v13, v14
	v_fmac_f32_e32 v13, v15, v12
	v_fma_f32 v11, -v11, v13, v14
	v_div_fmas_f32 v11, v11, v12, v13
	v_div_fixup_f32 v11, v11, v8, 1.0
	v_add_f32_e32 v8, 1.0, v8
	v_sub_f32_e32 v10, v10, v11
	v_cmp_ngt_f32_e32 vcc_lo, 0x41200000, v8
	s_or_b32 s3, vcc_lo, s3
	s_andn2_b32 exec_lo, exec_lo, s3
	s_cbranch_execnz .LBB37_284
; %bb.285:
	s_or_b32 exec_lo, exec_lo, s3
.LBB37_286:
	s_or_b32 exec_lo, exec_lo, s0
                                        ; implicit-def: $vgpr14
	s_mov_b32 s0, exec_lo
	v_cmpx_neq_f32_e32 0x41200000, v8
	s_xor_b32 s3, exec_lo, s0
	s_cbranch_execz .LBB37_290
; %bb.287:
	v_cvt_f64_f32_e32 v[11:12], v8
	s_mov_b32 s8, 0x85d8a000
	s_mov_b32 s9, 0x43763457
	v_cmp_gt_f64_e32 vcc_lo, s[8:9], v[11:12]
	v_mov_b32_e32 v11, 0
	s_and_saveexec_b32 s0, vcc_lo
	s_cbranch_execz .LBB37_289
; %bb.288:
	v_mul_f32_e32 v11, v8, v8
	v_div_scale_f32 v12, null, v11, v11, 1.0
	v_rcp_f32_e32 v13, v12
	v_fma_f32 v14, -v12, v13, 1.0
	v_fmac_f32_e32 v13, v14, v13
	v_div_scale_f32 v14, vcc_lo, 1.0, v11, 1.0
	v_mul_f32_e32 v15, v14, v13
	v_fma_f32 v17, -v12, v15, v14
	v_fmac_f32_e32 v15, v17, v13
	v_fma_f32 v12, -v12, v15, v14
	v_div_fmas_f32 v12, v12, v13, v15
	v_div_fixup_f32 v11, v12, v11, 1.0
	v_fmaak_f32 v12, 0, v11, 0x3daaaaab
	v_fmaak_f32 v12, v11, v12, 0xbcaccacd
	;; [unrolled: 1-line block ×7, first 2 shown]
	v_mul_f32_e32 v11, v11, v12
.LBB37_289:
	s_or_b32 exec_lo, exec_lo, s0
	v_cmp_gt_f32_e32 vcc_lo, 0x800000, v8
	v_div_scale_f32 v12, null, v8, v8, -0.5
	v_div_scale_f32 v17, s0, -0.5, v8, -0.5
	v_cndmask_b32_e64 v13, 0, 32, vcc_lo
	v_rcp_f32_e32 v14, v12
	v_ldexp_f32 v13, v8, v13
	v_log_f32_e32 v13, v13
	v_fma_f32 v15, -v12, v14, 1.0
	v_fmac_f32_e32 v14, v15, v14
	v_mul_f32_e32 v15, 0x3f317217, v13
	v_mul_f32_e32 v19, v17, v14
	v_fma_f32 v15, 0x3f317217, v13, -v15
	v_fma_f32 v21, -v12, v19, v17
	v_fmamk_f32 v15, v13, 0x3377d1cf, v15
	v_fmac_f32_e32 v19, v21, v14
	v_cndmask_b32_e64 v21, 0, 0x41b17218, vcc_lo
	v_cmp_gt_f32_e64 vcc_lo, 0x7f800000, |v13|
	v_fmac_f32_e32 v15, 0x3f317217, v13
	v_fma_f32 v12, -v12, v19, v17
	v_cndmask_b32_e32 v13, v13, v15, vcc_lo
	s_mov_b32 vcc_lo, s0
	v_div_fmas_f32 v12, v12, v14, v19
	v_sub_f32_e32 v13, v13, v21
	v_div_fixup_f32 v8, v12, v8, -0.5
	v_add_f32_e32 v8, v13, v8
	v_sub_f32_e32 v8, v8, v11
	v_add_f32_e32 v8, v10, v8
	v_bfe_u32 v10, v8, 16, 1
	v_cmp_o_f32_e32 vcc_lo, v8, v8
	v_add3_u32 v8, v8, v10, 0x7fff
	v_mov_b32_e32 v10, 0x7fc0
	v_cndmask_b32_sdwa v14, v10, v8, vcc_lo dst_sel:DWORD dst_unused:UNUSED_PAD src0_sel:DWORD src1_sel:WORD_1
                                        ; implicit-def: $vgpr10
.LBB37_290:
	s_andn2_saveexec_b32 s0, s3
; %bb.291:
	v_add_f32_e32 v8, 0x40101cb7, v10
	v_bfe_u32 v10, v8, 16, 1
	v_cmp_o_f32_e32 vcc_lo, v8, v8
	v_add3_u32 v8, v8, v10, 0x7fff
	v_mov_b32_e32 v10, 0x7fc0
	v_cndmask_b32_sdwa v14, v10, v8, vcc_lo dst_sel:DWORD dst_unused:UNUSED_PAD src0_sel:DWORD src1_sel:WORD_1
; %bb.292:
	s_or_b32 exec_lo, exec_lo, s0
.LBB37_293:
	s_or_b32 exec_lo, exec_lo, s1
                                        ; implicit-def: $vgpr8
.LBB37_294:
	s_andn2_saveexec_b32 s0, s2
; %bb.295:
	v_xor_b32_e32 v8, 0x80000000, v8
	s_mov_b32 s1, 0x7f800000
	v_and_or_b32 v8, 0x80000000, v8, s1
	v_lshrrev_b32_e32 v14, 16, v8
; %bb.296:
	s_or_b32 exec_lo, exec_lo, s0
	global_load_ushort v8, v9, s[6:7]
                                        ; implicit-def: $vgpr9
	s_mov_b32 s0, exec_lo
	s_waitcnt vmcnt(0)
	v_lshlrev_b32_e32 v15, 16, v8
	v_cmpx_neq_f32_e32 0, v15
	s_xor_b32 s2, exec_lo, s0
	s_cbranch_execz .LBB37_318
; %bb.297:
	v_mov_b32_e32 v8, 0
	s_mov_b32 s0, -1
	s_mov_b32 s3, exec_lo
	v_cmpx_gt_f32_e32 0, v15
	s_cbranch_execz .LBB37_305
; %bb.298:
	v_trunc_f32_e32 v8, v15
	s_mov_b32 s1, 0
	v_cmp_neq_f32_e32 vcc_lo, v8, v15
	v_mov_b32_e32 v8, 0
	s_and_saveexec_b32 s6, vcc_lo
	s_cbranch_execz .LBB37_304
; %bb.299:
	v_cvt_f64_f32_e32 v[8:9], v15
	s_mov_b32 s1, 0xc00921fb
	s_mov_b32 s0, 0x54442d18
	s_mov_b32 s7, exec_lo
                                        ; implicit-def: $vgpr17
                                        ; implicit-def: $vgpr12_vgpr13
	v_trunc_f64_e32 v[10:11], v[8:9]
	v_cmp_neq_f64_e64 vcc_lo, 0x7ff00000, |v[8:9]|
	v_add_f64 v[10:11], v[8:9], -v[10:11]
	v_mul_f64 v[10:11], |v[10:11]|, s[0:1]
	v_cndmask_b32_e32 v9, 0x80000000, v11, vcc_lo
	v_cndmask_b32_e32 v8, 0, v10, vcc_lo
                                        ; implicit-def: $vgpr10_vgpr11
	v_cmpx_ngt_f64_e64 0x41d00000, |v[8:9]|
	s_xor_b32 s7, exec_lo, s7
	s_cbranch_execz .LBB37_301
; %bb.300:
	v_ldexp_f64 v[10:11], |v[8:9]|, 0xffffff80
	v_cmp_le_f64_e64 vcc_lo, 0x7b000000, |v[8:9]|
	v_trig_preop_f64 v[12:13], |v[8:9]|, 0
	v_and_b32_e32 v17, 0x7fffffff, v9
	v_trig_preop_f64 v[27:28], |v[8:9]|, 1
	v_trig_preop_f64 v[37:38], |v[8:9]|, 2
	v_mov_b32_e32 v45, 0
	s_mov_b32 s1, 0x3ff921fb
	s_mov_b32 s8, 0x33145c07
	;; [unrolled: 1-line block ×3, first 2 shown]
	v_cndmask_b32_e32 v11, v17, v11, vcc_lo
	v_cndmask_b32_e32 v10, v8, v10, vcc_lo
	v_mul_f64 v[29:30], v[12:13], v[10:11]
	v_mul_f64 v[31:32], v[27:28], v[10:11]
	;; [unrolled: 1-line block ×3, first 2 shown]
	v_fma_f64 v[12:13], v[12:13], v[10:11], -v[29:30]
	v_fma_f64 v[27:28], v[27:28], v[10:11], -v[31:32]
	;; [unrolled: 1-line block ×3, first 2 shown]
	v_add_f64 v[33:34], v[31:32], v[12:13]
	v_add_f64 v[35:36], v[33:34], -v[31:32]
	v_add_f64 v[41:42], v[29:30], v[33:34]
	v_add_f64 v[39:40], v[33:34], -v[35:36]
	v_add_f64 v[12:13], v[12:13], -v[35:36]
	v_ldexp_f64 v[35:36], v[41:42], -2
	v_add_f64 v[29:30], v[41:42], -v[29:30]
	v_add_f64 v[31:32], v[31:32], -v[39:40]
	v_add_f64 v[39:40], v[43:44], v[27:28]
	v_cmp_neq_f64_e64 vcc_lo, 0x7ff00000, |v[35:36]|
	v_add_f64 v[29:30], v[33:34], -v[29:30]
	v_add_f64 v[12:13], v[12:13], v[31:32]
	v_fract_f64_e32 v[31:32], v[35:36]
	v_add_f64 v[33:34], v[39:40], v[12:13]
	v_ldexp_f64 v[31:32], v[31:32], 2
	v_add_f64 v[35:36], v[29:30], v[33:34]
	v_cndmask_b32_e32 v32, 0, v32, vcc_lo
	v_cndmask_b32_e32 v31, 0, v31, vcc_lo
	v_add_f64 v[41:42], v[35:36], v[31:32]
	v_add_f64 v[29:30], v[35:36], -v[29:30]
	v_cmp_gt_f64_e32 vcc_lo, 0, v[41:42]
	v_add_f64 v[41:42], v[39:40], -v[43:44]
	v_add_f64 v[29:30], v[33:34], -v[29:30]
	v_cndmask_b32_e64 v46, 0, 0x40100000, vcc_lo
	v_add_f64 v[50:51], v[39:40], -v[41:42]
	v_add_f64 v[27:28], v[27:28], -v[41:42]
	v_add_f64 v[31:32], v[31:32], v[45:46]
	v_add_f64 v[46:47], v[33:34], -v[39:40]
	v_add_f64 v[41:42], v[43:44], -v[50:51]
	v_add_f64 v[48:49], v[35:36], v[31:32]
	;; [unrolled: 3-line block ×3, first 2 shown]
	v_cvt_i32_f64_e32 v17, v[48:49]
	v_add_f64 v[39:40], v[39:40], -v[52:53]
	v_cvt_f64_i32_e32 v[46:47], v17
	v_add_f64 v[12:13], v[12:13], v[39:40]
	v_add_f64 v[31:32], v[31:32], -v[46:47]
	v_add_f64 v[12:13], v[27:28], v[12:13]
	v_add_f64 v[27:28], v[35:36], v[31:32]
	;; [unrolled: 1-line block ×3, first 2 shown]
	v_add_f64 v[12:13], v[27:28], -v[31:32]
	v_cmp_le_f64_e32 vcc_lo, 0.5, v[27:28]
	v_add_f64 v[10:11], v[29:30], v[10:11]
	v_add_f64 v[12:13], v[35:36], -v[12:13]
	v_cndmask_b32_e64 v46, 0, 0x3ff00000, vcc_lo
	v_add_co_ci_u32_e64 v17, null, 0, v17, vcc_lo
	v_add_f64 v[10:11], v[10:11], v[12:13]
	v_add_f64 v[12:13], v[27:28], -v[45:46]
	v_add_f64 v[27:28], v[12:13], v[10:11]
	v_mul_f64 v[29:30], v[27:28], s[0:1]
	v_add_f64 v[12:13], v[27:28], -v[12:13]
	v_fma_f64 v[31:32], v[27:28], s[0:1], -v[29:30]
	v_add_f64 v[10:11], v[10:11], -v[12:13]
	v_fma_f64 v[12:13], v[27:28], s[8:9], v[31:32]
	v_fma_f64 v[12:13], v[10:11], s[0:1], v[12:13]
	v_add_f64 v[10:11], v[29:30], v[12:13]
	v_add_f64 v[27:28], v[10:11], -v[29:30]
	v_add_f64 v[12:13], v[12:13], -v[27:28]
.LBB37_301:
	s_andn2_saveexec_b32 s0, s7
	s_cbranch_execz .LBB37_303
; %bb.302:
	s_mov_b32 s8, 0x6dc9c883
	s_mov_b32 s9, 0x3fe45f30
	;; [unrolled: 1-line block ×3, first 2 shown]
	v_mul_f64 v[10:11], |v[8:9]|, s[8:9]
	s_mov_b32 s8, 0x54442d18
	s_mov_b32 s9, 0xbff921fb
	;; [unrolled: 1-line block ×3, first 2 shown]
	v_rndne_f64_e32 v[27:28], v[10:11]
	v_fma_f64 v[10:11], v[27:28], s[8:9], |v[8:9]|
	v_mul_f64 v[12:13], v[27:28], s[10:11]
	s_mov_b32 s8, 0x252049c0
	s_mov_b32 s9, 0xb97b839a
	v_cvt_i32_f64_e32 v17, v[27:28]
	v_fma_f64 v[31:32], v[27:28], s[10:11], v[10:11]
	v_add_f64 v[29:30], v[10:11], v[12:13]
	s_mov_b32 s11, 0x3c91a626
	v_add_f64 v[10:11], v[10:11], -v[29:30]
	v_add_f64 v[29:30], v[29:30], -v[31:32]
	v_add_f64 v[10:11], v[10:11], v[12:13]
	v_fma_f64 v[12:13], v[27:28], s[10:11], v[12:13]
	v_add_f64 v[10:11], v[29:30], v[10:11]
	v_add_f64 v[10:11], v[10:11], -v[12:13]
	v_fma_f64 v[12:13], v[27:28], s[8:9], v[10:11]
	v_add_f64 v[10:11], v[31:32], v[12:13]
	v_add_f64 v[29:30], v[10:11], -v[31:32]
	v_add_f64 v[12:13], v[12:13], -v[29:30]
.LBB37_303:
	s_or_b32 exec_lo, exec_lo, s0
	v_mul_f64 v[27:28], v[10:11], v[10:11]
	v_add_f64 v[29:30], v[12:13], v[12:13]
	s_mov_b32 s8, 0xa9a29f71
	s_mov_b32 s10, 0xc751c08c
	;; [unrolled: 1-line block ×4, first 2 shown]
	v_cmp_class_f64_e64 s0, v[8:9], 0x1f8
	v_and_b32_e32 v17, 1, v17
	v_and_b32_e32 v9, 0x80000000, v9
	v_sub_f32_e32 v15, 1.0, v15
	s_mov_b32 s1, exec_lo
	v_cmp_eq_u32_e32 vcc_lo, 0, v17
	v_fma_f64 v[31:32], v[10:11], v[10:11], -v[27:28]
	v_fma_f64 v[29:30], v[10:11], v[29:30], v[31:32]
	v_add_f64 v[27:28], v[27:28], v[29:30]
	v_fma_f64 v[29:30], v[27:28], s[10:11], s[8:9]
	s_mov_b32 s8, 0x90a8aae0
	s_mov_b32 s9, 0x3f17746f
	v_fma_f64 v[29:30], v[27:28], v[29:30], s[8:9]
	s_mov_b32 s8, 0xa6fbf144
	s_mov_b32 s9, 0xbefbb44d
	;; [unrolled: 3-line block ×13, first 2 shown]
	v_mul_f64 v[27:28], v[27:28], v[29:30]
	v_mul_f64 v[29:30], v[10:11], v[27:28]
	v_add_f64 v[31:32], v[10:11], v[29:30]
	v_fma_f64 v[27:28], v[10:11], v[27:28], -v[29:30]
	v_add_f64 v[10:11], v[31:32], -v[10:11]
	v_add_f64 v[12:13], v[12:13], v[27:28]
	v_add_f64 v[10:11], v[29:30], -v[10:11]
	v_add_f64 v[10:11], v[12:13], v[10:11]
	v_add_f64 v[12:13], v[31:32], v[10:11]
	v_rcp_f64_e32 v[27:28], v[12:13]
	v_fma_f64 v[29:30], -v[12:13], v[27:28], 1.0
	v_fma_f64 v[27:28], v[29:30], v[27:28], v[27:28]
	v_fma_f64 v[29:30], -v[12:13], v[27:28], 1.0
	v_fma_f64 v[27:28], v[29:30], v[27:28], v[27:28]
	v_add_f64 v[29:30], v[12:13], -v[31:32]
	v_mul_f64 v[31:32], v[12:13], v[27:28]
	v_add_f64 v[10:11], v[10:11], -v[29:30]
	v_fma_f64 v[29:30], v[27:28], v[12:13], -v[31:32]
	v_fma_f64 v[10:11], v[27:28], v[10:11], v[29:30]
	v_add_f64 v[29:30], v[31:32], v[10:11]
	v_add_f64 v[33:34], -v[29:30], 1.0
	v_add_f64 v[31:32], v[29:30], -v[31:32]
	v_add_f64 v[35:36], -v[33:34], 1.0
	v_add_f64 v[10:11], v[31:32], -v[10:11]
	v_add_f64 v[29:30], v[35:36], -v[29:30]
	v_add_f64 v[10:11], v[10:11], v[29:30]
	v_add_f64 v[10:11], v[33:34], v[10:11]
	v_mul_f64 v[10:11], v[27:28], v[10:11]
	v_add_f64 v[10:11], v[27:28], v[10:11]
	v_xor_b32_e32 v8, 0x80000000, v11
	v_cndmask_b32_e32 v10, v10, v12, vcc_lo
	v_cndmask_b32_e32 v8, v8, v13, vcc_lo
	v_xor_b32_e32 v9, v8, v9
	v_cndmask_b32_e64 v8, 0, v10, s0
	v_cndmask_b32_e64 v9, 0x7ff80000, v9, s0
	v_div_scale_f64 v[10:11], null, v[8:9], v[8:9], s[8:9]
	v_rcp_f64_e32 v[12:13], v[10:11]
	v_fma_f64 v[27:28], -v[10:11], v[12:13], 1.0
	v_fma_f64 v[12:13], v[12:13], v[27:28], v[12:13]
	v_fma_f64 v[27:28], -v[10:11], v[12:13], 1.0
	v_fma_f64 v[12:13], v[12:13], v[27:28], v[12:13]
	v_div_scale_f64 v[27:28], vcc_lo, s[8:9], v[8:9], s[8:9]
	v_mul_f64 v[29:30], v[27:28], v[12:13]
	v_fma_f64 v[10:11], -v[10:11], v[29:30], v[27:28]
	v_div_fmas_f64 v[10:11], v[10:11], v[12:13], v[29:30]
	v_div_fixup_f64 v[8:9], v[10:11], v[8:9], s[8:9]
	v_cvt_f32_f64_e32 v8, v[8:9]
.LBB37_304:
	s_or_b32 exec_lo, exec_lo, s6
	s_orn2_b32 s0, s1, exec_lo
.LBB37_305:
	s_or_b32 exec_lo, exec_lo, s3
	v_mov_b32_e32 v9, 0x7fc0
	s_and_saveexec_b32 s1, s0
	s_cbranch_execz .LBB37_317
; %bb.306:
	s_mov_b32 s0, exec_lo
	v_cmpx_gt_f32_e32 0x41200000, v15
	s_cbranch_execz .LBB37_310
; %bb.307:
	s_mov_b32 s3, 0
	.p2align	6
.LBB37_308:                             ; =>This Inner Loop Header: Depth=1
	v_div_scale_f32 v9, null, v15, v15, 1.0
	v_div_scale_f32 v12, vcc_lo, 1.0, v15, 1.0
	v_rcp_f32_e32 v10, v9
	v_fma_f32 v11, -v9, v10, 1.0
	v_fmac_f32_e32 v10, v11, v10
	v_mul_f32_e32 v11, v12, v10
	v_fma_f32 v13, -v9, v11, v12
	v_fmac_f32_e32 v11, v13, v10
	v_fma_f32 v9, -v9, v11, v12
	v_div_fmas_f32 v9, v9, v10, v11
	v_div_fixup_f32 v9, v9, v15, 1.0
	v_add_f32_e32 v15, 1.0, v15
	v_sub_f32_e32 v8, v8, v9
	v_cmp_ngt_f32_e32 vcc_lo, 0x41200000, v15
	s_or_b32 s3, vcc_lo, s3
	s_andn2_b32 exec_lo, exec_lo, s3
	s_cbranch_execnz .LBB37_308
; %bb.309:
	s_or_b32 exec_lo, exec_lo, s3
.LBB37_310:
	s_or_b32 exec_lo, exec_lo, s0
                                        ; implicit-def: $vgpr9
	s_mov_b32 s0, exec_lo
	v_cmpx_neq_f32_e32 0x41200000, v15
	s_xor_b32 s3, exec_lo, s0
	s_cbranch_execz .LBB37_314
; %bb.311:
	v_cvt_f64_f32_e32 v[9:10], v15
	s_mov_b32 s6, 0x85d8a000
	s_mov_b32 s7, 0x43763457
	v_cmp_gt_f64_e32 vcc_lo, s[6:7], v[9:10]
	v_mov_b32_e32 v9, 0
	s_and_saveexec_b32 s0, vcc_lo
	s_cbranch_execz .LBB37_313
; %bb.312:
	v_mul_f32_e32 v9, v15, v15
	v_div_scale_f32 v10, null, v9, v9, 1.0
	v_rcp_f32_e32 v11, v10
	v_fma_f32 v12, -v10, v11, 1.0
	v_fmac_f32_e32 v11, v12, v11
	v_div_scale_f32 v12, vcc_lo, 1.0, v9, 1.0
	v_mul_f32_e32 v13, v12, v11
	v_fma_f32 v17, -v10, v13, v12
	v_fmac_f32_e32 v13, v17, v11
	v_fma_f32 v10, -v10, v13, v12
	v_div_fmas_f32 v10, v10, v11, v13
	v_div_fixup_f32 v9, v10, v9, 1.0
	v_fmaak_f32 v10, 0, v9, 0x3daaaaab
	v_fmaak_f32 v10, v9, v10, 0xbcaccacd
	;; [unrolled: 1-line block ×7, first 2 shown]
	v_mul_f32_e32 v9, v9, v10
.LBB37_313:
	s_or_b32 exec_lo, exec_lo, s0
	v_cmp_gt_f32_e32 vcc_lo, 0x800000, v15
	v_div_scale_f32 v10, null, v15, v15, -0.5
	v_div_scale_f32 v17, s0, -0.5, v15, -0.5
	v_cndmask_b32_e64 v11, 0, 32, vcc_lo
	v_rcp_f32_e32 v12, v10
	v_ldexp_f32 v11, v15, v11
	v_log_f32_e32 v11, v11
	v_fma_f32 v13, -v10, v12, 1.0
	v_fmac_f32_e32 v12, v13, v12
	v_mul_f32_e32 v13, 0x3f317217, v11
	v_mul_f32_e32 v19, v17, v12
	v_fma_f32 v13, 0x3f317217, v11, -v13
	v_fma_f32 v21, -v10, v19, v17
	v_fmamk_f32 v13, v11, 0x3377d1cf, v13
	v_fmac_f32_e32 v19, v21, v12
	v_cndmask_b32_e64 v21, 0, 0x41b17218, vcc_lo
	v_cmp_gt_f32_e64 vcc_lo, 0x7f800000, |v11|
	v_fmac_f32_e32 v13, 0x3f317217, v11
	v_fma_f32 v10, -v10, v19, v17
	v_cndmask_b32_e32 v11, v11, v13, vcc_lo
	s_mov_b32 vcc_lo, s0
	v_div_fmas_f32 v10, v10, v12, v19
	v_sub_f32_e32 v11, v11, v21
	v_div_fixup_f32 v10, v10, v15, -0.5
	v_add_f32_e32 v10, v11, v10
	v_sub_f32_e32 v9, v10, v9
	v_add_f32_e32 v8, v8, v9
	v_bfe_u32 v9, v8, 16, 1
	v_cmp_o_f32_e32 vcc_lo, v8, v8
	v_add3_u32 v8, v8, v9, 0x7fff
	v_mov_b32_e32 v9, 0x7fc0
	v_cndmask_b32_sdwa v9, v9, v8, vcc_lo dst_sel:DWORD dst_unused:UNUSED_PAD src0_sel:DWORD src1_sel:WORD_1
                                        ; implicit-def: $vgpr8
.LBB37_314:
	s_andn2_saveexec_b32 s0, s3
; %bb.315:
	v_add_f32_e32 v8, 0x40101cb7, v8
	v_bfe_u32 v9, v8, 16, 1
	v_cmp_o_f32_e32 vcc_lo, v8, v8
	v_add3_u32 v8, v8, v9, 0x7fff
	v_mov_b32_e32 v9, 0x7fc0
	v_cndmask_b32_sdwa v9, v9, v8, vcc_lo dst_sel:DWORD dst_unused:UNUSED_PAD src0_sel:DWORD src1_sel:WORD_1
; %bb.316:
	s_or_b32 exec_lo, exec_lo, s0
.LBB37_317:
	s_or_b32 exec_lo, exec_lo, s1
                                        ; implicit-def: $vgpr15
.LBB37_318:
	s_andn2_saveexec_b32 s0, s2
; %bb.319:
	v_xor_b32_e32 v8, 0x80000000, v15
	s_mov_b32 s1, 0x7f800000
	v_and_or_b32 v8, 0x80000000, v8, s1
	v_lshrrev_b32_e32 v9, 16, v8
; %bb.320:
	s_or_b32 exec_lo, exec_lo, s0
	global_store_short v0, v26, s[4:5]
	global_store_short v1, v24, s[4:5]
	;; [unrolled: 1-line block ×8, first 2 shown]
	s_endpgm
.LBB37_321:
	v_mov_b32_e32 v0, 0
	v_mov_b32_e32 v2, 0
	s_branch .LBB37_327
.LBB37_322:
	v_mov_b32_e32 v0, 0
	v_mov_b32_e32 v2, 0
	s_branch .LBB37_367
.LBB37_323:
	v_mov_b32_e32 v0, 0
	v_mov_b32_e32 v2, 0
	;; [unrolled: 1-line block ×3, first 2 shown]
	s_mov_b32 s31, 0
.LBB37_324:
	s_and_b32 s33, s33, 3
	s_cmp_eq_u32 s33, 0
	s_cbranch_scc1 .LBB37_327
; %bb.325:
	s_lshl_b32 s0, s31, 3
	s_mul_i32 s20, s31, 12
	s_add_u32 s0, s2, s0
	s_addc_u32 s1, s3, 0
	s_add_u32 s0, s0, 0xc4
	s_addc_u32 s1, s1, 0
	s_add_u32 s20, s2, s20
	s_addc_u32 s21, s3, 0
	.p2align	6
.LBB37_326:                             ; =>This Inner Loop Header: Depth=1
	s_clause 0x1
	s_load_dwordx2 s[34:35], s[20:21], 0x4
	s_load_dword s31, s[20:21], 0xc
	s_load_dwordx2 s[36:37], s[0:1], 0x0
	s_add_u32 s20, s20, 12
	s_addc_u32 s21, s21, 0
	s_add_u32 s0, s0, 8
	s_addc_u32 s1, s1, 0
	s_add_i32 s33, s33, -1
	s_cmp_lg_u32 s33, 0
	s_waitcnt lgkmcnt(0)
	v_mul_hi_u32 v3, s35, v1
	v_add_nc_u32_e32 v3, v1, v3
	v_lshrrev_b32_e32 v4, s31, v3
	v_mul_lo_u32 v3, v4, s34
	v_sub_nc_u32_e32 v3, v1, v3
	v_mad_u64_u32 v[0:1], null, v3, s36, v[0:1]
	v_mad_u64_u32 v[2:3], null, v3, s37, v[2:3]
	v_mov_b32_e32 v1, v4
	s_cbranch_scc1 .LBB37_326
.LBB37_327:
	s_cbranch_execnz .LBB37_330
.LBB37_328:
	s_waitcnt lgkmcnt(0)
	v_mul_hi_u32 v0, s13, v7
	s_andn2_b32 vcc_lo, exec_lo, s26
	v_add_nc_u32_e32 v0, v7, v0
	v_lshrrev_b32_e32 v1, s14, v0
	v_mul_lo_u32 v0, v1, s12
	v_sub_nc_u32_e32 v2, v7, v0
	v_mul_lo_u32 v0, v2, s8
	v_mul_lo_u32 v2, v2, s9
	s_cbranch_vccnz .LBB37_330
; %bb.329:
	v_mul_hi_u32 v3, s16, v1
	v_add_nc_u32_e32 v3, v1, v3
	v_lshrrev_b32_e32 v3, s17, v3
	v_mul_lo_u32 v3, v3, s15
	v_sub_nc_u32_e32 v3, v1, v3
	v_mad_u64_u32 v[0:1], null, v3, s10, v[0:1]
	v_mad_u64_u32 v[2:3], null, v3, s11, v[2:3]
.LBB37_330:
	s_waitcnt lgkmcnt(0)
	global_load_ushort v1, v2, s[6:7]
                                        ; implicit-def: $vgpr2
	s_mov_b32 s0, exec_lo
	s_waitcnt vmcnt(0)
	v_lshlrev_b32_e32 v8, 16, v1
	v_cmpx_neq_f32_e32 0, v8
	s_xor_b32 s20, exec_lo, s0
	s_cbranch_execz .LBB37_352
; %bb.331:
	v_mov_b32_e32 v1, 0
	s_mov_b32 s0, -1
	s_mov_b32 s21, exec_lo
	v_cmpx_gt_f32_e32 0, v8
	s_cbranch_execz .LBB37_339
; %bb.332:
	v_trunc_f32_e32 v1, v8
	s_mov_b32 s1, 0
	v_cmp_neq_f32_e32 vcc_lo, v1, v8
	v_mov_b32_e32 v1, 0
	s_and_saveexec_b32 s31, vcc_lo
	s_cbranch_execz .LBB37_338
; %bb.333:
	v_cvt_f64_f32_e32 v[1:2], v8
	s_mov_b32 s1, 0xc00921fb
	s_mov_b32 s0, 0x54442d18
	s_mov_b32 s33, exec_lo
                                        ; implicit-def: $vgpr9
                                        ; implicit-def: $vgpr5_vgpr6
	v_trunc_f64_e32 v[3:4], v[1:2]
	v_cmp_neq_f64_e64 vcc_lo, 0x7ff00000, |v[1:2]|
	v_add_f64 v[3:4], v[1:2], -v[3:4]
	v_mul_f64 v[3:4], |v[3:4]|, s[0:1]
	v_cndmask_b32_e32 v2, 0x80000000, v4, vcc_lo
	v_cndmask_b32_e32 v1, 0, v3, vcc_lo
                                        ; implicit-def: $vgpr3_vgpr4
	v_cmpx_ngt_f64_e64 0x41d00000, |v[1:2]|
	s_xor_b32 s33, exec_lo, s33
	s_cbranch_execz .LBB37_335
; %bb.334:
	v_ldexp_f64 v[3:4], |v[1:2]|, 0xffffff80
	v_cmp_le_f64_e64 vcc_lo, 0x7b000000, |v[1:2]|
	v_trig_preop_f64 v[5:6], |v[1:2]|, 0
	v_and_b32_e32 v9, 0x7fffffff, v2
	v_trig_preop_f64 v[19:20], |v[1:2]|, 2
	v_mov_b32_e32 v27, 0
	s_mov_b32 s1, 0x3ff921fb
	s_mov_b32 s34, 0x33145c07
	;; [unrolled: 1-line block ×3, first 2 shown]
	v_cndmask_b32_e32 v4, v9, v4, vcc_lo
	v_cndmask_b32_e32 v3, v1, v3, vcc_lo
	v_trig_preop_f64 v[9:10], |v[1:2]|, 1
	v_mul_f64 v[11:12], v[5:6], v[3:4]
	v_mul_f64 v[25:26], v[19:20], v[3:4]
	;; [unrolled: 1-line block ×3, first 2 shown]
	v_fma_f64 v[5:6], v[5:6], v[3:4], -v[11:12]
	v_fma_f64 v[9:10], v[9:10], v[3:4], -v[13:14]
	v_fma_f64 v[3:4], v[19:20], v[3:4], -v[25:26]
	v_add_f64 v[15:16], v[13:14], v[5:6]
	v_add_f64 v[17:18], v[15:16], -v[13:14]
	v_add_f64 v[23:24], v[11:12], v[15:16]
	v_add_f64 v[21:22], v[15:16], -v[17:18]
	v_add_f64 v[5:6], v[5:6], -v[17:18]
	v_ldexp_f64 v[17:18], v[23:24], -2
	v_add_f64 v[11:12], v[23:24], -v[11:12]
	v_add_f64 v[13:14], v[13:14], -v[21:22]
	v_add_f64 v[21:22], v[25:26], v[9:10]
	v_cmp_neq_f64_e64 vcc_lo, 0x7ff00000, |v[17:18]|
	v_add_f64 v[11:12], v[15:16], -v[11:12]
	v_add_f64 v[5:6], v[5:6], v[13:14]
	v_fract_f64_e32 v[13:14], v[17:18]
	v_add_f64 v[15:16], v[21:22], v[5:6]
	v_ldexp_f64 v[13:14], v[13:14], 2
	v_add_f64 v[17:18], v[11:12], v[15:16]
	v_cndmask_b32_e32 v14, 0, v14, vcc_lo
	v_cndmask_b32_e32 v13, 0, v13, vcc_lo
	v_add_f64 v[23:24], v[17:18], v[13:14]
	v_add_f64 v[11:12], v[17:18], -v[11:12]
	v_cmp_gt_f64_e32 vcc_lo, 0, v[23:24]
	v_add_f64 v[23:24], v[21:22], -v[25:26]
	v_cndmask_b32_e64 v28, 0, 0x40100000, vcc_lo
	v_add_f64 v[32:33], v[21:22], -v[23:24]
	v_add_f64 v[9:10], v[9:10], -v[23:24]
	v_add_f64 v[13:14], v[13:14], v[27:28]
	v_add_f64 v[28:29], v[15:16], -v[21:22]
	v_add_f64 v[23:24], v[25:26], -v[32:33]
	v_add_f64 v[30:31], v[17:18], v[13:14]
	;; [unrolled: 3-line block ×3, first 2 shown]
	v_cvt_i32_f64_e32 v30, v[30:31]
	v_add_f64 v[21:22], v[21:22], -v[34:35]
	v_cvt_f64_i32_e32 v[28:29], v30
	v_add_f64 v[5:6], v[5:6], v[21:22]
	v_add_f64 v[13:14], v[13:14], -v[28:29]
	v_add_f64 v[5:6], v[9:10], v[5:6]
	v_add_f64 v[9:10], v[15:16], -v[11:12]
	v_add_f64 v[19:20], v[17:18], v[13:14]
	v_add_f64 v[3:4], v[3:4], v[5:6]
	v_add_f64 v[5:6], v[19:20], -v[13:14]
	v_cmp_le_f64_e32 vcc_lo, 0.5, v[19:20]
	v_add_f64 v[3:4], v[9:10], v[3:4]
	v_add_f64 v[5:6], v[17:18], -v[5:6]
	v_cndmask_b32_e64 v28, 0, 0x3ff00000, vcc_lo
	v_add_co_ci_u32_e64 v9, null, 0, v30, vcc_lo
	v_add_f64 v[3:4], v[3:4], v[5:6]
	v_add_f64 v[5:6], v[19:20], -v[27:28]
	v_add_f64 v[10:11], v[5:6], v[3:4]
	v_mul_f64 v[12:13], v[10:11], s[0:1]
	v_add_f64 v[5:6], v[10:11], -v[5:6]
	v_fma_f64 v[14:15], v[10:11], s[0:1], -v[12:13]
	v_add_f64 v[3:4], v[3:4], -v[5:6]
	v_fma_f64 v[5:6], v[10:11], s[34:35], v[14:15]
	v_fma_f64 v[5:6], v[3:4], s[0:1], v[5:6]
	v_add_f64 v[3:4], v[12:13], v[5:6]
	v_add_f64 v[10:11], v[3:4], -v[12:13]
	v_add_f64 v[5:6], v[5:6], -v[10:11]
.LBB37_335:
	s_andn2_saveexec_b32 s0, s33
	s_cbranch_execz .LBB37_337
; %bb.336:
	s_mov_b32 s34, 0x6dc9c883
	s_mov_b32 s35, 0x3fe45f30
	;; [unrolled: 1-line block ×3, first 2 shown]
	v_mul_f64 v[3:4], |v[1:2]|, s[34:35]
	s_mov_b32 s34, 0x54442d18
	s_mov_b32 s35, 0xbff921fb
	;; [unrolled: 1-line block ×3, first 2 shown]
	v_rndne_f64_e32 v[9:10], v[3:4]
	v_fma_f64 v[3:4], v[9:10], s[34:35], |v[1:2]|
	v_mul_f64 v[5:6], v[9:10], s[36:37]
	s_mov_b32 s34, 0x252049c0
	s_mov_b32 s35, 0xb97b839a
	v_fma_f64 v[13:14], v[9:10], s[36:37], v[3:4]
	v_add_f64 v[11:12], v[3:4], v[5:6]
	s_mov_b32 s37, 0x3c91a626
	v_add_f64 v[3:4], v[3:4], -v[11:12]
	v_add_f64 v[11:12], v[11:12], -v[13:14]
	v_add_f64 v[3:4], v[3:4], v[5:6]
	v_fma_f64 v[5:6], v[9:10], s[36:37], v[5:6]
	v_add_f64 v[3:4], v[11:12], v[3:4]
	v_add_f64 v[3:4], v[3:4], -v[5:6]
	v_fma_f64 v[5:6], v[9:10], s[34:35], v[3:4]
	v_cvt_i32_f64_e32 v9, v[9:10]
	v_add_f64 v[3:4], v[13:14], v[5:6]
	v_add_f64 v[11:12], v[3:4], -v[13:14]
	v_add_f64 v[5:6], v[5:6], -v[11:12]
.LBB37_337:
	s_or_b32 exec_lo, exec_lo, s0
	v_mul_f64 v[10:11], v[3:4], v[3:4]
	v_add_f64 v[12:13], v[5:6], v[5:6]
	s_mov_b32 s34, 0xa9a29f71
	s_mov_b32 s36, 0xc751c08c
	;; [unrolled: 1-line block ×4, first 2 shown]
	v_cmp_class_f64_e64 s0, v[1:2], 0x1f8
	v_and_b32_e32 v9, 1, v9
	v_and_b32_e32 v2, 0x80000000, v2
	v_sub_f32_e32 v8, 1.0, v8
	s_mov_b32 s1, exec_lo
	v_cmp_eq_u32_e32 vcc_lo, 0, v9
	v_fma_f64 v[14:15], v[3:4], v[3:4], -v[10:11]
	v_fma_f64 v[12:13], v[3:4], v[12:13], v[14:15]
	v_add_f64 v[10:11], v[10:11], v[12:13]
	v_fma_f64 v[12:13], v[10:11], s[36:37], s[34:35]
	s_mov_b32 s34, 0x90a8aae0
	s_mov_b32 s35, 0x3f17746f
	v_fma_f64 v[12:13], v[10:11], v[12:13], s[34:35]
	s_mov_b32 s34, 0xa6fbf144
	s_mov_b32 s35, 0xbefbb44d
	;; [unrolled: 3-line block ×13, first 2 shown]
	v_mul_f64 v[10:11], v[10:11], v[12:13]
	v_mul_f64 v[12:13], v[3:4], v[10:11]
	v_add_f64 v[14:15], v[3:4], v[12:13]
	v_fma_f64 v[10:11], v[3:4], v[10:11], -v[12:13]
	v_add_f64 v[3:4], v[14:15], -v[3:4]
	v_add_f64 v[5:6], v[5:6], v[10:11]
	v_add_f64 v[3:4], v[12:13], -v[3:4]
	v_add_f64 v[3:4], v[5:6], v[3:4]
	v_add_f64 v[5:6], v[14:15], v[3:4]
	v_rcp_f64_e32 v[10:11], v[5:6]
	v_fma_f64 v[12:13], -v[5:6], v[10:11], 1.0
	v_fma_f64 v[10:11], v[12:13], v[10:11], v[10:11]
	v_fma_f64 v[12:13], -v[5:6], v[10:11], 1.0
	v_fma_f64 v[10:11], v[12:13], v[10:11], v[10:11]
	v_add_f64 v[12:13], v[5:6], -v[14:15]
	v_mul_f64 v[14:15], v[5:6], v[10:11]
	v_add_f64 v[3:4], v[3:4], -v[12:13]
	v_fma_f64 v[12:13], v[10:11], v[5:6], -v[14:15]
	v_fma_f64 v[3:4], v[10:11], v[3:4], v[12:13]
	v_add_f64 v[12:13], v[14:15], v[3:4]
	v_add_f64 v[16:17], -v[12:13], 1.0
	v_add_f64 v[14:15], v[12:13], -v[14:15]
	v_add_f64 v[18:19], -v[16:17], 1.0
	v_add_f64 v[3:4], v[14:15], -v[3:4]
	v_add_f64 v[12:13], v[18:19], -v[12:13]
	v_add_f64 v[3:4], v[3:4], v[12:13]
	v_add_f64 v[3:4], v[16:17], v[3:4]
	v_mul_f64 v[3:4], v[10:11], v[3:4]
	v_add_f64 v[3:4], v[10:11], v[3:4]
	v_xor_b32_e32 v1, 0x80000000, v4
	v_cndmask_b32_e32 v3, v3, v5, vcc_lo
	v_cndmask_b32_e32 v1, v1, v6, vcc_lo
	v_xor_b32_e32 v2, v1, v2
	v_cndmask_b32_e64 v1, 0, v3, s0
	v_cndmask_b32_e64 v2, 0x7ff80000, v2, s0
	v_div_scale_f64 v[3:4], null, v[1:2], v[1:2], s[34:35]
	v_rcp_f64_e32 v[5:6], v[3:4]
	v_fma_f64 v[9:10], -v[3:4], v[5:6], 1.0
	v_fma_f64 v[5:6], v[5:6], v[9:10], v[5:6]
	v_fma_f64 v[9:10], -v[3:4], v[5:6], 1.0
	v_fma_f64 v[5:6], v[5:6], v[9:10], v[5:6]
	v_div_scale_f64 v[9:10], vcc_lo, s[34:35], v[1:2], s[34:35]
	v_mul_f64 v[11:12], v[9:10], v[5:6]
	v_fma_f64 v[3:4], -v[3:4], v[11:12], v[9:10]
	v_div_fmas_f64 v[3:4], v[3:4], v[5:6], v[11:12]
	v_div_fixup_f64 v[1:2], v[3:4], v[1:2], s[34:35]
	v_cvt_f32_f64_e32 v1, v[1:2]
.LBB37_338:
	s_or_b32 exec_lo, exec_lo, s31
	s_orn2_b32 s0, s1, exec_lo
.LBB37_339:
	s_or_b32 exec_lo, exec_lo, s21
	v_mov_b32_e32 v2, 0x7fc0
	s_and_saveexec_b32 s1, s0
	s_cbranch_execz .LBB37_351
; %bb.340:
	s_mov_b32 s0, exec_lo
	v_cmpx_gt_f32_e32 0x41200000, v8
	s_cbranch_execz .LBB37_344
; %bb.341:
	s_mov_b32 s21, 0
	.p2align	6
.LBB37_342:                             ; =>This Inner Loop Header: Depth=1
	v_div_scale_f32 v2, null, v8, v8, 1.0
	v_div_scale_f32 v5, vcc_lo, 1.0, v8, 1.0
	v_rcp_f32_e32 v3, v2
	v_fma_f32 v4, -v2, v3, 1.0
	v_fmac_f32_e32 v3, v4, v3
	v_mul_f32_e32 v4, v5, v3
	v_fma_f32 v6, -v2, v4, v5
	v_fmac_f32_e32 v4, v6, v3
	v_fma_f32 v2, -v2, v4, v5
	v_div_fmas_f32 v2, v2, v3, v4
	v_div_fixup_f32 v2, v2, v8, 1.0
	v_add_f32_e32 v8, 1.0, v8
	v_sub_f32_e32 v1, v1, v2
	v_cmp_ngt_f32_e32 vcc_lo, 0x41200000, v8
	s_or_b32 s21, vcc_lo, s21
	s_andn2_b32 exec_lo, exec_lo, s21
	s_cbranch_execnz .LBB37_342
; %bb.343:
	s_or_b32 exec_lo, exec_lo, s21
.LBB37_344:
	s_or_b32 exec_lo, exec_lo, s0
                                        ; implicit-def: $vgpr2
	s_mov_b32 s0, exec_lo
	v_cmpx_neq_f32_e32 0x41200000, v8
	s_xor_b32 s21, exec_lo, s0
	s_cbranch_execz .LBB37_348
; %bb.345:
	v_cvt_f64_f32_e32 v[2:3], v8
	s_mov_b32 s34, 0x85d8a000
	s_mov_b32 s35, 0x43763457
	v_cmp_gt_f64_e32 vcc_lo, s[34:35], v[2:3]
	v_mov_b32_e32 v2, 0
	s_and_saveexec_b32 s0, vcc_lo
	s_cbranch_execz .LBB37_347
; %bb.346:
	v_mul_f32_e32 v2, v8, v8
	v_div_scale_f32 v3, null, v2, v2, 1.0
	v_rcp_f32_e32 v4, v3
	v_fma_f32 v5, -v3, v4, 1.0
	v_fmac_f32_e32 v4, v5, v4
	v_div_scale_f32 v5, vcc_lo, 1.0, v2, 1.0
	v_mul_f32_e32 v6, v5, v4
	v_fma_f32 v9, -v3, v6, v5
	v_fmac_f32_e32 v6, v9, v4
	v_fma_f32 v3, -v3, v6, v5
	v_div_fmas_f32 v3, v3, v4, v6
	v_div_fixup_f32 v2, v3, v2, 1.0
	v_fmaak_f32 v3, 0, v2, 0x3daaaaab
	v_fmaak_f32 v3, v2, v3, 0xbcaccacd
	v_fmaak_f32 v3, v2, v3, 0x3bf83e10
	v_fmaak_f32 v3, v2, v3, 0xbb888889
	v_fmaak_f32 v3, v2, v3, 0x3b820821
	v_fmaak_f32 v3, v2, v3, 0xbc088889
	v_fmaak_f32 v3, v2, v3, 0x3daaaaab
	v_mul_f32_e32 v2, v2, v3
.LBB37_347:
	s_or_b32 exec_lo, exec_lo, s0
	v_cmp_gt_f32_e32 vcc_lo, 0x800000, v8
	v_div_scale_f32 v3, null, v8, v8, -0.5
	v_div_scale_f32 v9, s0, -0.5, v8, -0.5
	v_cndmask_b32_e64 v4, 0, 32, vcc_lo
	v_rcp_f32_e32 v5, v3
	v_ldexp_f32 v4, v8, v4
	v_log_f32_e32 v4, v4
	v_fma_f32 v6, -v3, v5, 1.0
	v_fmac_f32_e32 v5, v6, v5
	v_mul_f32_e32 v6, 0x3f317217, v4
	v_mul_f32_e32 v10, v9, v5
	v_fma_f32 v6, 0x3f317217, v4, -v6
	v_fma_f32 v11, -v3, v10, v9
	v_fmamk_f32 v6, v4, 0x3377d1cf, v6
	v_fmac_f32_e32 v10, v11, v5
	v_cndmask_b32_e64 v11, 0, 0x41b17218, vcc_lo
	v_cmp_gt_f32_e64 vcc_lo, 0x7f800000, |v4|
	v_fmac_f32_e32 v6, 0x3f317217, v4
	v_fma_f32 v3, -v3, v10, v9
	v_cndmask_b32_e32 v4, v4, v6, vcc_lo
	s_mov_b32 vcc_lo, s0
	v_div_fmas_f32 v3, v3, v5, v10
	v_sub_f32_e32 v4, v4, v11
	v_div_fixup_f32 v3, v3, v8, -0.5
	v_add_f32_e32 v3, v4, v3
	v_sub_f32_e32 v2, v3, v2
	v_add_f32_e32 v1, v1, v2
	v_bfe_u32 v2, v1, 16, 1
	v_cmp_o_f32_e32 vcc_lo, v1, v1
	v_add3_u32 v1, v1, v2, 0x7fff
	v_mov_b32_e32 v2, 0x7fc0
	v_cndmask_b32_sdwa v2, v2, v1, vcc_lo dst_sel:DWORD dst_unused:UNUSED_PAD src0_sel:DWORD src1_sel:WORD_1
                                        ; implicit-def: $vgpr1
.LBB37_348:
	s_andn2_saveexec_b32 s0, s21
; %bb.349:
	v_add_f32_e32 v1, 0x40101cb7, v1
	v_bfe_u32 v2, v1, 16, 1
	v_cmp_o_f32_e32 vcc_lo, v1, v1
	v_add3_u32 v1, v1, v2, 0x7fff
	v_mov_b32_e32 v2, 0x7fc0
	v_cndmask_b32_sdwa v2, v2, v1, vcc_lo dst_sel:DWORD dst_unused:UNUSED_PAD src0_sel:DWORD src1_sel:WORD_1
; %bb.350:
	s_or_b32 exec_lo, exec_lo, s0
.LBB37_351:
	s_or_b32 exec_lo, exec_lo, s1
                                        ; implicit-def: $vgpr8
.LBB37_352:
	s_andn2_saveexec_b32 s0, s20
; %bb.353:
	v_xor_b32_e32 v1, 0x80000000, v8
	s_mov_b32 s1, 0x7f800000
	v_and_or_b32 v1, 0x80000000, v1, s1
	v_lshrrev_b32_e32 v2, 16, v1
; %bb.354:
	s_or_b32 exec_lo, exec_lo, s0
	v_add_nc_u32_e32 v7, 0x80, v7
	global_store_short v0, v2, s[4:5]
	s_or_b32 exec_lo, exec_lo, s30
	s_mov_b32 s30, exec_lo
	v_cmpx_gt_i32_e64 s27, v7
	s_cbranch_execnz .LBB37_15
.LBB37_355:
	s_or_b32 exec_lo, exec_lo, s30
	s_mov_b32 s30, exec_lo
	v_cmpx_gt_i32_e64 s27, v7
	s_cbranch_execz .LBB37_395
.LBB37_356:
	s_andn2_b32 vcc_lo, exec_lo, s24
	s_cbranch_vccnz .LBB37_361
; %bb.357:
	s_andn2_b32 vcc_lo, exec_lo, s29
	s_cbranch_vccnz .LBB37_362
; %bb.358:
	s_add_i32 s33, s28, 1
	s_cmp_eq_u32 s23, 2
	s_cbranch_scc1 .LBB37_403
; %bb.359:
	v_mov_b32_e32 v2, 0
	v_mov_b32_e32 v0, 0
	;; [unrolled: 1-line block ×3, first 2 shown]
	s_and_b32 s31, s33, 28
	s_mov_b32 s34, 0
	s_mov_b64 s[0:1], s[2:3]
	s_mov_b64 s[20:21], s[18:19]
.LBB37_360:                             ; =>This Inner Loop Header: Depth=1
	s_clause 0x1
	s_load_dwordx8 s[36:43], s[0:1], 0x4
	s_load_dwordx4 s[52:55], s[0:1], 0x24
	s_load_dwordx8 s[44:51], s[20:21], 0x0
	s_add_u32 s0, s0, 48
	s_addc_u32 s1, s1, 0
	s_add_i32 s34, s34, 4
	s_add_u32 s20, s20, 32
	s_addc_u32 s21, s21, 0
	s_cmp_eq_u32 s31, s34
	s_waitcnt lgkmcnt(0)
	v_mul_hi_u32 v3, s37, v1
	v_add_nc_u32_e32 v3, v1, v3
	v_lshrrev_b32_e32 v3, s38, v3
	v_mul_hi_u32 v4, s40, v3
	v_mul_lo_u32 v6, v3, s36
	v_add_nc_u32_e32 v4, v3, v4
	v_sub_nc_u32_e32 v1, v1, v6
	v_lshrrev_b32_e32 v4, s41, v4
	v_mul_lo_u32 v6, v1, s44
	v_mul_lo_u32 v9, v1, s45
	v_mul_hi_u32 v5, s43, v4
	v_add_nc_u32_e32 v5, v4, v5
	v_lshrrev_b32_e32 v5, s52, v5
	v_mul_hi_u32 v8, s54, v5
	v_mul_lo_u32 v10, v5, s42
	v_add_nc_u32_e32 v1, v5, v8
	v_mul_lo_u32 v8, v4, s39
	v_sub_nc_u32_e32 v4, v4, v10
	v_lshrrev_b32_e32 v1, s55, v1
	v_mul_lo_u32 v10, v4, s48
	v_mul_lo_u32 v4, v4, s49
	v_sub_nc_u32_e32 v3, v3, v8
	v_mul_lo_u32 v11, v1, s53
	v_mul_lo_u32 v8, v3, s46
	v_mul_lo_u32 v3, v3, s47
	v_sub_nc_u32_e32 v5, v5, v11
	v_add3_u32 v0, v6, v0, v8
	v_mul_lo_u32 v11, v5, s50
	v_mul_lo_u32 v5, v5, s51
	v_add3_u32 v2, v9, v2, v3
	v_add3_u32 v0, v10, v0, v11
	;; [unrolled: 1-line block ×3, first 2 shown]
	s_cbranch_scc0 .LBB37_360
	s_branch .LBB37_404
.LBB37_361:
                                        ; implicit-def: $vgpr0
                                        ; implicit-def: $vgpr2
	s_branch .LBB37_408
.LBB37_362:
	v_mov_b32_e32 v0, 0
	v_mov_b32_e32 v2, 0
	s_branch .LBB37_407
.LBB37_363:
	v_mov_b32_e32 v0, 0
	v_mov_b32_e32 v2, 0
	v_mov_b32_e32 v1, v7
	s_mov_b32 s31, 0
.LBB37_364:
	s_and_b32 s33, s33, 3
	s_cmp_eq_u32 s33, 0
	s_cbranch_scc1 .LBB37_367
; %bb.365:
	s_lshl_b32 s0, s31, 3
	s_mul_i32 s20, s31, 12
	s_add_u32 s0, s2, s0
	s_addc_u32 s1, s3, 0
	s_add_u32 s0, s0, 0xc4
	s_addc_u32 s1, s1, 0
	;; [unrolled: 2-line block ×3, first 2 shown]
	.p2align	6
.LBB37_366:                             ; =>This Inner Loop Header: Depth=1
	s_clause 0x1
	s_load_dwordx2 s[34:35], s[20:21], 0x4
	s_load_dword s31, s[20:21], 0xc
	s_load_dwordx2 s[36:37], s[0:1], 0x0
	s_add_u32 s20, s20, 12
	s_addc_u32 s21, s21, 0
	s_add_u32 s0, s0, 8
	s_addc_u32 s1, s1, 0
	s_add_i32 s33, s33, -1
	s_cmp_lg_u32 s33, 0
	s_waitcnt lgkmcnt(0)
	v_mul_hi_u32 v3, s35, v1
	v_add_nc_u32_e32 v3, v1, v3
	v_lshrrev_b32_e32 v4, s31, v3
	v_mul_lo_u32 v3, v4, s34
	v_sub_nc_u32_e32 v3, v1, v3
	v_mad_u64_u32 v[0:1], null, v3, s36, v[0:1]
	v_mad_u64_u32 v[2:3], null, v3, s37, v[2:3]
	v_mov_b32_e32 v1, v4
	s_cbranch_scc1 .LBB37_366
.LBB37_367:
	s_cbranch_execnz .LBB37_370
.LBB37_368:
	s_waitcnt lgkmcnt(0)
	v_mul_hi_u32 v0, s13, v7
	s_andn2_b32 vcc_lo, exec_lo, s26
	v_add_nc_u32_e32 v0, v7, v0
	v_lshrrev_b32_e32 v1, s14, v0
	v_mul_lo_u32 v0, v1, s12
	v_sub_nc_u32_e32 v2, v7, v0
	v_mul_lo_u32 v0, v2, s8
	v_mul_lo_u32 v2, v2, s9
	s_cbranch_vccnz .LBB37_370
; %bb.369:
	v_mul_hi_u32 v3, s16, v1
	v_add_nc_u32_e32 v3, v1, v3
	v_lshrrev_b32_e32 v3, s17, v3
	v_mul_lo_u32 v3, v3, s15
	v_sub_nc_u32_e32 v3, v1, v3
	v_mad_u64_u32 v[0:1], null, v3, s10, v[0:1]
	v_mad_u64_u32 v[2:3], null, v3, s11, v[2:3]
.LBB37_370:
	s_waitcnt lgkmcnt(0)
	global_load_ushort v1, v2, s[6:7]
                                        ; implicit-def: $vgpr2
	s_mov_b32 s0, exec_lo
	s_waitcnt vmcnt(0)
	v_lshlrev_b32_e32 v8, 16, v1
	v_cmpx_neq_f32_e32 0, v8
	s_xor_b32 s20, exec_lo, s0
	s_cbranch_execz .LBB37_392
; %bb.371:
	v_mov_b32_e32 v1, 0
	s_mov_b32 s0, -1
	s_mov_b32 s21, exec_lo
	v_cmpx_gt_f32_e32 0, v8
	s_cbranch_execz .LBB37_379
; %bb.372:
	v_trunc_f32_e32 v1, v8
	s_mov_b32 s1, 0
	v_cmp_neq_f32_e32 vcc_lo, v1, v8
	v_mov_b32_e32 v1, 0
	s_and_saveexec_b32 s31, vcc_lo
	s_cbranch_execz .LBB37_378
; %bb.373:
	v_cvt_f64_f32_e32 v[1:2], v8
	s_mov_b32 s1, 0xc00921fb
	s_mov_b32 s0, 0x54442d18
	s_mov_b32 s33, exec_lo
                                        ; implicit-def: $vgpr9
                                        ; implicit-def: $vgpr5_vgpr6
	v_trunc_f64_e32 v[3:4], v[1:2]
	v_cmp_neq_f64_e64 vcc_lo, 0x7ff00000, |v[1:2]|
	v_add_f64 v[3:4], v[1:2], -v[3:4]
	v_mul_f64 v[3:4], |v[3:4]|, s[0:1]
	v_cndmask_b32_e32 v2, 0x80000000, v4, vcc_lo
	v_cndmask_b32_e32 v1, 0, v3, vcc_lo
                                        ; implicit-def: $vgpr3_vgpr4
	v_cmpx_ngt_f64_e64 0x41d00000, |v[1:2]|
	s_xor_b32 s33, exec_lo, s33
	s_cbranch_execz .LBB37_375
; %bb.374:
	v_ldexp_f64 v[3:4], |v[1:2]|, 0xffffff80
	v_cmp_le_f64_e64 vcc_lo, 0x7b000000, |v[1:2]|
	v_trig_preop_f64 v[5:6], |v[1:2]|, 0
	v_and_b32_e32 v9, 0x7fffffff, v2
	v_trig_preop_f64 v[19:20], |v[1:2]|, 2
	v_mov_b32_e32 v27, 0
	s_mov_b32 s1, 0x3ff921fb
	s_mov_b32 s34, 0x33145c07
	;; [unrolled: 1-line block ×3, first 2 shown]
	v_cndmask_b32_e32 v4, v9, v4, vcc_lo
	v_cndmask_b32_e32 v3, v1, v3, vcc_lo
	v_trig_preop_f64 v[9:10], |v[1:2]|, 1
	v_mul_f64 v[11:12], v[5:6], v[3:4]
	v_mul_f64 v[25:26], v[19:20], v[3:4]
	;; [unrolled: 1-line block ×3, first 2 shown]
	v_fma_f64 v[5:6], v[5:6], v[3:4], -v[11:12]
	v_fma_f64 v[9:10], v[9:10], v[3:4], -v[13:14]
	;; [unrolled: 1-line block ×3, first 2 shown]
	v_add_f64 v[15:16], v[13:14], v[5:6]
	v_add_f64 v[17:18], v[15:16], -v[13:14]
	v_add_f64 v[23:24], v[11:12], v[15:16]
	v_add_f64 v[21:22], v[15:16], -v[17:18]
	v_add_f64 v[5:6], v[5:6], -v[17:18]
	v_ldexp_f64 v[17:18], v[23:24], -2
	v_add_f64 v[11:12], v[23:24], -v[11:12]
	v_add_f64 v[13:14], v[13:14], -v[21:22]
	v_add_f64 v[21:22], v[25:26], v[9:10]
	v_cmp_neq_f64_e64 vcc_lo, 0x7ff00000, |v[17:18]|
	v_add_f64 v[11:12], v[15:16], -v[11:12]
	v_add_f64 v[5:6], v[5:6], v[13:14]
	v_fract_f64_e32 v[13:14], v[17:18]
	v_add_f64 v[15:16], v[21:22], v[5:6]
	v_ldexp_f64 v[13:14], v[13:14], 2
	v_add_f64 v[17:18], v[11:12], v[15:16]
	v_cndmask_b32_e32 v14, 0, v14, vcc_lo
	v_cndmask_b32_e32 v13, 0, v13, vcc_lo
	v_add_f64 v[23:24], v[17:18], v[13:14]
	v_add_f64 v[11:12], v[17:18], -v[11:12]
	v_cmp_gt_f64_e32 vcc_lo, 0, v[23:24]
	v_add_f64 v[23:24], v[21:22], -v[25:26]
	v_cndmask_b32_e64 v28, 0, 0x40100000, vcc_lo
	v_add_f64 v[32:33], v[21:22], -v[23:24]
	v_add_f64 v[9:10], v[9:10], -v[23:24]
	v_add_f64 v[13:14], v[13:14], v[27:28]
	v_add_f64 v[28:29], v[15:16], -v[21:22]
	v_add_f64 v[23:24], v[25:26], -v[32:33]
	v_add_f64 v[30:31], v[17:18], v[13:14]
	;; [unrolled: 3-line block ×3, first 2 shown]
	v_cvt_i32_f64_e32 v30, v[30:31]
	v_add_f64 v[21:22], v[21:22], -v[34:35]
	v_cvt_f64_i32_e32 v[28:29], v30
	v_add_f64 v[5:6], v[5:6], v[21:22]
	v_add_f64 v[13:14], v[13:14], -v[28:29]
	v_add_f64 v[5:6], v[9:10], v[5:6]
	v_add_f64 v[9:10], v[15:16], -v[11:12]
	v_add_f64 v[19:20], v[17:18], v[13:14]
	v_add_f64 v[3:4], v[3:4], v[5:6]
	v_add_f64 v[5:6], v[19:20], -v[13:14]
	v_cmp_le_f64_e32 vcc_lo, 0.5, v[19:20]
	v_add_f64 v[3:4], v[9:10], v[3:4]
	v_add_f64 v[5:6], v[17:18], -v[5:6]
	v_cndmask_b32_e64 v28, 0, 0x3ff00000, vcc_lo
	v_add_co_ci_u32_e64 v9, null, 0, v30, vcc_lo
	v_add_f64 v[3:4], v[3:4], v[5:6]
	v_add_f64 v[5:6], v[19:20], -v[27:28]
	v_add_f64 v[10:11], v[5:6], v[3:4]
	v_mul_f64 v[12:13], v[10:11], s[0:1]
	v_add_f64 v[5:6], v[10:11], -v[5:6]
	v_fma_f64 v[14:15], v[10:11], s[0:1], -v[12:13]
	v_add_f64 v[3:4], v[3:4], -v[5:6]
	v_fma_f64 v[5:6], v[10:11], s[34:35], v[14:15]
	v_fma_f64 v[5:6], v[3:4], s[0:1], v[5:6]
	v_add_f64 v[3:4], v[12:13], v[5:6]
	v_add_f64 v[10:11], v[3:4], -v[12:13]
	v_add_f64 v[5:6], v[5:6], -v[10:11]
.LBB37_375:
	s_andn2_saveexec_b32 s0, s33
	s_cbranch_execz .LBB37_377
; %bb.376:
	s_mov_b32 s34, 0x6dc9c883
	s_mov_b32 s35, 0x3fe45f30
	;; [unrolled: 1-line block ×3, first 2 shown]
	v_mul_f64 v[3:4], |v[1:2]|, s[34:35]
	s_mov_b32 s34, 0x54442d18
	s_mov_b32 s35, 0xbff921fb
	;; [unrolled: 1-line block ×3, first 2 shown]
	v_rndne_f64_e32 v[9:10], v[3:4]
	v_fma_f64 v[3:4], v[9:10], s[34:35], |v[1:2]|
	v_mul_f64 v[5:6], v[9:10], s[36:37]
	s_mov_b32 s34, 0x252049c0
	s_mov_b32 s35, 0xb97b839a
	v_fma_f64 v[13:14], v[9:10], s[36:37], v[3:4]
	v_add_f64 v[11:12], v[3:4], v[5:6]
	s_mov_b32 s37, 0x3c91a626
	v_add_f64 v[3:4], v[3:4], -v[11:12]
	v_add_f64 v[11:12], v[11:12], -v[13:14]
	v_add_f64 v[3:4], v[3:4], v[5:6]
	v_fma_f64 v[5:6], v[9:10], s[36:37], v[5:6]
	v_add_f64 v[3:4], v[11:12], v[3:4]
	v_add_f64 v[3:4], v[3:4], -v[5:6]
	v_fma_f64 v[5:6], v[9:10], s[34:35], v[3:4]
	v_cvt_i32_f64_e32 v9, v[9:10]
	v_add_f64 v[3:4], v[13:14], v[5:6]
	v_add_f64 v[11:12], v[3:4], -v[13:14]
	v_add_f64 v[5:6], v[5:6], -v[11:12]
.LBB37_377:
	s_or_b32 exec_lo, exec_lo, s0
	v_mul_f64 v[10:11], v[3:4], v[3:4]
	v_add_f64 v[12:13], v[5:6], v[5:6]
	s_mov_b32 s34, 0xa9a29f71
	s_mov_b32 s36, 0xc751c08c
	;; [unrolled: 1-line block ×4, first 2 shown]
	v_cmp_class_f64_e64 s0, v[1:2], 0x1f8
	v_and_b32_e32 v9, 1, v9
	v_and_b32_e32 v2, 0x80000000, v2
	v_sub_f32_e32 v8, 1.0, v8
	s_mov_b32 s1, exec_lo
	v_cmp_eq_u32_e32 vcc_lo, 0, v9
	v_fma_f64 v[14:15], v[3:4], v[3:4], -v[10:11]
	v_fma_f64 v[12:13], v[3:4], v[12:13], v[14:15]
	v_add_f64 v[10:11], v[10:11], v[12:13]
	v_fma_f64 v[12:13], v[10:11], s[36:37], s[34:35]
	s_mov_b32 s34, 0x90a8aae0
	s_mov_b32 s35, 0x3f17746f
	v_fma_f64 v[12:13], v[10:11], v[12:13], s[34:35]
	s_mov_b32 s34, 0xa6fbf144
	s_mov_b32 s35, 0xbefbb44d
	;; [unrolled: 3-line block ×13, first 2 shown]
	v_mul_f64 v[10:11], v[10:11], v[12:13]
	v_mul_f64 v[12:13], v[3:4], v[10:11]
	v_add_f64 v[14:15], v[3:4], v[12:13]
	v_fma_f64 v[10:11], v[3:4], v[10:11], -v[12:13]
	v_add_f64 v[3:4], v[14:15], -v[3:4]
	v_add_f64 v[5:6], v[5:6], v[10:11]
	v_add_f64 v[3:4], v[12:13], -v[3:4]
	v_add_f64 v[3:4], v[5:6], v[3:4]
	v_add_f64 v[5:6], v[14:15], v[3:4]
	v_rcp_f64_e32 v[10:11], v[5:6]
	v_fma_f64 v[12:13], -v[5:6], v[10:11], 1.0
	v_fma_f64 v[10:11], v[12:13], v[10:11], v[10:11]
	v_fma_f64 v[12:13], -v[5:6], v[10:11], 1.0
	v_fma_f64 v[10:11], v[12:13], v[10:11], v[10:11]
	v_add_f64 v[12:13], v[5:6], -v[14:15]
	v_mul_f64 v[14:15], v[5:6], v[10:11]
	v_add_f64 v[3:4], v[3:4], -v[12:13]
	v_fma_f64 v[12:13], v[10:11], v[5:6], -v[14:15]
	v_fma_f64 v[3:4], v[10:11], v[3:4], v[12:13]
	v_add_f64 v[12:13], v[14:15], v[3:4]
	v_add_f64 v[16:17], -v[12:13], 1.0
	v_add_f64 v[14:15], v[12:13], -v[14:15]
	v_add_f64 v[18:19], -v[16:17], 1.0
	v_add_f64 v[3:4], v[14:15], -v[3:4]
	v_add_f64 v[12:13], v[18:19], -v[12:13]
	v_add_f64 v[3:4], v[3:4], v[12:13]
	v_add_f64 v[3:4], v[16:17], v[3:4]
	v_mul_f64 v[3:4], v[10:11], v[3:4]
	v_add_f64 v[3:4], v[10:11], v[3:4]
	v_xor_b32_e32 v1, 0x80000000, v4
	v_cndmask_b32_e32 v3, v3, v5, vcc_lo
	v_cndmask_b32_e32 v1, v1, v6, vcc_lo
	v_xor_b32_e32 v2, v1, v2
	v_cndmask_b32_e64 v1, 0, v3, s0
	v_cndmask_b32_e64 v2, 0x7ff80000, v2, s0
	v_div_scale_f64 v[3:4], null, v[1:2], v[1:2], s[34:35]
	v_rcp_f64_e32 v[5:6], v[3:4]
	v_fma_f64 v[9:10], -v[3:4], v[5:6], 1.0
	v_fma_f64 v[5:6], v[5:6], v[9:10], v[5:6]
	v_fma_f64 v[9:10], -v[3:4], v[5:6], 1.0
	v_fma_f64 v[5:6], v[5:6], v[9:10], v[5:6]
	v_div_scale_f64 v[9:10], vcc_lo, s[34:35], v[1:2], s[34:35]
	v_mul_f64 v[11:12], v[9:10], v[5:6]
	v_fma_f64 v[3:4], -v[3:4], v[11:12], v[9:10]
	v_div_fmas_f64 v[3:4], v[3:4], v[5:6], v[11:12]
	v_div_fixup_f64 v[1:2], v[3:4], v[1:2], s[34:35]
	v_cvt_f32_f64_e32 v1, v[1:2]
.LBB37_378:
	s_or_b32 exec_lo, exec_lo, s31
	s_orn2_b32 s0, s1, exec_lo
.LBB37_379:
	s_or_b32 exec_lo, exec_lo, s21
	v_mov_b32_e32 v2, 0x7fc0
	s_and_saveexec_b32 s1, s0
	s_cbranch_execz .LBB37_391
; %bb.380:
	s_mov_b32 s0, exec_lo
	v_cmpx_gt_f32_e32 0x41200000, v8
	s_cbranch_execz .LBB37_384
; %bb.381:
	s_mov_b32 s21, 0
	.p2align	6
.LBB37_382:                             ; =>This Inner Loop Header: Depth=1
	v_div_scale_f32 v2, null, v8, v8, 1.0
	v_div_scale_f32 v5, vcc_lo, 1.0, v8, 1.0
	v_rcp_f32_e32 v3, v2
	v_fma_f32 v4, -v2, v3, 1.0
	v_fmac_f32_e32 v3, v4, v3
	v_mul_f32_e32 v4, v5, v3
	v_fma_f32 v6, -v2, v4, v5
	v_fmac_f32_e32 v4, v6, v3
	v_fma_f32 v2, -v2, v4, v5
	v_div_fmas_f32 v2, v2, v3, v4
	v_div_fixup_f32 v2, v2, v8, 1.0
	v_add_f32_e32 v8, 1.0, v8
	v_sub_f32_e32 v1, v1, v2
	v_cmp_ngt_f32_e32 vcc_lo, 0x41200000, v8
	s_or_b32 s21, vcc_lo, s21
	s_andn2_b32 exec_lo, exec_lo, s21
	s_cbranch_execnz .LBB37_382
; %bb.383:
	s_or_b32 exec_lo, exec_lo, s21
.LBB37_384:
	s_or_b32 exec_lo, exec_lo, s0
                                        ; implicit-def: $vgpr2
	s_mov_b32 s0, exec_lo
	v_cmpx_neq_f32_e32 0x41200000, v8
	s_xor_b32 s21, exec_lo, s0
	s_cbranch_execz .LBB37_388
; %bb.385:
	v_cvt_f64_f32_e32 v[2:3], v8
	s_mov_b32 s34, 0x85d8a000
	s_mov_b32 s35, 0x43763457
	v_cmp_gt_f64_e32 vcc_lo, s[34:35], v[2:3]
	v_mov_b32_e32 v2, 0
	s_and_saveexec_b32 s0, vcc_lo
	s_cbranch_execz .LBB37_387
; %bb.386:
	v_mul_f32_e32 v2, v8, v8
	v_div_scale_f32 v3, null, v2, v2, 1.0
	v_rcp_f32_e32 v4, v3
	v_fma_f32 v5, -v3, v4, 1.0
	v_fmac_f32_e32 v4, v5, v4
	v_div_scale_f32 v5, vcc_lo, 1.0, v2, 1.0
	v_mul_f32_e32 v6, v5, v4
	v_fma_f32 v9, -v3, v6, v5
	v_fmac_f32_e32 v6, v9, v4
	v_fma_f32 v3, -v3, v6, v5
	v_div_fmas_f32 v3, v3, v4, v6
	v_div_fixup_f32 v2, v3, v2, 1.0
	v_fmaak_f32 v3, 0, v2, 0x3daaaaab
	v_fmaak_f32 v3, v2, v3, 0xbcaccacd
	;; [unrolled: 1-line block ×7, first 2 shown]
	v_mul_f32_e32 v2, v2, v3
.LBB37_387:
	s_or_b32 exec_lo, exec_lo, s0
	v_cmp_gt_f32_e32 vcc_lo, 0x800000, v8
	v_div_scale_f32 v3, null, v8, v8, -0.5
	v_div_scale_f32 v9, s0, -0.5, v8, -0.5
	v_cndmask_b32_e64 v4, 0, 32, vcc_lo
	v_rcp_f32_e32 v5, v3
	v_ldexp_f32 v4, v8, v4
	v_log_f32_e32 v4, v4
	v_fma_f32 v6, -v3, v5, 1.0
	v_fmac_f32_e32 v5, v6, v5
	v_mul_f32_e32 v6, 0x3f317217, v4
	v_mul_f32_e32 v10, v9, v5
	v_fma_f32 v6, 0x3f317217, v4, -v6
	v_fma_f32 v11, -v3, v10, v9
	v_fmamk_f32 v6, v4, 0x3377d1cf, v6
	v_fmac_f32_e32 v10, v11, v5
	v_cndmask_b32_e64 v11, 0, 0x41b17218, vcc_lo
	v_cmp_gt_f32_e64 vcc_lo, 0x7f800000, |v4|
	v_fmac_f32_e32 v6, 0x3f317217, v4
	v_fma_f32 v3, -v3, v10, v9
	v_cndmask_b32_e32 v4, v4, v6, vcc_lo
	s_mov_b32 vcc_lo, s0
	v_div_fmas_f32 v3, v3, v5, v10
	v_sub_f32_e32 v4, v4, v11
	v_div_fixup_f32 v3, v3, v8, -0.5
	v_add_f32_e32 v3, v4, v3
	v_sub_f32_e32 v2, v3, v2
	v_add_f32_e32 v1, v1, v2
	v_bfe_u32 v2, v1, 16, 1
	v_cmp_o_f32_e32 vcc_lo, v1, v1
	v_add3_u32 v1, v1, v2, 0x7fff
	v_mov_b32_e32 v2, 0x7fc0
	v_cndmask_b32_sdwa v2, v2, v1, vcc_lo dst_sel:DWORD dst_unused:UNUSED_PAD src0_sel:DWORD src1_sel:WORD_1
                                        ; implicit-def: $vgpr1
.LBB37_388:
	s_andn2_saveexec_b32 s0, s21
; %bb.389:
	v_add_f32_e32 v1, 0x40101cb7, v1
	v_bfe_u32 v2, v1, 16, 1
	v_cmp_o_f32_e32 vcc_lo, v1, v1
	v_add3_u32 v1, v1, v2, 0x7fff
	v_mov_b32_e32 v2, 0x7fc0
	v_cndmask_b32_sdwa v2, v2, v1, vcc_lo dst_sel:DWORD dst_unused:UNUSED_PAD src0_sel:DWORD src1_sel:WORD_1
; %bb.390:
	s_or_b32 exec_lo, exec_lo, s0
.LBB37_391:
	s_or_b32 exec_lo, exec_lo, s1
                                        ; implicit-def: $vgpr8
.LBB37_392:
	s_andn2_saveexec_b32 s0, s20
; %bb.393:
	v_xor_b32_e32 v1, 0x80000000, v8
	s_mov_b32 s1, 0x7f800000
	v_and_or_b32 v1, 0x80000000, v1, s1
	v_lshrrev_b32_e32 v2, 16, v1
; %bb.394:
	s_or_b32 exec_lo, exec_lo, s0
	v_add_nc_u32_e32 v7, 0x80, v7
	global_store_short v0, v2, s[4:5]
	s_or_b32 exec_lo, exec_lo, s30
	s_mov_b32 s30, exec_lo
	v_cmpx_gt_i32_e64 s27, v7
	s_cbranch_execnz .LBB37_356
.LBB37_395:
	s_or_b32 exec_lo, exec_lo, s30
	s_mov_b32 s30, exec_lo
	v_cmpx_gt_i32_e64 s27, v7
	s_cbranch_execz .LBB37_435
.LBB37_396:
	s_andn2_b32 vcc_lo, exec_lo, s24
	s_cbranch_vccnz .LBB37_401
; %bb.397:
	s_andn2_b32 vcc_lo, exec_lo, s29
	s_cbranch_vccnz .LBB37_402
; %bb.398:
	s_add_i32 s33, s28, 1
	s_cmp_eq_u32 s23, 2
	s_cbranch_scc1 .LBB37_443
; %bb.399:
	v_mov_b32_e32 v2, 0
	v_mov_b32_e32 v0, 0
	;; [unrolled: 1-line block ×3, first 2 shown]
	s_and_b32 s31, s33, 28
	s_mov_b32 s34, 0
	s_mov_b64 s[0:1], s[2:3]
	s_mov_b64 s[20:21], s[18:19]
.LBB37_400:                             ; =>This Inner Loop Header: Depth=1
	s_clause 0x1
	s_load_dwordx8 s[36:43], s[0:1], 0x4
	s_load_dwordx4 s[52:55], s[0:1], 0x24
	s_load_dwordx8 s[44:51], s[20:21], 0x0
	s_add_u32 s0, s0, 48
	s_addc_u32 s1, s1, 0
	s_add_i32 s34, s34, 4
	s_add_u32 s20, s20, 32
	s_addc_u32 s21, s21, 0
	s_cmp_eq_u32 s31, s34
	s_waitcnt lgkmcnt(0)
	v_mul_hi_u32 v3, s37, v1
	v_add_nc_u32_e32 v3, v1, v3
	v_lshrrev_b32_e32 v3, s38, v3
	v_mul_hi_u32 v4, s40, v3
	v_mul_lo_u32 v6, v3, s36
	v_add_nc_u32_e32 v4, v3, v4
	v_sub_nc_u32_e32 v1, v1, v6
	v_lshrrev_b32_e32 v4, s41, v4
	v_mul_lo_u32 v6, v1, s44
	v_mul_lo_u32 v9, v1, s45
	v_mul_hi_u32 v5, s43, v4
	v_add_nc_u32_e32 v5, v4, v5
	v_lshrrev_b32_e32 v5, s52, v5
	v_mul_hi_u32 v8, s54, v5
	v_mul_lo_u32 v10, v5, s42
	v_add_nc_u32_e32 v1, v5, v8
	v_mul_lo_u32 v8, v4, s39
	v_sub_nc_u32_e32 v4, v4, v10
	v_lshrrev_b32_e32 v1, s55, v1
	v_mul_lo_u32 v10, v4, s48
	v_mul_lo_u32 v4, v4, s49
	v_sub_nc_u32_e32 v3, v3, v8
	v_mul_lo_u32 v11, v1, s53
	v_mul_lo_u32 v8, v3, s46
	;; [unrolled: 1-line block ×3, first 2 shown]
	v_sub_nc_u32_e32 v5, v5, v11
	v_add3_u32 v0, v6, v0, v8
	v_mul_lo_u32 v11, v5, s50
	v_mul_lo_u32 v5, v5, s51
	v_add3_u32 v2, v9, v2, v3
	v_add3_u32 v0, v10, v0, v11
	;; [unrolled: 1-line block ×3, first 2 shown]
	s_cbranch_scc0 .LBB37_400
	s_branch .LBB37_444
.LBB37_401:
                                        ; implicit-def: $vgpr0
                                        ; implicit-def: $vgpr2
	s_branch .LBB37_448
.LBB37_402:
	v_mov_b32_e32 v0, 0
	v_mov_b32_e32 v2, 0
	s_branch .LBB37_447
.LBB37_403:
	v_mov_b32_e32 v0, 0
	v_mov_b32_e32 v2, 0
	;; [unrolled: 1-line block ×3, first 2 shown]
	s_mov_b32 s31, 0
.LBB37_404:
	s_and_b32 s33, s33, 3
	s_cmp_eq_u32 s33, 0
	s_cbranch_scc1 .LBB37_407
; %bb.405:
	s_lshl_b32 s0, s31, 3
	s_mul_i32 s20, s31, 12
	s_add_u32 s0, s2, s0
	s_addc_u32 s1, s3, 0
	s_add_u32 s0, s0, 0xc4
	s_addc_u32 s1, s1, 0
	;; [unrolled: 2-line block ×3, first 2 shown]
	.p2align	6
.LBB37_406:                             ; =>This Inner Loop Header: Depth=1
	s_clause 0x1
	s_load_dwordx2 s[34:35], s[20:21], 0x4
	s_load_dword s31, s[20:21], 0xc
	s_load_dwordx2 s[36:37], s[0:1], 0x0
	s_add_u32 s20, s20, 12
	s_addc_u32 s21, s21, 0
	s_add_u32 s0, s0, 8
	s_addc_u32 s1, s1, 0
	s_add_i32 s33, s33, -1
	s_cmp_lg_u32 s33, 0
	s_waitcnt lgkmcnt(0)
	v_mul_hi_u32 v3, s35, v1
	v_add_nc_u32_e32 v3, v1, v3
	v_lshrrev_b32_e32 v4, s31, v3
	v_mul_lo_u32 v3, v4, s34
	v_sub_nc_u32_e32 v3, v1, v3
	v_mad_u64_u32 v[0:1], null, v3, s36, v[0:1]
	v_mad_u64_u32 v[2:3], null, v3, s37, v[2:3]
	v_mov_b32_e32 v1, v4
	s_cbranch_scc1 .LBB37_406
.LBB37_407:
	s_cbranch_execnz .LBB37_410
.LBB37_408:
	s_waitcnt lgkmcnt(0)
	v_mul_hi_u32 v0, s13, v7
	s_andn2_b32 vcc_lo, exec_lo, s26
	v_add_nc_u32_e32 v0, v7, v0
	v_lshrrev_b32_e32 v1, s14, v0
	v_mul_lo_u32 v0, v1, s12
	v_sub_nc_u32_e32 v2, v7, v0
	v_mul_lo_u32 v0, v2, s8
	v_mul_lo_u32 v2, v2, s9
	s_cbranch_vccnz .LBB37_410
; %bb.409:
	v_mul_hi_u32 v3, s16, v1
	v_add_nc_u32_e32 v3, v1, v3
	v_lshrrev_b32_e32 v3, s17, v3
	v_mul_lo_u32 v3, v3, s15
	v_sub_nc_u32_e32 v3, v1, v3
	v_mad_u64_u32 v[0:1], null, v3, s10, v[0:1]
	v_mad_u64_u32 v[2:3], null, v3, s11, v[2:3]
.LBB37_410:
	s_waitcnt lgkmcnt(0)
	global_load_ushort v1, v2, s[6:7]
                                        ; implicit-def: $vgpr2
	s_mov_b32 s0, exec_lo
	s_waitcnt vmcnt(0)
	v_lshlrev_b32_e32 v8, 16, v1
	v_cmpx_neq_f32_e32 0, v8
	s_xor_b32 s20, exec_lo, s0
	s_cbranch_execz .LBB37_432
; %bb.411:
	v_mov_b32_e32 v1, 0
	s_mov_b32 s0, -1
	s_mov_b32 s21, exec_lo
	v_cmpx_gt_f32_e32 0, v8
	s_cbranch_execz .LBB37_419
; %bb.412:
	v_trunc_f32_e32 v1, v8
	s_mov_b32 s1, 0
	v_cmp_neq_f32_e32 vcc_lo, v1, v8
	v_mov_b32_e32 v1, 0
	s_and_saveexec_b32 s31, vcc_lo
	s_cbranch_execz .LBB37_418
; %bb.413:
	v_cvt_f64_f32_e32 v[1:2], v8
	s_mov_b32 s1, 0xc00921fb
	s_mov_b32 s0, 0x54442d18
	s_mov_b32 s33, exec_lo
                                        ; implicit-def: $vgpr9
                                        ; implicit-def: $vgpr5_vgpr6
	v_trunc_f64_e32 v[3:4], v[1:2]
	v_cmp_neq_f64_e64 vcc_lo, 0x7ff00000, |v[1:2]|
	v_add_f64 v[3:4], v[1:2], -v[3:4]
	v_mul_f64 v[3:4], |v[3:4]|, s[0:1]
	v_cndmask_b32_e32 v2, 0x80000000, v4, vcc_lo
	v_cndmask_b32_e32 v1, 0, v3, vcc_lo
                                        ; implicit-def: $vgpr3_vgpr4
	v_cmpx_ngt_f64_e64 0x41d00000, |v[1:2]|
	s_xor_b32 s33, exec_lo, s33
	s_cbranch_execz .LBB37_415
; %bb.414:
	v_ldexp_f64 v[3:4], |v[1:2]|, 0xffffff80
	v_cmp_le_f64_e64 vcc_lo, 0x7b000000, |v[1:2]|
	v_trig_preop_f64 v[5:6], |v[1:2]|, 0
	v_and_b32_e32 v9, 0x7fffffff, v2
	v_trig_preop_f64 v[19:20], |v[1:2]|, 2
	v_mov_b32_e32 v27, 0
	s_mov_b32 s1, 0x3ff921fb
	s_mov_b32 s34, 0x33145c07
	;; [unrolled: 1-line block ×3, first 2 shown]
	v_cndmask_b32_e32 v4, v9, v4, vcc_lo
	v_cndmask_b32_e32 v3, v1, v3, vcc_lo
	v_trig_preop_f64 v[9:10], |v[1:2]|, 1
	v_mul_f64 v[11:12], v[5:6], v[3:4]
	v_mul_f64 v[25:26], v[19:20], v[3:4]
	;; [unrolled: 1-line block ×3, first 2 shown]
	v_fma_f64 v[5:6], v[5:6], v[3:4], -v[11:12]
	v_fma_f64 v[9:10], v[9:10], v[3:4], -v[13:14]
	;; [unrolled: 1-line block ×3, first 2 shown]
	v_add_f64 v[15:16], v[13:14], v[5:6]
	v_add_f64 v[17:18], v[15:16], -v[13:14]
	v_add_f64 v[23:24], v[11:12], v[15:16]
	v_add_f64 v[21:22], v[15:16], -v[17:18]
	v_add_f64 v[5:6], v[5:6], -v[17:18]
	v_ldexp_f64 v[17:18], v[23:24], -2
	v_add_f64 v[11:12], v[23:24], -v[11:12]
	v_add_f64 v[13:14], v[13:14], -v[21:22]
	v_add_f64 v[21:22], v[25:26], v[9:10]
	v_cmp_neq_f64_e64 vcc_lo, 0x7ff00000, |v[17:18]|
	v_add_f64 v[11:12], v[15:16], -v[11:12]
	v_add_f64 v[5:6], v[5:6], v[13:14]
	v_fract_f64_e32 v[13:14], v[17:18]
	v_add_f64 v[15:16], v[21:22], v[5:6]
	v_ldexp_f64 v[13:14], v[13:14], 2
	v_add_f64 v[17:18], v[11:12], v[15:16]
	v_cndmask_b32_e32 v14, 0, v14, vcc_lo
	v_cndmask_b32_e32 v13, 0, v13, vcc_lo
	v_add_f64 v[23:24], v[17:18], v[13:14]
	v_add_f64 v[11:12], v[17:18], -v[11:12]
	v_cmp_gt_f64_e32 vcc_lo, 0, v[23:24]
	v_add_f64 v[23:24], v[21:22], -v[25:26]
	v_cndmask_b32_e64 v28, 0, 0x40100000, vcc_lo
	v_add_f64 v[32:33], v[21:22], -v[23:24]
	v_add_f64 v[9:10], v[9:10], -v[23:24]
	v_add_f64 v[13:14], v[13:14], v[27:28]
	v_add_f64 v[28:29], v[15:16], -v[21:22]
	v_add_f64 v[23:24], v[25:26], -v[32:33]
	v_add_f64 v[30:31], v[17:18], v[13:14]
	;; [unrolled: 3-line block ×3, first 2 shown]
	v_cvt_i32_f64_e32 v30, v[30:31]
	v_add_f64 v[21:22], v[21:22], -v[34:35]
	v_cvt_f64_i32_e32 v[28:29], v30
	v_add_f64 v[5:6], v[5:6], v[21:22]
	v_add_f64 v[13:14], v[13:14], -v[28:29]
	v_add_f64 v[5:6], v[9:10], v[5:6]
	v_add_f64 v[9:10], v[15:16], -v[11:12]
	v_add_f64 v[19:20], v[17:18], v[13:14]
	v_add_f64 v[3:4], v[3:4], v[5:6]
	v_add_f64 v[5:6], v[19:20], -v[13:14]
	v_cmp_le_f64_e32 vcc_lo, 0.5, v[19:20]
	v_add_f64 v[3:4], v[9:10], v[3:4]
	v_add_f64 v[5:6], v[17:18], -v[5:6]
	v_cndmask_b32_e64 v28, 0, 0x3ff00000, vcc_lo
	v_add_co_ci_u32_e64 v9, null, 0, v30, vcc_lo
	v_add_f64 v[3:4], v[3:4], v[5:6]
	v_add_f64 v[5:6], v[19:20], -v[27:28]
	v_add_f64 v[10:11], v[5:6], v[3:4]
	v_mul_f64 v[12:13], v[10:11], s[0:1]
	v_add_f64 v[5:6], v[10:11], -v[5:6]
	v_fma_f64 v[14:15], v[10:11], s[0:1], -v[12:13]
	v_add_f64 v[3:4], v[3:4], -v[5:6]
	v_fma_f64 v[5:6], v[10:11], s[34:35], v[14:15]
	v_fma_f64 v[5:6], v[3:4], s[0:1], v[5:6]
	v_add_f64 v[3:4], v[12:13], v[5:6]
	v_add_f64 v[10:11], v[3:4], -v[12:13]
	v_add_f64 v[5:6], v[5:6], -v[10:11]
.LBB37_415:
	s_andn2_saveexec_b32 s0, s33
	s_cbranch_execz .LBB37_417
; %bb.416:
	s_mov_b32 s34, 0x6dc9c883
	s_mov_b32 s35, 0x3fe45f30
	;; [unrolled: 1-line block ×3, first 2 shown]
	v_mul_f64 v[3:4], |v[1:2]|, s[34:35]
	s_mov_b32 s34, 0x54442d18
	s_mov_b32 s35, 0xbff921fb
	;; [unrolled: 1-line block ×3, first 2 shown]
	v_rndne_f64_e32 v[9:10], v[3:4]
	v_fma_f64 v[3:4], v[9:10], s[34:35], |v[1:2]|
	v_mul_f64 v[5:6], v[9:10], s[36:37]
	s_mov_b32 s34, 0x252049c0
	s_mov_b32 s35, 0xb97b839a
	v_fma_f64 v[13:14], v[9:10], s[36:37], v[3:4]
	v_add_f64 v[11:12], v[3:4], v[5:6]
	s_mov_b32 s37, 0x3c91a626
	v_add_f64 v[3:4], v[3:4], -v[11:12]
	v_add_f64 v[11:12], v[11:12], -v[13:14]
	v_add_f64 v[3:4], v[3:4], v[5:6]
	v_fma_f64 v[5:6], v[9:10], s[36:37], v[5:6]
	v_add_f64 v[3:4], v[11:12], v[3:4]
	v_add_f64 v[3:4], v[3:4], -v[5:6]
	v_fma_f64 v[5:6], v[9:10], s[34:35], v[3:4]
	v_cvt_i32_f64_e32 v9, v[9:10]
	v_add_f64 v[3:4], v[13:14], v[5:6]
	v_add_f64 v[11:12], v[3:4], -v[13:14]
	v_add_f64 v[5:6], v[5:6], -v[11:12]
.LBB37_417:
	s_or_b32 exec_lo, exec_lo, s0
	v_mul_f64 v[10:11], v[3:4], v[3:4]
	v_add_f64 v[12:13], v[5:6], v[5:6]
	s_mov_b32 s34, 0xa9a29f71
	s_mov_b32 s36, 0xc751c08c
	;; [unrolled: 1-line block ×4, first 2 shown]
	v_cmp_class_f64_e64 s0, v[1:2], 0x1f8
	v_and_b32_e32 v9, 1, v9
	v_and_b32_e32 v2, 0x80000000, v2
	v_sub_f32_e32 v8, 1.0, v8
	s_mov_b32 s1, exec_lo
	v_cmp_eq_u32_e32 vcc_lo, 0, v9
	v_fma_f64 v[14:15], v[3:4], v[3:4], -v[10:11]
	v_fma_f64 v[12:13], v[3:4], v[12:13], v[14:15]
	v_add_f64 v[10:11], v[10:11], v[12:13]
	v_fma_f64 v[12:13], v[10:11], s[36:37], s[34:35]
	s_mov_b32 s34, 0x90a8aae0
	s_mov_b32 s35, 0x3f17746f
	v_fma_f64 v[12:13], v[10:11], v[12:13], s[34:35]
	s_mov_b32 s34, 0xa6fbf144
	s_mov_b32 s35, 0xbefbb44d
	;; [unrolled: 3-line block ×13, first 2 shown]
	v_mul_f64 v[10:11], v[10:11], v[12:13]
	v_mul_f64 v[12:13], v[3:4], v[10:11]
	v_add_f64 v[14:15], v[3:4], v[12:13]
	v_fma_f64 v[10:11], v[3:4], v[10:11], -v[12:13]
	v_add_f64 v[3:4], v[14:15], -v[3:4]
	v_add_f64 v[5:6], v[5:6], v[10:11]
	v_add_f64 v[3:4], v[12:13], -v[3:4]
	v_add_f64 v[3:4], v[5:6], v[3:4]
	v_add_f64 v[5:6], v[14:15], v[3:4]
	v_rcp_f64_e32 v[10:11], v[5:6]
	v_fma_f64 v[12:13], -v[5:6], v[10:11], 1.0
	v_fma_f64 v[10:11], v[12:13], v[10:11], v[10:11]
	v_fma_f64 v[12:13], -v[5:6], v[10:11], 1.0
	v_fma_f64 v[10:11], v[12:13], v[10:11], v[10:11]
	v_add_f64 v[12:13], v[5:6], -v[14:15]
	v_mul_f64 v[14:15], v[5:6], v[10:11]
	v_add_f64 v[3:4], v[3:4], -v[12:13]
	v_fma_f64 v[12:13], v[10:11], v[5:6], -v[14:15]
	v_fma_f64 v[3:4], v[10:11], v[3:4], v[12:13]
	v_add_f64 v[12:13], v[14:15], v[3:4]
	v_add_f64 v[16:17], -v[12:13], 1.0
	v_add_f64 v[14:15], v[12:13], -v[14:15]
	v_add_f64 v[18:19], -v[16:17], 1.0
	v_add_f64 v[3:4], v[14:15], -v[3:4]
	v_add_f64 v[12:13], v[18:19], -v[12:13]
	v_add_f64 v[3:4], v[3:4], v[12:13]
	v_add_f64 v[3:4], v[16:17], v[3:4]
	v_mul_f64 v[3:4], v[10:11], v[3:4]
	v_add_f64 v[3:4], v[10:11], v[3:4]
	v_xor_b32_e32 v1, 0x80000000, v4
	v_cndmask_b32_e32 v3, v3, v5, vcc_lo
	v_cndmask_b32_e32 v1, v1, v6, vcc_lo
	v_xor_b32_e32 v2, v1, v2
	v_cndmask_b32_e64 v1, 0, v3, s0
	v_cndmask_b32_e64 v2, 0x7ff80000, v2, s0
	v_div_scale_f64 v[3:4], null, v[1:2], v[1:2], s[34:35]
	v_rcp_f64_e32 v[5:6], v[3:4]
	v_fma_f64 v[9:10], -v[3:4], v[5:6], 1.0
	v_fma_f64 v[5:6], v[5:6], v[9:10], v[5:6]
	v_fma_f64 v[9:10], -v[3:4], v[5:6], 1.0
	v_fma_f64 v[5:6], v[5:6], v[9:10], v[5:6]
	v_div_scale_f64 v[9:10], vcc_lo, s[34:35], v[1:2], s[34:35]
	v_mul_f64 v[11:12], v[9:10], v[5:6]
	v_fma_f64 v[3:4], -v[3:4], v[11:12], v[9:10]
	v_div_fmas_f64 v[3:4], v[3:4], v[5:6], v[11:12]
	v_div_fixup_f64 v[1:2], v[3:4], v[1:2], s[34:35]
	v_cvt_f32_f64_e32 v1, v[1:2]
.LBB37_418:
	s_or_b32 exec_lo, exec_lo, s31
	s_orn2_b32 s0, s1, exec_lo
.LBB37_419:
	s_or_b32 exec_lo, exec_lo, s21
	v_mov_b32_e32 v2, 0x7fc0
	s_and_saveexec_b32 s1, s0
	s_cbranch_execz .LBB37_431
; %bb.420:
	s_mov_b32 s0, exec_lo
	v_cmpx_gt_f32_e32 0x41200000, v8
	s_cbranch_execz .LBB37_424
; %bb.421:
	s_mov_b32 s21, 0
	.p2align	6
.LBB37_422:                             ; =>This Inner Loop Header: Depth=1
	v_div_scale_f32 v2, null, v8, v8, 1.0
	v_div_scale_f32 v5, vcc_lo, 1.0, v8, 1.0
	v_rcp_f32_e32 v3, v2
	v_fma_f32 v4, -v2, v3, 1.0
	v_fmac_f32_e32 v3, v4, v3
	v_mul_f32_e32 v4, v5, v3
	v_fma_f32 v6, -v2, v4, v5
	v_fmac_f32_e32 v4, v6, v3
	v_fma_f32 v2, -v2, v4, v5
	v_div_fmas_f32 v2, v2, v3, v4
	v_div_fixup_f32 v2, v2, v8, 1.0
	v_add_f32_e32 v8, 1.0, v8
	v_sub_f32_e32 v1, v1, v2
	v_cmp_ngt_f32_e32 vcc_lo, 0x41200000, v8
	s_or_b32 s21, vcc_lo, s21
	s_andn2_b32 exec_lo, exec_lo, s21
	s_cbranch_execnz .LBB37_422
; %bb.423:
	s_or_b32 exec_lo, exec_lo, s21
.LBB37_424:
	s_or_b32 exec_lo, exec_lo, s0
                                        ; implicit-def: $vgpr2
	s_mov_b32 s0, exec_lo
	v_cmpx_neq_f32_e32 0x41200000, v8
	s_xor_b32 s21, exec_lo, s0
	s_cbranch_execz .LBB37_428
; %bb.425:
	v_cvt_f64_f32_e32 v[2:3], v8
	s_mov_b32 s34, 0x85d8a000
	s_mov_b32 s35, 0x43763457
	v_cmp_gt_f64_e32 vcc_lo, s[34:35], v[2:3]
	v_mov_b32_e32 v2, 0
	s_and_saveexec_b32 s0, vcc_lo
	s_cbranch_execz .LBB37_427
; %bb.426:
	v_mul_f32_e32 v2, v8, v8
	v_div_scale_f32 v3, null, v2, v2, 1.0
	v_rcp_f32_e32 v4, v3
	v_fma_f32 v5, -v3, v4, 1.0
	v_fmac_f32_e32 v4, v5, v4
	v_div_scale_f32 v5, vcc_lo, 1.0, v2, 1.0
	v_mul_f32_e32 v6, v5, v4
	v_fma_f32 v9, -v3, v6, v5
	v_fmac_f32_e32 v6, v9, v4
	v_fma_f32 v3, -v3, v6, v5
	v_div_fmas_f32 v3, v3, v4, v6
	v_div_fixup_f32 v2, v3, v2, 1.0
	v_fmaak_f32 v3, 0, v2, 0x3daaaaab
	v_fmaak_f32 v3, v2, v3, 0xbcaccacd
	;; [unrolled: 1-line block ×7, first 2 shown]
	v_mul_f32_e32 v2, v2, v3
.LBB37_427:
	s_or_b32 exec_lo, exec_lo, s0
	v_cmp_gt_f32_e32 vcc_lo, 0x800000, v8
	v_div_scale_f32 v3, null, v8, v8, -0.5
	v_div_scale_f32 v9, s0, -0.5, v8, -0.5
	v_cndmask_b32_e64 v4, 0, 32, vcc_lo
	v_rcp_f32_e32 v5, v3
	v_ldexp_f32 v4, v8, v4
	v_log_f32_e32 v4, v4
	v_fma_f32 v6, -v3, v5, 1.0
	v_fmac_f32_e32 v5, v6, v5
	v_mul_f32_e32 v6, 0x3f317217, v4
	v_mul_f32_e32 v10, v9, v5
	v_fma_f32 v6, 0x3f317217, v4, -v6
	v_fma_f32 v11, -v3, v10, v9
	v_fmamk_f32 v6, v4, 0x3377d1cf, v6
	v_fmac_f32_e32 v10, v11, v5
	v_cndmask_b32_e64 v11, 0, 0x41b17218, vcc_lo
	v_cmp_gt_f32_e64 vcc_lo, 0x7f800000, |v4|
	v_fmac_f32_e32 v6, 0x3f317217, v4
	v_fma_f32 v3, -v3, v10, v9
	v_cndmask_b32_e32 v4, v4, v6, vcc_lo
	s_mov_b32 vcc_lo, s0
	v_div_fmas_f32 v3, v3, v5, v10
	v_sub_f32_e32 v4, v4, v11
	v_div_fixup_f32 v3, v3, v8, -0.5
	v_add_f32_e32 v3, v4, v3
	v_sub_f32_e32 v2, v3, v2
	v_add_f32_e32 v1, v1, v2
	v_bfe_u32 v2, v1, 16, 1
	v_cmp_o_f32_e32 vcc_lo, v1, v1
	v_add3_u32 v1, v1, v2, 0x7fff
	v_mov_b32_e32 v2, 0x7fc0
	v_cndmask_b32_sdwa v2, v2, v1, vcc_lo dst_sel:DWORD dst_unused:UNUSED_PAD src0_sel:DWORD src1_sel:WORD_1
                                        ; implicit-def: $vgpr1
.LBB37_428:
	s_andn2_saveexec_b32 s0, s21
; %bb.429:
	v_add_f32_e32 v1, 0x40101cb7, v1
	v_bfe_u32 v2, v1, 16, 1
	v_cmp_o_f32_e32 vcc_lo, v1, v1
	v_add3_u32 v1, v1, v2, 0x7fff
	v_mov_b32_e32 v2, 0x7fc0
	v_cndmask_b32_sdwa v2, v2, v1, vcc_lo dst_sel:DWORD dst_unused:UNUSED_PAD src0_sel:DWORD src1_sel:WORD_1
; %bb.430:
	s_or_b32 exec_lo, exec_lo, s0
.LBB37_431:
	s_or_b32 exec_lo, exec_lo, s1
                                        ; implicit-def: $vgpr8
.LBB37_432:
	s_andn2_saveexec_b32 s0, s20
; %bb.433:
	v_xor_b32_e32 v1, 0x80000000, v8
	s_mov_b32 s1, 0x7f800000
	v_and_or_b32 v1, 0x80000000, v1, s1
	v_lshrrev_b32_e32 v2, 16, v1
; %bb.434:
	s_or_b32 exec_lo, exec_lo, s0
	v_add_nc_u32_e32 v7, 0x80, v7
	global_store_short v0, v2, s[4:5]
	s_or_b32 exec_lo, exec_lo, s30
	s_mov_b32 s30, exec_lo
	v_cmpx_gt_i32_e64 s27, v7
	s_cbranch_execnz .LBB37_396
.LBB37_435:
	s_or_b32 exec_lo, exec_lo, s30
	s_mov_b32 s30, exec_lo
	v_cmpx_gt_i32_e64 s27, v7
	s_cbranch_execz .LBB37_475
.LBB37_436:
	s_andn2_b32 vcc_lo, exec_lo, s24
	s_cbranch_vccnz .LBB37_441
; %bb.437:
	s_andn2_b32 vcc_lo, exec_lo, s29
	s_cbranch_vccnz .LBB37_442
; %bb.438:
	s_add_i32 s33, s28, 1
	s_cmp_eq_u32 s23, 2
	s_cbranch_scc1 .LBB37_483
; %bb.439:
	v_mov_b32_e32 v2, 0
	v_mov_b32_e32 v0, 0
	;; [unrolled: 1-line block ×3, first 2 shown]
	s_and_b32 s31, s33, 28
	s_mov_b32 s34, 0
	s_mov_b64 s[0:1], s[2:3]
	s_mov_b64 s[20:21], s[18:19]
.LBB37_440:                             ; =>This Inner Loop Header: Depth=1
	s_clause 0x1
	s_load_dwordx8 s[36:43], s[0:1], 0x4
	s_load_dwordx4 s[52:55], s[0:1], 0x24
	s_load_dwordx8 s[44:51], s[20:21], 0x0
	s_add_u32 s0, s0, 48
	s_addc_u32 s1, s1, 0
	s_add_i32 s34, s34, 4
	s_add_u32 s20, s20, 32
	s_addc_u32 s21, s21, 0
	s_cmp_eq_u32 s31, s34
	s_waitcnt lgkmcnt(0)
	v_mul_hi_u32 v3, s37, v1
	v_add_nc_u32_e32 v3, v1, v3
	v_lshrrev_b32_e32 v3, s38, v3
	v_mul_hi_u32 v4, s40, v3
	v_mul_lo_u32 v6, v3, s36
	v_add_nc_u32_e32 v4, v3, v4
	v_sub_nc_u32_e32 v1, v1, v6
	v_lshrrev_b32_e32 v4, s41, v4
	v_mul_lo_u32 v6, v1, s44
	v_mul_lo_u32 v9, v1, s45
	v_mul_hi_u32 v5, s43, v4
	v_add_nc_u32_e32 v5, v4, v5
	v_lshrrev_b32_e32 v5, s52, v5
	v_mul_hi_u32 v8, s54, v5
	v_mul_lo_u32 v10, v5, s42
	v_add_nc_u32_e32 v1, v5, v8
	v_mul_lo_u32 v8, v4, s39
	v_sub_nc_u32_e32 v4, v4, v10
	v_lshrrev_b32_e32 v1, s55, v1
	v_mul_lo_u32 v10, v4, s48
	v_mul_lo_u32 v4, v4, s49
	v_sub_nc_u32_e32 v3, v3, v8
	v_mul_lo_u32 v11, v1, s53
	v_mul_lo_u32 v8, v3, s46
	;; [unrolled: 1-line block ×3, first 2 shown]
	v_sub_nc_u32_e32 v5, v5, v11
	v_add3_u32 v0, v6, v0, v8
	v_mul_lo_u32 v11, v5, s50
	v_mul_lo_u32 v5, v5, s51
	v_add3_u32 v2, v9, v2, v3
	v_add3_u32 v0, v10, v0, v11
	;; [unrolled: 1-line block ×3, first 2 shown]
	s_cbranch_scc0 .LBB37_440
	s_branch .LBB37_484
.LBB37_441:
                                        ; implicit-def: $vgpr0
                                        ; implicit-def: $vgpr2
	s_branch .LBB37_488
.LBB37_442:
	v_mov_b32_e32 v0, 0
	v_mov_b32_e32 v2, 0
	s_branch .LBB37_487
.LBB37_443:
	v_mov_b32_e32 v0, 0
	v_mov_b32_e32 v2, 0
	;; [unrolled: 1-line block ×3, first 2 shown]
	s_mov_b32 s31, 0
.LBB37_444:
	s_and_b32 s33, s33, 3
	s_cmp_eq_u32 s33, 0
	s_cbranch_scc1 .LBB37_447
; %bb.445:
	s_lshl_b32 s0, s31, 3
	s_mul_i32 s20, s31, 12
	s_add_u32 s0, s2, s0
	s_addc_u32 s1, s3, 0
	s_add_u32 s0, s0, 0xc4
	s_addc_u32 s1, s1, 0
	;; [unrolled: 2-line block ×3, first 2 shown]
	.p2align	6
.LBB37_446:                             ; =>This Inner Loop Header: Depth=1
	s_clause 0x1
	s_load_dwordx2 s[34:35], s[20:21], 0x4
	s_load_dword s31, s[20:21], 0xc
	s_load_dwordx2 s[36:37], s[0:1], 0x0
	s_add_u32 s20, s20, 12
	s_addc_u32 s21, s21, 0
	s_add_u32 s0, s0, 8
	s_addc_u32 s1, s1, 0
	s_add_i32 s33, s33, -1
	s_cmp_lg_u32 s33, 0
	s_waitcnt lgkmcnt(0)
	v_mul_hi_u32 v3, s35, v1
	v_add_nc_u32_e32 v3, v1, v3
	v_lshrrev_b32_e32 v4, s31, v3
	v_mul_lo_u32 v3, v4, s34
	v_sub_nc_u32_e32 v3, v1, v3
	v_mad_u64_u32 v[0:1], null, v3, s36, v[0:1]
	v_mad_u64_u32 v[2:3], null, v3, s37, v[2:3]
	v_mov_b32_e32 v1, v4
	s_cbranch_scc1 .LBB37_446
.LBB37_447:
	s_cbranch_execnz .LBB37_450
.LBB37_448:
	s_waitcnt lgkmcnt(0)
	v_mul_hi_u32 v0, s13, v7
	s_andn2_b32 vcc_lo, exec_lo, s26
	v_add_nc_u32_e32 v0, v7, v0
	v_lshrrev_b32_e32 v1, s14, v0
	v_mul_lo_u32 v0, v1, s12
	v_sub_nc_u32_e32 v2, v7, v0
	v_mul_lo_u32 v0, v2, s8
	v_mul_lo_u32 v2, v2, s9
	s_cbranch_vccnz .LBB37_450
; %bb.449:
	v_mul_hi_u32 v3, s16, v1
	v_add_nc_u32_e32 v3, v1, v3
	v_lshrrev_b32_e32 v3, s17, v3
	v_mul_lo_u32 v3, v3, s15
	v_sub_nc_u32_e32 v3, v1, v3
	v_mad_u64_u32 v[0:1], null, v3, s10, v[0:1]
	v_mad_u64_u32 v[2:3], null, v3, s11, v[2:3]
.LBB37_450:
	s_waitcnt lgkmcnt(0)
	global_load_ushort v1, v2, s[6:7]
                                        ; implicit-def: $vgpr2
	s_mov_b32 s0, exec_lo
	s_waitcnt vmcnt(0)
	v_lshlrev_b32_e32 v8, 16, v1
	v_cmpx_neq_f32_e32 0, v8
	s_xor_b32 s20, exec_lo, s0
	s_cbranch_execz .LBB37_472
; %bb.451:
	v_mov_b32_e32 v1, 0
	s_mov_b32 s0, -1
	s_mov_b32 s21, exec_lo
	v_cmpx_gt_f32_e32 0, v8
	s_cbranch_execz .LBB37_459
; %bb.452:
	v_trunc_f32_e32 v1, v8
	s_mov_b32 s1, 0
	v_cmp_neq_f32_e32 vcc_lo, v1, v8
	v_mov_b32_e32 v1, 0
	s_and_saveexec_b32 s31, vcc_lo
	s_cbranch_execz .LBB37_458
; %bb.453:
	v_cvt_f64_f32_e32 v[1:2], v8
	s_mov_b32 s1, 0xc00921fb
	s_mov_b32 s0, 0x54442d18
	s_mov_b32 s33, exec_lo
                                        ; implicit-def: $vgpr9
                                        ; implicit-def: $vgpr5_vgpr6
	v_trunc_f64_e32 v[3:4], v[1:2]
	v_cmp_neq_f64_e64 vcc_lo, 0x7ff00000, |v[1:2]|
	v_add_f64 v[3:4], v[1:2], -v[3:4]
	v_mul_f64 v[3:4], |v[3:4]|, s[0:1]
	v_cndmask_b32_e32 v2, 0x80000000, v4, vcc_lo
	v_cndmask_b32_e32 v1, 0, v3, vcc_lo
                                        ; implicit-def: $vgpr3_vgpr4
	v_cmpx_ngt_f64_e64 0x41d00000, |v[1:2]|
	s_xor_b32 s33, exec_lo, s33
	s_cbranch_execz .LBB37_455
; %bb.454:
	v_ldexp_f64 v[3:4], |v[1:2]|, 0xffffff80
	v_cmp_le_f64_e64 vcc_lo, 0x7b000000, |v[1:2]|
	v_trig_preop_f64 v[5:6], |v[1:2]|, 0
	v_and_b32_e32 v9, 0x7fffffff, v2
	v_trig_preop_f64 v[19:20], |v[1:2]|, 2
	v_mov_b32_e32 v27, 0
	s_mov_b32 s1, 0x3ff921fb
	s_mov_b32 s34, 0x33145c07
	;; [unrolled: 1-line block ×3, first 2 shown]
	v_cndmask_b32_e32 v4, v9, v4, vcc_lo
	v_cndmask_b32_e32 v3, v1, v3, vcc_lo
	v_trig_preop_f64 v[9:10], |v[1:2]|, 1
	v_mul_f64 v[11:12], v[5:6], v[3:4]
	v_mul_f64 v[25:26], v[19:20], v[3:4]
	;; [unrolled: 1-line block ×3, first 2 shown]
	v_fma_f64 v[5:6], v[5:6], v[3:4], -v[11:12]
	v_fma_f64 v[9:10], v[9:10], v[3:4], -v[13:14]
	;; [unrolled: 1-line block ×3, first 2 shown]
	v_add_f64 v[15:16], v[13:14], v[5:6]
	v_add_f64 v[17:18], v[15:16], -v[13:14]
	v_add_f64 v[23:24], v[11:12], v[15:16]
	v_add_f64 v[21:22], v[15:16], -v[17:18]
	v_add_f64 v[5:6], v[5:6], -v[17:18]
	v_ldexp_f64 v[17:18], v[23:24], -2
	v_add_f64 v[11:12], v[23:24], -v[11:12]
	v_add_f64 v[13:14], v[13:14], -v[21:22]
	v_add_f64 v[21:22], v[25:26], v[9:10]
	v_cmp_neq_f64_e64 vcc_lo, 0x7ff00000, |v[17:18]|
	v_add_f64 v[11:12], v[15:16], -v[11:12]
	v_add_f64 v[5:6], v[5:6], v[13:14]
	v_fract_f64_e32 v[13:14], v[17:18]
	v_add_f64 v[15:16], v[21:22], v[5:6]
	v_ldexp_f64 v[13:14], v[13:14], 2
	v_add_f64 v[17:18], v[11:12], v[15:16]
	v_cndmask_b32_e32 v14, 0, v14, vcc_lo
	v_cndmask_b32_e32 v13, 0, v13, vcc_lo
	v_add_f64 v[23:24], v[17:18], v[13:14]
	v_add_f64 v[11:12], v[17:18], -v[11:12]
	v_cmp_gt_f64_e32 vcc_lo, 0, v[23:24]
	v_add_f64 v[23:24], v[21:22], -v[25:26]
	v_cndmask_b32_e64 v28, 0, 0x40100000, vcc_lo
	v_add_f64 v[32:33], v[21:22], -v[23:24]
	v_add_f64 v[9:10], v[9:10], -v[23:24]
	v_add_f64 v[13:14], v[13:14], v[27:28]
	v_add_f64 v[28:29], v[15:16], -v[21:22]
	v_add_f64 v[23:24], v[25:26], -v[32:33]
	v_add_f64 v[30:31], v[17:18], v[13:14]
	;; [unrolled: 3-line block ×3, first 2 shown]
	v_cvt_i32_f64_e32 v30, v[30:31]
	v_add_f64 v[21:22], v[21:22], -v[34:35]
	v_cvt_f64_i32_e32 v[28:29], v30
	v_add_f64 v[5:6], v[5:6], v[21:22]
	v_add_f64 v[13:14], v[13:14], -v[28:29]
	v_add_f64 v[5:6], v[9:10], v[5:6]
	v_add_f64 v[9:10], v[15:16], -v[11:12]
	v_add_f64 v[19:20], v[17:18], v[13:14]
	v_add_f64 v[3:4], v[3:4], v[5:6]
	v_add_f64 v[5:6], v[19:20], -v[13:14]
	v_cmp_le_f64_e32 vcc_lo, 0.5, v[19:20]
	v_add_f64 v[3:4], v[9:10], v[3:4]
	v_add_f64 v[5:6], v[17:18], -v[5:6]
	v_cndmask_b32_e64 v28, 0, 0x3ff00000, vcc_lo
	v_add_co_ci_u32_e64 v9, null, 0, v30, vcc_lo
	v_add_f64 v[3:4], v[3:4], v[5:6]
	v_add_f64 v[5:6], v[19:20], -v[27:28]
	v_add_f64 v[10:11], v[5:6], v[3:4]
	v_mul_f64 v[12:13], v[10:11], s[0:1]
	v_add_f64 v[5:6], v[10:11], -v[5:6]
	v_fma_f64 v[14:15], v[10:11], s[0:1], -v[12:13]
	v_add_f64 v[3:4], v[3:4], -v[5:6]
	v_fma_f64 v[5:6], v[10:11], s[34:35], v[14:15]
	v_fma_f64 v[5:6], v[3:4], s[0:1], v[5:6]
	v_add_f64 v[3:4], v[12:13], v[5:6]
	v_add_f64 v[10:11], v[3:4], -v[12:13]
	v_add_f64 v[5:6], v[5:6], -v[10:11]
.LBB37_455:
	s_andn2_saveexec_b32 s0, s33
	s_cbranch_execz .LBB37_457
; %bb.456:
	s_mov_b32 s34, 0x6dc9c883
	s_mov_b32 s35, 0x3fe45f30
	;; [unrolled: 1-line block ×3, first 2 shown]
	v_mul_f64 v[3:4], |v[1:2]|, s[34:35]
	s_mov_b32 s34, 0x54442d18
	s_mov_b32 s35, 0xbff921fb
	;; [unrolled: 1-line block ×3, first 2 shown]
	v_rndne_f64_e32 v[9:10], v[3:4]
	v_fma_f64 v[3:4], v[9:10], s[34:35], |v[1:2]|
	v_mul_f64 v[5:6], v[9:10], s[36:37]
	s_mov_b32 s34, 0x252049c0
	s_mov_b32 s35, 0xb97b839a
	v_fma_f64 v[13:14], v[9:10], s[36:37], v[3:4]
	v_add_f64 v[11:12], v[3:4], v[5:6]
	s_mov_b32 s37, 0x3c91a626
	v_add_f64 v[3:4], v[3:4], -v[11:12]
	v_add_f64 v[11:12], v[11:12], -v[13:14]
	v_add_f64 v[3:4], v[3:4], v[5:6]
	v_fma_f64 v[5:6], v[9:10], s[36:37], v[5:6]
	v_add_f64 v[3:4], v[11:12], v[3:4]
	v_add_f64 v[3:4], v[3:4], -v[5:6]
	v_fma_f64 v[5:6], v[9:10], s[34:35], v[3:4]
	v_cvt_i32_f64_e32 v9, v[9:10]
	v_add_f64 v[3:4], v[13:14], v[5:6]
	v_add_f64 v[11:12], v[3:4], -v[13:14]
	v_add_f64 v[5:6], v[5:6], -v[11:12]
.LBB37_457:
	s_or_b32 exec_lo, exec_lo, s0
	v_mul_f64 v[10:11], v[3:4], v[3:4]
	v_add_f64 v[12:13], v[5:6], v[5:6]
	s_mov_b32 s34, 0xa9a29f71
	s_mov_b32 s36, 0xc751c08c
	s_mov_b32 s35, 0xbf078809
	s_mov_b32 s37, 0x3ef5e089
	v_cmp_class_f64_e64 s0, v[1:2], 0x1f8
	v_and_b32_e32 v9, 1, v9
	v_and_b32_e32 v2, 0x80000000, v2
	v_sub_f32_e32 v8, 1.0, v8
	s_mov_b32 s1, exec_lo
	v_cmp_eq_u32_e32 vcc_lo, 0, v9
	v_fma_f64 v[14:15], v[3:4], v[3:4], -v[10:11]
	v_fma_f64 v[12:13], v[3:4], v[12:13], v[14:15]
	v_add_f64 v[10:11], v[10:11], v[12:13]
	v_fma_f64 v[12:13], v[10:11], s[36:37], s[34:35]
	s_mov_b32 s34, 0x90a8aae0
	s_mov_b32 s35, 0x3f17746f
	v_fma_f64 v[12:13], v[10:11], v[12:13], s[34:35]
	s_mov_b32 s34, 0xa6fbf144
	s_mov_b32 s35, 0xbefbb44d
	;; [unrolled: 3-line block ×13, first 2 shown]
	v_mul_f64 v[10:11], v[10:11], v[12:13]
	v_mul_f64 v[12:13], v[3:4], v[10:11]
	v_add_f64 v[14:15], v[3:4], v[12:13]
	v_fma_f64 v[10:11], v[3:4], v[10:11], -v[12:13]
	v_add_f64 v[3:4], v[14:15], -v[3:4]
	v_add_f64 v[5:6], v[5:6], v[10:11]
	v_add_f64 v[3:4], v[12:13], -v[3:4]
	v_add_f64 v[3:4], v[5:6], v[3:4]
	v_add_f64 v[5:6], v[14:15], v[3:4]
	v_rcp_f64_e32 v[10:11], v[5:6]
	v_fma_f64 v[12:13], -v[5:6], v[10:11], 1.0
	v_fma_f64 v[10:11], v[12:13], v[10:11], v[10:11]
	v_fma_f64 v[12:13], -v[5:6], v[10:11], 1.0
	v_fma_f64 v[10:11], v[12:13], v[10:11], v[10:11]
	v_add_f64 v[12:13], v[5:6], -v[14:15]
	v_mul_f64 v[14:15], v[5:6], v[10:11]
	v_add_f64 v[3:4], v[3:4], -v[12:13]
	v_fma_f64 v[12:13], v[10:11], v[5:6], -v[14:15]
	v_fma_f64 v[3:4], v[10:11], v[3:4], v[12:13]
	v_add_f64 v[12:13], v[14:15], v[3:4]
	v_add_f64 v[16:17], -v[12:13], 1.0
	v_add_f64 v[14:15], v[12:13], -v[14:15]
	v_add_f64 v[18:19], -v[16:17], 1.0
	v_add_f64 v[3:4], v[14:15], -v[3:4]
	v_add_f64 v[12:13], v[18:19], -v[12:13]
	v_add_f64 v[3:4], v[3:4], v[12:13]
	v_add_f64 v[3:4], v[16:17], v[3:4]
	v_mul_f64 v[3:4], v[10:11], v[3:4]
	v_add_f64 v[3:4], v[10:11], v[3:4]
	v_xor_b32_e32 v1, 0x80000000, v4
	v_cndmask_b32_e32 v3, v3, v5, vcc_lo
	v_cndmask_b32_e32 v1, v1, v6, vcc_lo
	v_xor_b32_e32 v2, v1, v2
	v_cndmask_b32_e64 v1, 0, v3, s0
	v_cndmask_b32_e64 v2, 0x7ff80000, v2, s0
	v_div_scale_f64 v[3:4], null, v[1:2], v[1:2], s[34:35]
	v_rcp_f64_e32 v[5:6], v[3:4]
	v_fma_f64 v[9:10], -v[3:4], v[5:6], 1.0
	v_fma_f64 v[5:6], v[5:6], v[9:10], v[5:6]
	v_fma_f64 v[9:10], -v[3:4], v[5:6], 1.0
	v_fma_f64 v[5:6], v[5:6], v[9:10], v[5:6]
	v_div_scale_f64 v[9:10], vcc_lo, s[34:35], v[1:2], s[34:35]
	v_mul_f64 v[11:12], v[9:10], v[5:6]
	v_fma_f64 v[3:4], -v[3:4], v[11:12], v[9:10]
	v_div_fmas_f64 v[3:4], v[3:4], v[5:6], v[11:12]
	v_div_fixup_f64 v[1:2], v[3:4], v[1:2], s[34:35]
	v_cvt_f32_f64_e32 v1, v[1:2]
.LBB37_458:
	s_or_b32 exec_lo, exec_lo, s31
	s_orn2_b32 s0, s1, exec_lo
.LBB37_459:
	s_or_b32 exec_lo, exec_lo, s21
	v_mov_b32_e32 v2, 0x7fc0
	s_and_saveexec_b32 s1, s0
	s_cbranch_execz .LBB37_471
; %bb.460:
	s_mov_b32 s0, exec_lo
	v_cmpx_gt_f32_e32 0x41200000, v8
	s_cbranch_execz .LBB37_464
; %bb.461:
	s_mov_b32 s21, 0
	.p2align	6
.LBB37_462:                             ; =>This Inner Loop Header: Depth=1
	v_div_scale_f32 v2, null, v8, v8, 1.0
	v_div_scale_f32 v5, vcc_lo, 1.0, v8, 1.0
	v_rcp_f32_e32 v3, v2
	v_fma_f32 v4, -v2, v3, 1.0
	v_fmac_f32_e32 v3, v4, v3
	v_mul_f32_e32 v4, v5, v3
	v_fma_f32 v6, -v2, v4, v5
	v_fmac_f32_e32 v4, v6, v3
	v_fma_f32 v2, -v2, v4, v5
	v_div_fmas_f32 v2, v2, v3, v4
	v_div_fixup_f32 v2, v2, v8, 1.0
	v_add_f32_e32 v8, 1.0, v8
	v_sub_f32_e32 v1, v1, v2
	v_cmp_ngt_f32_e32 vcc_lo, 0x41200000, v8
	s_or_b32 s21, vcc_lo, s21
	s_andn2_b32 exec_lo, exec_lo, s21
	s_cbranch_execnz .LBB37_462
; %bb.463:
	s_or_b32 exec_lo, exec_lo, s21
.LBB37_464:
	s_or_b32 exec_lo, exec_lo, s0
                                        ; implicit-def: $vgpr2
	s_mov_b32 s0, exec_lo
	v_cmpx_neq_f32_e32 0x41200000, v8
	s_xor_b32 s21, exec_lo, s0
	s_cbranch_execz .LBB37_468
; %bb.465:
	v_cvt_f64_f32_e32 v[2:3], v8
	s_mov_b32 s34, 0x85d8a000
	s_mov_b32 s35, 0x43763457
	v_cmp_gt_f64_e32 vcc_lo, s[34:35], v[2:3]
	v_mov_b32_e32 v2, 0
	s_and_saveexec_b32 s0, vcc_lo
	s_cbranch_execz .LBB37_467
; %bb.466:
	v_mul_f32_e32 v2, v8, v8
	v_div_scale_f32 v3, null, v2, v2, 1.0
	v_rcp_f32_e32 v4, v3
	v_fma_f32 v5, -v3, v4, 1.0
	v_fmac_f32_e32 v4, v5, v4
	v_div_scale_f32 v5, vcc_lo, 1.0, v2, 1.0
	v_mul_f32_e32 v6, v5, v4
	v_fma_f32 v9, -v3, v6, v5
	v_fmac_f32_e32 v6, v9, v4
	v_fma_f32 v3, -v3, v6, v5
	v_div_fmas_f32 v3, v3, v4, v6
	v_div_fixup_f32 v2, v3, v2, 1.0
	v_fmaak_f32 v3, 0, v2, 0x3daaaaab
	v_fmaak_f32 v3, v2, v3, 0xbcaccacd
	;; [unrolled: 1-line block ×7, first 2 shown]
	v_mul_f32_e32 v2, v2, v3
.LBB37_467:
	s_or_b32 exec_lo, exec_lo, s0
	v_cmp_gt_f32_e32 vcc_lo, 0x800000, v8
	v_div_scale_f32 v3, null, v8, v8, -0.5
	v_div_scale_f32 v9, s0, -0.5, v8, -0.5
	v_cndmask_b32_e64 v4, 0, 32, vcc_lo
	v_rcp_f32_e32 v5, v3
	v_ldexp_f32 v4, v8, v4
	v_log_f32_e32 v4, v4
	v_fma_f32 v6, -v3, v5, 1.0
	v_fmac_f32_e32 v5, v6, v5
	v_mul_f32_e32 v6, 0x3f317217, v4
	v_mul_f32_e32 v10, v9, v5
	v_fma_f32 v6, 0x3f317217, v4, -v6
	v_fma_f32 v11, -v3, v10, v9
	v_fmamk_f32 v6, v4, 0x3377d1cf, v6
	v_fmac_f32_e32 v10, v11, v5
	v_cndmask_b32_e64 v11, 0, 0x41b17218, vcc_lo
	v_cmp_gt_f32_e64 vcc_lo, 0x7f800000, |v4|
	v_fmac_f32_e32 v6, 0x3f317217, v4
	v_fma_f32 v3, -v3, v10, v9
	v_cndmask_b32_e32 v4, v4, v6, vcc_lo
	s_mov_b32 vcc_lo, s0
	v_div_fmas_f32 v3, v3, v5, v10
	v_sub_f32_e32 v4, v4, v11
	v_div_fixup_f32 v3, v3, v8, -0.5
	v_add_f32_e32 v3, v4, v3
	v_sub_f32_e32 v2, v3, v2
	v_add_f32_e32 v1, v1, v2
	v_bfe_u32 v2, v1, 16, 1
	v_cmp_o_f32_e32 vcc_lo, v1, v1
	v_add3_u32 v1, v1, v2, 0x7fff
	v_mov_b32_e32 v2, 0x7fc0
	v_cndmask_b32_sdwa v2, v2, v1, vcc_lo dst_sel:DWORD dst_unused:UNUSED_PAD src0_sel:DWORD src1_sel:WORD_1
                                        ; implicit-def: $vgpr1
.LBB37_468:
	s_andn2_saveexec_b32 s0, s21
; %bb.469:
	v_add_f32_e32 v1, 0x40101cb7, v1
	v_bfe_u32 v2, v1, 16, 1
	v_cmp_o_f32_e32 vcc_lo, v1, v1
	v_add3_u32 v1, v1, v2, 0x7fff
	v_mov_b32_e32 v2, 0x7fc0
	v_cndmask_b32_sdwa v2, v2, v1, vcc_lo dst_sel:DWORD dst_unused:UNUSED_PAD src0_sel:DWORD src1_sel:WORD_1
; %bb.470:
	s_or_b32 exec_lo, exec_lo, s0
.LBB37_471:
	s_or_b32 exec_lo, exec_lo, s1
                                        ; implicit-def: $vgpr8
.LBB37_472:
	s_andn2_saveexec_b32 s0, s20
; %bb.473:
	v_xor_b32_e32 v1, 0x80000000, v8
	s_mov_b32 s1, 0x7f800000
	v_and_or_b32 v1, 0x80000000, v1, s1
	v_lshrrev_b32_e32 v2, 16, v1
; %bb.474:
	s_or_b32 exec_lo, exec_lo, s0
	v_add_nc_u32_e32 v7, 0x80, v7
	global_store_short v0, v2, s[4:5]
	s_or_b32 exec_lo, exec_lo, s30
	s_mov_b32 s30, exec_lo
	v_cmpx_gt_i32_e64 s27, v7
	s_cbranch_execnz .LBB37_436
.LBB37_475:
	s_or_b32 exec_lo, exec_lo, s30
	s_mov_b32 s30, exec_lo
	v_cmpx_gt_i32_e64 s27, v7
	s_cbranch_execz .LBB37_515
.LBB37_476:
	s_andn2_b32 vcc_lo, exec_lo, s24
	s_cbranch_vccnz .LBB37_481
; %bb.477:
	s_andn2_b32 vcc_lo, exec_lo, s29
	s_cbranch_vccnz .LBB37_482
; %bb.478:
	s_add_i32 s33, s28, 1
	s_cmp_eq_u32 s23, 2
	s_cbranch_scc1 .LBB37_523
; %bb.479:
	v_mov_b32_e32 v2, 0
	v_mov_b32_e32 v0, 0
	;; [unrolled: 1-line block ×3, first 2 shown]
	s_and_b32 s31, s33, 28
	s_mov_b32 s34, 0
	s_mov_b64 s[0:1], s[2:3]
	s_mov_b64 s[20:21], s[18:19]
.LBB37_480:                             ; =>This Inner Loop Header: Depth=1
	s_clause 0x1
	s_load_dwordx8 s[36:43], s[0:1], 0x4
	s_load_dwordx4 s[52:55], s[0:1], 0x24
	s_load_dwordx8 s[44:51], s[20:21], 0x0
	s_add_u32 s0, s0, 48
	s_addc_u32 s1, s1, 0
	s_add_i32 s34, s34, 4
	s_add_u32 s20, s20, 32
	s_addc_u32 s21, s21, 0
	s_cmp_eq_u32 s31, s34
	s_waitcnt lgkmcnt(0)
	v_mul_hi_u32 v3, s37, v1
	v_add_nc_u32_e32 v3, v1, v3
	v_lshrrev_b32_e32 v3, s38, v3
	v_mul_hi_u32 v4, s40, v3
	v_mul_lo_u32 v6, v3, s36
	v_add_nc_u32_e32 v4, v3, v4
	v_sub_nc_u32_e32 v1, v1, v6
	v_lshrrev_b32_e32 v4, s41, v4
	v_mul_lo_u32 v6, v1, s44
	v_mul_lo_u32 v9, v1, s45
	v_mul_hi_u32 v5, s43, v4
	v_add_nc_u32_e32 v5, v4, v5
	v_lshrrev_b32_e32 v5, s52, v5
	v_mul_hi_u32 v8, s54, v5
	v_mul_lo_u32 v10, v5, s42
	v_add_nc_u32_e32 v1, v5, v8
	v_mul_lo_u32 v8, v4, s39
	v_sub_nc_u32_e32 v4, v4, v10
	v_lshrrev_b32_e32 v1, s55, v1
	v_mul_lo_u32 v10, v4, s48
	v_mul_lo_u32 v4, v4, s49
	v_sub_nc_u32_e32 v3, v3, v8
	v_mul_lo_u32 v11, v1, s53
	v_mul_lo_u32 v8, v3, s46
	;; [unrolled: 1-line block ×3, first 2 shown]
	v_sub_nc_u32_e32 v5, v5, v11
	v_add3_u32 v0, v6, v0, v8
	v_mul_lo_u32 v11, v5, s50
	v_mul_lo_u32 v5, v5, s51
	v_add3_u32 v2, v9, v2, v3
	v_add3_u32 v0, v10, v0, v11
	;; [unrolled: 1-line block ×3, first 2 shown]
	s_cbranch_scc0 .LBB37_480
	s_branch .LBB37_524
.LBB37_481:
                                        ; implicit-def: $vgpr0
                                        ; implicit-def: $vgpr2
	s_branch .LBB37_528
.LBB37_482:
	v_mov_b32_e32 v0, 0
	v_mov_b32_e32 v2, 0
	s_branch .LBB37_527
.LBB37_483:
	v_mov_b32_e32 v0, 0
	v_mov_b32_e32 v2, 0
	;; [unrolled: 1-line block ×3, first 2 shown]
	s_mov_b32 s31, 0
.LBB37_484:
	s_and_b32 s33, s33, 3
	s_cmp_eq_u32 s33, 0
	s_cbranch_scc1 .LBB37_487
; %bb.485:
	s_lshl_b32 s0, s31, 3
	s_mul_i32 s20, s31, 12
	s_add_u32 s0, s2, s0
	s_addc_u32 s1, s3, 0
	s_add_u32 s0, s0, 0xc4
	s_addc_u32 s1, s1, 0
	;; [unrolled: 2-line block ×3, first 2 shown]
	.p2align	6
.LBB37_486:                             ; =>This Inner Loop Header: Depth=1
	s_clause 0x1
	s_load_dwordx2 s[34:35], s[20:21], 0x4
	s_load_dword s31, s[20:21], 0xc
	s_load_dwordx2 s[36:37], s[0:1], 0x0
	s_add_u32 s20, s20, 12
	s_addc_u32 s21, s21, 0
	s_add_u32 s0, s0, 8
	s_addc_u32 s1, s1, 0
	s_add_i32 s33, s33, -1
	s_cmp_lg_u32 s33, 0
	s_waitcnt lgkmcnt(0)
	v_mul_hi_u32 v3, s35, v1
	v_add_nc_u32_e32 v3, v1, v3
	v_lshrrev_b32_e32 v4, s31, v3
	v_mul_lo_u32 v3, v4, s34
	v_sub_nc_u32_e32 v3, v1, v3
	v_mad_u64_u32 v[0:1], null, v3, s36, v[0:1]
	v_mad_u64_u32 v[2:3], null, v3, s37, v[2:3]
	v_mov_b32_e32 v1, v4
	s_cbranch_scc1 .LBB37_486
.LBB37_487:
	s_cbranch_execnz .LBB37_490
.LBB37_488:
	s_waitcnt lgkmcnt(0)
	v_mul_hi_u32 v0, s13, v7
	s_andn2_b32 vcc_lo, exec_lo, s26
	v_add_nc_u32_e32 v0, v7, v0
	v_lshrrev_b32_e32 v1, s14, v0
	v_mul_lo_u32 v0, v1, s12
	v_sub_nc_u32_e32 v2, v7, v0
	v_mul_lo_u32 v0, v2, s8
	v_mul_lo_u32 v2, v2, s9
	s_cbranch_vccnz .LBB37_490
; %bb.489:
	v_mul_hi_u32 v3, s16, v1
	v_add_nc_u32_e32 v3, v1, v3
	v_lshrrev_b32_e32 v3, s17, v3
	v_mul_lo_u32 v3, v3, s15
	v_sub_nc_u32_e32 v3, v1, v3
	v_mad_u64_u32 v[0:1], null, v3, s10, v[0:1]
	v_mad_u64_u32 v[2:3], null, v3, s11, v[2:3]
.LBB37_490:
	s_waitcnt lgkmcnt(0)
	global_load_ushort v1, v2, s[6:7]
                                        ; implicit-def: $vgpr2
	s_mov_b32 s0, exec_lo
	s_waitcnt vmcnt(0)
	v_lshlrev_b32_e32 v8, 16, v1
	v_cmpx_neq_f32_e32 0, v8
	s_xor_b32 s20, exec_lo, s0
	s_cbranch_execz .LBB37_512
; %bb.491:
	v_mov_b32_e32 v1, 0
	s_mov_b32 s0, -1
	s_mov_b32 s21, exec_lo
	v_cmpx_gt_f32_e32 0, v8
	s_cbranch_execz .LBB37_499
; %bb.492:
	v_trunc_f32_e32 v1, v8
	s_mov_b32 s1, 0
	v_cmp_neq_f32_e32 vcc_lo, v1, v8
	v_mov_b32_e32 v1, 0
	s_and_saveexec_b32 s31, vcc_lo
	s_cbranch_execz .LBB37_498
; %bb.493:
	v_cvt_f64_f32_e32 v[1:2], v8
	s_mov_b32 s1, 0xc00921fb
	s_mov_b32 s0, 0x54442d18
	s_mov_b32 s33, exec_lo
                                        ; implicit-def: $vgpr9
                                        ; implicit-def: $vgpr5_vgpr6
	v_trunc_f64_e32 v[3:4], v[1:2]
	v_cmp_neq_f64_e64 vcc_lo, 0x7ff00000, |v[1:2]|
	v_add_f64 v[3:4], v[1:2], -v[3:4]
	v_mul_f64 v[3:4], |v[3:4]|, s[0:1]
	v_cndmask_b32_e32 v2, 0x80000000, v4, vcc_lo
	v_cndmask_b32_e32 v1, 0, v3, vcc_lo
                                        ; implicit-def: $vgpr3_vgpr4
	v_cmpx_ngt_f64_e64 0x41d00000, |v[1:2]|
	s_xor_b32 s33, exec_lo, s33
	s_cbranch_execz .LBB37_495
; %bb.494:
	v_ldexp_f64 v[3:4], |v[1:2]|, 0xffffff80
	v_cmp_le_f64_e64 vcc_lo, 0x7b000000, |v[1:2]|
	v_trig_preop_f64 v[5:6], |v[1:2]|, 0
	v_and_b32_e32 v9, 0x7fffffff, v2
	v_trig_preop_f64 v[19:20], |v[1:2]|, 2
	v_mov_b32_e32 v27, 0
	s_mov_b32 s1, 0x3ff921fb
	s_mov_b32 s34, 0x33145c07
	;; [unrolled: 1-line block ×3, first 2 shown]
	v_cndmask_b32_e32 v4, v9, v4, vcc_lo
	v_cndmask_b32_e32 v3, v1, v3, vcc_lo
	v_trig_preop_f64 v[9:10], |v[1:2]|, 1
	v_mul_f64 v[11:12], v[5:6], v[3:4]
	v_mul_f64 v[25:26], v[19:20], v[3:4]
	;; [unrolled: 1-line block ×3, first 2 shown]
	v_fma_f64 v[5:6], v[5:6], v[3:4], -v[11:12]
	v_fma_f64 v[9:10], v[9:10], v[3:4], -v[13:14]
	;; [unrolled: 1-line block ×3, first 2 shown]
	v_add_f64 v[15:16], v[13:14], v[5:6]
	v_add_f64 v[17:18], v[15:16], -v[13:14]
	v_add_f64 v[23:24], v[11:12], v[15:16]
	v_add_f64 v[21:22], v[15:16], -v[17:18]
	v_add_f64 v[5:6], v[5:6], -v[17:18]
	v_ldexp_f64 v[17:18], v[23:24], -2
	v_add_f64 v[11:12], v[23:24], -v[11:12]
	v_add_f64 v[13:14], v[13:14], -v[21:22]
	v_add_f64 v[21:22], v[25:26], v[9:10]
	v_cmp_neq_f64_e64 vcc_lo, 0x7ff00000, |v[17:18]|
	v_add_f64 v[11:12], v[15:16], -v[11:12]
	v_add_f64 v[5:6], v[5:6], v[13:14]
	v_fract_f64_e32 v[13:14], v[17:18]
	v_add_f64 v[15:16], v[21:22], v[5:6]
	v_ldexp_f64 v[13:14], v[13:14], 2
	v_add_f64 v[17:18], v[11:12], v[15:16]
	v_cndmask_b32_e32 v14, 0, v14, vcc_lo
	v_cndmask_b32_e32 v13, 0, v13, vcc_lo
	v_add_f64 v[23:24], v[17:18], v[13:14]
	v_add_f64 v[11:12], v[17:18], -v[11:12]
	v_cmp_gt_f64_e32 vcc_lo, 0, v[23:24]
	v_add_f64 v[23:24], v[21:22], -v[25:26]
	v_cndmask_b32_e64 v28, 0, 0x40100000, vcc_lo
	v_add_f64 v[32:33], v[21:22], -v[23:24]
	v_add_f64 v[9:10], v[9:10], -v[23:24]
	v_add_f64 v[13:14], v[13:14], v[27:28]
	v_add_f64 v[28:29], v[15:16], -v[21:22]
	v_add_f64 v[23:24], v[25:26], -v[32:33]
	v_add_f64 v[30:31], v[17:18], v[13:14]
	;; [unrolled: 3-line block ×3, first 2 shown]
	v_cvt_i32_f64_e32 v30, v[30:31]
	v_add_f64 v[21:22], v[21:22], -v[34:35]
	v_cvt_f64_i32_e32 v[28:29], v30
	v_add_f64 v[5:6], v[5:6], v[21:22]
	v_add_f64 v[13:14], v[13:14], -v[28:29]
	v_add_f64 v[5:6], v[9:10], v[5:6]
	v_add_f64 v[9:10], v[15:16], -v[11:12]
	v_add_f64 v[19:20], v[17:18], v[13:14]
	v_add_f64 v[3:4], v[3:4], v[5:6]
	v_add_f64 v[5:6], v[19:20], -v[13:14]
	v_cmp_le_f64_e32 vcc_lo, 0.5, v[19:20]
	v_add_f64 v[3:4], v[9:10], v[3:4]
	v_add_f64 v[5:6], v[17:18], -v[5:6]
	v_cndmask_b32_e64 v28, 0, 0x3ff00000, vcc_lo
	v_add_co_ci_u32_e64 v9, null, 0, v30, vcc_lo
	v_add_f64 v[3:4], v[3:4], v[5:6]
	v_add_f64 v[5:6], v[19:20], -v[27:28]
	v_add_f64 v[10:11], v[5:6], v[3:4]
	v_mul_f64 v[12:13], v[10:11], s[0:1]
	v_add_f64 v[5:6], v[10:11], -v[5:6]
	v_fma_f64 v[14:15], v[10:11], s[0:1], -v[12:13]
	v_add_f64 v[3:4], v[3:4], -v[5:6]
	v_fma_f64 v[5:6], v[10:11], s[34:35], v[14:15]
	v_fma_f64 v[5:6], v[3:4], s[0:1], v[5:6]
	v_add_f64 v[3:4], v[12:13], v[5:6]
	v_add_f64 v[10:11], v[3:4], -v[12:13]
	v_add_f64 v[5:6], v[5:6], -v[10:11]
.LBB37_495:
	s_andn2_saveexec_b32 s0, s33
	s_cbranch_execz .LBB37_497
; %bb.496:
	s_mov_b32 s34, 0x6dc9c883
	s_mov_b32 s35, 0x3fe45f30
	;; [unrolled: 1-line block ×3, first 2 shown]
	v_mul_f64 v[3:4], |v[1:2]|, s[34:35]
	s_mov_b32 s34, 0x54442d18
	s_mov_b32 s35, 0xbff921fb
	;; [unrolled: 1-line block ×3, first 2 shown]
	v_rndne_f64_e32 v[9:10], v[3:4]
	v_fma_f64 v[3:4], v[9:10], s[34:35], |v[1:2]|
	v_mul_f64 v[5:6], v[9:10], s[36:37]
	s_mov_b32 s34, 0x252049c0
	s_mov_b32 s35, 0xb97b839a
	v_fma_f64 v[13:14], v[9:10], s[36:37], v[3:4]
	v_add_f64 v[11:12], v[3:4], v[5:6]
	s_mov_b32 s37, 0x3c91a626
	v_add_f64 v[3:4], v[3:4], -v[11:12]
	v_add_f64 v[11:12], v[11:12], -v[13:14]
	v_add_f64 v[3:4], v[3:4], v[5:6]
	v_fma_f64 v[5:6], v[9:10], s[36:37], v[5:6]
	v_add_f64 v[3:4], v[11:12], v[3:4]
	v_add_f64 v[3:4], v[3:4], -v[5:6]
	v_fma_f64 v[5:6], v[9:10], s[34:35], v[3:4]
	v_cvt_i32_f64_e32 v9, v[9:10]
	v_add_f64 v[3:4], v[13:14], v[5:6]
	v_add_f64 v[11:12], v[3:4], -v[13:14]
	v_add_f64 v[5:6], v[5:6], -v[11:12]
.LBB37_497:
	s_or_b32 exec_lo, exec_lo, s0
	v_mul_f64 v[10:11], v[3:4], v[3:4]
	v_add_f64 v[12:13], v[5:6], v[5:6]
	s_mov_b32 s34, 0xa9a29f71
	s_mov_b32 s36, 0xc751c08c
	;; [unrolled: 1-line block ×4, first 2 shown]
	v_cmp_class_f64_e64 s0, v[1:2], 0x1f8
	v_and_b32_e32 v9, 1, v9
	v_and_b32_e32 v2, 0x80000000, v2
	v_sub_f32_e32 v8, 1.0, v8
	s_mov_b32 s1, exec_lo
	v_cmp_eq_u32_e32 vcc_lo, 0, v9
	v_fma_f64 v[14:15], v[3:4], v[3:4], -v[10:11]
	v_fma_f64 v[12:13], v[3:4], v[12:13], v[14:15]
	v_add_f64 v[10:11], v[10:11], v[12:13]
	v_fma_f64 v[12:13], v[10:11], s[36:37], s[34:35]
	s_mov_b32 s34, 0x90a8aae0
	s_mov_b32 s35, 0x3f17746f
	v_fma_f64 v[12:13], v[10:11], v[12:13], s[34:35]
	s_mov_b32 s34, 0xa6fbf144
	s_mov_b32 s35, 0xbefbb44d
	;; [unrolled: 3-line block ×13, first 2 shown]
	v_mul_f64 v[10:11], v[10:11], v[12:13]
	v_mul_f64 v[12:13], v[3:4], v[10:11]
	v_add_f64 v[14:15], v[3:4], v[12:13]
	v_fma_f64 v[10:11], v[3:4], v[10:11], -v[12:13]
	v_add_f64 v[3:4], v[14:15], -v[3:4]
	v_add_f64 v[5:6], v[5:6], v[10:11]
	v_add_f64 v[3:4], v[12:13], -v[3:4]
	v_add_f64 v[3:4], v[5:6], v[3:4]
	v_add_f64 v[5:6], v[14:15], v[3:4]
	v_rcp_f64_e32 v[10:11], v[5:6]
	v_fma_f64 v[12:13], -v[5:6], v[10:11], 1.0
	v_fma_f64 v[10:11], v[12:13], v[10:11], v[10:11]
	v_fma_f64 v[12:13], -v[5:6], v[10:11], 1.0
	v_fma_f64 v[10:11], v[12:13], v[10:11], v[10:11]
	v_add_f64 v[12:13], v[5:6], -v[14:15]
	v_mul_f64 v[14:15], v[5:6], v[10:11]
	v_add_f64 v[3:4], v[3:4], -v[12:13]
	v_fma_f64 v[12:13], v[10:11], v[5:6], -v[14:15]
	v_fma_f64 v[3:4], v[10:11], v[3:4], v[12:13]
	v_add_f64 v[12:13], v[14:15], v[3:4]
	v_add_f64 v[16:17], -v[12:13], 1.0
	v_add_f64 v[14:15], v[12:13], -v[14:15]
	v_add_f64 v[18:19], -v[16:17], 1.0
	v_add_f64 v[3:4], v[14:15], -v[3:4]
	v_add_f64 v[12:13], v[18:19], -v[12:13]
	v_add_f64 v[3:4], v[3:4], v[12:13]
	v_add_f64 v[3:4], v[16:17], v[3:4]
	v_mul_f64 v[3:4], v[10:11], v[3:4]
	v_add_f64 v[3:4], v[10:11], v[3:4]
	v_xor_b32_e32 v1, 0x80000000, v4
	v_cndmask_b32_e32 v3, v3, v5, vcc_lo
	v_cndmask_b32_e32 v1, v1, v6, vcc_lo
	v_xor_b32_e32 v2, v1, v2
	v_cndmask_b32_e64 v1, 0, v3, s0
	v_cndmask_b32_e64 v2, 0x7ff80000, v2, s0
	v_div_scale_f64 v[3:4], null, v[1:2], v[1:2], s[34:35]
	v_rcp_f64_e32 v[5:6], v[3:4]
	v_fma_f64 v[9:10], -v[3:4], v[5:6], 1.0
	v_fma_f64 v[5:6], v[5:6], v[9:10], v[5:6]
	v_fma_f64 v[9:10], -v[3:4], v[5:6], 1.0
	v_fma_f64 v[5:6], v[5:6], v[9:10], v[5:6]
	v_div_scale_f64 v[9:10], vcc_lo, s[34:35], v[1:2], s[34:35]
	v_mul_f64 v[11:12], v[9:10], v[5:6]
	v_fma_f64 v[3:4], -v[3:4], v[11:12], v[9:10]
	v_div_fmas_f64 v[3:4], v[3:4], v[5:6], v[11:12]
	v_div_fixup_f64 v[1:2], v[3:4], v[1:2], s[34:35]
	v_cvt_f32_f64_e32 v1, v[1:2]
.LBB37_498:
	s_or_b32 exec_lo, exec_lo, s31
	s_orn2_b32 s0, s1, exec_lo
.LBB37_499:
	s_or_b32 exec_lo, exec_lo, s21
	v_mov_b32_e32 v2, 0x7fc0
	s_and_saveexec_b32 s1, s0
	s_cbranch_execz .LBB37_511
; %bb.500:
	s_mov_b32 s0, exec_lo
	v_cmpx_gt_f32_e32 0x41200000, v8
	s_cbranch_execz .LBB37_504
; %bb.501:
	s_mov_b32 s21, 0
	.p2align	6
.LBB37_502:                             ; =>This Inner Loop Header: Depth=1
	v_div_scale_f32 v2, null, v8, v8, 1.0
	v_div_scale_f32 v5, vcc_lo, 1.0, v8, 1.0
	v_rcp_f32_e32 v3, v2
	v_fma_f32 v4, -v2, v3, 1.0
	v_fmac_f32_e32 v3, v4, v3
	v_mul_f32_e32 v4, v5, v3
	v_fma_f32 v6, -v2, v4, v5
	v_fmac_f32_e32 v4, v6, v3
	v_fma_f32 v2, -v2, v4, v5
	v_div_fmas_f32 v2, v2, v3, v4
	v_div_fixup_f32 v2, v2, v8, 1.0
	v_add_f32_e32 v8, 1.0, v8
	v_sub_f32_e32 v1, v1, v2
	v_cmp_ngt_f32_e32 vcc_lo, 0x41200000, v8
	s_or_b32 s21, vcc_lo, s21
	s_andn2_b32 exec_lo, exec_lo, s21
	s_cbranch_execnz .LBB37_502
; %bb.503:
	s_or_b32 exec_lo, exec_lo, s21
.LBB37_504:
	s_or_b32 exec_lo, exec_lo, s0
                                        ; implicit-def: $vgpr2
	s_mov_b32 s0, exec_lo
	v_cmpx_neq_f32_e32 0x41200000, v8
	s_xor_b32 s21, exec_lo, s0
	s_cbranch_execz .LBB37_508
; %bb.505:
	v_cvt_f64_f32_e32 v[2:3], v8
	s_mov_b32 s34, 0x85d8a000
	s_mov_b32 s35, 0x43763457
	v_cmp_gt_f64_e32 vcc_lo, s[34:35], v[2:3]
	v_mov_b32_e32 v2, 0
	s_and_saveexec_b32 s0, vcc_lo
	s_cbranch_execz .LBB37_507
; %bb.506:
	v_mul_f32_e32 v2, v8, v8
	v_div_scale_f32 v3, null, v2, v2, 1.0
	v_rcp_f32_e32 v4, v3
	v_fma_f32 v5, -v3, v4, 1.0
	v_fmac_f32_e32 v4, v5, v4
	v_div_scale_f32 v5, vcc_lo, 1.0, v2, 1.0
	v_mul_f32_e32 v6, v5, v4
	v_fma_f32 v9, -v3, v6, v5
	v_fmac_f32_e32 v6, v9, v4
	v_fma_f32 v3, -v3, v6, v5
	v_div_fmas_f32 v3, v3, v4, v6
	v_div_fixup_f32 v2, v3, v2, 1.0
	v_fmaak_f32 v3, 0, v2, 0x3daaaaab
	v_fmaak_f32 v3, v2, v3, 0xbcaccacd
	v_fmaak_f32 v3, v2, v3, 0x3bf83e10
	v_fmaak_f32 v3, v2, v3, 0xbb888889
	v_fmaak_f32 v3, v2, v3, 0x3b820821
	v_fmaak_f32 v3, v2, v3, 0xbc088889
	v_fmaak_f32 v3, v2, v3, 0x3daaaaab
	v_mul_f32_e32 v2, v2, v3
.LBB37_507:
	s_or_b32 exec_lo, exec_lo, s0
	v_cmp_gt_f32_e32 vcc_lo, 0x800000, v8
	v_div_scale_f32 v3, null, v8, v8, -0.5
	v_div_scale_f32 v9, s0, -0.5, v8, -0.5
	v_cndmask_b32_e64 v4, 0, 32, vcc_lo
	v_rcp_f32_e32 v5, v3
	v_ldexp_f32 v4, v8, v4
	v_log_f32_e32 v4, v4
	v_fma_f32 v6, -v3, v5, 1.0
	v_fmac_f32_e32 v5, v6, v5
	v_mul_f32_e32 v6, 0x3f317217, v4
	v_mul_f32_e32 v10, v9, v5
	v_fma_f32 v6, 0x3f317217, v4, -v6
	v_fma_f32 v11, -v3, v10, v9
	v_fmamk_f32 v6, v4, 0x3377d1cf, v6
	v_fmac_f32_e32 v10, v11, v5
	v_cndmask_b32_e64 v11, 0, 0x41b17218, vcc_lo
	v_cmp_gt_f32_e64 vcc_lo, 0x7f800000, |v4|
	v_fmac_f32_e32 v6, 0x3f317217, v4
	v_fma_f32 v3, -v3, v10, v9
	v_cndmask_b32_e32 v4, v4, v6, vcc_lo
	s_mov_b32 vcc_lo, s0
	v_div_fmas_f32 v3, v3, v5, v10
	v_sub_f32_e32 v4, v4, v11
	v_div_fixup_f32 v3, v3, v8, -0.5
	v_add_f32_e32 v3, v4, v3
	v_sub_f32_e32 v2, v3, v2
	v_add_f32_e32 v1, v1, v2
	v_bfe_u32 v2, v1, 16, 1
	v_cmp_o_f32_e32 vcc_lo, v1, v1
	v_add3_u32 v1, v1, v2, 0x7fff
	v_mov_b32_e32 v2, 0x7fc0
	v_cndmask_b32_sdwa v2, v2, v1, vcc_lo dst_sel:DWORD dst_unused:UNUSED_PAD src0_sel:DWORD src1_sel:WORD_1
                                        ; implicit-def: $vgpr1
.LBB37_508:
	s_andn2_saveexec_b32 s0, s21
; %bb.509:
	v_add_f32_e32 v1, 0x40101cb7, v1
	v_bfe_u32 v2, v1, 16, 1
	v_cmp_o_f32_e32 vcc_lo, v1, v1
	v_add3_u32 v1, v1, v2, 0x7fff
	v_mov_b32_e32 v2, 0x7fc0
	v_cndmask_b32_sdwa v2, v2, v1, vcc_lo dst_sel:DWORD dst_unused:UNUSED_PAD src0_sel:DWORD src1_sel:WORD_1
; %bb.510:
	s_or_b32 exec_lo, exec_lo, s0
.LBB37_511:
	s_or_b32 exec_lo, exec_lo, s1
                                        ; implicit-def: $vgpr8
.LBB37_512:
	s_andn2_saveexec_b32 s0, s20
; %bb.513:
	v_xor_b32_e32 v1, 0x80000000, v8
	s_mov_b32 s1, 0x7f800000
	v_and_or_b32 v1, 0x80000000, v1, s1
	v_lshrrev_b32_e32 v2, 16, v1
; %bb.514:
	s_or_b32 exec_lo, exec_lo, s0
	v_add_nc_u32_e32 v7, 0x80, v7
	global_store_short v0, v2, s[4:5]
	s_or_b32 exec_lo, exec_lo, s30
	s_mov_b32 s30, exec_lo
	v_cmpx_gt_i32_e64 s27, v7
	s_cbranch_execnz .LBB37_476
.LBB37_515:
	s_or_b32 exec_lo, exec_lo, s30
	s_mov_b32 s30, exec_lo
	v_cmpx_gt_i32_e64 s27, v7
	s_cbranch_execz .LBB37_555
.LBB37_516:
	s_andn2_b32 vcc_lo, exec_lo, s24
	s_cbranch_vccnz .LBB37_521
; %bb.517:
	s_andn2_b32 vcc_lo, exec_lo, s29
	s_cbranch_vccnz .LBB37_522
; %bb.518:
	s_add_i32 s33, s28, 1
	s_cmp_eq_u32 s23, 2
	s_cbranch_scc1 .LBB37_558
; %bb.519:
	v_mov_b32_e32 v2, 0
	v_mov_b32_e32 v0, 0
	;; [unrolled: 1-line block ×3, first 2 shown]
	s_and_b32 s31, s33, 28
	s_mov_b32 s34, 0
	s_mov_b64 s[0:1], s[2:3]
	s_mov_b64 s[20:21], s[18:19]
.LBB37_520:                             ; =>This Inner Loop Header: Depth=1
	s_clause 0x1
	s_load_dwordx8 s[36:43], s[0:1], 0x4
	s_load_dwordx4 s[52:55], s[0:1], 0x24
	s_load_dwordx8 s[44:51], s[20:21], 0x0
	s_add_u32 s0, s0, 48
	s_addc_u32 s1, s1, 0
	s_add_i32 s34, s34, 4
	s_add_u32 s20, s20, 32
	s_addc_u32 s21, s21, 0
	s_cmp_eq_u32 s31, s34
	s_waitcnt lgkmcnt(0)
	v_mul_hi_u32 v3, s37, v1
	v_add_nc_u32_e32 v3, v1, v3
	v_lshrrev_b32_e32 v3, s38, v3
	v_mul_hi_u32 v4, s40, v3
	v_mul_lo_u32 v6, v3, s36
	v_add_nc_u32_e32 v4, v3, v4
	v_sub_nc_u32_e32 v1, v1, v6
	v_lshrrev_b32_e32 v4, s41, v4
	v_mul_lo_u32 v6, v1, s44
	v_mul_lo_u32 v9, v1, s45
	v_mul_hi_u32 v5, s43, v4
	v_add_nc_u32_e32 v5, v4, v5
	v_lshrrev_b32_e32 v5, s52, v5
	v_mul_hi_u32 v8, s54, v5
	v_mul_lo_u32 v10, v5, s42
	v_add_nc_u32_e32 v1, v5, v8
	v_mul_lo_u32 v8, v4, s39
	v_sub_nc_u32_e32 v4, v4, v10
	v_lshrrev_b32_e32 v1, s55, v1
	v_mul_lo_u32 v10, v4, s48
	v_mul_lo_u32 v4, v4, s49
	v_sub_nc_u32_e32 v3, v3, v8
	v_mul_lo_u32 v11, v1, s53
	v_mul_lo_u32 v8, v3, s46
	;; [unrolled: 1-line block ×3, first 2 shown]
	v_sub_nc_u32_e32 v5, v5, v11
	v_add3_u32 v0, v6, v0, v8
	v_mul_lo_u32 v11, v5, s50
	v_mul_lo_u32 v5, v5, s51
	v_add3_u32 v2, v9, v2, v3
	v_add3_u32 v0, v10, v0, v11
	;; [unrolled: 1-line block ×3, first 2 shown]
	s_cbranch_scc0 .LBB37_520
	s_branch .LBB37_559
.LBB37_521:
                                        ; implicit-def: $vgpr0
                                        ; implicit-def: $vgpr2
	s_branch .LBB37_563
.LBB37_522:
	v_mov_b32_e32 v0, 0
	v_mov_b32_e32 v2, 0
	s_branch .LBB37_562
.LBB37_523:
	v_mov_b32_e32 v0, 0
	v_mov_b32_e32 v2, 0
	;; [unrolled: 1-line block ×3, first 2 shown]
	s_mov_b32 s31, 0
.LBB37_524:
	s_and_b32 s33, s33, 3
	s_cmp_eq_u32 s33, 0
	s_cbranch_scc1 .LBB37_527
; %bb.525:
	s_lshl_b32 s0, s31, 3
	s_mul_i32 s20, s31, 12
	s_add_u32 s0, s2, s0
	s_addc_u32 s1, s3, 0
	s_add_u32 s0, s0, 0xc4
	s_addc_u32 s1, s1, 0
	;; [unrolled: 2-line block ×3, first 2 shown]
	.p2align	6
.LBB37_526:                             ; =>This Inner Loop Header: Depth=1
	s_clause 0x1
	s_load_dwordx2 s[34:35], s[20:21], 0x4
	s_load_dword s31, s[20:21], 0xc
	s_load_dwordx2 s[36:37], s[0:1], 0x0
	s_add_u32 s20, s20, 12
	s_addc_u32 s21, s21, 0
	s_add_u32 s0, s0, 8
	s_addc_u32 s1, s1, 0
	s_add_i32 s33, s33, -1
	s_cmp_lg_u32 s33, 0
	s_waitcnt lgkmcnt(0)
	v_mul_hi_u32 v3, s35, v1
	v_add_nc_u32_e32 v3, v1, v3
	v_lshrrev_b32_e32 v4, s31, v3
	v_mul_lo_u32 v3, v4, s34
	v_sub_nc_u32_e32 v3, v1, v3
	v_mad_u64_u32 v[0:1], null, v3, s36, v[0:1]
	v_mad_u64_u32 v[2:3], null, v3, s37, v[2:3]
	v_mov_b32_e32 v1, v4
	s_cbranch_scc1 .LBB37_526
.LBB37_527:
	s_cbranch_execnz .LBB37_530
.LBB37_528:
	s_waitcnt lgkmcnt(0)
	v_mul_hi_u32 v0, s13, v7
	s_andn2_b32 vcc_lo, exec_lo, s26
	v_add_nc_u32_e32 v0, v7, v0
	v_lshrrev_b32_e32 v1, s14, v0
	v_mul_lo_u32 v0, v1, s12
	v_sub_nc_u32_e32 v2, v7, v0
	v_mul_lo_u32 v0, v2, s8
	v_mul_lo_u32 v2, v2, s9
	s_cbranch_vccnz .LBB37_530
; %bb.529:
	v_mul_hi_u32 v3, s16, v1
	v_add_nc_u32_e32 v3, v1, v3
	v_lshrrev_b32_e32 v3, s17, v3
	v_mul_lo_u32 v3, v3, s15
	v_sub_nc_u32_e32 v3, v1, v3
	v_mad_u64_u32 v[0:1], null, v3, s10, v[0:1]
	v_mad_u64_u32 v[2:3], null, v3, s11, v[2:3]
.LBB37_530:
	s_waitcnt lgkmcnt(0)
	global_load_ushort v1, v2, s[6:7]
                                        ; implicit-def: $vgpr2
	s_mov_b32 s0, exec_lo
	s_waitcnt vmcnt(0)
	v_lshlrev_b32_e32 v8, 16, v1
	v_cmpx_neq_f32_e32 0, v8
	s_xor_b32 s20, exec_lo, s0
	s_cbranch_execz .LBB37_552
; %bb.531:
	v_mov_b32_e32 v1, 0
	s_mov_b32 s0, -1
	s_mov_b32 s21, exec_lo
	v_cmpx_gt_f32_e32 0, v8
	s_cbranch_execz .LBB37_539
; %bb.532:
	v_trunc_f32_e32 v1, v8
	s_mov_b32 s1, 0
	v_cmp_neq_f32_e32 vcc_lo, v1, v8
	v_mov_b32_e32 v1, 0
	s_and_saveexec_b32 s31, vcc_lo
	s_cbranch_execz .LBB37_538
; %bb.533:
	v_cvt_f64_f32_e32 v[1:2], v8
	s_mov_b32 s1, 0xc00921fb
	s_mov_b32 s0, 0x54442d18
	s_mov_b32 s33, exec_lo
                                        ; implicit-def: $vgpr9
                                        ; implicit-def: $vgpr5_vgpr6
	v_trunc_f64_e32 v[3:4], v[1:2]
	v_cmp_neq_f64_e64 vcc_lo, 0x7ff00000, |v[1:2]|
	v_add_f64 v[3:4], v[1:2], -v[3:4]
	v_mul_f64 v[3:4], |v[3:4]|, s[0:1]
	v_cndmask_b32_e32 v2, 0x80000000, v4, vcc_lo
	v_cndmask_b32_e32 v1, 0, v3, vcc_lo
                                        ; implicit-def: $vgpr3_vgpr4
	v_cmpx_ngt_f64_e64 0x41d00000, |v[1:2]|
	s_xor_b32 s33, exec_lo, s33
	s_cbranch_execz .LBB37_535
; %bb.534:
	v_ldexp_f64 v[3:4], |v[1:2]|, 0xffffff80
	v_cmp_le_f64_e64 vcc_lo, 0x7b000000, |v[1:2]|
	v_trig_preop_f64 v[5:6], |v[1:2]|, 0
	v_and_b32_e32 v9, 0x7fffffff, v2
	v_trig_preop_f64 v[19:20], |v[1:2]|, 2
	v_mov_b32_e32 v27, 0
	s_mov_b32 s1, 0x3ff921fb
	s_mov_b32 s34, 0x33145c07
	s_mov_b32 s35, 0x3c91a626
	v_cndmask_b32_e32 v4, v9, v4, vcc_lo
	v_cndmask_b32_e32 v3, v1, v3, vcc_lo
	v_trig_preop_f64 v[9:10], |v[1:2]|, 1
	v_mul_f64 v[11:12], v[5:6], v[3:4]
	v_mul_f64 v[25:26], v[19:20], v[3:4]
	v_mul_f64 v[13:14], v[9:10], v[3:4]
	v_fma_f64 v[5:6], v[5:6], v[3:4], -v[11:12]
	v_fma_f64 v[9:10], v[9:10], v[3:4], -v[13:14]
	;; [unrolled: 1-line block ×3, first 2 shown]
	v_add_f64 v[15:16], v[13:14], v[5:6]
	v_add_f64 v[17:18], v[15:16], -v[13:14]
	v_add_f64 v[23:24], v[11:12], v[15:16]
	v_add_f64 v[21:22], v[15:16], -v[17:18]
	v_add_f64 v[5:6], v[5:6], -v[17:18]
	v_ldexp_f64 v[17:18], v[23:24], -2
	v_add_f64 v[11:12], v[23:24], -v[11:12]
	v_add_f64 v[13:14], v[13:14], -v[21:22]
	v_add_f64 v[21:22], v[25:26], v[9:10]
	v_cmp_neq_f64_e64 vcc_lo, 0x7ff00000, |v[17:18]|
	v_add_f64 v[11:12], v[15:16], -v[11:12]
	v_add_f64 v[5:6], v[5:6], v[13:14]
	v_fract_f64_e32 v[13:14], v[17:18]
	v_add_f64 v[15:16], v[21:22], v[5:6]
	v_ldexp_f64 v[13:14], v[13:14], 2
	v_add_f64 v[17:18], v[11:12], v[15:16]
	v_cndmask_b32_e32 v14, 0, v14, vcc_lo
	v_cndmask_b32_e32 v13, 0, v13, vcc_lo
	v_add_f64 v[23:24], v[17:18], v[13:14]
	v_add_f64 v[11:12], v[17:18], -v[11:12]
	v_cmp_gt_f64_e32 vcc_lo, 0, v[23:24]
	v_add_f64 v[23:24], v[21:22], -v[25:26]
	v_cndmask_b32_e64 v28, 0, 0x40100000, vcc_lo
	v_add_f64 v[32:33], v[21:22], -v[23:24]
	v_add_f64 v[9:10], v[9:10], -v[23:24]
	v_add_f64 v[13:14], v[13:14], v[27:28]
	v_add_f64 v[28:29], v[15:16], -v[21:22]
	v_add_f64 v[23:24], v[25:26], -v[32:33]
	v_add_f64 v[30:31], v[17:18], v[13:14]
	;; [unrolled: 3-line block ×3, first 2 shown]
	v_cvt_i32_f64_e32 v30, v[30:31]
	v_add_f64 v[21:22], v[21:22], -v[34:35]
	v_cvt_f64_i32_e32 v[28:29], v30
	v_add_f64 v[5:6], v[5:6], v[21:22]
	v_add_f64 v[13:14], v[13:14], -v[28:29]
	v_add_f64 v[5:6], v[9:10], v[5:6]
	v_add_f64 v[9:10], v[15:16], -v[11:12]
	v_add_f64 v[19:20], v[17:18], v[13:14]
	v_add_f64 v[3:4], v[3:4], v[5:6]
	v_add_f64 v[5:6], v[19:20], -v[13:14]
	v_cmp_le_f64_e32 vcc_lo, 0.5, v[19:20]
	v_add_f64 v[3:4], v[9:10], v[3:4]
	v_add_f64 v[5:6], v[17:18], -v[5:6]
	v_cndmask_b32_e64 v28, 0, 0x3ff00000, vcc_lo
	v_add_co_ci_u32_e64 v9, null, 0, v30, vcc_lo
	v_add_f64 v[3:4], v[3:4], v[5:6]
	v_add_f64 v[5:6], v[19:20], -v[27:28]
	v_add_f64 v[10:11], v[5:6], v[3:4]
	v_mul_f64 v[12:13], v[10:11], s[0:1]
	v_add_f64 v[5:6], v[10:11], -v[5:6]
	v_fma_f64 v[14:15], v[10:11], s[0:1], -v[12:13]
	v_add_f64 v[3:4], v[3:4], -v[5:6]
	v_fma_f64 v[5:6], v[10:11], s[34:35], v[14:15]
	v_fma_f64 v[5:6], v[3:4], s[0:1], v[5:6]
	v_add_f64 v[3:4], v[12:13], v[5:6]
	v_add_f64 v[10:11], v[3:4], -v[12:13]
	v_add_f64 v[5:6], v[5:6], -v[10:11]
.LBB37_535:
	s_andn2_saveexec_b32 s0, s33
	s_cbranch_execz .LBB37_537
; %bb.536:
	s_mov_b32 s34, 0x6dc9c883
	s_mov_b32 s35, 0x3fe45f30
	;; [unrolled: 1-line block ×3, first 2 shown]
	v_mul_f64 v[3:4], |v[1:2]|, s[34:35]
	s_mov_b32 s34, 0x54442d18
	s_mov_b32 s35, 0xbff921fb
	;; [unrolled: 1-line block ×3, first 2 shown]
	v_rndne_f64_e32 v[9:10], v[3:4]
	v_fma_f64 v[3:4], v[9:10], s[34:35], |v[1:2]|
	v_mul_f64 v[5:6], v[9:10], s[36:37]
	s_mov_b32 s34, 0x252049c0
	s_mov_b32 s35, 0xb97b839a
	v_fma_f64 v[13:14], v[9:10], s[36:37], v[3:4]
	v_add_f64 v[11:12], v[3:4], v[5:6]
	s_mov_b32 s37, 0x3c91a626
	v_add_f64 v[3:4], v[3:4], -v[11:12]
	v_add_f64 v[11:12], v[11:12], -v[13:14]
	v_add_f64 v[3:4], v[3:4], v[5:6]
	v_fma_f64 v[5:6], v[9:10], s[36:37], v[5:6]
	v_add_f64 v[3:4], v[11:12], v[3:4]
	v_add_f64 v[3:4], v[3:4], -v[5:6]
	v_fma_f64 v[5:6], v[9:10], s[34:35], v[3:4]
	v_cvt_i32_f64_e32 v9, v[9:10]
	v_add_f64 v[3:4], v[13:14], v[5:6]
	v_add_f64 v[11:12], v[3:4], -v[13:14]
	v_add_f64 v[5:6], v[5:6], -v[11:12]
.LBB37_537:
	s_or_b32 exec_lo, exec_lo, s0
	v_mul_f64 v[10:11], v[3:4], v[3:4]
	v_add_f64 v[12:13], v[5:6], v[5:6]
	s_mov_b32 s34, 0xa9a29f71
	s_mov_b32 s36, 0xc751c08c
	;; [unrolled: 1-line block ×4, first 2 shown]
	v_cmp_class_f64_e64 s0, v[1:2], 0x1f8
	v_and_b32_e32 v9, 1, v9
	v_and_b32_e32 v2, 0x80000000, v2
	v_sub_f32_e32 v8, 1.0, v8
	s_mov_b32 s1, exec_lo
	v_cmp_eq_u32_e32 vcc_lo, 0, v9
	v_fma_f64 v[14:15], v[3:4], v[3:4], -v[10:11]
	v_fma_f64 v[12:13], v[3:4], v[12:13], v[14:15]
	v_add_f64 v[10:11], v[10:11], v[12:13]
	v_fma_f64 v[12:13], v[10:11], s[36:37], s[34:35]
	s_mov_b32 s34, 0x90a8aae0
	s_mov_b32 s35, 0x3f17746f
	v_fma_f64 v[12:13], v[10:11], v[12:13], s[34:35]
	s_mov_b32 s34, 0xa6fbf144
	s_mov_b32 s35, 0xbefbb44d
	;; [unrolled: 3-line block ×13, first 2 shown]
	v_mul_f64 v[10:11], v[10:11], v[12:13]
	v_mul_f64 v[12:13], v[3:4], v[10:11]
	v_add_f64 v[14:15], v[3:4], v[12:13]
	v_fma_f64 v[10:11], v[3:4], v[10:11], -v[12:13]
	v_add_f64 v[3:4], v[14:15], -v[3:4]
	v_add_f64 v[5:6], v[5:6], v[10:11]
	v_add_f64 v[3:4], v[12:13], -v[3:4]
	v_add_f64 v[3:4], v[5:6], v[3:4]
	v_add_f64 v[5:6], v[14:15], v[3:4]
	v_rcp_f64_e32 v[10:11], v[5:6]
	v_fma_f64 v[12:13], -v[5:6], v[10:11], 1.0
	v_fma_f64 v[10:11], v[12:13], v[10:11], v[10:11]
	v_fma_f64 v[12:13], -v[5:6], v[10:11], 1.0
	v_fma_f64 v[10:11], v[12:13], v[10:11], v[10:11]
	v_add_f64 v[12:13], v[5:6], -v[14:15]
	v_mul_f64 v[14:15], v[5:6], v[10:11]
	v_add_f64 v[3:4], v[3:4], -v[12:13]
	v_fma_f64 v[12:13], v[10:11], v[5:6], -v[14:15]
	v_fma_f64 v[3:4], v[10:11], v[3:4], v[12:13]
	v_add_f64 v[12:13], v[14:15], v[3:4]
	v_add_f64 v[16:17], -v[12:13], 1.0
	v_add_f64 v[14:15], v[12:13], -v[14:15]
	v_add_f64 v[18:19], -v[16:17], 1.0
	v_add_f64 v[3:4], v[14:15], -v[3:4]
	v_add_f64 v[12:13], v[18:19], -v[12:13]
	v_add_f64 v[3:4], v[3:4], v[12:13]
	v_add_f64 v[3:4], v[16:17], v[3:4]
	v_mul_f64 v[3:4], v[10:11], v[3:4]
	v_add_f64 v[3:4], v[10:11], v[3:4]
	v_xor_b32_e32 v1, 0x80000000, v4
	v_cndmask_b32_e32 v3, v3, v5, vcc_lo
	v_cndmask_b32_e32 v1, v1, v6, vcc_lo
	v_xor_b32_e32 v2, v1, v2
	v_cndmask_b32_e64 v1, 0, v3, s0
	v_cndmask_b32_e64 v2, 0x7ff80000, v2, s0
	v_div_scale_f64 v[3:4], null, v[1:2], v[1:2], s[34:35]
	v_rcp_f64_e32 v[5:6], v[3:4]
	v_fma_f64 v[9:10], -v[3:4], v[5:6], 1.0
	v_fma_f64 v[5:6], v[5:6], v[9:10], v[5:6]
	v_fma_f64 v[9:10], -v[3:4], v[5:6], 1.0
	v_fma_f64 v[5:6], v[5:6], v[9:10], v[5:6]
	v_div_scale_f64 v[9:10], vcc_lo, s[34:35], v[1:2], s[34:35]
	v_mul_f64 v[11:12], v[9:10], v[5:6]
	v_fma_f64 v[3:4], -v[3:4], v[11:12], v[9:10]
	v_div_fmas_f64 v[3:4], v[3:4], v[5:6], v[11:12]
	v_div_fixup_f64 v[1:2], v[3:4], v[1:2], s[34:35]
	v_cvt_f32_f64_e32 v1, v[1:2]
.LBB37_538:
	s_or_b32 exec_lo, exec_lo, s31
	s_orn2_b32 s0, s1, exec_lo
.LBB37_539:
	s_or_b32 exec_lo, exec_lo, s21
	v_mov_b32_e32 v2, 0x7fc0
	s_and_saveexec_b32 s1, s0
	s_cbranch_execz .LBB37_551
; %bb.540:
	s_mov_b32 s0, exec_lo
	v_cmpx_gt_f32_e32 0x41200000, v8
	s_cbranch_execz .LBB37_544
; %bb.541:
	s_mov_b32 s21, 0
	.p2align	6
.LBB37_542:                             ; =>This Inner Loop Header: Depth=1
	v_div_scale_f32 v2, null, v8, v8, 1.0
	v_div_scale_f32 v5, vcc_lo, 1.0, v8, 1.0
	v_rcp_f32_e32 v3, v2
	v_fma_f32 v4, -v2, v3, 1.0
	v_fmac_f32_e32 v3, v4, v3
	v_mul_f32_e32 v4, v5, v3
	v_fma_f32 v6, -v2, v4, v5
	v_fmac_f32_e32 v4, v6, v3
	v_fma_f32 v2, -v2, v4, v5
	v_div_fmas_f32 v2, v2, v3, v4
	v_div_fixup_f32 v2, v2, v8, 1.0
	v_add_f32_e32 v8, 1.0, v8
	v_sub_f32_e32 v1, v1, v2
	v_cmp_ngt_f32_e32 vcc_lo, 0x41200000, v8
	s_or_b32 s21, vcc_lo, s21
	s_andn2_b32 exec_lo, exec_lo, s21
	s_cbranch_execnz .LBB37_542
; %bb.543:
	s_or_b32 exec_lo, exec_lo, s21
.LBB37_544:
	s_or_b32 exec_lo, exec_lo, s0
                                        ; implicit-def: $vgpr2
	s_mov_b32 s0, exec_lo
	v_cmpx_neq_f32_e32 0x41200000, v8
	s_xor_b32 s21, exec_lo, s0
	s_cbranch_execz .LBB37_548
; %bb.545:
	v_cvt_f64_f32_e32 v[2:3], v8
	s_mov_b32 s34, 0x85d8a000
	s_mov_b32 s35, 0x43763457
	v_cmp_gt_f64_e32 vcc_lo, s[34:35], v[2:3]
	v_mov_b32_e32 v2, 0
	s_and_saveexec_b32 s0, vcc_lo
	s_cbranch_execz .LBB37_547
; %bb.546:
	v_mul_f32_e32 v2, v8, v8
	v_div_scale_f32 v3, null, v2, v2, 1.0
	v_rcp_f32_e32 v4, v3
	v_fma_f32 v5, -v3, v4, 1.0
	v_fmac_f32_e32 v4, v5, v4
	v_div_scale_f32 v5, vcc_lo, 1.0, v2, 1.0
	v_mul_f32_e32 v6, v5, v4
	v_fma_f32 v9, -v3, v6, v5
	v_fmac_f32_e32 v6, v9, v4
	v_fma_f32 v3, -v3, v6, v5
	v_div_fmas_f32 v3, v3, v4, v6
	v_div_fixup_f32 v2, v3, v2, 1.0
	v_fmaak_f32 v3, 0, v2, 0x3daaaaab
	v_fmaak_f32 v3, v2, v3, 0xbcaccacd
	;; [unrolled: 1-line block ×7, first 2 shown]
	v_mul_f32_e32 v2, v2, v3
.LBB37_547:
	s_or_b32 exec_lo, exec_lo, s0
	v_cmp_gt_f32_e32 vcc_lo, 0x800000, v8
	v_div_scale_f32 v3, null, v8, v8, -0.5
	v_div_scale_f32 v9, s0, -0.5, v8, -0.5
	v_cndmask_b32_e64 v4, 0, 32, vcc_lo
	v_rcp_f32_e32 v5, v3
	v_ldexp_f32 v4, v8, v4
	v_log_f32_e32 v4, v4
	v_fma_f32 v6, -v3, v5, 1.0
	v_fmac_f32_e32 v5, v6, v5
	v_mul_f32_e32 v6, 0x3f317217, v4
	v_mul_f32_e32 v10, v9, v5
	v_fma_f32 v6, 0x3f317217, v4, -v6
	v_fma_f32 v11, -v3, v10, v9
	v_fmamk_f32 v6, v4, 0x3377d1cf, v6
	v_fmac_f32_e32 v10, v11, v5
	v_cndmask_b32_e64 v11, 0, 0x41b17218, vcc_lo
	v_cmp_gt_f32_e64 vcc_lo, 0x7f800000, |v4|
	v_fmac_f32_e32 v6, 0x3f317217, v4
	v_fma_f32 v3, -v3, v10, v9
	v_cndmask_b32_e32 v4, v4, v6, vcc_lo
	s_mov_b32 vcc_lo, s0
	v_div_fmas_f32 v3, v3, v5, v10
	v_sub_f32_e32 v4, v4, v11
	v_div_fixup_f32 v3, v3, v8, -0.5
	v_add_f32_e32 v3, v4, v3
	v_sub_f32_e32 v2, v3, v2
	v_add_f32_e32 v1, v1, v2
	v_bfe_u32 v2, v1, 16, 1
	v_cmp_o_f32_e32 vcc_lo, v1, v1
	v_add3_u32 v1, v1, v2, 0x7fff
	v_mov_b32_e32 v2, 0x7fc0
	v_cndmask_b32_sdwa v2, v2, v1, vcc_lo dst_sel:DWORD dst_unused:UNUSED_PAD src0_sel:DWORD src1_sel:WORD_1
                                        ; implicit-def: $vgpr1
.LBB37_548:
	s_andn2_saveexec_b32 s0, s21
; %bb.549:
	v_add_f32_e32 v1, 0x40101cb7, v1
	v_bfe_u32 v2, v1, 16, 1
	v_cmp_o_f32_e32 vcc_lo, v1, v1
	v_add3_u32 v1, v1, v2, 0x7fff
	v_mov_b32_e32 v2, 0x7fc0
	v_cndmask_b32_sdwa v2, v2, v1, vcc_lo dst_sel:DWORD dst_unused:UNUSED_PAD src0_sel:DWORD src1_sel:WORD_1
; %bb.550:
	s_or_b32 exec_lo, exec_lo, s0
.LBB37_551:
	s_or_b32 exec_lo, exec_lo, s1
                                        ; implicit-def: $vgpr8
.LBB37_552:
	s_andn2_saveexec_b32 s0, s20
; %bb.553:
	v_xor_b32_e32 v1, 0x80000000, v8
	s_mov_b32 s1, 0x7f800000
	v_and_or_b32 v1, 0x80000000, v1, s1
	v_lshrrev_b32_e32 v2, 16, v1
; %bb.554:
	s_or_b32 exec_lo, exec_lo, s0
	v_add_nc_u32_e32 v7, 0x80, v7
	global_store_short v0, v2, s[4:5]
	s_or_b32 exec_lo, exec_lo, s30
	s_mov_b32 s30, exec_lo
	v_cmpx_gt_i32_e64 s27, v7
	s_cbranch_execnz .LBB37_516
.LBB37_555:
	s_or_b32 exec_lo, exec_lo, s30
	s_mov_b32 s20, exec_lo
	v_cmpx_gt_i32_e64 s27, v7
	s_cbranch_execnz .LBB37_590
.LBB37_556:
	s_or_b32 exec_lo, exec_lo, s20
                                        ; implicit-def: $vgpr25
                                        ; implicit-def: $vgpr7
	s_andn2_saveexec_b32 s0, s25
	s_cbranch_execnz .LBB37_8
.LBB37_557:
	s_endpgm
.LBB37_558:
	v_mov_b32_e32 v0, 0
	v_mov_b32_e32 v2, 0
	;; [unrolled: 1-line block ×3, first 2 shown]
	s_mov_b32 s31, 0
.LBB37_559:
	s_and_b32 s33, s33, 3
	s_cmp_eq_u32 s33, 0
	s_cbranch_scc1 .LBB37_562
; %bb.560:
	s_lshl_b32 s0, s31, 3
	s_mul_i32 s20, s31, 12
	s_add_u32 s0, s2, s0
	s_addc_u32 s1, s3, 0
	s_add_u32 s0, s0, 0xc4
	s_addc_u32 s1, s1, 0
	;; [unrolled: 2-line block ×3, first 2 shown]
	.p2align	6
.LBB37_561:                             ; =>This Inner Loop Header: Depth=1
	s_clause 0x1
	s_load_dwordx2 s[34:35], s[20:21], 0x4
	s_load_dword s31, s[20:21], 0xc
	s_load_dwordx2 s[36:37], s[0:1], 0x0
	s_add_u32 s20, s20, 12
	s_addc_u32 s21, s21, 0
	s_add_u32 s0, s0, 8
	s_addc_u32 s1, s1, 0
	s_add_i32 s33, s33, -1
	s_cmp_lg_u32 s33, 0
	s_waitcnt lgkmcnt(0)
	v_mul_hi_u32 v3, s35, v1
	v_add_nc_u32_e32 v3, v1, v3
	v_lshrrev_b32_e32 v4, s31, v3
	v_mul_lo_u32 v3, v4, s34
	v_sub_nc_u32_e32 v3, v1, v3
	v_mad_u64_u32 v[0:1], null, v3, s36, v[0:1]
	v_mad_u64_u32 v[2:3], null, v3, s37, v[2:3]
	v_mov_b32_e32 v1, v4
	s_cbranch_scc1 .LBB37_561
.LBB37_562:
	s_cbranch_execnz .LBB37_565
.LBB37_563:
	s_waitcnt lgkmcnt(0)
	v_mul_hi_u32 v0, s13, v7
	s_andn2_b32 vcc_lo, exec_lo, s26
	v_add_nc_u32_e32 v0, v7, v0
	v_lshrrev_b32_e32 v1, s14, v0
	v_mul_lo_u32 v0, v1, s12
	v_sub_nc_u32_e32 v2, v7, v0
	v_mul_lo_u32 v0, v2, s8
	v_mul_lo_u32 v2, v2, s9
	s_cbranch_vccnz .LBB37_565
; %bb.564:
	v_mul_hi_u32 v3, s16, v1
	v_add_nc_u32_e32 v3, v1, v3
	v_lshrrev_b32_e32 v3, s17, v3
	v_mul_lo_u32 v3, v3, s15
	v_sub_nc_u32_e32 v3, v1, v3
	v_mad_u64_u32 v[0:1], null, v3, s10, v[0:1]
	v_mad_u64_u32 v[2:3], null, v3, s11, v[2:3]
.LBB37_565:
	s_waitcnt lgkmcnt(0)
	global_load_ushort v1, v2, s[6:7]
                                        ; implicit-def: $vgpr2
	s_mov_b32 s0, exec_lo
	s_waitcnt vmcnt(0)
	v_lshlrev_b32_e32 v8, 16, v1
	v_cmpx_neq_f32_e32 0, v8
	s_xor_b32 s20, exec_lo, s0
	s_cbranch_execz .LBB37_587
; %bb.566:
	v_mov_b32_e32 v1, 0
	s_mov_b32 s0, -1
	s_mov_b32 s21, exec_lo
	v_cmpx_gt_f32_e32 0, v8
	s_cbranch_execz .LBB37_574
; %bb.567:
	v_trunc_f32_e32 v1, v8
	s_mov_b32 s1, 0
	v_cmp_neq_f32_e32 vcc_lo, v1, v8
	v_mov_b32_e32 v1, 0
	s_and_saveexec_b32 s31, vcc_lo
	s_cbranch_execz .LBB37_573
; %bb.568:
	v_cvt_f64_f32_e32 v[1:2], v8
	s_mov_b32 s1, 0xc00921fb
	s_mov_b32 s0, 0x54442d18
	s_mov_b32 s33, exec_lo
                                        ; implicit-def: $vgpr9
                                        ; implicit-def: $vgpr5_vgpr6
	v_trunc_f64_e32 v[3:4], v[1:2]
	v_cmp_neq_f64_e64 vcc_lo, 0x7ff00000, |v[1:2]|
	v_add_f64 v[3:4], v[1:2], -v[3:4]
	v_mul_f64 v[3:4], |v[3:4]|, s[0:1]
	v_cndmask_b32_e32 v2, 0x80000000, v4, vcc_lo
	v_cndmask_b32_e32 v1, 0, v3, vcc_lo
                                        ; implicit-def: $vgpr3_vgpr4
	v_cmpx_ngt_f64_e64 0x41d00000, |v[1:2]|
	s_xor_b32 s33, exec_lo, s33
	s_cbranch_execz .LBB37_570
; %bb.569:
	v_ldexp_f64 v[3:4], |v[1:2]|, 0xffffff80
	v_cmp_le_f64_e64 vcc_lo, 0x7b000000, |v[1:2]|
	v_trig_preop_f64 v[5:6], |v[1:2]|, 0
	v_and_b32_e32 v9, 0x7fffffff, v2
	v_trig_preop_f64 v[19:20], |v[1:2]|, 2
	v_mov_b32_e32 v27, 0
	s_mov_b32 s1, 0x3ff921fb
	s_mov_b32 s34, 0x33145c07
	;; [unrolled: 1-line block ×3, first 2 shown]
	v_cndmask_b32_e32 v4, v9, v4, vcc_lo
	v_cndmask_b32_e32 v3, v1, v3, vcc_lo
	v_trig_preop_f64 v[9:10], |v[1:2]|, 1
	v_mul_f64 v[11:12], v[5:6], v[3:4]
	v_mul_f64 v[25:26], v[19:20], v[3:4]
	;; [unrolled: 1-line block ×3, first 2 shown]
	v_fma_f64 v[5:6], v[5:6], v[3:4], -v[11:12]
	v_fma_f64 v[9:10], v[9:10], v[3:4], -v[13:14]
	;; [unrolled: 1-line block ×3, first 2 shown]
	v_add_f64 v[15:16], v[13:14], v[5:6]
	v_add_f64 v[17:18], v[15:16], -v[13:14]
	v_add_f64 v[23:24], v[11:12], v[15:16]
	v_add_f64 v[21:22], v[15:16], -v[17:18]
	v_add_f64 v[5:6], v[5:6], -v[17:18]
	v_ldexp_f64 v[17:18], v[23:24], -2
	v_add_f64 v[11:12], v[23:24], -v[11:12]
	v_add_f64 v[13:14], v[13:14], -v[21:22]
	v_add_f64 v[21:22], v[25:26], v[9:10]
	v_cmp_neq_f64_e64 vcc_lo, 0x7ff00000, |v[17:18]|
	v_add_f64 v[11:12], v[15:16], -v[11:12]
	v_add_f64 v[5:6], v[5:6], v[13:14]
	v_fract_f64_e32 v[13:14], v[17:18]
	v_add_f64 v[15:16], v[21:22], v[5:6]
	v_ldexp_f64 v[13:14], v[13:14], 2
	v_add_f64 v[17:18], v[11:12], v[15:16]
	v_cndmask_b32_e32 v14, 0, v14, vcc_lo
	v_cndmask_b32_e32 v13, 0, v13, vcc_lo
	v_add_f64 v[23:24], v[17:18], v[13:14]
	v_add_f64 v[11:12], v[17:18], -v[11:12]
	v_cmp_gt_f64_e32 vcc_lo, 0, v[23:24]
	v_add_f64 v[23:24], v[21:22], -v[25:26]
	v_cndmask_b32_e64 v28, 0, 0x40100000, vcc_lo
	v_add_f64 v[32:33], v[21:22], -v[23:24]
	v_add_f64 v[9:10], v[9:10], -v[23:24]
	v_add_f64 v[13:14], v[13:14], v[27:28]
	v_add_f64 v[28:29], v[15:16], -v[21:22]
	v_add_f64 v[23:24], v[25:26], -v[32:33]
	v_add_f64 v[30:31], v[17:18], v[13:14]
	;; [unrolled: 3-line block ×3, first 2 shown]
	v_cvt_i32_f64_e32 v30, v[30:31]
	v_add_f64 v[21:22], v[21:22], -v[34:35]
	v_cvt_f64_i32_e32 v[28:29], v30
	v_add_f64 v[5:6], v[5:6], v[21:22]
	v_add_f64 v[13:14], v[13:14], -v[28:29]
	v_add_f64 v[5:6], v[9:10], v[5:6]
	v_add_f64 v[9:10], v[15:16], -v[11:12]
	v_add_f64 v[19:20], v[17:18], v[13:14]
	v_add_f64 v[3:4], v[3:4], v[5:6]
	v_add_f64 v[5:6], v[19:20], -v[13:14]
	v_cmp_le_f64_e32 vcc_lo, 0.5, v[19:20]
	v_add_f64 v[3:4], v[9:10], v[3:4]
	v_add_f64 v[5:6], v[17:18], -v[5:6]
	v_cndmask_b32_e64 v28, 0, 0x3ff00000, vcc_lo
	v_add_co_ci_u32_e64 v9, null, 0, v30, vcc_lo
	v_add_f64 v[3:4], v[3:4], v[5:6]
	v_add_f64 v[5:6], v[19:20], -v[27:28]
	v_add_f64 v[10:11], v[5:6], v[3:4]
	v_mul_f64 v[12:13], v[10:11], s[0:1]
	v_add_f64 v[5:6], v[10:11], -v[5:6]
	v_fma_f64 v[14:15], v[10:11], s[0:1], -v[12:13]
	v_add_f64 v[3:4], v[3:4], -v[5:6]
	v_fma_f64 v[5:6], v[10:11], s[34:35], v[14:15]
	v_fma_f64 v[5:6], v[3:4], s[0:1], v[5:6]
	v_add_f64 v[3:4], v[12:13], v[5:6]
	v_add_f64 v[10:11], v[3:4], -v[12:13]
	v_add_f64 v[5:6], v[5:6], -v[10:11]
.LBB37_570:
	s_andn2_saveexec_b32 s0, s33
	s_cbranch_execz .LBB37_572
; %bb.571:
	s_mov_b32 s34, 0x6dc9c883
	s_mov_b32 s35, 0x3fe45f30
	;; [unrolled: 1-line block ×3, first 2 shown]
	v_mul_f64 v[3:4], |v[1:2]|, s[34:35]
	s_mov_b32 s34, 0x54442d18
	s_mov_b32 s35, 0xbff921fb
	;; [unrolled: 1-line block ×3, first 2 shown]
	v_rndne_f64_e32 v[9:10], v[3:4]
	v_fma_f64 v[3:4], v[9:10], s[34:35], |v[1:2]|
	v_mul_f64 v[5:6], v[9:10], s[36:37]
	s_mov_b32 s34, 0x252049c0
	s_mov_b32 s35, 0xb97b839a
	v_fma_f64 v[13:14], v[9:10], s[36:37], v[3:4]
	v_add_f64 v[11:12], v[3:4], v[5:6]
	s_mov_b32 s37, 0x3c91a626
	v_add_f64 v[3:4], v[3:4], -v[11:12]
	v_add_f64 v[11:12], v[11:12], -v[13:14]
	v_add_f64 v[3:4], v[3:4], v[5:6]
	v_fma_f64 v[5:6], v[9:10], s[36:37], v[5:6]
	v_add_f64 v[3:4], v[11:12], v[3:4]
	v_add_f64 v[3:4], v[3:4], -v[5:6]
	v_fma_f64 v[5:6], v[9:10], s[34:35], v[3:4]
	v_cvt_i32_f64_e32 v9, v[9:10]
	v_add_f64 v[3:4], v[13:14], v[5:6]
	v_add_f64 v[11:12], v[3:4], -v[13:14]
	v_add_f64 v[5:6], v[5:6], -v[11:12]
.LBB37_572:
	s_or_b32 exec_lo, exec_lo, s0
	v_mul_f64 v[10:11], v[3:4], v[3:4]
	v_add_f64 v[12:13], v[5:6], v[5:6]
	s_mov_b32 s34, 0xa9a29f71
	s_mov_b32 s36, 0xc751c08c
	s_mov_b32 s35, 0xbf078809
	s_mov_b32 s37, 0x3ef5e089
	v_cmp_class_f64_e64 s0, v[1:2], 0x1f8
	v_and_b32_e32 v9, 1, v9
	v_and_b32_e32 v2, 0x80000000, v2
	v_sub_f32_e32 v8, 1.0, v8
	s_mov_b32 s1, exec_lo
	v_cmp_eq_u32_e32 vcc_lo, 0, v9
	v_fma_f64 v[14:15], v[3:4], v[3:4], -v[10:11]
	v_fma_f64 v[12:13], v[3:4], v[12:13], v[14:15]
	v_add_f64 v[10:11], v[10:11], v[12:13]
	v_fma_f64 v[12:13], v[10:11], s[36:37], s[34:35]
	s_mov_b32 s34, 0x90a8aae0
	s_mov_b32 s35, 0x3f17746f
	v_fma_f64 v[12:13], v[10:11], v[12:13], s[34:35]
	s_mov_b32 s34, 0xa6fbf144
	s_mov_b32 s35, 0xbefbb44d
	;; [unrolled: 3-line block ×13, first 2 shown]
	v_mul_f64 v[10:11], v[10:11], v[12:13]
	v_mul_f64 v[12:13], v[3:4], v[10:11]
	v_add_f64 v[14:15], v[3:4], v[12:13]
	v_fma_f64 v[10:11], v[3:4], v[10:11], -v[12:13]
	v_add_f64 v[3:4], v[14:15], -v[3:4]
	v_add_f64 v[5:6], v[5:6], v[10:11]
	v_add_f64 v[3:4], v[12:13], -v[3:4]
	v_add_f64 v[3:4], v[5:6], v[3:4]
	v_add_f64 v[5:6], v[14:15], v[3:4]
	v_rcp_f64_e32 v[10:11], v[5:6]
	v_fma_f64 v[12:13], -v[5:6], v[10:11], 1.0
	v_fma_f64 v[10:11], v[12:13], v[10:11], v[10:11]
	v_fma_f64 v[12:13], -v[5:6], v[10:11], 1.0
	v_fma_f64 v[10:11], v[12:13], v[10:11], v[10:11]
	v_add_f64 v[12:13], v[5:6], -v[14:15]
	v_mul_f64 v[14:15], v[5:6], v[10:11]
	v_add_f64 v[3:4], v[3:4], -v[12:13]
	v_fma_f64 v[12:13], v[10:11], v[5:6], -v[14:15]
	v_fma_f64 v[3:4], v[10:11], v[3:4], v[12:13]
	v_add_f64 v[12:13], v[14:15], v[3:4]
	v_add_f64 v[16:17], -v[12:13], 1.0
	v_add_f64 v[14:15], v[12:13], -v[14:15]
	v_add_f64 v[18:19], -v[16:17], 1.0
	v_add_f64 v[3:4], v[14:15], -v[3:4]
	v_add_f64 v[12:13], v[18:19], -v[12:13]
	v_add_f64 v[3:4], v[3:4], v[12:13]
	v_add_f64 v[3:4], v[16:17], v[3:4]
	v_mul_f64 v[3:4], v[10:11], v[3:4]
	v_add_f64 v[3:4], v[10:11], v[3:4]
	v_xor_b32_e32 v1, 0x80000000, v4
	v_cndmask_b32_e32 v3, v3, v5, vcc_lo
	v_cndmask_b32_e32 v1, v1, v6, vcc_lo
	v_xor_b32_e32 v2, v1, v2
	v_cndmask_b32_e64 v1, 0, v3, s0
	v_cndmask_b32_e64 v2, 0x7ff80000, v2, s0
	v_div_scale_f64 v[3:4], null, v[1:2], v[1:2], s[34:35]
	v_rcp_f64_e32 v[5:6], v[3:4]
	v_fma_f64 v[9:10], -v[3:4], v[5:6], 1.0
	v_fma_f64 v[5:6], v[5:6], v[9:10], v[5:6]
	v_fma_f64 v[9:10], -v[3:4], v[5:6], 1.0
	v_fma_f64 v[5:6], v[5:6], v[9:10], v[5:6]
	v_div_scale_f64 v[9:10], vcc_lo, s[34:35], v[1:2], s[34:35]
	v_mul_f64 v[11:12], v[9:10], v[5:6]
	v_fma_f64 v[3:4], -v[3:4], v[11:12], v[9:10]
	v_div_fmas_f64 v[3:4], v[3:4], v[5:6], v[11:12]
	v_div_fixup_f64 v[1:2], v[3:4], v[1:2], s[34:35]
	v_cvt_f32_f64_e32 v1, v[1:2]
.LBB37_573:
	s_or_b32 exec_lo, exec_lo, s31
	s_orn2_b32 s0, s1, exec_lo
.LBB37_574:
	s_or_b32 exec_lo, exec_lo, s21
	v_mov_b32_e32 v2, 0x7fc0
	s_and_saveexec_b32 s1, s0
	s_cbranch_execz .LBB37_586
; %bb.575:
	s_mov_b32 s0, exec_lo
	v_cmpx_gt_f32_e32 0x41200000, v8
	s_cbranch_execz .LBB37_579
; %bb.576:
	s_mov_b32 s21, 0
	.p2align	6
.LBB37_577:                             ; =>This Inner Loop Header: Depth=1
	v_div_scale_f32 v2, null, v8, v8, 1.0
	v_div_scale_f32 v5, vcc_lo, 1.0, v8, 1.0
	v_rcp_f32_e32 v3, v2
	v_fma_f32 v4, -v2, v3, 1.0
	v_fmac_f32_e32 v3, v4, v3
	v_mul_f32_e32 v4, v5, v3
	v_fma_f32 v6, -v2, v4, v5
	v_fmac_f32_e32 v4, v6, v3
	v_fma_f32 v2, -v2, v4, v5
	v_div_fmas_f32 v2, v2, v3, v4
	v_div_fixup_f32 v2, v2, v8, 1.0
	v_add_f32_e32 v8, 1.0, v8
	v_sub_f32_e32 v1, v1, v2
	v_cmp_ngt_f32_e32 vcc_lo, 0x41200000, v8
	s_or_b32 s21, vcc_lo, s21
	s_andn2_b32 exec_lo, exec_lo, s21
	s_cbranch_execnz .LBB37_577
; %bb.578:
	s_or_b32 exec_lo, exec_lo, s21
.LBB37_579:
	s_or_b32 exec_lo, exec_lo, s0
                                        ; implicit-def: $vgpr2
	s_mov_b32 s0, exec_lo
	v_cmpx_neq_f32_e32 0x41200000, v8
	s_xor_b32 s21, exec_lo, s0
	s_cbranch_execz .LBB37_583
; %bb.580:
	v_cvt_f64_f32_e32 v[2:3], v8
	s_mov_b32 s34, 0x85d8a000
	s_mov_b32 s35, 0x43763457
	v_cmp_gt_f64_e32 vcc_lo, s[34:35], v[2:3]
	v_mov_b32_e32 v2, 0
	s_and_saveexec_b32 s0, vcc_lo
	s_cbranch_execz .LBB37_582
; %bb.581:
	v_mul_f32_e32 v2, v8, v8
	v_div_scale_f32 v3, null, v2, v2, 1.0
	v_rcp_f32_e32 v4, v3
	v_fma_f32 v5, -v3, v4, 1.0
	v_fmac_f32_e32 v4, v5, v4
	v_div_scale_f32 v5, vcc_lo, 1.0, v2, 1.0
	v_mul_f32_e32 v6, v5, v4
	v_fma_f32 v9, -v3, v6, v5
	v_fmac_f32_e32 v6, v9, v4
	v_fma_f32 v3, -v3, v6, v5
	v_div_fmas_f32 v3, v3, v4, v6
	v_div_fixup_f32 v2, v3, v2, 1.0
	v_fmaak_f32 v3, 0, v2, 0x3daaaaab
	v_fmaak_f32 v3, v2, v3, 0xbcaccacd
	;; [unrolled: 1-line block ×7, first 2 shown]
	v_mul_f32_e32 v2, v2, v3
.LBB37_582:
	s_or_b32 exec_lo, exec_lo, s0
	v_cmp_gt_f32_e32 vcc_lo, 0x800000, v8
	v_div_scale_f32 v3, null, v8, v8, -0.5
	v_div_scale_f32 v9, s0, -0.5, v8, -0.5
	v_cndmask_b32_e64 v4, 0, 32, vcc_lo
	v_rcp_f32_e32 v5, v3
	v_ldexp_f32 v4, v8, v4
	v_log_f32_e32 v4, v4
	v_fma_f32 v6, -v3, v5, 1.0
	v_fmac_f32_e32 v5, v6, v5
	v_mul_f32_e32 v6, 0x3f317217, v4
	v_mul_f32_e32 v10, v9, v5
	v_fma_f32 v6, 0x3f317217, v4, -v6
	v_fma_f32 v11, -v3, v10, v9
	v_fmamk_f32 v6, v4, 0x3377d1cf, v6
	v_fmac_f32_e32 v10, v11, v5
	v_cndmask_b32_e64 v11, 0, 0x41b17218, vcc_lo
	v_cmp_gt_f32_e64 vcc_lo, 0x7f800000, |v4|
	v_fmac_f32_e32 v6, 0x3f317217, v4
	v_fma_f32 v3, -v3, v10, v9
	v_cndmask_b32_e32 v4, v4, v6, vcc_lo
	s_mov_b32 vcc_lo, s0
	v_div_fmas_f32 v3, v3, v5, v10
	v_sub_f32_e32 v4, v4, v11
	v_div_fixup_f32 v3, v3, v8, -0.5
	v_add_f32_e32 v3, v4, v3
	v_sub_f32_e32 v2, v3, v2
	v_add_f32_e32 v1, v1, v2
	v_bfe_u32 v2, v1, 16, 1
	v_cmp_o_f32_e32 vcc_lo, v1, v1
	v_add3_u32 v1, v1, v2, 0x7fff
	v_mov_b32_e32 v2, 0x7fc0
	v_cndmask_b32_sdwa v2, v2, v1, vcc_lo dst_sel:DWORD dst_unused:UNUSED_PAD src0_sel:DWORD src1_sel:WORD_1
                                        ; implicit-def: $vgpr1
.LBB37_583:
	s_andn2_saveexec_b32 s0, s21
; %bb.584:
	v_add_f32_e32 v1, 0x40101cb7, v1
	v_bfe_u32 v2, v1, 16, 1
	v_cmp_o_f32_e32 vcc_lo, v1, v1
	v_add3_u32 v1, v1, v2, 0x7fff
	v_mov_b32_e32 v2, 0x7fc0
	v_cndmask_b32_sdwa v2, v2, v1, vcc_lo dst_sel:DWORD dst_unused:UNUSED_PAD src0_sel:DWORD src1_sel:WORD_1
; %bb.585:
	s_or_b32 exec_lo, exec_lo, s0
.LBB37_586:
	s_or_b32 exec_lo, exec_lo, s1
                                        ; implicit-def: $vgpr8
.LBB37_587:
	s_andn2_saveexec_b32 s0, s20
; %bb.588:
	v_xor_b32_e32 v1, 0x80000000, v8
	s_mov_b32 s1, 0x7f800000
	v_and_or_b32 v1, 0x80000000, v1, s1
	v_lshrrev_b32_e32 v2, 16, v1
; %bb.589:
	s_or_b32 exec_lo, exec_lo, s0
	v_add_nc_u32_e32 v7, 0x80, v7
	global_store_short v0, v2, s[4:5]
	s_or_b32 exec_lo, exec_lo, s30
	s_mov_b32 s20, exec_lo
	v_cmpx_gt_i32_e64 s27, v7
	s_cbranch_execz .LBB37_556
.LBB37_590:
	s_andn2_b32 vcc_lo, exec_lo, s24
	s_cbranch_vccnz .LBB37_595
; %bb.591:
	s_andn2_b32 vcc_lo, exec_lo, s29
	s_cbranch_vccnz .LBB37_596
; %bb.592:
	s_add_i32 s28, s28, 1
	s_cmp_eq_u32 s23, 2
	s_cbranch_scc1 .LBB37_597
; %bb.593:
	v_mov_b32_e32 v2, 0
	v_mov_b32_e32 v0, 0
	;; [unrolled: 1-line block ×3, first 2 shown]
	s_and_b32 s21, s28, 28
	s_mov_b32 s27, 0
	s_mov_b64 s[0:1], s[2:3]
.LBB37_594:                             ; =>This Inner Loop Header: Depth=1
	s_clause 0x1
	s_load_dwordx8 s[36:43], s[0:1], 0x4
	s_load_dwordx4 s[52:55], s[0:1], 0x24
	s_load_dwordx8 s[44:51], s[18:19], 0x0
	s_add_u32 s0, s0, 48
	s_addc_u32 s1, s1, 0
	s_add_i32 s27, s27, 4
	s_add_u32 s18, s18, 32
	s_addc_u32 s19, s19, 0
	s_cmp_eq_u32 s21, s27
	s_waitcnt lgkmcnt(0)
	v_mul_hi_u32 v3, s37, v1
	v_add_nc_u32_e32 v3, v1, v3
	v_lshrrev_b32_e32 v3, s38, v3
	v_mul_hi_u32 v4, s40, v3
	v_mul_lo_u32 v6, v3, s36
	v_add_nc_u32_e32 v4, v3, v4
	v_sub_nc_u32_e32 v1, v1, v6
	v_lshrrev_b32_e32 v4, s41, v4
	v_mul_lo_u32 v6, v1, s44
	v_mul_lo_u32 v9, v1, s45
	v_mul_hi_u32 v5, s43, v4
	v_add_nc_u32_e32 v5, v4, v5
	v_lshrrev_b32_e32 v5, s52, v5
	v_mul_hi_u32 v8, s54, v5
	v_mul_lo_u32 v10, v5, s42
	v_add_nc_u32_e32 v1, v5, v8
	v_mul_lo_u32 v8, v4, s39
	v_sub_nc_u32_e32 v4, v4, v10
	v_lshrrev_b32_e32 v1, s55, v1
	v_mul_lo_u32 v10, v4, s48
	v_mul_lo_u32 v4, v4, s49
	v_sub_nc_u32_e32 v3, v3, v8
	v_mul_lo_u32 v11, v1, s53
	v_mul_lo_u32 v8, v3, s46
	;; [unrolled: 1-line block ×3, first 2 shown]
	v_sub_nc_u32_e32 v5, v5, v11
	v_add3_u32 v0, v6, v0, v8
	v_mul_lo_u32 v11, v5, s50
	v_mul_lo_u32 v5, v5, s51
	v_add3_u32 v2, v9, v2, v3
	v_add3_u32 v0, v10, v0, v11
	;; [unrolled: 1-line block ×3, first 2 shown]
	s_cbranch_scc0 .LBB37_594
	s_branch .LBB37_598
.LBB37_595:
                                        ; implicit-def: $vgpr0
                                        ; implicit-def: $vgpr2
	s_branch .LBB37_602
.LBB37_596:
	v_mov_b32_e32 v0, 0
	v_mov_b32_e32 v2, 0
	s_branch .LBB37_601
.LBB37_597:
	v_mov_b32_e32 v0, 0
	v_mov_b32_e32 v2, 0
	;; [unrolled: 1-line block ×3, first 2 shown]
	s_mov_b32 s21, 0
.LBB37_598:
	s_and_b32 s27, s28, 3
	s_cmp_eq_u32 s27, 0
	s_cbranch_scc1 .LBB37_601
; %bb.599:
	s_lshl_b32 s0, s21, 3
	s_mul_i32 s18, s21, 12
	s_add_u32 s0, s2, s0
	s_addc_u32 s1, s3, 0
	s_add_u32 s0, s0, 0xc4
	s_addc_u32 s1, s1, 0
	;; [unrolled: 2-line block ×3, first 2 shown]
	.p2align	6
.LBB37_600:                             ; =>This Inner Loop Header: Depth=1
	s_clause 0x1
	s_load_dwordx2 s[28:29], s[18:19], 0x4
	s_load_dword s21, s[18:19], 0xc
	s_load_dwordx2 s[30:31], s[0:1], 0x0
	s_add_u32 s18, s18, 12
	s_addc_u32 s19, s19, 0
	s_add_u32 s0, s0, 8
	s_addc_u32 s1, s1, 0
	s_add_i32 s27, s27, -1
	s_cmp_lg_u32 s27, 0
	s_waitcnt lgkmcnt(0)
	v_mul_hi_u32 v3, s29, v1
	v_add_nc_u32_e32 v3, v1, v3
	v_lshrrev_b32_e32 v4, s21, v3
	v_mul_lo_u32 v3, v4, s28
	v_sub_nc_u32_e32 v3, v1, v3
	v_mad_u64_u32 v[0:1], null, v3, s30, v[0:1]
	v_mad_u64_u32 v[2:3], null, v3, s31, v[2:3]
	v_mov_b32_e32 v1, v4
	s_cbranch_scc1 .LBB37_600
.LBB37_601:
	s_cbranch_execnz .LBB37_604
.LBB37_602:
	s_waitcnt lgkmcnt(0)
	v_mul_hi_u32 v0, s13, v7
	s_andn2_b32 vcc_lo, exec_lo, s26
	v_add_nc_u32_e32 v0, v7, v0
	v_lshrrev_b32_e32 v1, s14, v0
	v_mul_lo_u32 v0, v1, s12
	v_sub_nc_u32_e32 v2, v7, v0
	v_mul_lo_u32 v0, v2, s8
	v_mul_lo_u32 v2, v2, s9
	s_cbranch_vccnz .LBB37_604
; %bb.603:
	v_mul_hi_u32 v3, s16, v1
	v_add_nc_u32_e32 v3, v1, v3
	v_lshrrev_b32_e32 v3, s17, v3
	v_mul_lo_u32 v3, v3, s15
	v_sub_nc_u32_e32 v3, v1, v3
	v_mad_u64_u32 v[0:1], null, v3, s10, v[0:1]
	v_mad_u64_u32 v[2:3], null, v3, s11, v[2:3]
.LBB37_604:
	s_waitcnt lgkmcnt(0)
	global_load_ushort v1, v2, s[6:7]
                                        ; implicit-def: $vgpr2
	s_mov_b32 s0, exec_lo
	s_waitcnt vmcnt(0)
	v_lshlrev_b32_e32 v7, 16, v1
	v_cmpx_neq_f32_e32 0, v7
	s_xor_b32 s6, exec_lo, s0
	s_cbranch_execz .LBB37_626
; %bb.605:
	v_mov_b32_e32 v1, 0
	s_mov_b32 s0, -1
	s_mov_b32 s7, exec_lo
	v_cmpx_gt_f32_e32 0, v7
	s_cbranch_execz .LBB37_613
; %bb.606:
	v_trunc_f32_e32 v1, v7
	s_mov_b32 s1, 0
	v_cmp_neq_f32_e32 vcc_lo, v1, v7
	v_mov_b32_e32 v1, 0
	s_and_saveexec_b32 s8, vcc_lo
	s_cbranch_execz .LBB37_612
; %bb.607:
	v_cvt_f64_f32_e32 v[1:2], v7
	s_mov_b32 s1, 0xc00921fb
	s_mov_b32 s0, 0x54442d18
	s_mov_b32 s9, exec_lo
                                        ; implicit-def: $vgpr8
                                        ; implicit-def: $vgpr5_vgpr6
	v_trunc_f64_e32 v[3:4], v[1:2]
	v_cmp_neq_f64_e64 vcc_lo, 0x7ff00000, |v[1:2]|
	v_add_f64 v[3:4], v[1:2], -v[3:4]
	v_mul_f64 v[3:4], |v[3:4]|, s[0:1]
	v_cndmask_b32_e32 v2, 0x80000000, v4, vcc_lo
	v_cndmask_b32_e32 v1, 0, v3, vcc_lo
                                        ; implicit-def: $vgpr3_vgpr4
	v_cmpx_ngt_f64_e64 0x41d00000, |v[1:2]|
	s_xor_b32 s9, exec_lo, s9
	s_cbranch_execz .LBB37_609
; %bb.608:
	v_ldexp_f64 v[3:4], |v[1:2]|, 0xffffff80
	v_cmp_le_f64_e64 vcc_lo, 0x7b000000, |v[1:2]|
	v_trig_preop_f64 v[5:6], |v[1:2]|, 0
	v_and_b32_e32 v8, 0x7fffffff, v2
	v_trig_preop_f64 v[18:19], |v[1:2]|, 2
	v_mov_b32_e32 v26, 0
	s_mov_b32 s1, 0x3ff921fb
	s_mov_b32 s10, 0x33145c07
	s_mov_b32 s11, 0x3c91a626
	v_cndmask_b32_e32 v4, v8, v4, vcc_lo
	v_cndmask_b32_e32 v3, v1, v3, vcc_lo
	v_trig_preop_f64 v[8:9], |v[1:2]|, 1
	v_mul_f64 v[10:11], v[5:6], v[3:4]
	v_mul_f64 v[24:25], v[18:19], v[3:4]
	;; [unrolled: 1-line block ×3, first 2 shown]
	v_fma_f64 v[5:6], v[5:6], v[3:4], -v[10:11]
	v_fma_f64 v[8:9], v[8:9], v[3:4], -v[12:13]
	;; [unrolled: 1-line block ×3, first 2 shown]
	v_add_f64 v[14:15], v[12:13], v[5:6]
	v_add_f64 v[16:17], v[14:15], -v[12:13]
	v_add_f64 v[22:23], v[10:11], v[14:15]
	v_add_f64 v[20:21], v[14:15], -v[16:17]
	v_add_f64 v[5:6], v[5:6], -v[16:17]
	v_ldexp_f64 v[16:17], v[22:23], -2
	v_add_f64 v[10:11], v[22:23], -v[10:11]
	v_add_f64 v[12:13], v[12:13], -v[20:21]
	v_add_f64 v[20:21], v[24:25], v[8:9]
	v_cmp_neq_f64_e64 vcc_lo, 0x7ff00000, |v[16:17]|
	v_add_f64 v[10:11], v[14:15], -v[10:11]
	v_add_f64 v[5:6], v[5:6], v[12:13]
	v_fract_f64_e32 v[12:13], v[16:17]
	v_add_f64 v[14:15], v[20:21], v[5:6]
	v_ldexp_f64 v[12:13], v[12:13], 2
	v_add_f64 v[16:17], v[10:11], v[14:15]
	v_cndmask_b32_e32 v13, 0, v13, vcc_lo
	v_cndmask_b32_e32 v12, 0, v12, vcc_lo
	v_add_f64 v[22:23], v[16:17], v[12:13]
	v_add_f64 v[10:11], v[16:17], -v[10:11]
	v_cmp_gt_f64_e32 vcc_lo, 0, v[22:23]
	v_add_f64 v[22:23], v[20:21], -v[24:25]
	v_cndmask_b32_e64 v27, 0, 0x40100000, vcc_lo
	v_add_f64 v[31:32], v[20:21], -v[22:23]
	v_add_f64 v[8:9], v[8:9], -v[22:23]
	v_add_f64 v[12:13], v[12:13], v[26:27]
	v_add_f64 v[27:28], v[14:15], -v[20:21]
	v_add_f64 v[22:23], v[24:25], -v[31:32]
	v_add_f64 v[29:30], v[16:17], v[12:13]
	;; [unrolled: 3-line block ×3, first 2 shown]
	v_cvt_i32_f64_e32 v29, v[29:30]
	v_add_f64 v[20:21], v[20:21], -v[33:34]
	v_cvt_f64_i32_e32 v[27:28], v29
	v_add_f64 v[5:6], v[5:6], v[20:21]
	v_add_f64 v[12:13], v[12:13], -v[27:28]
	v_add_f64 v[5:6], v[8:9], v[5:6]
	v_add_f64 v[8:9], v[14:15], -v[10:11]
	v_add_f64 v[18:19], v[16:17], v[12:13]
	v_add_f64 v[3:4], v[3:4], v[5:6]
	v_add_f64 v[5:6], v[18:19], -v[12:13]
	v_cmp_le_f64_e32 vcc_lo, 0.5, v[18:19]
	v_add_f64 v[3:4], v[8:9], v[3:4]
	v_add_f64 v[5:6], v[16:17], -v[5:6]
	v_cndmask_b32_e64 v27, 0, 0x3ff00000, vcc_lo
	v_add_co_ci_u32_e64 v8, null, 0, v29, vcc_lo
	v_add_f64 v[3:4], v[3:4], v[5:6]
	v_add_f64 v[5:6], v[18:19], -v[26:27]
	v_add_f64 v[9:10], v[5:6], v[3:4]
	v_mul_f64 v[11:12], v[9:10], s[0:1]
	v_add_f64 v[5:6], v[9:10], -v[5:6]
	v_fma_f64 v[13:14], v[9:10], s[0:1], -v[11:12]
	v_add_f64 v[3:4], v[3:4], -v[5:6]
	v_fma_f64 v[5:6], v[9:10], s[10:11], v[13:14]
	v_fma_f64 v[5:6], v[3:4], s[0:1], v[5:6]
	v_add_f64 v[3:4], v[11:12], v[5:6]
	v_add_f64 v[9:10], v[3:4], -v[11:12]
	v_add_f64 v[5:6], v[5:6], -v[9:10]
.LBB37_609:
	s_andn2_saveexec_b32 s0, s9
	s_cbranch_execz .LBB37_611
; %bb.610:
	s_mov_b32 s10, 0x6dc9c883
	s_mov_b32 s11, 0x3fe45f30
	;; [unrolled: 1-line block ×3, first 2 shown]
	v_mul_f64 v[3:4], |v[1:2]|, s[10:11]
	s_mov_b32 s10, 0x54442d18
	s_mov_b32 s11, 0xbff921fb
	;; [unrolled: 1-line block ×3, first 2 shown]
	v_rndne_f64_e32 v[8:9], v[3:4]
	v_fma_f64 v[3:4], v[8:9], s[10:11], |v[1:2]|
	v_mul_f64 v[5:6], v[8:9], s[12:13]
	s_mov_b32 s10, 0x252049c0
	s_mov_b32 s11, 0xb97b839a
	v_fma_f64 v[12:13], v[8:9], s[12:13], v[3:4]
	v_add_f64 v[10:11], v[3:4], v[5:6]
	s_mov_b32 s13, 0x3c91a626
	v_add_f64 v[3:4], v[3:4], -v[10:11]
	v_add_f64 v[10:11], v[10:11], -v[12:13]
	v_add_f64 v[3:4], v[3:4], v[5:6]
	v_fma_f64 v[5:6], v[8:9], s[12:13], v[5:6]
	v_add_f64 v[3:4], v[10:11], v[3:4]
	v_add_f64 v[3:4], v[3:4], -v[5:6]
	v_fma_f64 v[5:6], v[8:9], s[10:11], v[3:4]
	v_cvt_i32_f64_e32 v8, v[8:9]
	v_add_f64 v[3:4], v[12:13], v[5:6]
	v_add_f64 v[10:11], v[3:4], -v[12:13]
	v_add_f64 v[5:6], v[5:6], -v[10:11]
.LBB37_611:
	s_or_b32 exec_lo, exec_lo, s0
	v_mul_f64 v[9:10], v[3:4], v[3:4]
	v_add_f64 v[11:12], v[5:6], v[5:6]
	s_mov_b32 s10, 0xa9a29f71
	s_mov_b32 s12, 0xc751c08c
	;; [unrolled: 1-line block ×4, first 2 shown]
	v_cmp_class_f64_e64 s0, v[1:2], 0x1f8
	v_and_b32_e32 v8, 1, v8
	v_and_b32_e32 v2, 0x80000000, v2
	v_sub_f32_e32 v7, 1.0, v7
	s_mov_b32 s1, exec_lo
	v_cmp_eq_u32_e32 vcc_lo, 0, v8
	v_fma_f64 v[13:14], v[3:4], v[3:4], -v[9:10]
	v_fma_f64 v[11:12], v[3:4], v[11:12], v[13:14]
	v_add_f64 v[9:10], v[9:10], v[11:12]
	v_fma_f64 v[11:12], v[9:10], s[12:13], s[10:11]
	s_mov_b32 s10, 0x90a8aae0
	s_mov_b32 s11, 0x3f17746f
	v_fma_f64 v[11:12], v[9:10], v[11:12], s[10:11]
	s_mov_b32 s10, 0xa6fbf144
	s_mov_b32 s11, 0xbefbb44d
	;; [unrolled: 3-line block ×13, first 2 shown]
	v_mul_f64 v[9:10], v[9:10], v[11:12]
	v_mul_f64 v[11:12], v[3:4], v[9:10]
	v_add_f64 v[13:14], v[3:4], v[11:12]
	v_fma_f64 v[9:10], v[3:4], v[9:10], -v[11:12]
	v_add_f64 v[3:4], v[13:14], -v[3:4]
	v_add_f64 v[5:6], v[5:6], v[9:10]
	v_add_f64 v[3:4], v[11:12], -v[3:4]
	v_add_f64 v[3:4], v[5:6], v[3:4]
	v_add_f64 v[5:6], v[13:14], v[3:4]
	v_rcp_f64_e32 v[9:10], v[5:6]
	v_fma_f64 v[11:12], -v[5:6], v[9:10], 1.0
	v_fma_f64 v[9:10], v[11:12], v[9:10], v[9:10]
	v_fma_f64 v[11:12], -v[5:6], v[9:10], 1.0
	v_fma_f64 v[9:10], v[11:12], v[9:10], v[9:10]
	v_add_f64 v[11:12], v[5:6], -v[13:14]
	v_mul_f64 v[13:14], v[5:6], v[9:10]
	v_add_f64 v[3:4], v[3:4], -v[11:12]
	v_fma_f64 v[11:12], v[9:10], v[5:6], -v[13:14]
	v_fma_f64 v[3:4], v[9:10], v[3:4], v[11:12]
	v_add_f64 v[11:12], v[13:14], v[3:4]
	v_add_f64 v[15:16], -v[11:12], 1.0
	v_add_f64 v[13:14], v[11:12], -v[13:14]
	v_add_f64 v[17:18], -v[15:16], 1.0
	v_add_f64 v[3:4], v[13:14], -v[3:4]
	v_add_f64 v[11:12], v[17:18], -v[11:12]
	v_add_f64 v[3:4], v[3:4], v[11:12]
	v_add_f64 v[3:4], v[15:16], v[3:4]
	v_mul_f64 v[3:4], v[9:10], v[3:4]
	v_add_f64 v[3:4], v[9:10], v[3:4]
	v_xor_b32_e32 v1, 0x80000000, v4
	v_cndmask_b32_e32 v3, v3, v5, vcc_lo
	v_cndmask_b32_e32 v1, v1, v6, vcc_lo
	v_xor_b32_e32 v2, v1, v2
	v_cndmask_b32_e64 v1, 0, v3, s0
	v_cndmask_b32_e64 v2, 0x7ff80000, v2, s0
	v_div_scale_f64 v[3:4], null, v[1:2], v[1:2], s[10:11]
	v_rcp_f64_e32 v[5:6], v[3:4]
	v_fma_f64 v[8:9], -v[3:4], v[5:6], 1.0
	v_fma_f64 v[5:6], v[5:6], v[8:9], v[5:6]
	v_fma_f64 v[8:9], -v[3:4], v[5:6], 1.0
	v_fma_f64 v[5:6], v[5:6], v[8:9], v[5:6]
	v_div_scale_f64 v[8:9], vcc_lo, s[10:11], v[1:2], s[10:11]
	v_mul_f64 v[10:11], v[8:9], v[5:6]
	v_fma_f64 v[3:4], -v[3:4], v[10:11], v[8:9]
	v_div_fmas_f64 v[3:4], v[3:4], v[5:6], v[10:11]
	v_div_fixup_f64 v[1:2], v[3:4], v[1:2], s[10:11]
	v_cvt_f32_f64_e32 v1, v[1:2]
.LBB37_612:
	s_or_b32 exec_lo, exec_lo, s8
	s_orn2_b32 s0, s1, exec_lo
.LBB37_613:
	s_or_b32 exec_lo, exec_lo, s7
	v_mov_b32_e32 v2, 0x7fc0
	s_and_saveexec_b32 s1, s0
	s_cbranch_execz .LBB37_625
; %bb.614:
	s_mov_b32 s0, exec_lo
	v_cmpx_gt_f32_e32 0x41200000, v7
	s_cbranch_execz .LBB37_618
; %bb.615:
	s_mov_b32 s7, 0
	.p2align	6
.LBB37_616:                             ; =>This Inner Loop Header: Depth=1
	v_div_scale_f32 v2, null, v7, v7, 1.0
	v_div_scale_f32 v5, vcc_lo, 1.0, v7, 1.0
	v_rcp_f32_e32 v3, v2
	v_fma_f32 v4, -v2, v3, 1.0
	v_fmac_f32_e32 v3, v4, v3
	v_mul_f32_e32 v4, v5, v3
	v_fma_f32 v6, -v2, v4, v5
	v_fmac_f32_e32 v4, v6, v3
	v_fma_f32 v2, -v2, v4, v5
	v_div_fmas_f32 v2, v2, v3, v4
	v_div_fixup_f32 v2, v2, v7, 1.0
	v_add_f32_e32 v7, 1.0, v7
	v_sub_f32_e32 v1, v1, v2
	v_cmp_ngt_f32_e32 vcc_lo, 0x41200000, v7
	s_or_b32 s7, vcc_lo, s7
	s_andn2_b32 exec_lo, exec_lo, s7
	s_cbranch_execnz .LBB37_616
; %bb.617:
	s_or_b32 exec_lo, exec_lo, s7
.LBB37_618:
	s_or_b32 exec_lo, exec_lo, s0
                                        ; implicit-def: $vgpr2
	s_mov_b32 s0, exec_lo
	v_cmpx_neq_f32_e32 0x41200000, v7
	s_xor_b32 s7, exec_lo, s0
	s_cbranch_execz .LBB37_622
; %bb.619:
	v_cvt_f64_f32_e32 v[2:3], v7
	s_mov_b32 s8, 0x85d8a000
	s_mov_b32 s9, 0x43763457
	v_cmp_gt_f64_e32 vcc_lo, s[8:9], v[2:3]
	v_mov_b32_e32 v2, 0
	s_and_saveexec_b32 s0, vcc_lo
	s_cbranch_execz .LBB37_621
; %bb.620:
	v_mul_f32_e32 v2, v7, v7
	v_div_scale_f32 v3, null, v2, v2, 1.0
	v_rcp_f32_e32 v4, v3
	v_fma_f32 v5, -v3, v4, 1.0
	v_fmac_f32_e32 v4, v5, v4
	v_div_scale_f32 v5, vcc_lo, 1.0, v2, 1.0
	v_mul_f32_e32 v6, v5, v4
	v_fma_f32 v8, -v3, v6, v5
	v_fmac_f32_e32 v6, v8, v4
	v_fma_f32 v3, -v3, v6, v5
	v_div_fmas_f32 v3, v3, v4, v6
	v_div_fixup_f32 v2, v3, v2, 1.0
	v_fmaak_f32 v3, 0, v2, 0x3daaaaab
	v_fmaak_f32 v3, v2, v3, 0xbcaccacd
	;; [unrolled: 1-line block ×7, first 2 shown]
	v_mul_f32_e32 v2, v2, v3
.LBB37_621:
	s_or_b32 exec_lo, exec_lo, s0
	v_cmp_gt_f32_e32 vcc_lo, 0x800000, v7
	v_div_scale_f32 v3, null, v7, v7, -0.5
	v_div_scale_f32 v8, s0, -0.5, v7, -0.5
	v_cndmask_b32_e64 v4, 0, 32, vcc_lo
	v_rcp_f32_e32 v5, v3
	v_ldexp_f32 v4, v7, v4
	v_log_f32_e32 v4, v4
	v_fma_f32 v6, -v3, v5, 1.0
	v_fmac_f32_e32 v5, v6, v5
	v_mul_f32_e32 v6, 0x3f317217, v4
	v_mul_f32_e32 v9, v8, v5
	v_fma_f32 v6, 0x3f317217, v4, -v6
	v_fma_f32 v10, -v3, v9, v8
	v_fmamk_f32 v6, v4, 0x3377d1cf, v6
	v_fmac_f32_e32 v9, v10, v5
	v_cndmask_b32_e64 v10, 0, 0x41b17218, vcc_lo
	v_cmp_gt_f32_e64 vcc_lo, 0x7f800000, |v4|
	v_fmac_f32_e32 v6, 0x3f317217, v4
	v_fma_f32 v3, -v3, v9, v8
	v_cndmask_b32_e32 v4, v4, v6, vcc_lo
	s_mov_b32 vcc_lo, s0
	v_div_fmas_f32 v3, v3, v5, v9
	v_sub_f32_e32 v4, v4, v10
	v_div_fixup_f32 v3, v3, v7, -0.5
	v_add_f32_e32 v3, v4, v3
	v_sub_f32_e32 v2, v3, v2
	v_add_f32_e32 v1, v1, v2
	v_bfe_u32 v2, v1, 16, 1
	v_cmp_o_f32_e32 vcc_lo, v1, v1
	v_add3_u32 v1, v1, v2, 0x7fff
	v_mov_b32_e32 v2, 0x7fc0
	v_cndmask_b32_sdwa v2, v2, v1, vcc_lo dst_sel:DWORD dst_unused:UNUSED_PAD src0_sel:DWORD src1_sel:WORD_1
                                        ; implicit-def: $vgpr1
.LBB37_622:
	s_andn2_saveexec_b32 s0, s7
; %bb.623:
	v_add_f32_e32 v1, 0x40101cb7, v1
	v_bfe_u32 v2, v1, 16, 1
	v_cmp_o_f32_e32 vcc_lo, v1, v1
	v_add3_u32 v1, v1, v2, 0x7fff
	v_mov_b32_e32 v2, 0x7fc0
	v_cndmask_b32_sdwa v2, v2, v1, vcc_lo dst_sel:DWORD dst_unused:UNUSED_PAD src0_sel:DWORD src1_sel:WORD_1
; %bb.624:
	s_or_b32 exec_lo, exec_lo, s0
.LBB37_625:
	s_or_b32 exec_lo, exec_lo, s1
                                        ; implicit-def: $vgpr7
.LBB37_626:
	s_andn2_saveexec_b32 s0, s6
; %bb.627:
	v_xor_b32_e32 v1, 0x80000000, v7
	s_mov_b32 s1, 0x7f800000
	v_and_or_b32 v1, 0x80000000, v1, s1
	v_lshrrev_b32_e32 v2, 16, v1
; %bb.628:
	s_or_b32 exec_lo, exec_lo, s0
	global_store_short v0, v2, s[4:5]
	s_or_b32 exec_lo, exec_lo, s20
                                        ; implicit-def: $vgpr25
                                        ; implicit-def: $vgpr7
	s_andn2_saveexec_b32 s0, s25
	s_cbranch_execz .LBB37_557
	s_branch .LBB37_8
	.section	.rodata,"a",@progbits
	.p2align	6, 0x0
	.amdhsa_kernel _ZN2at6native32elementwise_kernel_manual_unrollILi128ELi8EZNS0_22gpu_kernel_impl_nocastIZZZNS0_19digamma_kernel_cudaERNS_18TensorIteratorBaseEENKUlvE_clEvENKUlvE2_clEvEUlN3c108BFloat16EE_EEvS4_RKT_EUlibE_EEviT1_
		.amdhsa_group_segment_fixed_size 0
		.amdhsa_private_segment_fixed_size 0
		.amdhsa_kernarg_size 360
		.amdhsa_user_sgpr_count 6
		.amdhsa_user_sgpr_private_segment_buffer 1
		.amdhsa_user_sgpr_dispatch_ptr 0
		.amdhsa_user_sgpr_queue_ptr 0
		.amdhsa_user_sgpr_kernarg_segment_ptr 1
		.amdhsa_user_sgpr_dispatch_id 0
		.amdhsa_user_sgpr_flat_scratch_init 0
		.amdhsa_user_sgpr_private_segment_size 0
		.amdhsa_wavefront_size32 1
		.amdhsa_uses_dynamic_stack 0
		.amdhsa_system_sgpr_private_segment_wavefront_offset 0
		.amdhsa_system_sgpr_workgroup_id_x 1
		.amdhsa_system_sgpr_workgroup_id_y 0
		.amdhsa_system_sgpr_workgroup_id_z 0
		.amdhsa_system_sgpr_workgroup_info 0
		.amdhsa_system_vgpr_workitem_id 0
		.amdhsa_next_free_vgpr 55
		.amdhsa_next_free_sgpr 56
		.amdhsa_reserve_vcc 1
		.amdhsa_reserve_flat_scratch 0
		.amdhsa_float_round_mode_32 0
		.amdhsa_float_round_mode_16_64 0
		.amdhsa_float_denorm_mode_32 3
		.amdhsa_float_denorm_mode_16_64 3
		.amdhsa_dx10_clamp 1
		.amdhsa_ieee_mode 1
		.amdhsa_fp16_overflow 0
		.amdhsa_workgroup_processor_mode 1
		.amdhsa_memory_ordered 1
		.amdhsa_forward_progress 1
		.amdhsa_shared_vgpr_count 0
		.amdhsa_exception_fp_ieee_invalid_op 0
		.amdhsa_exception_fp_denorm_src 0
		.amdhsa_exception_fp_ieee_div_zero 0
		.amdhsa_exception_fp_ieee_overflow 0
		.amdhsa_exception_fp_ieee_underflow 0
		.amdhsa_exception_fp_ieee_inexact 0
		.amdhsa_exception_int_div_zero 0
	.end_amdhsa_kernel
	.section	.text._ZN2at6native32elementwise_kernel_manual_unrollILi128ELi8EZNS0_22gpu_kernel_impl_nocastIZZZNS0_19digamma_kernel_cudaERNS_18TensorIteratorBaseEENKUlvE_clEvENKUlvE2_clEvEUlN3c108BFloat16EE_EEvS4_RKT_EUlibE_EEviT1_,"axG",@progbits,_ZN2at6native32elementwise_kernel_manual_unrollILi128ELi8EZNS0_22gpu_kernel_impl_nocastIZZZNS0_19digamma_kernel_cudaERNS_18TensorIteratorBaseEENKUlvE_clEvENKUlvE2_clEvEUlN3c108BFloat16EE_EEvS4_RKT_EUlibE_EEviT1_,comdat
.Lfunc_end37:
	.size	_ZN2at6native32elementwise_kernel_manual_unrollILi128ELi8EZNS0_22gpu_kernel_impl_nocastIZZZNS0_19digamma_kernel_cudaERNS_18TensorIteratorBaseEENKUlvE_clEvENKUlvE2_clEvEUlN3c108BFloat16EE_EEvS4_RKT_EUlibE_EEviT1_, .Lfunc_end37-_ZN2at6native32elementwise_kernel_manual_unrollILi128ELi8EZNS0_22gpu_kernel_impl_nocastIZZZNS0_19digamma_kernel_cudaERNS_18TensorIteratorBaseEENKUlvE_clEvENKUlvE2_clEvEUlN3c108BFloat16EE_EEvS4_RKT_EUlibE_EEviT1_
                                        ; -- End function
	.set _ZN2at6native32elementwise_kernel_manual_unrollILi128ELi8EZNS0_22gpu_kernel_impl_nocastIZZZNS0_19digamma_kernel_cudaERNS_18TensorIteratorBaseEENKUlvE_clEvENKUlvE2_clEvEUlN3c108BFloat16EE_EEvS4_RKT_EUlibE_EEviT1_.num_vgpr, 55
	.set _ZN2at6native32elementwise_kernel_manual_unrollILi128ELi8EZNS0_22gpu_kernel_impl_nocastIZZZNS0_19digamma_kernel_cudaERNS_18TensorIteratorBaseEENKUlvE_clEvENKUlvE2_clEvEUlN3c108BFloat16EE_EEvS4_RKT_EUlibE_EEviT1_.num_agpr, 0
	.set _ZN2at6native32elementwise_kernel_manual_unrollILi128ELi8EZNS0_22gpu_kernel_impl_nocastIZZZNS0_19digamma_kernel_cudaERNS_18TensorIteratorBaseEENKUlvE_clEvENKUlvE2_clEvEUlN3c108BFloat16EE_EEvS4_RKT_EUlibE_EEviT1_.numbered_sgpr, 56
	.set _ZN2at6native32elementwise_kernel_manual_unrollILi128ELi8EZNS0_22gpu_kernel_impl_nocastIZZZNS0_19digamma_kernel_cudaERNS_18TensorIteratorBaseEENKUlvE_clEvENKUlvE2_clEvEUlN3c108BFloat16EE_EEvS4_RKT_EUlibE_EEviT1_.num_named_barrier, 0
	.set _ZN2at6native32elementwise_kernel_manual_unrollILi128ELi8EZNS0_22gpu_kernel_impl_nocastIZZZNS0_19digamma_kernel_cudaERNS_18TensorIteratorBaseEENKUlvE_clEvENKUlvE2_clEvEUlN3c108BFloat16EE_EEvS4_RKT_EUlibE_EEviT1_.private_seg_size, 0
	.set _ZN2at6native32elementwise_kernel_manual_unrollILi128ELi8EZNS0_22gpu_kernel_impl_nocastIZZZNS0_19digamma_kernel_cudaERNS_18TensorIteratorBaseEENKUlvE_clEvENKUlvE2_clEvEUlN3c108BFloat16EE_EEvS4_RKT_EUlibE_EEviT1_.uses_vcc, 1
	.set _ZN2at6native32elementwise_kernel_manual_unrollILi128ELi8EZNS0_22gpu_kernel_impl_nocastIZZZNS0_19digamma_kernel_cudaERNS_18TensorIteratorBaseEENKUlvE_clEvENKUlvE2_clEvEUlN3c108BFloat16EE_EEvS4_RKT_EUlibE_EEviT1_.uses_flat_scratch, 0
	.set _ZN2at6native32elementwise_kernel_manual_unrollILi128ELi8EZNS0_22gpu_kernel_impl_nocastIZZZNS0_19digamma_kernel_cudaERNS_18TensorIteratorBaseEENKUlvE_clEvENKUlvE2_clEvEUlN3c108BFloat16EE_EEvS4_RKT_EUlibE_EEviT1_.has_dyn_sized_stack, 0
	.set _ZN2at6native32elementwise_kernel_manual_unrollILi128ELi8EZNS0_22gpu_kernel_impl_nocastIZZZNS0_19digamma_kernel_cudaERNS_18TensorIteratorBaseEENKUlvE_clEvENKUlvE2_clEvEUlN3c108BFloat16EE_EEvS4_RKT_EUlibE_EEviT1_.has_recursion, 0
	.set _ZN2at6native32elementwise_kernel_manual_unrollILi128ELi8EZNS0_22gpu_kernel_impl_nocastIZZZNS0_19digamma_kernel_cudaERNS_18TensorIteratorBaseEENKUlvE_clEvENKUlvE2_clEvEUlN3c108BFloat16EE_EEvS4_RKT_EUlibE_EEviT1_.has_indirect_call, 0
	.section	.AMDGPU.csdata,"",@progbits
; Kernel info:
; codeLenInByte = 51276
; TotalNumSgprs: 58
; NumVgprs: 55
; ScratchSize: 0
; MemoryBound: 0
; FloatMode: 240
; IeeeMode: 1
; LDSByteSize: 0 bytes/workgroup (compile time only)
; SGPRBlocks: 0
; VGPRBlocks: 6
; NumSGPRsForWavesPerEU: 58
; NumVGPRsForWavesPerEU: 55
; Occupancy: 16
; WaveLimiterHint : 1
; COMPUTE_PGM_RSRC2:SCRATCH_EN: 0
; COMPUTE_PGM_RSRC2:USER_SGPR: 6
; COMPUTE_PGM_RSRC2:TRAP_HANDLER: 0
; COMPUTE_PGM_RSRC2:TGID_X_EN: 1
; COMPUTE_PGM_RSRC2:TGID_Y_EN: 0
; COMPUTE_PGM_RSRC2:TGID_Z_EN: 0
; COMPUTE_PGM_RSRC2:TIDIG_COMP_CNT: 0
	.section	.text._ZN2at6native32elementwise_kernel_manual_unrollILi128ELi4EZNS0_15gpu_kernel_implIZZZNS0_19digamma_kernel_cudaERNS_18TensorIteratorBaseEENKUlvE_clEvENKUlvE2_clEvEUlN3c108BFloat16EE_EEvS4_RKT_EUlibE_EEviT1_,"axG",@progbits,_ZN2at6native32elementwise_kernel_manual_unrollILi128ELi4EZNS0_15gpu_kernel_implIZZZNS0_19digamma_kernel_cudaERNS_18TensorIteratorBaseEENKUlvE_clEvENKUlvE2_clEvEUlN3c108BFloat16EE_EEvS4_RKT_EUlibE_EEviT1_,comdat
	.globl	_ZN2at6native32elementwise_kernel_manual_unrollILi128ELi4EZNS0_15gpu_kernel_implIZZZNS0_19digamma_kernel_cudaERNS_18TensorIteratorBaseEENKUlvE_clEvENKUlvE2_clEvEUlN3c108BFloat16EE_EEvS4_RKT_EUlibE_EEviT1_ ; -- Begin function _ZN2at6native32elementwise_kernel_manual_unrollILi128ELi4EZNS0_15gpu_kernel_implIZZZNS0_19digamma_kernel_cudaERNS_18TensorIteratorBaseEENKUlvE_clEvENKUlvE2_clEvEUlN3c108BFloat16EE_EEvS4_RKT_EUlibE_EEviT1_
	.p2align	8
	.type	_ZN2at6native32elementwise_kernel_manual_unrollILi128ELi4EZNS0_15gpu_kernel_implIZZZNS0_19digamma_kernel_cudaERNS_18TensorIteratorBaseEENKUlvE_clEvENKUlvE2_clEvEUlN3c108BFloat16EE_EEvS4_RKT_EUlibE_EEviT1_,@function
_ZN2at6native32elementwise_kernel_manual_unrollILi128ELi4EZNS0_15gpu_kernel_implIZZZNS0_19digamma_kernel_cudaERNS_18TensorIteratorBaseEENKUlvE_clEvENKUlvE2_clEvEUlN3c108BFloat16EE_EEvS4_RKT_EUlibE_EEviT1_: ; @_ZN2at6native32elementwise_kernel_manual_unrollILi128ELi4EZNS0_15gpu_kernel_implIZZZNS0_19digamma_kernel_cudaERNS_18TensorIteratorBaseEENKUlvE_clEvENKUlvE2_clEvEUlN3c108BFloat16EE_EEvS4_RKT_EUlibE_EEviT1_
; %bb.0:
	v_mov_b32_e32 v1, 0
	s_clause 0x2
	s_load_dword s13, s[4:5], 0x0
	s_load_dwordx2 s[2:3], s[4:5], 0x18
	s_load_dwordx4 s[8:11], s[4:5], 0x8
	v_lshl_or_b32 v6, s6, 9, v0
	s_mov_b32 s12, 0
	global_load_ushort v1, v1, s[4:5] offset:33
	s_mov_b32 s5, 0
	v_or_b32_e32 v0, 0x180, v6
	s_waitcnt vmcnt(0)
	v_readfirstlane_b32 s4, v1
	s_and_b32 s0, 0xffff, s4
	s_lshr_b32 s6, s0, 8
	s_mov_b32 s0, exec_lo
	s_waitcnt lgkmcnt(0)
	v_cmpx_le_i32_e64 s13, v0
	s_xor_b32 s7, exec_lo, s0
	s_cbranch_execz .LBB38_1127
; %bb.1:
	s_mov_b32 s1, -1
	s_mov_b32 s16, 0
	s_mov_b32 s14, 0
	s_mov_b32 s15, exec_lo
	v_cmpx_gt_i32_e64 s13, v6
	s_cbranch_execz .LBB38_276
; %bb.2:
	v_mul_lo_u32 v0, v6, s3
	s_and_b32 s0, 0xffff, s6
	s_cmp_lt_i32 s0, 11
	v_ashrrev_i32_e32 v1, 31, v0
	v_add_co_u32 v0, vcc_lo, s10, v0
	v_add_co_ci_u32_e64 v1, null, s11, v1, vcc_lo
	s_cbranch_scc1 .LBB38_9
; %bb.3:
	s_cmp_gt_i32 s0, 25
	s_cbranch_scc0 .LBB38_42
; %bb.4:
	s_cmp_gt_i32 s0, 28
	s_cbranch_scc0 .LBB38_45
	;; [unrolled: 3-line block ×4, first 2 shown]
; %bb.7:
	s_cmp_eq_u32 s0, 46
	s_cbranch_scc0 .LBB38_51
; %bb.8:
	global_load_dword v2, v[0:1], off
	s_branch .LBB38_53
.LBB38_9:
	s_mov_b32 s1, 0
                                        ; implicit-def: $vgpr2
	s_cbranch_execnz .LBB38_226
.LBB38_10:
	s_andn2_b32 vcc_lo, exec_lo, s1
	s_cbranch_vccnz .LBB38_273
.LBB38_11:
	s_waitcnt vmcnt(0)
	v_lshlrev_b32_e32 v7, 16, v2
                                        ; implicit-def: $vgpr2
	s_mov_b32 s0, exec_lo
	v_cmpx_neq_f32_e32 0, v7
	s_xor_b32 s12, exec_lo, s0
	s_cbranch_execz .LBB38_33
; %bb.12:
	v_mov_b32_e32 v0, 0
	s_mov_b32 s0, -1
	s_mov_b32 s17, exec_lo
	v_cmpx_gt_f32_e32 0, v7
	s_cbranch_execz .LBB38_20
; %bb.13:
	v_trunc_f32_e32 v0, v7
	s_mov_b32 s1, 0
	v_cmp_neq_f32_e32 vcc_lo, v0, v7
	v_mov_b32_e32 v0, 0
	s_and_saveexec_b32 s18, vcc_lo
	s_cbranch_execz .LBB38_19
; %bb.14:
	v_cvt_f64_f32_e32 v[0:1], v7
	s_mov_b32 s1, 0xc00921fb
	s_mov_b32 s0, 0x54442d18
	s_mov_b32 s19, exec_lo
                                        ; implicit-def: $vgpr8
                                        ; implicit-def: $vgpr4_vgpr5
	v_trunc_f64_e32 v[2:3], v[0:1]
	v_cmp_neq_f64_e64 vcc_lo, 0x7ff00000, |v[0:1]|
	v_add_f64 v[2:3], v[0:1], -v[2:3]
	v_mul_f64 v[2:3], |v[2:3]|, s[0:1]
	v_cndmask_b32_e32 v1, 0x80000000, v3, vcc_lo
	v_cndmask_b32_e32 v0, 0, v2, vcc_lo
                                        ; implicit-def: $vgpr2_vgpr3
	v_cmpx_ngt_f64_e64 0x41d00000, |v[0:1]|
	s_xor_b32 s19, exec_lo, s19
	s_cbranch_execz .LBB38_16
; %bb.15:
	v_ldexp_f64 v[2:3], |v[0:1]|, 0xffffff80
	v_cmp_le_f64_e64 vcc_lo, 0x7b000000, |v[0:1]|
	v_trig_preop_f64 v[4:5], |v[0:1]|, 0
	v_and_b32_e32 v8, 0x7fffffff, v1
	v_trig_preop_f64 v[18:19], |v[0:1]|, 2
	v_mov_b32_e32 v26, 0
	s_mov_b32 s1, 0x3ff921fb
	s_mov_b32 s20, 0x33145c07
	;; [unrolled: 1-line block ×3, first 2 shown]
	v_cndmask_b32_e32 v3, v8, v3, vcc_lo
	v_cndmask_b32_e32 v2, v0, v2, vcc_lo
	v_trig_preop_f64 v[8:9], |v[0:1]|, 1
	v_mul_f64 v[10:11], v[4:5], v[2:3]
	v_mul_f64 v[24:25], v[18:19], v[2:3]
	;; [unrolled: 1-line block ×3, first 2 shown]
	v_fma_f64 v[4:5], v[4:5], v[2:3], -v[10:11]
	v_fma_f64 v[8:9], v[8:9], v[2:3], -v[12:13]
	;; [unrolled: 1-line block ×3, first 2 shown]
	v_add_f64 v[14:15], v[12:13], v[4:5]
	v_add_f64 v[16:17], v[14:15], -v[12:13]
	v_add_f64 v[22:23], v[10:11], v[14:15]
	v_add_f64 v[20:21], v[14:15], -v[16:17]
	v_add_f64 v[4:5], v[4:5], -v[16:17]
	v_ldexp_f64 v[16:17], v[22:23], -2
	v_add_f64 v[10:11], v[22:23], -v[10:11]
	v_add_f64 v[12:13], v[12:13], -v[20:21]
	v_add_f64 v[20:21], v[24:25], v[8:9]
	v_cmp_neq_f64_e64 vcc_lo, 0x7ff00000, |v[16:17]|
	v_add_f64 v[10:11], v[14:15], -v[10:11]
	v_add_f64 v[4:5], v[4:5], v[12:13]
	v_fract_f64_e32 v[12:13], v[16:17]
	v_add_f64 v[14:15], v[20:21], v[4:5]
	v_ldexp_f64 v[12:13], v[12:13], 2
	v_add_f64 v[16:17], v[10:11], v[14:15]
	v_cndmask_b32_e32 v13, 0, v13, vcc_lo
	v_cndmask_b32_e32 v12, 0, v12, vcc_lo
	v_add_f64 v[22:23], v[16:17], v[12:13]
	v_add_f64 v[10:11], v[16:17], -v[10:11]
	v_cmp_gt_f64_e32 vcc_lo, 0, v[22:23]
	v_add_f64 v[22:23], v[20:21], -v[24:25]
	v_cndmask_b32_e64 v27, 0, 0x40100000, vcc_lo
	v_add_f64 v[31:32], v[20:21], -v[22:23]
	v_add_f64 v[8:9], v[8:9], -v[22:23]
	v_add_f64 v[12:13], v[12:13], v[26:27]
	v_add_f64 v[27:28], v[14:15], -v[20:21]
	v_add_f64 v[22:23], v[24:25], -v[31:32]
	v_add_f64 v[29:30], v[16:17], v[12:13]
	v_add_f64 v[33:34], v[14:15], -v[27:28]
	v_add_f64 v[4:5], v[4:5], -v[27:28]
	v_add_f64 v[8:9], v[8:9], v[22:23]
	v_cvt_i32_f64_e32 v29, v[29:30]
	v_add_f64 v[20:21], v[20:21], -v[33:34]
	v_cvt_f64_i32_e32 v[27:28], v29
	v_add_f64 v[4:5], v[4:5], v[20:21]
	v_add_f64 v[12:13], v[12:13], -v[27:28]
	v_add_f64 v[4:5], v[8:9], v[4:5]
	v_add_f64 v[8:9], v[14:15], -v[10:11]
	v_add_f64 v[18:19], v[16:17], v[12:13]
	v_add_f64 v[2:3], v[2:3], v[4:5]
	v_add_f64 v[4:5], v[18:19], -v[12:13]
	v_cmp_le_f64_e32 vcc_lo, 0.5, v[18:19]
	v_add_f64 v[2:3], v[8:9], v[2:3]
	v_add_f64 v[4:5], v[16:17], -v[4:5]
	v_cndmask_b32_e64 v27, 0, 0x3ff00000, vcc_lo
	v_add_co_ci_u32_e64 v8, null, 0, v29, vcc_lo
	v_add_f64 v[2:3], v[2:3], v[4:5]
	v_add_f64 v[4:5], v[18:19], -v[26:27]
	v_add_f64 v[9:10], v[4:5], v[2:3]
	v_mul_f64 v[11:12], v[9:10], s[0:1]
	v_add_f64 v[4:5], v[9:10], -v[4:5]
	v_fma_f64 v[13:14], v[9:10], s[0:1], -v[11:12]
	v_add_f64 v[2:3], v[2:3], -v[4:5]
	v_fma_f64 v[4:5], v[9:10], s[20:21], v[13:14]
	v_fma_f64 v[4:5], v[2:3], s[0:1], v[4:5]
	v_add_f64 v[2:3], v[11:12], v[4:5]
	v_add_f64 v[9:10], v[2:3], -v[11:12]
	v_add_f64 v[4:5], v[4:5], -v[9:10]
.LBB38_16:
	s_andn2_saveexec_b32 s0, s19
	s_cbranch_execz .LBB38_18
; %bb.17:
	s_mov_b32 s20, 0x6dc9c883
	s_mov_b32 s21, 0x3fe45f30
	;; [unrolled: 1-line block ×3, first 2 shown]
	v_mul_f64 v[2:3], |v[0:1]|, s[20:21]
	s_mov_b32 s20, 0x54442d18
	s_mov_b32 s21, 0xbff921fb
	;; [unrolled: 1-line block ×3, first 2 shown]
	v_rndne_f64_e32 v[8:9], v[2:3]
	v_fma_f64 v[2:3], v[8:9], s[20:21], |v[0:1]|
	v_mul_f64 v[4:5], v[8:9], s[22:23]
	s_mov_b32 s20, 0x252049c0
	s_mov_b32 s21, 0xb97b839a
	v_fma_f64 v[12:13], v[8:9], s[22:23], v[2:3]
	v_add_f64 v[10:11], v[2:3], v[4:5]
	s_mov_b32 s23, 0x3c91a626
	v_add_f64 v[2:3], v[2:3], -v[10:11]
	v_add_f64 v[10:11], v[10:11], -v[12:13]
	v_add_f64 v[2:3], v[2:3], v[4:5]
	v_fma_f64 v[4:5], v[8:9], s[22:23], v[4:5]
	v_add_f64 v[2:3], v[10:11], v[2:3]
	v_add_f64 v[2:3], v[2:3], -v[4:5]
	v_fma_f64 v[4:5], v[8:9], s[20:21], v[2:3]
	v_cvt_i32_f64_e32 v8, v[8:9]
	v_add_f64 v[2:3], v[12:13], v[4:5]
	v_add_f64 v[10:11], v[2:3], -v[12:13]
	v_add_f64 v[4:5], v[4:5], -v[10:11]
.LBB38_18:
	s_or_b32 exec_lo, exec_lo, s0
	v_mul_f64 v[9:10], v[2:3], v[2:3]
	v_add_f64 v[11:12], v[4:5], v[4:5]
	s_mov_b32 s20, 0xa9a29f71
	s_mov_b32 s22, 0xc751c08c
	;; [unrolled: 1-line block ×4, first 2 shown]
	v_cmp_class_f64_e64 s0, v[0:1], 0x1f8
	v_and_b32_e32 v8, 1, v8
	v_and_b32_e32 v1, 0x80000000, v1
	v_sub_f32_e32 v7, 1.0, v7
	s_mov_b32 s1, exec_lo
	v_cmp_eq_u32_e32 vcc_lo, 0, v8
	v_fma_f64 v[13:14], v[2:3], v[2:3], -v[9:10]
	v_fma_f64 v[11:12], v[2:3], v[11:12], v[13:14]
	v_add_f64 v[9:10], v[9:10], v[11:12]
	v_fma_f64 v[11:12], v[9:10], s[22:23], s[20:21]
	s_mov_b32 s20, 0x90a8aae0
	s_mov_b32 s21, 0x3f17746f
	v_fma_f64 v[11:12], v[9:10], v[11:12], s[20:21]
	s_mov_b32 s20, 0xa6fbf144
	s_mov_b32 s21, 0xbefbb44d
	;; [unrolled: 3-line block ×13, first 2 shown]
	v_mul_f64 v[9:10], v[9:10], v[11:12]
	v_mul_f64 v[11:12], v[2:3], v[9:10]
	v_add_f64 v[13:14], v[2:3], v[11:12]
	v_fma_f64 v[9:10], v[2:3], v[9:10], -v[11:12]
	v_add_f64 v[2:3], v[13:14], -v[2:3]
	v_add_f64 v[4:5], v[4:5], v[9:10]
	v_add_f64 v[2:3], v[11:12], -v[2:3]
	v_add_f64 v[2:3], v[4:5], v[2:3]
	v_add_f64 v[4:5], v[13:14], v[2:3]
	v_rcp_f64_e32 v[9:10], v[4:5]
	v_fma_f64 v[11:12], -v[4:5], v[9:10], 1.0
	v_fma_f64 v[9:10], v[11:12], v[9:10], v[9:10]
	v_fma_f64 v[11:12], -v[4:5], v[9:10], 1.0
	v_fma_f64 v[9:10], v[11:12], v[9:10], v[9:10]
	v_add_f64 v[11:12], v[4:5], -v[13:14]
	v_mul_f64 v[13:14], v[4:5], v[9:10]
	v_add_f64 v[2:3], v[2:3], -v[11:12]
	v_fma_f64 v[11:12], v[9:10], v[4:5], -v[13:14]
	v_fma_f64 v[2:3], v[9:10], v[2:3], v[11:12]
	v_add_f64 v[11:12], v[13:14], v[2:3]
	v_add_f64 v[15:16], -v[11:12], 1.0
	v_add_f64 v[13:14], v[11:12], -v[13:14]
	v_add_f64 v[17:18], -v[15:16], 1.0
	v_add_f64 v[2:3], v[13:14], -v[2:3]
	v_add_f64 v[11:12], v[17:18], -v[11:12]
	v_add_f64 v[2:3], v[2:3], v[11:12]
	v_add_f64 v[2:3], v[15:16], v[2:3]
	v_mul_f64 v[2:3], v[9:10], v[2:3]
	v_add_f64 v[2:3], v[9:10], v[2:3]
	v_xor_b32_e32 v0, 0x80000000, v3
	v_cndmask_b32_e32 v2, v2, v4, vcc_lo
	v_cndmask_b32_e32 v0, v0, v5, vcc_lo
	v_xor_b32_e32 v1, v0, v1
	v_cndmask_b32_e64 v0, 0, v2, s0
	v_cndmask_b32_e64 v1, 0x7ff80000, v1, s0
	v_div_scale_f64 v[2:3], null, v[0:1], v[0:1], s[20:21]
	v_rcp_f64_e32 v[4:5], v[2:3]
	v_fma_f64 v[8:9], -v[2:3], v[4:5], 1.0
	v_fma_f64 v[4:5], v[4:5], v[8:9], v[4:5]
	v_fma_f64 v[8:9], -v[2:3], v[4:5], 1.0
	v_fma_f64 v[4:5], v[4:5], v[8:9], v[4:5]
	v_div_scale_f64 v[8:9], vcc_lo, s[20:21], v[0:1], s[20:21]
	v_mul_f64 v[10:11], v[8:9], v[4:5]
	v_fma_f64 v[2:3], -v[2:3], v[10:11], v[8:9]
	v_div_fmas_f64 v[2:3], v[2:3], v[4:5], v[10:11]
	v_div_fixup_f64 v[0:1], v[2:3], v[0:1], s[20:21]
	v_cvt_f32_f64_e32 v0, v[0:1]
.LBB38_19:
	s_or_b32 exec_lo, exec_lo, s18
	s_orn2_b32 s0, s1, exec_lo
.LBB38_20:
	s_or_b32 exec_lo, exec_lo, s17
	v_mov_b32_e32 v2, 0x7fc0
	s_and_saveexec_b32 s1, s0
	s_cbranch_execz .LBB38_32
; %bb.21:
	s_mov_b32 s0, exec_lo
	v_cmpx_gt_f32_e32 0x41200000, v7
	s_cbranch_execz .LBB38_25
; %bb.22:
	s_mov_b32 s17, 0
	.p2align	6
.LBB38_23:                              ; =>This Inner Loop Header: Depth=1
	v_div_scale_f32 v1, null, v7, v7, 1.0
	v_div_scale_f32 v4, vcc_lo, 1.0, v7, 1.0
	v_rcp_f32_e32 v2, v1
	v_fma_f32 v3, -v1, v2, 1.0
	v_fmac_f32_e32 v2, v3, v2
	v_mul_f32_e32 v3, v4, v2
	v_fma_f32 v5, -v1, v3, v4
	v_fmac_f32_e32 v3, v5, v2
	v_fma_f32 v1, -v1, v3, v4
	v_div_fmas_f32 v1, v1, v2, v3
	v_div_fixup_f32 v1, v1, v7, 1.0
	v_add_f32_e32 v7, 1.0, v7
	v_sub_f32_e32 v0, v0, v1
	v_cmp_ngt_f32_e32 vcc_lo, 0x41200000, v7
	s_or_b32 s17, vcc_lo, s17
	s_andn2_b32 exec_lo, exec_lo, s17
	s_cbranch_execnz .LBB38_23
; %bb.24:
	s_or_b32 exec_lo, exec_lo, s17
.LBB38_25:
	s_or_b32 exec_lo, exec_lo, s0
                                        ; implicit-def: $vgpr2
	s_mov_b32 s0, exec_lo
	v_cmpx_neq_f32_e32 0x41200000, v7
	s_xor_b32 s17, exec_lo, s0
	s_cbranch_execz .LBB38_29
; %bb.26:
	v_cvt_f64_f32_e32 v[1:2], v7
	s_mov_b32 s18, 0x85d8a000
	s_mov_b32 s19, 0x43763457
	v_cmp_gt_f64_e32 vcc_lo, s[18:19], v[1:2]
	v_mov_b32_e32 v1, 0
	s_and_saveexec_b32 s0, vcc_lo
	s_cbranch_execz .LBB38_28
; %bb.27:
	v_mul_f32_e32 v1, v7, v7
	v_div_scale_f32 v2, null, v1, v1, 1.0
	v_rcp_f32_e32 v3, v2
	v_fma_f32 v4, -v2, v3, 1.0
	v_fmac_f32_e32 v3, v4, v3
	v_div_scale_f32 v4, vcc_lo, 1.0, v1, 1.0
	v_mul_f32_e32 v5, v4, v3
	v_fma_f32 v8, -v2, v5, v4
	v_fmac_f32_e32 v5, v8, v3
	v_fma_f32 v2, -v2, v5, v4
	v_div_fmas_f32 v2, v2, v3, v5
	v_div_fixup_f32 v1, v2, v1, 1.0
	v_fmaak_f32 v2, 0, v1, 0x3daaaaab
	v_fmaak_f32 v2, v1, v2, 0xbcaccacd
	;; [unrolled: 1-line block ×7, first 2 shown]
	v_mul_f32_e32 v1, v1, v2
.LBB38_28:
	s_or_b32 exec_lo, exec_lo, s0
	v_cmp_gt_f32_e32 vcc_lo, 0x800000, v7
	v_div_scale_f32 v2, null, v7, v7, -0.5
	v_div_scale_f32 v8, s0, -0.5, v7, -0.5
	v_cndmask_b32_e64 v3, 0, 32, vcc_lo
	v_rcp_f32_e32 v4, v2
	v_ldexp_f32 v3, v7, v3
	v_log_f32_e32 v3, v3
	v_fma_f32 v5, -v2, v4, 1.0
	v_fmac_f32_e32 v4, v5, v4
	v_mul_f32_e32 v5, 0x3f317217, v3
	v_mul_f32_e32 v9, v8, v4
	v_fma_f32 v5, 0x3f317217, v3, -v5
	v_fma_f32 v10, -v2, v9, v8
	v_fmamk_f32 v5, v3, 0x3377d1cf, v5
	v_fmac_f32_e32 v9, v10, v4
	v_cndmask_b32_e64 v10, 0, 0x41b17218, vcc_lo
	v_cmp_gt_f32_e64 vcc_lo, 0x7f800000, |v3|
	v_fmac_f32_e32 v5, 0x3f317217, v3
	v_fma_f32 v2, -v2, v9, v8
	v_cndmask_b32_e32 v3, v3, v5, vcc_lo
	s_mov_b32 vcc_lo, s0
	v_div_fmas_f32 v2, v2, v4, v9
	v_sub_f32_e32 v3, v3, v10
	v_div_fixup_f32 v2, v2, v7, -0.5
	v_add_f32_e32 v2, v3, v2
	v_sub_f32_e32 v1, v2, v1
	v_add_f32_e32 v0, v0, v1
	v_bfe_u32 v1, v0, 16, 1
	v_cmp_o_f32_e32 vcc_lo, v0, v0
	v_add3_u32 v0, v0, v1, 0x7fff
	v_mov_b32_e32 v1, 0x7fc0
	v_cndmask_b32_sdwa v2, v1, v0, vcc_lo dst_sel:DWORD dst_unused:UNUSED_PAD src0_sel:DWORD src1_sel:WORD_1
                                        ; implicit-def: $vgpr0
.LBB38_29:
	s_andn2_saveexec_b32 s0, s17
; %bb.30:
	v_add_f32_e32 v0, 0x40101cb7, v0
	v_bfe_u32 v1, v0, 16, 1
	v_cmp_o_f32_e32 vcc_lo, v0, v0
	v_add3_u32 v0, v0, v1, 0x7fff
	v_mov_b32_e32 v1, 0x7fc0
	v_cndmask_b32_sdwa v2, v1, v0, vcc_lo dst_sel:DWORD dst_unused:UNUSED_PAD src0_sel:DWORD src1_sel:WORD_1
; %bb.31:
	s_or_b32 exec_lo, exec_lo, s0
.LBB38_32:
	s_or_b32 exec_lo, exec_lo, s1
                                        ; implicit-def: $vgpr7
.LBB38_33:
	s_andn2_saveexec_b32 s0, s12
; %bb.34:
	v_xor_b32_e32 v0, 0x80000000, v7
	s_mov_b32 s1, 0x7f800000
	v_and_or_b32 v0, 0x80000000, v0, s1
	v_lshrrev_b32_e32 v2, 16, v0
; %bb.35:
	s_or_b32 exec_lo, exec_lo, s0
	v_mul_lo_u32 v0, v6, s2
	s_and_b32 s1, s4, 0xff
	s_cmp_lt_i32 s1, 11
	v_ashrrev_i32_e32 v1, 31, v0
	v_add_co_u32 v0, vcc_lo, s8, v0
	v_add_co_ci_u32_e64 v1, null, s9, v1, vcc_lo
	s_cbranch_scc1 .LBB38_43
; %bb.36:
	s_and_b32 s12, 0xffff, s1
	s_cmp_gt_i32 s12, 25
	s_cbranch_scc0 .LBB38_46
; %bb.37:
	s_cmp_gt_i32 s12, 28
	s_cbranch_scc0 .LBB38_48
; %bb.38:
	s_cmp_gt_i32 s12, 43
	s_cbranch_scc0 .LBB38_50
; %bb.39:
	s_cmp_gt_i32 s12, 45
	s_cbranch_scc0 .LBB38_56
; %bb.40:
	s_mov_b32 s18, 0
	s_mov_b32 s0, -1
	s_cmp_eq_u32 s12, 46
	s_mov_b32 s17, 0
	s_cbranch_scc0 .LBB38_57
; %bb.41:
	v_and_b32_e32 v3, 0xffff, v2
	s_mov_b32 s17, -1
	s_mov_b32 s0, 0
	global_store_dword v[0:1], v3, off
	s_branch .LBB38_57
.LBB38_42:
	s_mov_b32 s1, 0
                                        ; implicit-def: $vgpr2
	s_cbranch_execnz .LBB38_191
	s_branch .LBB38_225
.LBB38_43:
	s_mov_b32 s0, 0
	s_mov_b32 s17, 0
	s_cbranch_execnz .LBB38_126
.LBB38_44:
	s_andn2_b32 vcc_lo, exec_lo, s17
	s_cbranch_vccnz .LBB38_274
	s_branch .LBB38_164
.LBB38_45:
	s_mov_b32 s12, -1
	s_mov_b32 s1, 0
                                        ; implicit-def: $vgpr2
	s_branch .LBB38_172
.LBB38_46:
	s_mov_b32 s18, -1
	s_mov_b32 s0, 0
	s_mov_b32 s17, 0
	s_branch .LBB38_84
.LBB38_47:
	s_mov_b32 s12, -1
	s_mov_b32 s1, 0
                                        ; implicit-def: $vgpr2
	s_branch .LBB38_167
.LBB38_48:
	s_mov_b32 s18, -1
	s_mov_b32 s0, 0
	s_mov_b32 s17, 0
	s_branch .LBB38_67
.LBB38_49:
	s_mov_b32 s12, -1
	s_branch .LBB38_52
.LBB38_50:
	s_mov_b32 s18, -1
	s_mov_b32 s0, 0
	s_mov_b32 s17, 0
	s_branch .LBB38_63
.LBB38_51:
	s_mov_b32 s14, -1
.LBB38_52:
	s_mov_b32 s1, 0
                                        ; implicit-def: $vgpr2
.LBB38_53:
	s_and_b32 vcc_lo, exec_lo, s12
	s_cbranch_vccz .LBB38_166
; %bb.54:
	s_cmp_eq_u32 s0, 44
	s_cbranch_scc0 .LBB38_165
; %bb.55:
	global_load_ubyte v2, v[0:1], off
	s_mov_b32 s14, 0
	s_mov_b32 s1, -1
	s_waitcnt vmcnt(0)
	v_lshlrev_b32_e32 v3, 23, v2
	v_cmp_ne_u32_e32 vcc_lo, 0xff, v2
	v_cndmask_b32_e32 v3, 0x7f800001, v3, vcc_lo
	v_cmp_ne_u32_e32 vcc_lo, 0, v2
	v_cndmask_b32_e32 v2, 0x400000, v3, vcc_lo
	v_mov_b32_e32 v3, 0x7fc0
	v_cmp_o_f32_e32 vcc_lo, v2, v2
	v_add_nc_u32_e32 v2, 0x7fff, v2
	v_cndmask_b32_sdwa v2, v3, v2, vcc_lo dst_sel:DWORD dst_unused:UNUSED_PAD src0_sel:DWORD src1_sel:WORD_1
	s_branch .LBB38_166
.LBB38_56:
	s_mov_b32 s18, -1
	s_mov_b32 s0, 0
	s_mov_b32 s17, 0
.LBB38_57:
	s_and_b32 vcc_lo, exec_lo, s18
	s_cbranch_vccz .LBB38_62
; %bb.58:
	s_cmp_eq_u32 s12, 44
	s_mov_b32 s0, -1
	s_cbranch_scc0 .LBB38_62
; %bb.59:
	v_and_b32_e32 v3, 0xffff, v2
	v_mov_b32_e32 v4, 0xff
	s_mov_b32 s17, exec_lo
	v_bfe_u32 v5, v3, 7, 8
	v_cmpx_ne_u32_e32 0xff, v5
	s_cbranch_execz .LBB38_61
; %bb.60:
	v_lshlrev_b32_e32 v4, 16, v3
	v_and_b32_e32 v7, 64, v3
	v_lshrrev_b32_e32 v3, 7, v3
	v_and_or_b32 v4, 0x3f0000, v4, v5
	v_cmp_ne_u32_e32 vcc_lo, 0, v7
	v_cmp_ne_u32_e64 s0, 0, v4
	s_and_b32 s0, vcc_lo, s0
	v_cndmask_b32_e64 v4, 0, 1, s0
	v_add_nc_u32_e32 v4, v3, v4
.LBB38_61:
	s_or_b32 exec_lo, exec_lo, s17
	s_mov_b32 s17, -1
	s_mov_b32 s0, 0
	global_store_byte v[0:1], v4, off
.LBB38_62:
	s_mov_b32 s18, 0
.LBB38_63:
	s_and_b32 vcc_lo, exec_lo, s18
	s_cbranch_vccz .LBB38_66
; %bb.64:
	s_cmp_eq_u32 s12, 29
	s_mov_b32 s0, -1
	s_cbranch_scc0 .LBB38_66
; %bb.65:
	v_lshlrev_b32_e32 v3, 16, v2
	s_mov_b32 s17, -1
	s_mov_b32 s0, 0
	s_mov_b32 s18, 0
	v_trunc_f32_e32 v3, v3
	v_mul_f32_e32 v4, 0x2f800000, v3
	v_floor_f32_e32 v4, v4
	v_fmamk_f32 v3, v4, 0xcf800000, v3
	v_cvt_u32_f32_e32 v4, v4
	v_cvt_u32_f32_e32 v3, v3
	global_store_dwordx2 v[0:1], v[3:4], off
	s_branch .LBB38_67
.LBB38_66:
	s_mov_b32 s18, 0
.LBB38_67:
	s_and_b32 vcc_lo, exec_lo, s18
	s_cbranch_vccz .LBB38_83
; %bb.68:
	s_cmp_lt_i32 s12, 27
	s_mov_b32 s17, -1
	s_cbranch_scc1 .LBB38_74
; %bb.69:
	s_cmp_gt_i32 s12, 27
	s_cbranch_scc0 .LBB38_71
; %bb.70:
	v_lshlrev_b32_e32 v3, 16, v2
	s_mov_b32 s17, 0
	v_cvt_u32_f32_e32 v3, v3
	global_store_dword v[0:1], v3, off
.LBB38_71:
	s_andn2_b32 vcc_lo, exec_lo, s17
	s_cbranch_vccnz .LBB38_73
; %bb.72:
	v_lshlrev_b32_e32 v3, 16, v2
	v_cvt_u32_f32_e32 v3, v3
	global_store_short v[0:1], v3, off
.LBB38_73:
	s_mov_b32 s17, 0
.LBB38_74:
	s_andn2_b32 vcc_lo, exec_lo, s17
	s_cbranch_vccnz .LBB38_82
; %bb.75:
	v_lshlrev_b32_e32 v5, 16, v2
	v_mov_b32_e32 v7, 0x80
	s_mov_b32 s17, exec_lo
	v_and_b32_e32 v4, 0x7fffffff, v5
	v_cmpx_gt_u32_e32 0x43800000, v4
	s_cbranch_execz .LBB38_81
; %bb.76:
	v_and_b32_e32 v3, 0xffff, v2
	v_cmp_lt_u32_e32 vcc_lo, 0x3bffffff, v4
	s_mov_b32 s18, 0
                                        ; implicit-def: $vgpr4
	s_and_saveexec_b32 s19, vcc_lo
	s_xor_b32 s19, exec_lo, s19
	s_cbranch_execz .LBB38_327
; %bb.77:
	v_bfe_u32 v4, v3, 4, 1
	s_mov_b32 s18, exec_lo
	v_add3_u32 v4, v5, v4, 0x487ffff
                                        ; implicit-def: $vgpr5
	v_lshrrev_b32_e32 v4, 20, v4
	s_andn2_saveexec_b32 s19, s19
	s_cbranch_execnz .LBB38_328
.LBB38_78:
	s_or_b32 exec_lo, exec_lo, s19
	v_mov_b32_e32 v7, 0
	s_and_saveexec_b32 s19, s18
.LBB38_79:
	v_lshrrev_b32_e32 v3, 8, v3
	v_and_or_b32 v7, 0x80, v3, v4
.LBB38_80:
	s_or_b32 exec_lo, exec_lo, s19
.LBB38_81:
	s_or_b32 exec_lo, exec_lo, s17
	global_store_byte v[0:1], v7, off
.LBB38_82:
	s_mov_b32 s17, -1
.LBB38_83:
	s_mov_b32 s18, 0
.LBB38_84:
	s_and_b32 vcc_lo, exec_lo, s18
	s_cbranch_vccz .LBB38_125
; %bb.85:
	s_cmp_gt_i32 s12, 22
	s_mov_b32 s18, -1
	s_cbranch_scc0 .LBB38_117
; %bb.86:
	s_cmp_lt_i32 s12, 24
	s_mov_b32 s17, -1
	s_cbranch_scc1 .LBB38_106
; %bb.87:
	s_cmp_gt_i32 s12, 24
	s_cbranch_scc0 .LBB38_95
; %bb.88:
	v_lshlrev_b32_e32 v5, 16, v2
	v_mov_b32_e32 v7, 0x80
	s_mov_b32 s17, exec_lo
	v_and_b32_e32 v4, 0x7fffffff, v5
	v_cmpx_gt_u32_e32 0x47800000, v4
	s_cbranch_execz .LBB38_94
; %bb.89:
	v_and_b32_e32 v3, 0xffff, v2
	v_cmp_lt_u32_e32 vcc_lo, 0x37ffffff, v4
	s_mov_b32 s18, 0
                                        ; implicit-def: $vgpr4
	s_and_saveexec_b32 s19, vcc_lo
	s_xor_b32 s19, exec_lo, s19
	s_cbranch_execz .LBB38_331
; %bb.90:
	v_bfe_u32 v4, v3, 5, 1
	s_mov_b32 s18, exec_lo
	v_add3_u32 v4, v5, v4, 0x88fffff
                                        ; implicit-def: $vgpr5
	v_lshrrev_b32_e32 v4, 21, v4
	s_andn2_saveexec_b32 s19, s19
	s_cbranch_execnz .LBB38_332
.LBB38_91:
	s_or_b32 exec_lo, exec_lo, s19
	v_mov_b32_e32 v7, 0
	s_and_saveexec_b32 s19, s18
.LBB38_92:
	v_lshrrev_b32_e32 v3, 8, v3
	v_and_or_b32 v7, 0x80, v3, v4
.LBB38_93:
	s_or_b32 exec_lo, exec_lo, s19
.LBB38_94:
	s_or_b32 exec_lo, exec_lo, s17
	s_mov_b32 s17, 0
	global_store_byte v[0:1], v7, off
.LBB38_95:
	s_and_b32 vcc_lo, exec_lo, s17
	s_cbranch_vccz .LBB38_105
; %bb.96:
	v_lshlrev_b32_e32 v5, 16, v2
	v_and_b32_e32 v3, 0xffff, v2
	s_mov_b32 s17, exec_lo
                                        ; implicit-def: $vgpr4
	v_and_b32_e32 v7, 0x7fffffff, v5
	v_cmpx_gt_u32_e32 0x43f00000, v7
	s_xor_b32 s17, exec_lo, s17
	s_cbranch_execz .LBB38_102
; %bb.97:
	s_mov_b32 s18, exec_lo
                                        ; implicit-def: $vgpr4
	v_cmpx_lt_u32_e32 0x3c7fffff, v7
	s_xor_b32 s18, exec_lo, s18
; %bb.98:
	v_bfe_u32 v4, v3, 4, 1
	v_add3_u32 v4, v5, v4, 0x407ffff
	v_and_b32_e32 v5, 0xff00000, v4
	v_lshrrev_b32_e32 v4, 20, v4
	v_cmp_ne_u32_e32 vcc_lo, 0x7f00000, v5
                                        ; implicit-def: $vgpr5
	v_cndmask_b32_e32 v4, 0x7e, v4, vcc_lo
; %bb.99:
	s_andn2_saveexec_b32 s18, s18
; %bb.100:
	v_add_f32_e64 v4, 0x46800000, |v5|
; %bb.101:
	s_or_b32 exec_lo, exec_lo, s18
                                        ; implicit-def: $vgpr7
.LBB38_102:
	s_andn2_saveexec_b32 s17, s17
; %bb.103:
	v_mov_b32_e32 v4, 0x7f
	v_cmp_lt_u32_e32 vcc_lo, 0x7f800000, v7
	v_cndmask_b32_e32 v4, 0x7e, v4, vcc_lo
; %bb.104:
	s_or_b32 exec_lo, exec_lo, s17
	v_lshrrev_b32_e32 v3, 8, v3
	v_and_or_b32 v3, 0x80, v3, v4
	global_store_byte v[0:1], v3, off
.LBB38_105:
	s_mov_b32 s17, 0
.LBB38_106:
	s_andn2_b32 vcc_lo, exec_lo, s17
	s_cbranch_vccnz .LBB38_116
; %bb.107:
	v_lshlrev_b32_e32 v5, 16, v2
	v_and_b32_e32 v3, 0xffff, v2
	s_mov_b32 s17, exec_lo
                                        ; implicit-def: $vgpr4
	v_and_b32_e32 v7, 0x7fffffff, v5
	v_cmpx_gt_u32_e32 0x47800000, v7
	s_xor_b32 s17, exec_lo, s17
	s_cbranch_execz .LBB38_113
; %bb.108:
	s_mov_b32 s18, exec_lo
                                        ; implicit-def: $vgpr4
	v_cmpx_lt_u32_e32 0x387fffff, v7
	s_xor_b32 s18, exec_lo, s18
; %bb.109:
	v_bfe_u32 v4, v3, 5, 1
	v_add3_u32 v4, v5, v4, 0x80fffff
                                        ; implicit-def: $vgpr5
	v_lshrrev_b32_e32 v4, 21, v4
; %bb.110:
	s_andn2_saveexec_b32 s18, s18
; %bb.111:
	v_add_f32_e64 v4, 0x43000000, |v5|
; %bb.112:
	s_or_b32 exec_lo, exec_lo, s18
                                        ; implicit-def: $vgpr7
.LBB38_113:
	s_andn2_saveexec_b32 s17, s17
; %bb.114:
	v_mov_b32_e32 v4, 0x7f
	v_cmp_lt_u32_e32 vcc_lo, 0x7f800000, v7
	v_cndmask_b32_e32 v4, 0x7c, v4, vcc_lo
; %bb.115:
	s_or_b32 exec_lo, exec_lo, s17
	v_lshrrev_b32_e32 v3, 8, v3
	v_and_or_b32 v3, 0x80, v3, v4
	global_store_byte v[0:1], v3, off
.LBB38_116:
	s_mov_b32 s18, 0
	s_mov_b32 s17, -1
.LBB38_117:
	s_andn2_b32 vcc_lo, exec_lo, s18
	s_cbranch_vccnz .LBB38_125
; %bb.118:
	s_cmp_gt_i32 s12, 14
	s_mov_b32 s18, -1
	s_cbranch_scc0 .LBB38_122
; %bb.119:
	s_cmp_eq_u32 s12, 15
	s_mov_b32 s0, -1
	s_cbranch_scc0 .LBB38_121
; %bb.120:
	s_mov_b32 s17, -1
	s_mov_b32 s0, 0
	global_store_short v[0:1], v2, off
.LBB38_121:
	s_mov_b32 s18, 0
.LBB38_122:
	s_and_b32 vcc_lo, exec_lo, s18
	s_cbranch_vccz .LBB38_125
; %bb.123:
	s_cmp_eq_u32 s12, 11
	s_mov_b32 s0, -1
	s_cbranch_scc0 .LBB38_125
; %bb.124:
	v_and_b32_e32 v3, 0x7fff, v2
	s_mov_b32 s0, 0
	s_mov_b32 s17, -1
	v_cmp_ne_u16_e32 vcc_lo, 0, v3
	v_cndmask_b32_e64 v3, 0, 1, vcc_lo
	global_store_byte v[0:1], v3, off
.LBB38_125:
	s_branch .LBB38_44
.LBB38_126:
	s_and_b32 s1, 0xffff, s1
	s_mov_b32 s12, -1
	s_cmp_lt_i32 s1, 5
	s_cbranch_scc1 .LBB38_147
; %bb.127:
	s_cmp_lt_i32 s1, 8
	s_cbranch_scc1 .LBB38_137
; %bb.128:
	;; [unrolled: 3-line block ×3, first 2 shown]
	s_cmp_gt_i32 s1, 9
	s_cbranch_scc0 .LBB38_131
; %bb.130:
	v_lshlrev_b32_e32 v3, 16, v2
	v_mov_b32_e32 v9, 0
	s_mov_b32 s12, 0
	v_cvt_f64_f32_e32 v[7:8], v3
	v_mov_b32_e32 v10, v9
	global_store_dwordx4 v[0:1], v[7:10], off
.LBB38_131:
	s_andn2_b32 vcc_lo, exec_lo, s12
	s_cbranch_vccnz .LBB38_133
; %bb.132:
	v_lshlrev_b32_e32 v3, 16, v2
	v_mov_b32_e32 v4, 0
	global_store_dwordx2 v[0:1], v[3:4], off
.LBB38_133:
	s_mov_b32 s12, 0
.LBB38_134:
	s_andn2_b32 vcc_lo, exec_lo, s12
	s_cbranch_vccnz .LBB38_136
; %bb.135:
	v_lshlrev_b32_e32 v3, 16, v2
	v_cvt_f16_f32_e32 v3, v3
	v_and_b32_e32 v3, 0xffff, v3
	global_store_dword v[0:1], v3, off
.LBB38_136:
	s_mov_b32 s12, 0
.LBB38_137:
	s_andn2_b32 vcc_lo, exec_lo, s12
	s_cbranch_vccnz .LBB38_146
; %bb.138:
	s_cmp_lt_i32 s1, 6
	s_mov_b32 s12, -1
	s_cbranch_scc1 .LBB38_144
; %bb.139:
	s_cmp_gt_i32 s1, 6
	s_cbranch_scc0 .LBB38_141
; %bb.140:
	v_lshlrev_b32_e32 v3, 16, v2
	s_mov_b32 s12, 0
	v_cvt_f64_f32_e32 v[3:4], v3
	global_store_dwordx2 v[0:1], v[3:4], off
.LBB38_141:
	s_andn2_b32 vcc_lo, exec_lo, s12
	s_cbranch_vccnz .LBB38_143
; %bb.142:
	v_lshlrev_b32_e32 v3, 16, v2
	global_store_dword v[0:1], v3, off
.LBB38_143:
	s_mov_b32 s12, 0
.LBB38_144:
	s_andn2_b32 vcc_lo, exec_lo, s12
	s_cbranch_vccnz .LBB38_146
; %bb.145:
	v_lshlrev_b32_e32 v3, 16, v2
	v_cvt_f16_f32_e32 v3, v3
	global_store_short v[0:1], v3, off
.LBB38_146:
	s_mov_b32 s12, 0
.LBB38_147:
	s_andn2_b32 vcc_lo, exec_lo, s12
	s_cbranch_vccnz .LBB38_163
; %bb.148:
	s_cmp_lt_i32 s1, 2
	s_mov_b32 s12, -1
	s_cbranch_scc1 .LBB38_158
; %bb.149:
	s_cmp_lt_i32 s1, 3
	s_cbranch_scc1 .LBB38_155
; %bb.150:
	s_cmp_gt_i32 s1, 3
	s_cbranch_scc0 .LBB38_152
; %bb.151:
	v_lshlrev_b32_e32 v3, 16, v2
	s_mov_b32 s12, 0
	v_trunc_f32_e32 v3, v3
	v_mul_f32_e64 v4, 0x2f800000, |v3|
	v_ashrrev_i32_e32 v7, 31, v3
	v_floor_f32_e32 v4, v4
	v_fma_f32 v5, 0xcf800000, v4, |v3|
	v_cvt_u32_f32_e32 v4, v4
	v_cvt_u32_f32_e32 v3, v5
	v_xor_b32_e32 v4, v4, v7
	v_xor_b32_e32 v3, v3, v7
	v_sub_co_u32 v3, vcc_lo, v3, v7
	v_sub_co_ci_u32_e64 v4, null, v4, v7, vcc_lo
	global_store_dwordx2 v[0:1], v[3:4], off
.LBB38_152:
	s_andn2_b32 vcc_lo, exec_lo, s12
	s_cbranch_vccnz .LBB38_154
; %bb.153:
	v_lshlrev_b32_e32 v3, 16, v2
	v_cvt_i32_f32_e32 v3, v3
	global_store_dword v[0:1], v3, off
.LBB38_154:
	s_mov_b32 s12, 0
.LBB38_155:
	s_andn2_b32 vcc_lo, exec_lo, s12
	s_cbranch_vccnz .LBB38_157
; %bb.156:
	v_lshlrev_b32_e32 v3, 16, v2
	v_cvt_i32_f32_e32 v3, v3
	global_store_short v[0:1], v3, off
.LBB38_157:
	s_mov_b32 s12, 0
.LBB38_158:
	s_andn2_b32 vcc_lo, exec_lo, s12
	s_cbranch_vccnz .LBB38_163
; %bb.159:
	v_lshlrev_b32_e32 v2, 16, v2
	s_cmp_gt_i32 s1, 0
	s_mov_b32 s1, -1
	s_cbranch_scc0 .LBB38_161
; %bb.160:
	v_cvt_i32_f32_e32 v3, v2
	s_mov_b32 s1, 0
	global_store_byte v[0:1], v3, off
.LBB38_161:
	s_andn2_b32 vcc_lo, exec_lo, s1
	s_cbranch_vccnz .LBB38_163
; %bb.162:
	v_trunc_f32_e32 v2, v2
	v_mul_f32_e64 v3, 0x2f800000, |v2|
	v_floor_f32_e32 v3, v3
	v_fma_f32 v3, 0xcf800000, v3, |v2|
	v_ashrrev_i32_e32 v2, 31, v2
	v_cvt_u32_f32_e32 v3, v3
	v_xor_b32_e32 v3, v3, v2
	v_sub_nc_u32_e32 v2, v3, v2
	global_store_byte v[0:1], v2, off
.LBB38_163:
.LBB38_164:
	v_add_nc_u32_e32 v6, 0x80, v6
	s_mov_b32 s1, -1
	s_branch .LBB38_275
.LBB38_165:
	s_mov_b32 s14, -1
                                        ; implicit-def: $vgpr2
.LBB38_166:
	s_mov_b32 s12, 0
.LBB38_167:
	s_and_b32 vcc_lo, exec_lo, s12
	s_cbranch_vccz .LBB38_171
; %bb.168:
	s_cmp_eq_u32 s0, 29
	s_cbranch_scc0 .LBB38_170
; %bb.169:
	global_load_dwordx2 v[2:3], v[0:1], off
	s_mov_b32 s1, -1
	s_mov_b32 s14, 0
	s_mov_b32 s12, 0
	s_waitcnt vmcnt(0)
	v_ffbh_u32_e32 v4, v3
	v_min_u32_e32 v4, 32, v4
	v_lshlrev_b64 v[2:3], v4, v[2:3]
	v_min_u32_e32 v2, 1, v2
	v_or_b32_e32 v2, v3, v2
	v_sub_nc_u32_e32 v3, 32, v4
	v_cvt_f32_u32_e32 v2, v2
	v_ldexp_f32 v2, v2, v3
	v_bfe_u32 v3, v2, 16, 1
	v_add3_u32 v2, v2, v3, 0x7fff
	v_lshrrev_b32_e32 v2, 16, v2
	s_branch .LBB38_172
.LBB38_170:
	s_mov_b32 s14, -1
                                        ; implicit-def: $vgpr2
.LBB38_171:
	s_mov_b32 s12, 0
.LBB38_172:
	s_and_b32 vcc_lo, exec_lo, s12
	s_cbranch_vccz .LBB38_190
; %bb.173:
	s_cmp_lt_i32 s0, 27
	s_cbranch_scc1 .LBB38_176
; %bb.174:
	s_cmp_gt_i32 s0, 27
	s_cbranch_scc0 .LBB38_177
; %bb.175:
	global_load_dword v2, v[0:1], off
	s_mov_b32 s1, 0
	s_waitcnt vmcnt(0)
	v_cvt_f32_u32_e32 v2, v2
	v_bfe_u32 v3, v2, 16, 1
	v_add3_u32 v2, v2, v3, 0x7fff
	v_lshrrev_b32_e32 v2, 16, v2
	s_branch .LBB38_178
.LBB38_176:
	s_mov_b32 s1, -1
                                        ; implicit-def: $vgpr2
	s_branch .LBB38_181
.LBB38_177:
	s_mov_b32 s1, -1
                                        ; implicit-def: $vgpr2
.LBB38_178:
	s_andn2_b32 vcc_lo, exec_lo, s1
	s_cbranch_vccnz .LBB38_180
; %bb.179:
	global_load_ushort v2, v[0:1], off
	s_waitcnt vmcnt(0)
	v_cvt_f32_u32_e32 v2, v2
	v_bfe_u32 v3, v2, 16, 1
	v_add3_u32 v2, v2, v3, 0x7fff
	v_lshrrev_b32_e32 v2, 16, v2
.LBB38_180:
	s_mov_b32 s1, 0
.LBB38_181:
	s_andn2_b32 vcc_lo, exec_lo, s1
	s_cbranch_vccnz .LBB38_189
; %bb.182:
	global_load_ubyte v2, v[0:1], off
	s_mov_b32 s1, 0
	s_mov_b32 s12, exec_lo
	s_waitcnt vmcnt(0)
	v_cmpx_lt_i16_e32 0x7f, v2
	s_xor_b32 s12, exec_lo, s12
	s_cbranch_execz .LBB38_202
; %bb.183:
	s_mov_b32 s1, -1
	s_mov_b32 s17, exec_lo
	v_cmpx_eq_u16_e32 0x80, v2
; %bb.184:
	s_xor_b32 s1, exec_lo, -1
; %bb.185:
	s_or_b32 exec_lo, exec_lo, s17
	s_and_b32 s1, s1, exec_lo
	s_or_saveexec_b32 s12, s12
	v_mov_b32_e32 v3, 0x7f800001
	s_xor_b32 exec_lo, exec_lo, s12
	s_cbranch_execnz .LBB38_203
.LBB38_186:
	s_or_b32 exec_lo, exec_lo, s12
	s_and_saveexec_b32 s12, s1
	s_cbranch_execz .LBB38_188
.LBB38_187:
	v_and_b32_e32 v3, 0xffff, v2
	v_lshlrev_b32_e32 v2, 24, v2
	v_and_b32_e32 v4, 7, v3
	v_bfe_u32 v8, v3, 3, 4
	v_and_b32_e32 v2, 0x80000000, v2
	v_ffbh_u32_e32 v5, v4
	v_cmp_eq_u32_e32 vcc_lo, 0, v8
	v_min_u32_e32 v5, 32, v5
	v_subrev_nc_u32_e32 v7, 28, v5
	v_sub_nc_u32_e32 v5, 29, v5
	v_lshlrev_b32_e32 v3, v7, v3
	v_cndmask_b32_e32 v5, v8, v5, vcc_lo
	v_and_b32_e32 v3, 7, v3
	v_cndmask_b32_e32 v3, v4, v3, vcc_lo
	v_lshl_add_u32 v4, v5, 23, 0x3b800000
	v_lshlrev_b32_e32 v3, 20, v3
	v_or3_b32 v3, v2, v4, v3
.LBB38_188:
	s_or_b32 exec_lo, exec_lo, s12
	v_bfe_u32 v2, v3, 16, 1
	v_cmp_o_f32_e32 vcc_lo, v3, v3
	v_add3_u32 v2, v3, v2, 0x7fff
	v_mov_b32_e32 v3, 0x7fc0
	v_cndmask_b32_sdwa v2, v3, v2, vcc_lo dst_sel:DWORD dst_unused:UNUSED_PAD src0_sel:DWORD src1_sel:WORD_1
.LBB38_189:
	s_mov_b32 s1, -1
.LBB38_190:
	s_branch .LBB38_225
.LBB38_191:
	s_cmp_gt_i32 s0, 22
	s_cbranch_scc0 .LBB38_201
; %bb.192:
	s_cmp_lt_i32 s0, 24
	s_cbranch_scc1 .LBB38_204
; %bb.193:
	s_cmp_gt_i32 s0, 24
	s_cbranch_scc0 .LBB38_205
; %bb.194:
	global_load_ubyte v2, v[0:1], off
	s_mov_b32 s1, 0
	s_mov_b32 s12, exec_lo
	s_waitcnt vmcnt(0)
	v_cmpx_lt_i16_e32 0x7f, v2
	s_xor_b32 s12, exec_lo, s12
	s_cbranch_execz .LBB38_217
; %bb.195:
	s_mov_b32 s1, -1
	s_mov_b32 s17, exec_lo
	v_cmpx_eq_u16_e32 0x80, v2
; %bb.196:
	s_xor_b32 s1, exec_lo, -1
; %bb.197:
	s_or_b32 exec_lo, exec_lo, s17
	s_and_b32 s1, s1, exec_lo
	s_or_saveexec_b32 s12, s12
	v_mov_b32_e32 v3, 0x7f800001
	s_xor_b32 exec_lo, exec_lo, s12
	s_cbranch_execnz .LBB38_218
.LBB38_198:
	s_or_b32 exec_lo, exec_lo, s12
	s_and_saveexec_b32 s12, s1
	s_cbranch_execz .LBB38_200
.LBB38_199:
	v_and_b32_e32 v3, 0xffff, v2
	v_lshlrev_b32_e32 v2, 24, v2
	v_and_b32_e32 v4, 3, v3
	v_bfe_u32 v8, v3, 2, 5
	v_and_b32_e32 v2, 0x80000000, v2
	v_ffbh_u32_e32 v5, v4
	v_cmp_eq_u32_e32 vcc_lo, 0, v8
	v_min_u32_e32 v5, 32, v5
	v_subrev_nc_u32_e32 v7, 29, v5
	v_sub_nc_u32_e32 v5, 30, v5
	v_lshlrev_b32_e32 v3, v7, v3
	v_cndmask_b32_e32 v5, v8, v5, vcc_lo
	v_and_b32_e32 v3, 3, v3
	v_cndmask_b32_e32 v3, v4, v3, vcc_lo
	v_lshl_add_u32 v4, v5, 23, 0x37800000
	v_lshlrev_b32_e32 v3, 21, v3
	v_or3_b32 v3, v2, v4, v3
.LBB38_200:
	s_or_b32 exec_lo, exec_lo, s12
	v_bfe_u32 v2, v3, 16, 1
	v_cmp_o_f32_e32 vcc_lo, v3, v3
	s_mov_b32 s1, 0
	v_add3_u32 v2, v3, v2, 0x7fff
	v_mov_b32_e32 v3, 0x7fc0
	v_cndmask_b32_sdwa v2, v3, v2, vcc_lo dst_sel:DWORD dst_unused:UNUSED_PAD src0_sel:DWORD src1_sel:WORD_1
	s_branch .LBB38_206
.LBB38_201:
	s_mov_b32 s12, -1
                                        ; implicit-def: $vgpr2
	s_branch .LBB38_212
.LBB38_202:
	s_or_saveexec_b32 s12, s12
	v_mov_b32_e32 v3, 0x7f800001
	s_xor_b32 exec_lo, exec_lo, s12
	s_cbranch_execz .LBB38_186
.LBB38_203:
	v_cmp_ne_u16_e32 vcc_lo, 0, v2
	v_mov_b32_e32 v3, 0
	s_andn2_b32 s1, s1, exec_lo
	s_and_b32 s17, vcc_lo, exec_lo
	s_or_b32 s1, s1, s17
	s_or_b32 exec_lo, exec_lo, s12
	s_and_saveexec_b32 s12, s1
	s_cbranch_execnz .LBB38_187
	s_branch .LBB38_188
.LBB38_204:
	s_mov_b32 s1, -1
                                        ; implicit-def: $vgpr2
	s_branch .LBB38_209
.LBB38_205:
	s_mov_b32 s1, -1
                                        ; implicit-def: $vgpr2
.LBB38_206:
	s_and_b32 vcc_lo, exec_lo, s1
	s_cbranch_vccz .LBB38_208
; %bb.207:
	global_load_ubyte v2, v[0:1], off
	s_waitcnt vmcnt(0)
	v_lshlrev_b32_e32 v2, 24, v2
	v_and_b32_e32 v3, 0x7f000000, v2
	v_ffbh_u32_e32 v4, v3
	v_add_nc_u32_e32 v7, 0x1000000, v3
	v_cmp_ne_u32_e32 vcc_lo, 0, v3
	v_min_u32_e32 v4, 32, v4
	v_sub_nc_u32_e64 v4, v4, 4 clamp
	v_lshlrev_b32_e32 v5, v4, v3
	v_lshlrev_b32_e32 v4, 23, v4
	v_lshrrev_b32_e32 v5, 4, v5
	v_sub_nc_u32_e32 v4, v5, v4
	v_ashrrev_i32_e32 v5, 8, v7
	v_add_nc_u32_e32 v4, 0x3c000000, v4
	v_and_or_b32 v4, 0x7f800000, v5, v4
	v_cndmask_b32_e32 v3, 0, v4, vcc_lo
	v_and_or_b32 v2, 0x80000000, v2, v3
	v_bfe_u32 v3, v3, 16, 1
	v_cmp_o_f32_e32 vcc_lo, v2, v2
	v_add3_u32 v2, v2, v3, 0x7fff
	v_mov_b32_e32 v3, 0x7fc0
	v_cndmask_b32_sdwa v2, v3, v2, vcc_lo dst_sel:DWORD dst_unused:UNUSED_PAD src0_sel:DWORD src1_sel:WORD_1
.LBB38_208:
	s_mov_b32 s1, 0
.LBB38_209:
	s_andn2_b32 vcc_lo, exec_lo, s1
	s_cbranch_vccnz .LBB38_211
; %bb.210:
	global_load_ubyte v2, v[0:1], off
	s_waitcnt vmcnt(0)
	v_lshlrev_b32_e32 v3, 25, v2
	v_lshlrev_b16 v2, 8, v2
	v_lshrrev_b32_e32 v4, 4, v3
	v_and_or_b32 v5, 0x7f00, v2, 0.5
	v_cmp_gt_u32_e32 vcc_lo, 0x8000000, v3
	v_bfe_i32 v2, v2, 0, 16
	v_or_b32_e32 v4, 0x70000000, v4
	v_add_f32_e32 v5, -0.5, v5
	v_mul_f32_e32 v4, 0x7800000, v4
	v_cndmask_b32_e32 v3, v4, v5, vcc_lo
	v_and_or_b32 v2, 0x80000000, v2, v3
	v_bfe_u32 v3, v3, 16, 1
	v_cmp_o_f32_e32 vcc_lo, v2, v2
	v_add3_u32 v2, v2, v3, 0x7fff
	v_mov_b32_e32 v3, 0x7fc0
	v_cndmask_b32_sdwa v2, v3, v2, vcc_lo dst_sel:DWORD dst_unused:UNUSED_PAD src0_sel:DWORD src1_sel:WORD_1
.LBB38_211:
	s_mov_b32 s12, 0
	s_mov_b32 s1, -1
.LBB38_212:
	s_andn2_b32 vcc_lo, exec_lo, s12
	s_cbranch_vccnz .LBB38_225
; %bb.213:
	s_cmp_gt_i32 s0, 14
	s_cbranch_scc0 .LBB38_216
; %bb.214:
	s_cmp_eq_u32 s0, 15
	s_cbranch_scc0 .LBB38_219
; %bb.215:
	global_load_ushort v2, v[0:1], off
	s_mov_b32 s1, -1
	s_mov_b32 s14, 0
	s_branch .LBB38_220
.LBB38_216:
	s_mov_b32 s12, -1
                                        ; implicit-def: $vgpr2
	s_branch .LBB38_221
.LBB38_217:
	s_or_saveexec_b32 s12, s12
	v_mov_b32_e32 v3, 0x7f800001
	s_xor_b32 exec_lo, exec_lo, s12
	s_cbranch_execz .LBB38_198
.LBB38_218:
	v_cmp_ne_u16_e32 vcc_lo, 0, v2
	v_mov_b32_e32 v3, 0
	s_andn2_b32 s1, s1, exec_lo
	s_and_b32 s17, vcc_lo, exec_lo
	s_or_b32 s1, s1, s17
	s_or_b32 exec_lo, exec_lo, s12
	s_and_saveexec_b32 s12, s1
	s_cbranch_execnz .LBB38_199
	s_branch .LBB38_200
.LBB38_219:
	s_mov_b32 s14, -1
                                        ; implicit-def: $vgpr2
.LBB38_220:
	s_mov_b32 s12, 0
.LBB38_221:
	s_and_b32 vcc_lo, exec_lo, s12
	s_cbranch_vccz .LBB38_225
; %bb.222:
	s_cmp_eq_u32 s0, 11
	s_cbranch_scc0 .LBB38_224
; %bb.223:
	global_load_ubyte v2, v[0:1], off
	s_mov_b32 s14, 0
	s_mov_b32 s1, -1
	s_waitcnt vmcnt(0)
	v_cmp_ne_u16_e32 vcc_lo, 0, v2
	v_cndmask_b32_e64 v2, 0, 1.0, vcc_lo
	v_lshrrev_b32_e32 v2, 16, v2
	s_branch .LBB38_225
.LBB38_224:
	s_mov_b32 s14, -1
                                        ; implicit-def: $vgpr2
.LBB38_225:
	s_branch .LBB38_10
.LBB38_226:
	s_cmp_lt_i32 s0, 5
	s_cbranch_scc1 .LBB38_231
; %bb.227:
	s_cmp_lt_i32 s0, 8
	s_cbranch_scc1 .LBB38_232
; %bb.228:
	s_cmp_lt_i32 s0, 9
	s_cbranch_scc1 .LBB38_233
; %bb.229:
	s_cmp_gt_i32 s0, 9
	s_cbranch_scc0 .LBB38_234
; %bb.230:
	global_load_dwordx2 v[2:3], v[0:1], off
	s_mov_b32 s1, 0
	s_waitcnt vmcnt(0)
	v_cvt_f32_f64_e32 v2, v[2:3]
	v_bfe_u32 v3, v2, 16, 1
	v_cmp_o_f32_e32 vcc_lo, v2, v2
	v_add3_u32 v2, v2, v3, 0x7fff
	v_mov_b32_e32 v3, 0x7fc0
	v_cndmask_b32_sdwa v2, v3, v2, vcc_lo dst_sel:DWORD dst_unused:UNUSED_PAD src0_sel:DWORD src1_sel:WORD_1
	s_branch .LBB38_235
.LBB38_231:
                                        ; implicit-def: $vgpr2
	s_branch .LBB38_253
.LBB38_232:
	s_mov_b32 s1, -1
                                        ; implicit-def: $vgpr2
	s_branch .LBB38_241
.LBB38_233:
	s_mov_b32 s1, -1
                                        ; implicit-def: $vgpr2
	s_branch .LBB38_238
.LBB38_234:
	s_mov_b32 s1, -1
                                        ; implicit-def: $vgpr2
.LBB38_235:
	s_andn2_b32 vcc_lo, exec_lo, s1
	s_cbranch_vccnz .LBB38_237
; %bb.236:
	global_load_dword v2, v[0:1], off
	s_waitcnt vmcnt(0)
	v_bfe_u32 v3, v2, 16, 1
	v_cmp_o_f32_e32 vcc_lo, v2, v2
	v_add3_u32 v2, v2, v3, 0x7fff
	v_mov_b32_e32 v3, 0x7fc0
	v_cndmask_b32_sdwa v2, v3, v2, vcc_lo dst_sel:DWORD dst_unused:UNUSED_PAD src0_sel:DWORD src1_sel:WORD_1
.LBB38_237:
	s_mov_b32 s1, 0
.LBB38_238:
	s_andn2_b32 vcc_lo, exec_lo, s1
	s_cbranch_vccnz .LBB38_240
; %bb.239:
	global_load_dword v2, v[0:1], off
	s_waitcnt vmcnt(0)
	v_cvt_f32_f16_e32 v3, v2
	v_cmp_o_f16_e32 vcc_lo, v2, v2
	v_bfe_u32 v4, v3, 16, 1
	v_add3_u32 v2, v3, v4, 0x7fff
	v_mov_b32_e32 v3, 0x7fc0
	v_cndmask_b32_sdwa v2, v3, v2, vcc_lo dst_sel:DWORD dst_unused:UNUSED_PAD src0_sel:DWORD src1_sel:WORD_1
.LBB38_240:
	s_mov_b32 s1, 0
.LBB38_241:
	s_andn2_b32 vcc_lo, exec_lo, s1
	s_cbranch_vccnz .LBB38_252
; %bb.242:
	s_cmp_lt_i32 s0, 6
	s_cbranch_scc1 .LBB38_245
; %bb.243:
	s_cmp_gt_i32 s0, 6
	s_cbranch_scc0 .LBB38_246
; %bb.244:
	global_load_dwordx2 v[2:3], v[0:1], off
	s_mov_b32 s1, 0
	s_waitcnt vmcnt(0)
	v_cvt_f32_f64_e32 v2, v[2:3]
	v_bfe_u32 v3, v2, 16, 1
	v_cmp_o_f32_e32 vcc_lo, v2, v2
	v_add3_u32 v2, v2, v3, 0x7fff
	v_mov_b32_e32 v3, 0x7fc0
	v_cndmask_b32_sdwa v2, v3, v2, vcc_lo dst_sel:DWORD dst_unused:UNUSED_PAD src0_sel:DWORD src1_sel:WORD_1
	s_branch .LBB38_247
.LBB38_245:
	s_mov_b32 s1, -1
                                        ; implicit-def: $vgpr2
	s_branch .LBB38_250
.LBB38_246:
	s_mov_b32 s1, -1
                                        ; implicit-def: $vgpr2
.LBB38_247:
	s_andn2_b32 vcc_lo, exec_lo, s1
	s_cbranch_vccnz .LBB38_249
; %bb.248:
	global_load_dword v2, v[0:1], off
	s_waitcnt vmcnt(0)
	v_bfe_u32 v3, v2, 16, 1
	v_cmp_o_f32_e32 vcc_lo, v2, v2
	v_add3_u32 v2, v2, v3, 0x7fff
	v_mov_b32_e32 v3, 0x7fc0
	v_cndmask_b32_sdwa v2, v3, v2, vcc_lo dst_sel:DWORD dst_unused:UNUSED_PAD src0_sel:DWORD src1_sel:WORD_1
.LBB38_249:
	s_mov_b32 s1, 0
.LBB38_250:
	s_andn2_b32 vcc_lo, exec_lo, s1
	s_cbranch_vccnz .LBB38_252
; %bb.251:
	global_load_ushort v2, v[0:1], off
	s_waitcnt vmcnt(0)
	v_cvt_f32_f16_e32 v3, v2
	v_cmp_o_f16_e32 vcc_lo, v2, v2
	v_bfe_u32 v4, v3, 16, 1
	v_add3_u32 v2, v3, v4, 0x7fff
	v_mov_b32_e32 v3, 0x7fc0
	v_cndmask_b32_sdwa v2, v3, v2, vcc_lo dst_sel:DWORD dst_unused:UNUSED_PAD src0_sel:DWORD src1_sel:WORD_1
.LBB38_252:
	s_cbranch_execnz .LBB38_272
.LBB38_253:
	s_cmp_lt_i32 s0, 2
	s_cbranch_scc1 .LBB38_257
; %bb.254:
	s_cmp_lt_i32 s0, 3
	s_cbranch_scc1 .LBB38_258
; %bb.255:
	s_cmp_gt_i32 s0, 3
	s_cbranch_scc0 .LBB38_259
; %bb.256:
	global_load_dwordx2 v[2:3], v[0:1], off
	s_mov_b32 s1, 0
	s_waitcnt vmcnt(0)
	v_xor_b32_e32 v4, v2, v3
	v_ffbh_i32_e32 v5, v3
	v_ashrrev_i32_e32 v4, 31, v4
	v_add_nc_u32_e32 v5, -1, v5
	v_add_nc_u32_e32 v4, 32, v4
	v_min_u32_e32 v4, v5, v4
	v_lshlrev_b64 v[2:3], v4, v[2:3]
	v_min_u32_e32 v2, 1, v2
	v_or_b32_e32 v2, v3, v2
	v_sub_nc_u32_e32 v3, 32, v4
	v_cvt_f32_i32_e32 v2, v2
	v_ldexp_f32 v2, v2, v3
	v_bfe_u32 v3, v2, 16, 1
	v_add3_u32 v2, v2, v3, 0x7fff
	v_lshrrev_b32_e32 v2, 16, v2
	s_branch .LBB38_260
.LBB38_257:
	s_mov_b32 s1, -1
                                        ; implicit-def: $vgpr2
	s_branch .LBB38_266
.LBB38_258:
	s_mov_b32 s1, -1
                                        ; implicit-def: $vgpr2
	s_branch .LBB38_263
.LBB38_259:
	s_mov_b32 s1, -1
                                        ; implicit-def: $vgpr2
.LBB38_260:
	s_andn2_b32 vcc_lo, exec_lo, s1
	s_cbranch_vccnz .LBB38_262
; %bb.261:
	global_load_dword v2, v[0:1], off
	s_waitcnt vmcnt(0)
	v_cvt_f32_i32_e32 v2, v2
	v_bfe_u32 v3, v2, 16, 1
	v_add3_u32 v2, v2, v3, 0x7fff
	v_lshrrev_b32_e32 v2, 16, v2
.LBB38_262:
	s_mov_b32 s1, 0
.LBB38_263:
	s_andn2_b32 vcc_lo, exec_lo, s1
	s_cbranch_vccnz .LBB38_265
; %bb.264:
	global_load_sshort v2, v[0:1], off
	s_waitcnt vmcnt(0)
	v_cvt_f32_i32_e32 v2, v2
	v_bfe_u32 v3, v2, 16, 1
	v_add3_u32 v2, v2, v3, 0x7fff
	v_lshrrev_b32_e32 v2, 16, v2
.LBB38_265:
	s_mov_b32 s1, 0
.LBB38_266:
	s_andn2_b32 vcc_lo, exec_lo, s1
	s_cbranch_vccnz .LBB38_272
; %bb.267:
	s_cmp_gt_i32 s0, 0
	s_mov_b32 s0, 0
	s_cbranch_scc0 .LBB38_269
; %bb.268:
	global_load_sbyte v2, v[0:1], off
	s_waitcnt vmcnt(0)
	v_cvt_f32_i32_e32 v2, v2
	v_bfe_u32 v3, v2, 16, 1
	v_add3_u32 v2, v2, v3, 0x7fff
	v_lshrrev_b32_e32 v2, 16, v2
	s_branch .LBB38_270
.LBB38_269:
	s_mov_b32 s0, -1
                                        ; implicit-def: $vgpr2
.LBB38_270:
	s_andn2_b32 vcc_lo, exec_lo, s0
	s_cbranch_vccnz .LBB38_272
; %bb.271:
	global_load_ubyte v0, v[0:1], off
	s_waitcnt vmcnt(0)
	v_cvt_f32_ubyte0_e32 v0, v0
	v_bfe_u32 v1, v0, 16, 1
	v_add3_u32 v0, v0, v1, 0x7fff
	v_lshrrev_b32_e32 v2, 16, v0
.LBB38_272:
	s_branch .LBB38_11
.LBB38_273:
	s_mov_b32 s0, 0
.LBB38_274:
	s_mov_b32 s1, 0
                                        ; implicit-def: $vgpr6
.LBB38_275:
	s_and_b32 s12, s0, exec_lo
	s_and_b32 s14, s14, exec_lo
	s_orn2_b32 s1, s1, exec_lo
.LBB38_276:
	s_or_b32 exec_lo, exec_lo, s15
	s_mov_b32 s17, 0
	s_mov_b32 s0, 0
                                        ; implicit-def: $vgpr0_vgpr1
                                        ; implicit-def: $vgpr3
	s_and_saveexec_b32 s15, s1
	s_cbranch_execz .LBB38_285
; %bb.277:
	s_mov_b32 s0, -1
	s_mov_b32 s16, s14
	s_mov_b32 s17, s12
	s_mov_b32 s18, exec_lo
	v_cmpx_gt_i32_e64 s13, v6
	s_cbranch_execz .LBB38_563
; %bb.278:
	v_mul_lo_u32 v0, v6, s3
	s_and_b32 s0, 0xffff, s6
	s_cmp_lt_i32 s0, 11
	v_ashrrev_i32_e32 v1, 31, v0
	v_add_co_u32 v0, vcc_lo, s10, v0
	v_add_co_ci_u32_e64 v1, null, s11, v1, vcc_lo
	s_cbranch_scc1 .LBB38_288
; %bb.279:
	s_cmp_gt_i32 s0, 25
	s_cbranch_scc0 .LBB38_321
; %bb.280:
	s_cmp_gt_i32 s0, 28
	s_cbranch_scc0 .LBB38_323
	;; [unrolled: 3-line block ×4, first 2 shown]
; %bb.283:
	s_cmp_eq_u32 s0, 46
	s_mov_b32 s17, 0
	s_cbranch_scc0 .LBB38_333
; %bb.284:
	global_load_dword v2, v[0:1], off
	s_mov_b32 s1, -1
	s_mov_b32 s16, 0
	s_branch .LBB38_335
.LBB38_285:
	s_or_b32 exec_lo, exec_lo, s15
	s_mov_b32 s13, 0
	s_and_saveexec_b32 s1, s14
	s_cbranch_execnz .LBB38_935
.LBB38_286:
	s_or_b32 exec_lo, exec_lo, s1
	s_and_saveexec_b32 s1, s16
	s_xor_b32 s1, exec_lo, s1
	s_cbranch_execz .LBB38_936
.LBB38_287:
	global_load_ubyte v2, v[0:1], off
	s_or_b32 s0, s0, exec_lo
	s_waitcnt vmcnt(0)
	v_cmp_ne_u16_e32 vcc_lo, 0, v2
	v_cndmask_b32_e64 v2, 0, 1.0, vcc_lo
	v_lshrrev_b32_e32 v3, 16, v2
	s_or_b32 exec_lo, exec_lo, s1
	s_and_saveexec_b32 s1, s17
	s_cbranch_execz .LBB38_982
	s_branch .LBB38_937
.LBB38_288:
	s_mov_b32 s1, 0
	s_mov_b32 s16, s14
                                        ; implicit-def: $vgpr2
	s_cbranch_execnz .LBB38_512
.LBB38_289:
	s_andn2_b32 vcc_lo, exec_lo, s1
	s_cbranch_vccnz .LBB38_560
.LBB38_290:
	s_waitcnt vmcnt(0)
	v_lshlrev_b32_e32 v7, 16, v2
                                        ; implicit-def: $vgpr2
	s_mov_b32 s0, exec_lo
	v_cmpx_neq_f32_e32 0, v7
	s_xor_b32 s17, exec_lo, s0
	s_cbranch_execz .LBB38_312
; %bb.291:
	v_mov_b32_e32 v0, 0
	s_mov_b32 s0, -1
	s_mov_b32 s19, exec_lo
	v_cmpx_gt_f32_e32 0, v7
	s_cbranch_execz .LBB38_299
; %bb.292:
	v_trunc_f32_e32 v0, v7
	s_mov_b32 s1, 0
	v_cmp_neq_f32_e32 vcc_lo, v0, v7
	v_mov_b32_e32 v0, 0
	s_and_saveexec_b32 s20, vcc_lo
	s_cbranch_execz .LBB38_298
; %bb.293:
	v_cvt_f64_f32_e32 v[0:1], v7
	s_mov_b32 s1, 0xc00921fb
	s_mov_b32 s0, 0x54442d18
	s_mov_b32 s21, exec_lo
                                        ; implicit-def: $vgpr8
                                        ; implicit-def: $vgpr4_vgpr5
	v_trunc_f64_e32 v[2:3], v[0:1]
	v_cmp_neq_f64_e64 vcc_lo, 0x7ff00000, |v[0:1]|
	v_add_f64 v[2:3], v[0:1], -v[2:3]
	v_mul_f64 v[2:3], |v[2:3]|, s[0:1]
	v_cndmask_b32_e32 v1, 0x80000000, v3, vcc_lo
	v_cndmask_b32_e32 v0, 0, v2, vcc_lo
                                        ; implicit-def: $vgpr2_vgpr3
	v_cmpx_ngt_f64_e64 0x41d00000, |v[0:1]|
	s_xor_b32 s21, exec_lo, s21
	s_cbranch_execz .LBB38_295
; %bb.294:
	v_ldexp_f64 v[2:3], |v[0:1]|, 0xffffff80
	v_cmp_le_f64_e64 vcc_lo, 0x7b000000, |v[0:1]|
	v_trig_preop_f64 v[4:5], |v[0:1]|, 0
	v_and_b32_e32 v8, 0x7fffffff, v1
	v_trig_preop_f64 v[18:19], |v[0:1]|, 2
	v_mov_b32_e32 v26, 0
	s_mov_b32 s1, 0x3ff921fb
	s_mov_b32 s22, 0x33145c07
	;; [unrolled: 1-line block ×3, first 2 shown]
	v_cndmask_b32_e32 v3, v8, v3, vcc_lo
	v_cndmask_b32_e32 v2, v0, v2, vcc_lo
	v_trig_preop_f64 v[8:9], |v[0:1]|, 1
	v_mul_f64 v[10:11], v[4:5], v[2:3]
	v_mul_f64 v[24:25], v[18:19], v[2:3]
	;; [unrolled: 1-line block ×3, first 2 shown]
	v_fma_f64 v[4:5], v[4:5], v[2:3], -v[10:11]
	v_fma_f64 v[8:9], v[8:9], v[2:3], -v[12:13]
	;; [unrolled: 1-line block ×3, first 2 shown]
	v_add_f64 v[14:15], v[12:13], v[4:5]
	v_add_f64 v[16:17], v[14:15], -v[12:13]
	v_add_f64 v[22:23], v[10:11], v[14:15]
	v_add_f64 v[20:21], v[14:15], -v[16:17]
	v_add_f64 v[4:5], v[4:5], -v[16:17]
	v_ldexp_f64 v[16:17], v[22:23], -2
	v_add_f64 v[10:11], v[22:23], -v[10:11]
	v_add_f64 v[12:13], v[12:13], -v[20:21]
	v_add_f64 v[20:21], v[24:25], v[8:9]
	v_cmp_neq_f64_e64 vcc_lo, 0x7ff00000, |v[16:17]|
	v_add_f64 v[10:11], v[14:15], -v[10:11]
	v_add_f64 v[4:5], v[4:5], v[12:13]
	v_fract_f64_e32 v[12:13], v[16:17]
	v_add_f64 v[14:15], v[20:21], v[4:5]
	v_ldexp_f64 v[12:13], v[12:13], 2
	v_add_f64 v[16:17], v[10:11], v[14:15]
	v_cndmask_b32_e32 v13, 0, v13, vcc_lo
	v_cndmask_b32_e32 v12, 0, v12, vcc_lo
	v_add_f64 v[22:23], v[16:17], v[12:13]
	v_add_f64 v[10:11], v[16:17], -v[10:11]
	v_cmp_gt_f64_e32 vcc_lo, 0, v[22:23]
	v_add_f64 v[22:23], v[20:21], -v[24:25]
	v_cndmask_b32_e64 v27, 0, 0x40100000, vcc_lo
	v_add_f64 v[31:32], v[20:21], -v[22:23]
	v_add_f64 v[8:9], v[8:9], -v[22:23]
	v_add_f64 v[12:13], v[12:13], v[26:27]
	v_add_f64 v[27:28], v[14:15], -v[20:21]
	v_add_f64 v[22:23], v[24:25], -v[31:32]
	v_add_f64 v[29:30], v[16:17], v[12:13]
	;; [unrolled: 3-line block ×3, first 2 shown]
	v_cvt_i32_f64_e32 v29, v[29:30]
	v_add_f64 v[20:21], v[20:21], -v[33:34]
	v_cvt_f64_i32_e32 v[27:28], v29
	v_add_f64 v[4:5], v[4:5], v[20:21]
	v_add_f64 v[12:13], v[12:13], -v[27:28]
	v_add_f64 v[4:5], v[8:9], v[4:5]
	v_add_f64 v[8:9], v[14:15], -v[10:11]
	v_add_f64 v[18:19], v[16:17], v[12:13]
	v_add_f64 v[2:3], v[2:3], v[4:5]
	v_add_f64 v[4:5], v[18:19], -v[12:13]
	v_cmp_le_f64_e32 vcc_lo, 0.5, v[18:19]
	v_add_f64 v[2:3], v[8:9], v[2:3]
	v_add_f64 v[4:5], v[16:17], -v[4:5]
	v_cndmask_b32_e64 v27, 0, 0x3ff00000, vcc_lo
	v_add_co_ci_u32_e64 v8, null, 0, v29, vcc_lo
	v_add_f64 v[2:3], v[2:3], v[4:5]
	v_add_f64 v[4:5], v[18:19], -v[26:27]
	v_add_f64 v[9:10], v[4:5], v[2:3]
	v_mul_f64 v[11:12], v[9:10], s[0:1]
	v_add_f64 v[4:5], v[9:10], -v[4:5]
	v_fma_f64 v[13:14], v[9:10], s[0:1], -v[11:12]
	v_add_f64 v[2:3], v[2:3], -v[4:5]
	v_fma_f64 v[4:5], v[9:10], s[22:23], v[13:14]
	v_fma_f64 v[4:5], v[2:3], s[0:1], v[4:5]
	v_add_f64 v[2:3], v[11:12], v[4:5]
	v_add_f64 v[9:10], v[2:3], -v[11:12]
	v_add_f64 v[4:5], v[4:5], -v[9:10]
.LBB38_295:
	s_andn2_saveexec_b32 s0, s21
	s_cbranch_execz .LBB38_297
; %bb.296:
	s_mov_b32 s22, 0x6dc9c883
	s_mov_b32 s23, 0x3fe45f30
	;; [unrolled: 1-line block ×3, first 2 shown]
	v_mul_f64 v[2:3], |v[0:1]|, s[22:23]
	s_mov_b32 s22, 0x54442d18
	s_mov_b32 s23, 0xbff921fb
	;; [unrolled: 1-line block ×3, first 2 shown]
	v_rndne_f64_e32 v[8:9], v[2:3]
	v_fma_f64 v[2:3], v[8:9], s[22:23], |v[0:1]|
	v_mul_f64 v[4:5], v[8:9], s[24:25]
	s_mov_b32 s22, 0x252049c0
	s_mov_b32 s23, 0xb97b839a
	v_fma_f64 v[12:13], v[8:9], s[24:25], v[2:3]
	v_add_f64 v[10:11], v[2:3], v[4:5]
	s_mov_b32 s25, 0x3c91a626
	v_add_f64 v[2:3], v[2:3], -v[10:11]
	v_add_f64 v[10:11], v[10:11], -v[12:13]
	v_add_f64 v[2:3], v[2:3], v[4:5]
	v_fma_f64 v[4:5], v[8:9], s[24:25], v[4:5]
	v_add_f64 v[2:3], v[10:11], v[2:3]
	v_add_f64 v[2:3], v[2:3], -v[4:5]
	v_fma_f64 v[4:5], v[8:9], s[22:23], v[2:3]
	v_cvt_i32_f64_e32 v8, v[8:9]
	v_add_f64 v[2:3], v[12:13], v[4:5]
	v_add_f64 v[10:11], v[2:3], -v[12:13]
	v_add_f64 v[4:5], v[4:5], -v[10:11]
.LBB38_297:
	s_or_b32 exec_lo, exec_lo, s0
	v_mul_f64 v[9:10], v[2:3], v[2:3]
	v_add_f64 v[11:12], v[4:5], v[4:5]
	s_mov_b32 s22, 0xa9a29f71
	s_mov_b32 s24, 0xc751c08c
	s_mov_b32 s23, 0xbf078809
	s_mov_b32 s25, 0x3ef5e089
	v_cmp_class_f64_e64 s0, v[0:1], 0x1f8
	v_and_b32_e32 v8, 1, v8
	v_and_b32_e32 v1, 0x80000000, v1
	v_sub_f32_e32 v7, 1.0, v7
	s_mov_b32 s1, exec_lo
	v_cmp_eq_u32_e32 vcc_lo, 0, v8
	v_fma_f64 v[13:14], v[2:3], v[2:3], -v[9:10]
	v_fma_f64 v[11:12], v[2:3], v[11:12], v[13:14]
	v_add_f64 v[9:10], v[9:10], v[11:12]
	v_fma_f64 v[11:12], v[9:10], s[24:25], s[22:23]
	s_mov_b32 s22, 0x90a8aae0
	s_mov_b32 s23, 0x3f17746f
	v_fma_f64 v[11:12], v[9:10], v[11:12], s[22:23]
	s_mov_b32 s22, 0xa6fbf144
	s_mov_b32 s23, 0xbefbb44d
	v_fma_f64 v[11:12], v[9:10], v[11:12], s[22:23]
	s_mov_b32 s22, 0xa7943acf
	s_mov_b32 s23, 0x3f21e634
	v_fma_f64 v[11:12], v[9:10], v[11:12], s[22:23]
	s_mov_b32 s22, 0xdeb68feb
	s_mov_b32 s23, 0x3f2d250f
	v_fma_f64 v[11:12], v[9:10], v[11:12], s[22:23]
	s_mov_b32 s22, 0xb58c4d95
	s_mov_b32 s23, 0x3f437fd9
	v_fma_f64 v[11:12], v[9:10], v[11:12], s[22:23]
	s_mov_b32 s22, 0x15120e2c
	s_mov_b32 s23, 0x3f57d5af
	v_fma_f64 v[11:12], v[9:10], v[11:12], s[22:23]
	s_mov_b32 s22, 0xe09491df
	s_mov_b32 s23, 0x3f6d6d93
	v_fma_f64 v[11:12], v[9:10], v[11:12], s[22:23]
	s_mov_b32 s22, 0x2033784d
	s_mov_b32 s23, 0x3f8226e1
	v_fma_f64 v[11:12], v[9:10], v[11:12], s[22:23]
	s_mov_b32 s22, 0x9ac36ae2
	s_mov_b32 s23, 0x3f9664f4
	v_fma_f64 v[11:12], v[9:10], v[11:12], s[22:23]
	s_mov_b32 s22, 0x1b451c21
	s_mov_b32 s23, 0x3faba1ba
	v_fma_f64 v[11:12], v[9:10], v[11:12], s[22:23]
	s_mov_b32 s22, 0x111185b7
	s_mov_b32 s23, 0x3fc11111
	v_fma_f64 v[11:12], v[9:10], v[11:12], s[22:23]
	s_mov_b32 s22, 0x555554ee
	s_mov_b32 s23, 0x3fd55555
	v_fma_f64 v[11:12], v[9:10], v[11:12], s[22:23]
	s_mov_b32 s22, 0x54442d18
	s_mov_b32 s23, 0xc00921fb
	v_mul_f64 v[9:10], v[9:10], v[11:12]
	v_mul_f64 v[11:12], v[2:3], v[9:10]
	v_add_f64 v[13:14], v[2:3], v[11:12]
	v_fma_f64 v[9:10], v[2:3], v[9:10], -v[11:12]
	v_add_f64 v[2:3], v[13:14], -v[2:3]
	v_add_f64 v[4:5], v[4:5], v[9:10]
	v_add_f64 v[2:3], v[11:12], -v[2:3]
	v_add_f64 v[2:3], v[4:5], v[2:3]
	v_add_f64 v[4:5], v[13:14], v[2:3]
	v_rcp_f64_e32 v[9:10], v[4:5]
	v_fma_f64 v[11:12], -v[4:5], v[9:10], 1.0
	v_fma_f64 v[9:10], v[11:12], v[9:10], v[9:10]
	v_fma_f64 v[11:12], -v[4:5], v[9:10], 1.0
	v_fma_f64 v[9:10], v[11:12], v[9:10], v[9:10]
	v_add_f64 v[11:12], v[4:5], -v[13:14]
	v_mul_f64 v[13:14], v[4:5], v[9:10]
	v_add_f64 v[2:3], v[2:3], -v[11:12]
	v_fma_f64 v[11:12], v[9:10], v[4:5], -v[13:14]
	v_fma_f64 v[2:3], v[9:10], v[2:3], v[11:12]
	v_add_f64 v[11:12], v[13:14], v[2:3]
	v_add_f64 v[15:16], -v[11:12], 1.0
	v_add_f64 v[13:14], v[11:12], -v[13:14]
	v_add_f64 v[17:18], -v[15:16], 1.0
	v_add_f64 v[2:3], v[13:14], -v[2:3]
	v_add_f64 v[11:12], v[17:18], -v[11:12]
	v_add_f64 v[2:3], v[2:3], v[11:12]
	v_add_f64 v[2:3], v[15:16], v[2:3]
	v_mul_f64 v[2:3], v[9:10], v[2:3]
	v_add_f64 v[2:3], v[9:10], v[2:3]
	v_xor_b32_e32 v0, 0x80000000, v3
	v_cndmask_b32_e32 v2, v2, v4, vcc_lo
	v_cndmask_b32_e32 v0, v0, v5, vcc_lo
	v_xor_b32_e32 v1, v0, v1
	v_cndmask_b32_e64 v0, 0, v2, s0
	v_cndmask_b32_e64 v1, 0x7ff80000, v1, s0
	v_div_scale_f64 v[2:3], null, v[0:1], v[0:1], s[22:23]
	v_rcp_f64_e32 v[4:5], v[2:3]
	v_fma_f64 v[8:9], -v[2:3], v[4:5], 1.0
	v_fma_f64 v[4:5], v[4:5], v[8:9], v[4:5]
	v_fma_f64 v[8:9], -v[2:3], v[4:5], 1.0
	v_fma_f64 v[4:5], v[4:5], v[8:9], v[4:5]
	v_div_scale_f64 v[8:9], vcc_lo, s[22:23], v[0:1], s[22:23]
	v_mul_f64 v[10:11], v[8:9], v[4:5]
	v_fma_f64 v[2:3], -v[2:3], v[10:11], v[8:9]
	v_div_fmas_f64 v[2:3], v[2:3], v[4:5], v[10:11]
	v_div_fixup_f64 v[0:1], v[2:3], v[0:1], s[22:23]
	v_cvt_f32_f64_e32 v0, v[0:1]
.LBB38_298:
	s_or_b32 exec_lo, exec_lo, s20
	s_orn2_b32 s0, s1, exec_lo
.LBB38_299:
	s_or_b32 exec_lo, exec_lo, s19
	v_mov_b32_e32 v2, 0x7fc0
	s_and_saveexec_b32 s1, s0
	s_cbranch_execz .LBB38_311
; %bb.300:
	s_mov_b32 s0, exec_lo
	v_cmpx_gt_f32_e32 0x41200000, v7
	s_cbranch_execz .LBB38_304
; %bb.301:
	s_mov_b32 s19, 0
	.p2align	6
.LBB38_302:                             ; =>This Inner Loop Header: Depth=1
	v_div_scale_f32 v1, null, v7, v7, 1.0
	v_div_scale_f32 v4, vcc_lo, 1.0, v7, 1.0
	v_rcp_f32_e32 v2, v1
	v_fma_f32 v3, -v1, v2, 1.0
	v_fmac_f32_e32 v2, v3, v2
	v_mul_f32_e32 v3, v4, v2
	v_fma_f32 v5, -v1, v3, v4
	v_fmac_f32_e32 v3, v5, v2
	v_fma_f32 v1, -v1, v3, v4
	v_div_fmas_f32 v1, v1, v2, v3
	v_div_fixup_f32 v1, v1, v7, 1.0
	v_add_f32_e32 v7, 1.0, v7
	v_sub_f32_e32 v0, v0, v1
	v_cmp_ngt_f32_e32 vcc_lo, 0x41200000, v7
	s_or_b32 s19, vcc_lo, s19
	s_andn2_b32 exec_lo, exec_lo, s19
	s_cbranch_execnz .LBB38_302
; %bb.303:
	s_or_b32 exec_lo, exec_lo, s19
.LBB38_304:
	s_or_b32 exec_lo, exec_lo, s0
                                        ; implicit-def: $vgpr2
	s_mov_b32 s0, exec_lo
	v_cmpx_neq_f32_e32 0x41200000, v7
	s_xor_b32 s19, exec_lo, s0
	s_cbranch_execz .LBB38_308
; %bb.305:
	v_cvt_f64_f32_e32 v[1:2], v7
	s_mov_b32 s20, 0x85d8a000
	s_mov_b32 s21, 0x43763457
	v_cmp_gt_f64_e32 vcc_lo, s[20:21], v[1:2]
	v_mov_b32_e32 v1, 0
	s_and_saveexec_b32 s0, vcc_lo
	s_cbranch_execz .LBB38_307
; %bb.306:
	v_mul_f32_e32 v1, v7, v7
	v_div_scale_f32 v2, null, v1, v1, 1.0
	v_rcp_f32_e32 v3, v2
	v_fma_f32 v4, -v2, v3, 1.0
	v_fmac_f32_e32 v3, v4, v3
	v_div_scale_f32 v4, vcc_lo, 1.0, v1, 1.0
	v_mul_f32_e32 v5, v4, v3
	v_fma_f32 v8, -v2, v5, v4
	v_fmac_f32_e32 v5, v8, v3
	v_fma_f32 v2, -v2, v5, v4
	v_div_fmas_f32 v2, v2, v3, v5
	v_div_fixup_f32 v1, v2, v1, 1.0
	v_fmaak_f32 v2, 0, v1, 0x3daaaaab
	v_fmaak_f32 v2, v1, v2, 0xbcaccacd
	;; [unrolled: 1-line block ×7, first 2 shown]
	v_mul_f32_e32 v1, v1, v2
.LBB38_307:
	s_or_b32 exec_lo, exec_lo, s0
	v_cmp_gt_f32_e32 vcc_lo, 0x800000, v7
	v_div_scale_f32 v2, null, v7, v7, -0.5
	v_div_scale_f32 v8, s0, -0.5, v7, -0.5
	v_cndmask_b32_e64 v3, 0, 32, vcc_lo
	v_rcp_f32_e32 v4, v2
	v_ldexp_f32 v3, v7, v3
	v_log_f32_e32 v3, v3
	v_fma_f32 v5, -v2, v4, 1.0
	v_fmac_f32_e32 v4, v5, v4
	v_mul_f32_e32 v5, 0x3f317217, v3
	v_mul_f32_e32 v9, v8, v4
	v_fma_f32 v5, 0x3f317217, v3, -v5
	v_fma_f32 v10, -v2, v9, v8
	v_fmamk_f32 v5, v3, 0x3377d1cf, v5
	v_fmac_f32_e32 v9, v10, v4
	v_cndmask_b32_e64 v10, 0, 0x41b17218, vcc_lo
	v_cmp_gt_f32_e64 vcc_lo, 0x7f800000, |v3|
	v_fmac_f32_e32 v5, 0x3f317217, v3
	v_fma_f32 v2, -v2, v9, v8
	v_cndmask_b32_e32 v3, v3, v5, vcc_lo
	s_mov_b32 vcc_lo, s0
	v_div_fmas_f32 v2, v2, v4, v9
	v_sub_f32_e32 v3, v3, v10
	v_div_fixup_f32 v2, v2, v7, -0.5
	v_add_f32_e32 v2, v3, v2
	v_sub_f32_e32 v1, v2, v1
	v_add_f32_e32 v0, v0, v1
	v_bfe_u32 v1, v0, 16, 1
	v_cmp_o_f32_e32 vcc_lo, v0, v0
	v_add3_u32 v0, v0, v1, 0x7fff
	v_mov_b32_e32 v1, 0x7fc0
	v_cndmask_b32_sdwa v2, v1, v0, vcc_lo dst_sel:DWORD dst_unused:UNUSED_PAD src0_sel:DWORD src1_sel:WORD_1
                                        ; implicit-def: $vgpr0
.LBB38_308:
	s_andn2_saveexec_b32 s0, s19
; %bb.309:
	v_add_f32_e32 v0, 0x40101cb7, v0
	v_bfe_u32 v1, v0, 16, 1
	v_cmp_o_f32_e32 vcc_lo, v0, v0
	v_add3_u32 v0, v0, v1, 0x7fff
	v_mov_b32_e32 v1, 0x7fc0
	v_cndmask_b32_sdwa v2, v1, v0, vcc_lo dst_sel:DWORD dst_unused:UNUSED_PAD src0_sel:DWORD src1_sel:WORD_1
; %bb.310:
	s_or_b32 exec_lo, exec_lo, s0
.LBB38_311:
	s_or_b32 exec_lo, exec_lo, s1
                                        ; implicit-def: $vgpr7
.LBB38_312:
	s_andn2_saveexec_b32 s0, s17
; %bb.313:
	v_xor_b32_e32 v0, 0x80000000, v7
	s_mov_b32 s1, 0x7f800000
	v_and_or_b32 v0, 0x80000000, v0, s1
	v_lshrrev_b32_e32 v2, 16, v0
; %bb.314:
	s_or_b32 exec_lo, exec_lo, s0
	v_mul_lo_u32 v0, v6, s2
	s_and_b32 s1, s4, 0xff
	s_cmp_lt_i32 s1, 11
	v_ashrrev_i32_e32 v1, 31, v0
	v_add_co_u32 v0, vcc_lo, s8, v0
	v_add_co_ci_u32_e64 v1, null, s9, v1, vcc_lo
	s_cbranch_scc1 .LBB38_322
; %bb.315:
	s_and_b32 s17, 0xffff, s1
	s_cmp_gt_i32 s17, 25
	s_cbranch_scc0 .LBB38_324
; %bb.316:
	s_cmp_gt_i32 s17, 28
	s_cbranch_scc0 .LBB38_326
; %bb.317:
	;; [unrolled: 3-line block ×4, first 2 shown]
	s_mov_b32 s20, 0
	s_mov_b32 s0, -1
	s_cmp_eq_u32 s17, 46
	s_mov_b32 s19, 0
	s_cbranch_scc0 .LBB38_339
; %bb.320:
	v_and_b32_e32 v3, 0xffff, v2
	s_mov_b32 s19, -1
	s_mov_b32 s0, 0
	global_store_dword v[0:1], v3, off
	s_branch .LBB38_339
.LBB38_321:
	s_mov_b32 s17, -1
	s_mov_b32 s1, 0
	s_mov_b32 s16, s14
                                        ; implicit-def: $vgpr2
	s_branch .LBB38_476
.LBB38_322:
	s_mov_b32 s17, -1
	s_mov_b32 s19, 0
	s_mov_b32 s0, s12
	s_branch .LBB38_408
.LBB38_323:
	s_mov_b32 s17, -1
	s_mov_b32 s1, 0
	s_mov_b32 s16, s14
                                        ; implicit-def: $vgpr2
	s_branch .LBB38_457
.LBB38_324:
	s_mov_b32 s20, -1
	s_mov_b32 s19, 0
	s_mov_b32 s0, s12
	s_branch .LBB38_366
.LBB38_325:
	s_mov_b32 s17, -1
	s_mov_b32 s1, 0
	s_mov_b32 s16, s14
                                        ; implicit-def: $vgpr2
	s_branch .LBB38_452
.LBB38_326:
	s_mov_b32 s20, -1
	s_mov_b32 s19, 0
	s_mov_b32 s0, s12
	s_branch .LBB38_349
.LBB38_327:
	s_andn2_saveexec_b32 s19, s19
	s_cbranch_execz .LBB38_78
.LBB38_328:
	v_add_f32_e64 v4, 0x46000000, |v5|
	s_andn2_b32 s18, s18, exec_lo
	v_and_b32_e32 v4, 0xff, v4
	v_cmp_ne_u32_e32 vcc_lo, 0, v4
	s_and_b32 s20, vcc_lo, exec_lo
	s_or_b32 s18, s18, s20
	s_or_b32 exec_lo, exec_lo, s19
	v_mov_b32_e32 v7, 0
	s_and_saveexec_b32 s19, s18
	s_cbranch_execnz .LBB38_79
	s_branch .LBB38_80
.LBB38_329:
	s_mov_b32 s17, -1
	s_mov_b32 s1, 0
	s_mov_b32 s16, s14
	s_branch .LBB38_334
.LBB38_330:
	s_mov_b32 s20, -1
	s_mov_b32 s19, 0
	s_mov_b32 s0, s12
	s_branch .LBB38_345
.LBB38_331:
	s_andn2_saveexec_b32 s19, s19
	s_cbranch_execz .LBB38_91
.LBB38_332:
	v_add_f32_e64 v4, 0x42800000, |v5|
	s_andn2_b32 s18, s18, exec_lo
	v_and_b32_e32 v4, 0xff, v4
	v_cmp_ne_u32_e32 vcc_lo, 0, v4
	s_and_b32 s20, vcc_lo, exec_lo
	s_or_b32 s18, s18, s20
	s_or_b32 exec_lo, exec_lo, s19
	v_mov_b32_e32 v7, 0
	s_and_saveexec_b32 s19, s18
	s_cbranch_execnz .LBB38_92
	s_branch .LBB38_93
.LBB38_333:
	s_mov_b32 s16, -1
	s_mov_b32 s1, 0
.LBB38_334:
                                        ; implicit-def: $vgpr2
.LBB38_335:
	s_and_b32 vcc_lo, exec_lo, s17
	s_cbranch_vccz .LBB38_451
; %bb.336:
	s_cmp_eq_u32 s0, 44
	s_cbranch_scc0 .LBB38_450
; %bb.337:
	global_load_ubyte v2, v[0:1], off
	s_mov_b32 s16, 0
	s_mov_b32 s1, -1
	s_waitcnt vmcnt(0)
	v_lshlrev_b32_e32 v3, 23, v2
	v_cmp_ne_u32_e32 vcc_lo, 0xff, v2
	v_cndmask_b32_e32 v3, 0x7f800001, v3, vcc_lo
	v_cmp_ne_u32_e32 vcc_lo, 0, v2
	v_cndmask_b32_e32 v2, 0x400000, v3, vcc_lo
	v_mov_b32_e32 v3, 0x7fc0
	v_cmp_o_f32_e32 vcc_lo, v2, v2
	v_add_nc_u32_e32 v2, 0x7fff, v2
	v_cndmask_b32_sdwa v2, v3, v2, vcc_lo dst_sel:DWORD dst_unused:UNUSED_PAD src0_sel:DWORD src1_sel:WORD_1
	s_branch .LBB38_451
.LBB38_338:
	s_mov_b32 s20, -1
	s_mov_b32 s19, 0
	s_mov_b32 s0, s12
.LBB38_339:
	s_and_b32 vcc_lo, exec_lo, s20
	s_cbranch_vccz .LBB38_344
; %bb.340:
	s_cmp_eq_u32 s17, 44
	s_mov_b32 s0, -1
	s_cbranch_scc0 .LBB38_344
; %bb.341:
	v_and_b32_e32 v3, 0xffff, v2
	v_mov_b32_e32 v4, 0xff
	s_mov_b32 s19, exec_lo
	v_bfe_u32 v5, v3, 7, 8
	v_cmpx_ne_u32_e32 0xff, v5
	s_cbranch_execz .LBB38_343
; %bb.342:
	v_lshlrev_b32_e32 v4, 16, v3
	v_and_b32_e32 v7, 64, v3
	v_lshrrev_b32_e32 v3, 7, v3
	v_and_or_b32 v4, 0x3f0000, v4, v5
	v_cmp_ne_u32_e32 vcc_lo, 0, v7
	v_cmp_ne_u32_e64 s0, 0, v4
	s_and_b32 s0, vcc_lo, s0
	v_cndmask_b32_e64 v4, 0, 1, s0
	v_add_nc_u32_e32 v4, v3, v4
.LBB38_343:
	s_or_b32 exec_lo, exec_lo, s19
	s_mov_b32 s19, -1
	s_mov_b32 s0, 0
	global_store_byte v[0:1], v4, off
.LBB38_344:
	s_mov_b32 s20, 0
.LBB38_345:
	s_and_b32 vcc_lo, exec_lo, s20
	s_cbranch_vccz .LBB38_348
; %bb.346:
	s_cmp_eq_u32 s17, 29
	s_mov_b32 s0, -1
	s_cbranch_scc0 .LBB38_348
; %bb.347:
	v_lshlrev_b32_e32 v3, 16, v2
	s_mov_b32 s19, -1
	s_mov_b32 s0, 0
	s_mov_b32 s20, 0
	v_trunc_f32_e32 v3, v3
	v_mul_f32_e32 v4, 0x2f800000, v3
	v_floor_f32_e32 v4, v4
	v_fmamk_f32 v3, v4, 0xcf800000, v3
	v_cvt_u32_f32_e32 v4, v4
	v_cvt_u32_f32_e32 v3, v3
	global_store_dwordx2 v[0:1], v[3:4], off
	s_branch .LBB38_349
.LBB38_348:
	s_mov_b32 s20, 0
.LBB38_349:
	s_and_b32 vcc_lo, exec_lo, s20
	s_cbranch_vccz .LBB38_365
; %bb.350:
	s_cmp_lt_i32 s17, 27
	s_mov_b32 s19, -1
	s_cbranch_scc1 .LBB38_356
; %bb.351:
	s_cmp_gt_i32 s17, 27
	s_cbranch_scc0 .LBB38_353
; %bb.352:
	v_lshlrev_b32_e32 v3, 16, v2
	s_mov_b32 s19, 0
	v_cvt_u32_f32_e32 v3, v3
	global_store_dword v[0:1], v3, off
.LBB38_353:
	s_andn2_b32 vcc_lo, exec_lo, s19
	s_cbranch_vccnz .LBB38_355
; %bb.354:
	v_lshlrev_b32_e32 v3, 16, v2
	v_cvt_u32_f32_e32 v3, v3
	global_store_short v[0:1], v3, off
.LBB38_355:
	s_mov_b32 s19, 0
.LBB38_356:
	s_andn2_b32 vcc_lo, exec_lo, s19
	s_cbranch_vccnz .LBB38_364
; %bb.357:
	v_lshlrev_b32_e32 v5, 16, v2
	v_mov_b32_e32 v7, 0x80
	s_mov_b32 s19, exec_lo
	v_and_b32_e32 v4, 0x7fffffff, v5
	v_cmpx_gt_u32_e32 0x43800000, v4
	s_cbranch_execz .LBB38_363
; %bb.358:
	v_and_b32_e32 v3, 0xffff, v2
	v_cmp_lt_u32_e32 vcc_lo, 0x3bffffff, v4
	s_mov_b32 s20, 0
                                        ; implicit-def: $vgpr4
	s_and_saveexec_b32 s21, vcc_lo
	s_xor_b32 s21, exec_lo, s21
	s_cbranch_execz .LBB38_576
; %bb.359:
	v_bfe_u32 v4, v3, 4, 1
	s_mov_b32 s20, exec_lo
	v_add3_u32 v4, v5, v4, 0x487ffff
                                        ; implicit-def: $vgpr5
	v_lshrrev_b32_e32 v4, 20, v4
	s_andn2_saveexec_b32 s21, s21
	s_cbranch_execnz .LBB38_577
.LBB38_360:
	s_or_b32 exec_lo, exec_lo, s21
	v_mov_b32_e32 v7, 0
	s_and_saveexec_b32 s21, s20
.LBB38_361:
	v_lshrrev_b32_e32 v3, 8, v3
	v_and_or_b32 v7, 0x80, v3, v4
.LBB38_362:
	s_or_b32 exec_lo, exec_lo, s21
.LBB38_363:
	s_or_b32 exec_lo, exec_lo, s19
	global_store_byte v[0:1], v7, off
.LBB38_364:
	s_mov_b32 s19, -1
.LBB38_365:
	s_mov_b32 s20, 0
.LBB38_366:
	s_and_b32 vcc_lo, exec_lo, s20
	s_cbranch_vccz .LBB38_407
; %bb.367:
	s_cmp_gt_i32 s17, 22
	s_mov_b32 s20, -1
	s_cbranch_scc0 .LBB38_399
; %bb.368:
	s_cmp_lt_i32 s17, 24
	s_mov_b32 s19, -1
	s_cbranch_scc1 .LBB38_388
; %bb.369:
	s_cmp_gt_i32 s17, 24
	s_cbranch_scc0 .LBB38_377
; %bb.370:
	v_lshlrev_b32_e32 v5, 16, v2
	v_mov_b32_e32 v7, 0x80
	s_mov_b32 s19, exec_lo
	v_and_b32_e32 v4, 0x7fffffff, v5
	v_cmpx_gt_u32_e32 0x47800000, v4
	s_cbranch_execz .LBB38_376
; %bb.371:
	v_and_b32_e32 v3, 0xffff, v2
	v_cmp_lt_u32_e32 vcc_lo, 0x37ffffff, v4
	s_mov_b32 s20, 0
                                        ; implicit-def: $vgpr4
	s_and_saveexec_b32 s21, vcc_lo
	s_xor_b32 s21, exec_lo, s21
	s_cbranch_execz .LBB38_579
; %bb.372:
	v_bfe_u32 v4, v3, 5, 1
	s_mov_b32 s20, exec_lo
	v_add3_u32 v4, v5, v4, 0x88fffff
                                        ; implicit-def: $vgpr5
	v_lshrrev_b32_e32 v4, 21, v4
	s_andn2_saveexec_b32 s21, s21
	s_cbranch_execnz .LBB38_580
.LBB38_373:
	s_or_b32 exec_lo, exec_lo, s21
	v_mov_b32_e32 v7, 0
	s_and_saveexec_b32 s21, s20
.LBB38_374:
	v_lshrrev_b32_e32 v3, 8, v3
	v_and_or_b32 v7, 0x80, v3, v4
.LBB38_375:
	s_or_b32 exec_lo, exec_lo, s21
.LBB38_376:
	s_or_b32 exec_lo, exec_lo, s19
	s_mov_b32 s19, 0
	global_store_byte v[0:1], v7, off
.LBB38_377:
	s_and_b32 vcc_lo, exec_lo, s19
	s_cbranch_vccz .LBB38_387
; %bb.378:
	v_lshlrev_b32_e32 v5, 16, v2
	v_and_b32_e32 v3, 0xffff, v2
	s_mov_b32 s19, exec_lo
                                        ; implicit-def: $vgpr4
	v_and_b32_e32 v7, 0x7fffffff, v5
	v_cmpx_gt_u32_e32 0x43f00000, v7
	s_xor_b32 s19, exec_lo, s19
	s_cbranch_execz .LBB38_384
; %bb.379:
	s_mov_b32 s20, exec_lo
                                        ; implicit-def: $vgpr4
	v_cmpx_lt_u32_e32 0x3c7fffff, v7
	s_xor_b32 s20, exec_lo, s20
; %bb.380:
	v_bfe_u32 v4, v3, 4, 1
	v_add3_u32 v4, v5, v4, 0x407ffff
	v_and_b32_e32 v5, 0xff00000, v4
	v_lshrrev_b32_e32 v4, 20, v4
	v_cmp_ne_u32_e32 vcc_lo, 0x7f00000, v5
                                        ; implicit-def: $vgpr5
	v_cndmask_b32_e32 v4, 0x7e, v4, vcc_lo
; %bb.381:
	s_andn2_saveexec_b32 s20, s20
; %bb.382:
	v_add_f32_e64 v4, 0x46800000, |v5|
; %bb.383:
	s_or_b32 exec_lo, exec_lo, s20
                                        ; implicit-def: $vgpr7
.LBB38_384:
	s_andn2_saveexec_b32 s19, s19
; %bb.385:
	v_mov_b32_e32 v4, 0x7f
	v_cmp_lt_u32_e32 vcc_lo, 0x7f800000, v7
	v_cndmask_b32_e32 v4, 0x7e, v4, vcc_lo
; %bb.386:
	s_or_b32 exec_lo, exec_lo, s19
	v_lshrrev_b32_e32 v3, 8, v3
	v_and_or_b32 v3, 0x80, v3, v4
	global_store_byte v[0:1], v3, off
.LBB38_387:
	s_mov_b32 s19, 0
.LBB38_388:
	s_andn2_b32 vcc_lo, exec_lo, s19
	s_cbranch_vccnz .LBB38_398
; %bb.389:
	v_lshlrev_b32_e32 v5, 16, v2
	v_and_b32_e32 v3, 0xffff, v2
	s_mov_b32 s19, exec_lo
                                        ; implicit-def: $vgpr4
	v_and_b32_e32 v7, 0x7fffffff, v5
	v_cmpx_gt_u32_e32 0x47800000, v7
	s_xor_b32 s19, exec_lo, s19
	s_cbranch_execz .LBB38_395
; %bb.390:
	s_mov_b32 s20, exec_lo
                                        ; implicit-def: $vgpr4
	v_cmpx_lt_u32_e32 0x387fffff, v7
	s_xor_b32 s20, exec_lo, s20
; %bb.391:
	v_bfe_u32 v4, v3, 5, 1
	v_add3_u32 v4, v5, v4, 0x80fffff
                                        ; implicit-def: $vgpr5
	v_lshrrev_b32_e32 v4, 21, v4
; %bb.392:
	s_andn2_saveexec_b32 s20, s20
; %bb.393:
	v_add_f32_e64 v4, 0x43000000, |v5|
; %bb.394:
	s_or_b32 exec_lo, exec_lo, s20
                                        ; implicit-def: $vgpr7
.LBB38_395:
	s_andn2_saveexec_b32 s19, s19
; %bb.396:
	v_mov_b32_e32 v4, 0x7f
	v_cmp_lt_u32_e32 vcc_lo, 0x7f800000, v7
	v_cndmask_b32_e32 v4, 0x7c, v4, vcc_lo
; %bb.397:
	s_or_b32 exec_lo, exec_lo, s19
	v_lshrrev_b32_e32 v3, 8, v3
	v_and_or_b32 v3, 0x80, v3, v4
	global_store_byte v[0:1], v3, off
.LBB38_398:
	s_mov_b32 s20, 0
	s_mov_b32 s19, -1
.LBB38_399:
	s_andn2_b32 vcc_lo, exec_lo, s20
	s_cbranch_vccnz .LBB38_407
; %bb.400:
	s_cmp_gt_i32 s17, 14
	s_mov_b32 s20, -1
	s_cbranch_scc0 .LBB38_404
; %bb.401:
	s_cmp_eq_u32 s17, 15
	s_mov_b32 s0, -1
	s_cbranch_scc0 .LBB38_403
; %bb.402:
	s_mov_b32 s19, -1
	s_mov_b32 s0, 0
	global_store_short v[0:1], v2, off
.LBB38_403:
	s_mov_b32 s20, 0
.LBB38_404:
	s_and_b32 vcc_lo, exec_lo, s20
	s_cbranch_vccz .LBB38_407
; %bb.405:
	s_cmp_eq_u32 s17, 11
	s_mov_b32 s0, -1
	s_cbranch_scc0 .LBB38_407
; %bb.406:
	v_and_b32_e32 v3, 0x7fff, v2
	s_mov_b32 s0, 0
	s_mov_b32 s19, -1
	v_cmp_ne_u16_e32 vcc_lo, 0, v3
	v_cndmask_b32_e64 v3, 0, 1, vcc_lo
	global_store_byte v[0:1], v3, off
.LBB38_407:
	s_mov_b32 s17, 0
.LBB38_408:
	s_and_b32 vcc_lo, exec_lo, s17
	s_cbranch_vccz .LBB38_447
; %bb.409:
	s_and_b32 s1, 0xffff, s1
	s_mov_b32 s17, -1
	s_cmp_lt_i32 s1, 5
	s_cbranch_scc1 .LBB38_430
; %bb.410:
	s_cmp_lt_i32 s1, 8
	s_cbranch_scc1 .LBB38_420
; %bb.411:
	;; [unrolled: 3-line block ×3, first 2 shown]
	s_cmp_gt_i32 s1, 9
	s_cbranch_scc0 .LBB38_414
; %bb.413:
	v_lshlrev_b32_e32 v3, 16, v2
	v_mov_b32_e32 v9, 0
	s_mov_b32 s17, 0
	v_cvt_f64_f32_e32 v[7:8], v3
	v_mov_b32_e32 v10, v9
	global_store_dwordx4 v[0:1], v[7:10], off
.LBB38_414:
	s_andn2_b32 vcc_lo, exec_lo, s17
	s_cbranch_vccnz .LBB38_416
; %bb.415:
	v_lshlrev_b32_e32 v3, 16, v2
	v_mov_b32_e32 v4, 0
	global_store_dwordx2 v[0:1], v[3:4], off
.LBB38_416:
	s_mov_b32 s17, 0
.LBB38_417:
	s_andn2_b32 vcc_lo, exec_lo, s17
	s_cbranch_vccnz .LBB38_419
; %bb.418:
	v_lshlrev_b32_e32 v3, 16, v2
	v_cvt_f16_f32_e32 v3, v3
	v_and_b32_e32 v3, 0xffff, v3
	global_store_dword v[0:1], v3, off
.LBB38_419:
	s_mov_b32 s17, 0
.LBB38_420:
	s_andn2_b32 vcc_lo, exec_lo, s17
	s_cbranch_vccnz .LBB38_429
; %bb.421:
	s_cmp_lt_i32 s1, 6
	s_mov_b32 s17, -1
	s_cbranch_scc1 .LBB38_427
; %bb.422:
	s_cmp_gt_i32 s1, 6
	s_cbranch_scc0 .LBB38_424
; %bb.423:
	v_lshlrev_b32_e32 v3, 16, v2
	s_mov_b32 s17, 0
	v_cvt_f64_f32_e32 v[3:4], v3
	global_store_dwordx2 v[0:1], v[3:4], off
.LBB38_424:
	s_andn2_b32 vcc_lo, exec_lo, s17
	s_cbranch_vccnz .LBB38_426
; %bb.425:
	v_lshlrev_b32_e32 v3, 16, v2
	global_store_dword v[0:1], v3, off
.LBB38_426:
	s_mov_b32 s17, 0
.LBB38_427:
	s_andn2_b32 vcc_lo, exec_lo, s17
	s_cbranch_vccnz .LBB38_429
; %bb.428:
	v_lshlrev_b32_e32 v3, 16, v2
	v_cvt_f16_f32_e32 v3, v3
	global_store_short v[0:1], v3, off
.LBB38_429:
	s_mov_b32 s17, 0
.LBB38_430:
	s_andn2_b32 vcc_lo, exec_lo, s17
	s_cbranch_vccnz .LBB38_446
; %bb.431:
	s_cmp_lt_i32 s1, 2
	s_mov_b32 s17, -1
	s_cbranch_scc1 .LBB38_441
; %bb.432:
	s_cmp_lt_i32 s1, 3
	s_cbranch_scc1 .LBB38_438
; %bb.433:
	s_cmp_gt_i32 s1, 3
	s_cbranch_scc0 .LBB38_435
; %bb.434:
	v_lshlrev_b32_e32 v3, 16, v2
	s_mov_b32 s17, 0
	v_trunc_f32_e32 v3, v3
	v_mul_f32_e64 v4, 0x2f800000, |v3|
	v_ashrrev_i32_e32 v7, 31, v3
	v_floor_f32_e32 v4, v4
	v_fma_f32 v5, 0xcf800000, v4, |v3|
	v_cvt_u32_f32_e32 v4, v4
	v_cvt_u32_f32_e32 v3, v5
	v_xor_b32_e32 v4, v4, v7
	v_xor_b32_e32 v3, v3, v7
	v_sub_co_u32 v3, vcc_lo, v3, v7
	v_sub_co_ci_u32_e64 v4, null, v4, v7, vcc_lo
	global_store_dwordx2 v[0:1], v[3:4], off
.LBB38_435:
	s_andn2_b32 vcc_lo, exec_lo, s17
	s_cbranch_vccnz .LBB38_437
; %bb.436:
	v_lshlrev_b32_e32 v3, 16, v2
	v_cvt_i32_f32_e32 v3, v3
	global_store_dword v[0:1], v3, off
.LBB38_437:
	s_mov_b32 s17, 0
.LBB38_438:
	s_andn2_b32 vcc_lo, exec_lo, s17
	s_cbranch_vccnz .LBB38_440
; %bb.439:
	v_lshlrev_b32_e32 v3, 16, v2
	v_cvt_i32_f32_e32 v3, v3
	global_store_short v[0:1], v3, off
.LBB38_440:
	s_mov_b32 s17, 0
.LBB38_441:
	s_andn2_b32 vcc_lo, exec_lo, s17
	s_cbranch_vccnz .LBB38_446
; %bb.442:
	v_lshlrev_b32_e32 v2, 16, v2
	s_cmp_gt_i32 s1, 0
	s_mov_b32 s1, -1
	s_cbranch_scc0 .LBB38_444
; %bb.443:
	v_cvt_i32_f32_e32 v3, v2
	s_mov_b32 s1, 0
	global_store_byte v[0:1], v3, off
.LBB38_444:
	s_andn2_b32 vcc_lo, exec_lo, s1
	s_cbranch_vccnz .LBB38_446
; %bb.445:
	v_trunc_f32_e32 v2, v2
	v_mul_f32_e64 v3, 0x2f800000, |v2|
	v_floor_f32_e32 v3, v3
	v_fma_f32 v3, 0xcf800000, v3, |v2|
	v_ashrrev_i32_e32 v2, 31, v2
	v_cvt_u32_f32_e32 v3, v3
	v_xor_b32_e32 v3, v3, v2
	v_sub_nc_u32_e32 v2, v3, v2
	global_store_byte v[0:1], v2, off
.LBB38_446:
	s_mov_b32 s19, -1
.LBB38_447:
	s_andn2_b32 vcc_lo, exec_lo, s19
	s_cbranch_vccnz .LBB38_449
; %bb.448:
	v_add_nc_u32_e32 v6, 0x80, v6
	s_mov_b32 s1, -1
	s_branch .LBB38_562
.LBB38_449:
	s_mov_b32 s1, 0
	s_branch .LBB38_561
.LBB38_450:
	s_mov_b32 s16, -1
                                        ; implicit-def: $vgpr2
.LBB38_451:
	s_mov_b32 s17, 0
.LBB38_452:
	s_and_b32 vcc_lo, exec_lo, s17
	s_cbranch_vccz .LBB38_456
; %bb.453:
	s_cmp_eq_u32 s0, 29
	s_cbranch_scc0 .LBB38_455
; %bb.454:
	global_load_dwordx2 v[2:3], v[0:1], off
	s_mov_b32 s1, -1
	s_mov_b32 s16, 0
	s_mov_b32 s17, 0
	s_waitcnt vmcnt(0)
	v_ffbh_u32_e32 v4, v3
	v_min_u32_e32 v4, 32, v4
	v_lshlrev_b64 v[2:3], v4, v[2:3]
	v_min_u32_e32 v2, 1, v2
	v_or_b32_e32 v2, v3, v2
	v_sub_nc_u32_e32 v3, 32, v4
	v_cvt_f32_u32_e32 v2, v2
	v_ldexp_f32 v2, v2, v3
	v_bfe_u32 v3, v2, 16, 1
	v_add3_u32 v2, v2, v3, 0x7fff
	v_lshrrev_b32_e32 v2, 16, v2
	s_branch .LBB38_457
.LBB38_455:
	s_mov_b32 s16, -1
                                        ; implicit-def: $vgpr2
.LBB38_456:
	s_mov_b32 s17, 0
.LBB38_457:
	s_and_b32 vcc_lo, exec_lo, s17
	s_cbranch_vccz .LBB38_475
; %bb.458:
	s_cmp_lt_i32 s0, 27
	s_cbranch_scc1 .LBB38_461
; %bb.459:
	s_cmp_gt_i32 s0, 27
	s_cbranch_scc0 .LBB38_462
; %bb.460:
	global_load_dword v2, v[0:1], off
	s_mov_b32 s1, 0
	s_waitcnt vmcnt(0)
	v_cvt_f32_u32_e32 v2, v2
	v_bfe_u32 v3, v2, 16, 1
	v_add3_u32 v2, v2, v3, 0x7fff
	v_lshrrev_b32_e32 v2, 16, v2
	s_branch .LBB38_463
.LBB38_461:
	s_mov_b32 s1, -1
                                        ; implicit-def: $vgpr2
	s_branch .LBB38_466
.LBB38_462:
	s_mov_b32 s1, -1
                                        ; implicit-def: $vgpr2
.LBB38_463:
	s_andn2_b32 vcc_lo, exec_lo, s1
	s_cbranch_vccnz .LBB38_465
; %bb.464:
	global_load_ushort v2, v[0:1], off
	s_waitcnt vmcnt(0)
	v_cvt_f32_u32_e32 v2, v2
	v_bfe_u32 v3, v2, 16, 1
	v_add3_u32 v2, v2, v3, 0x7fff
	v_lshrrev_b32_e32 v2, 16, v2
.LBB38_465:
	s_mov_b32 s1, 0
.LBB38_466:
	s_andn2_b32 vcc_lo, exec_lo, s1
	s_cbranch_vccnz .LBB38_474
; %bb.467:
	global_load_ubyte v2, v[0:1], off
	s_mov_b32 s1, 0
	s_mov_b32 s17, exec_lo
	s_waitcnt vmcnt(0)
	v_cmpx_lt_i16_e32 0x7f, v2
	s_xor_b32 s17, exec_lo, s17
	s_cbranch_execz .LBB38_488
; %bb.468:
	s_mov_b32 s1, -1
	s_mov_b32 s19, exec_lo
	v_cmpx_eq_u16_e32 0x80, v2
; %bb.469:
	s_xor_b32 s1, exec_lo, -1
; %bb.470:
	s_or_b32 exec_lo, exec_lo, s19
	s_and_b32 s1, s1, exec_lo
	s_or_saveexec_b32 s17, s17
	v_mov_b32_e32 v3, 0x7f800001
	s_xor_b32 exec_lo, exec_lo, s17
	s_cbranch_execnz .LBB38_489
.LBB38_471:
	s_or_b32 exec_lo, exec_lo, s17
	s_and_saveexec_b32 s17, s1
	s_cbranch_execz .LBB38_473
.LBB38_472:
	v_and_b32_e32 v3, 0xffff, v2
	v_lshlrev_b32_e32 v2, 24, v2
	v_and_b32_e32 v4, 7, v3
	v_bfe_u32 v8, v3, 3, 4
	v_and_b32_e32 v2, 0x80000000, v2
	v_ffbh_u32_e32 v5, v4
	v_cmp_eq_u32_e32 vcc_lo, 0, v8
	v_min_u32_e32 v5, 32, v5
	v_subrev_nc_u32_e32 v7, 28, v5
	v_sub_nc_u32_e32 v5, 29, v5
	v_lshlrev_b32_e32 v3, v7, v3
	v_cndmask_b32_e32 v5, v8, v5, vcc_lo
	v_and_b32_e32 v3, 7, v3
	v_cndmask_b32_e32 v3, v4, v3, vcc_lo
	v_lshl_add_u32 v4, v5, 23, 0x3b800000
	v_lshlrev_b32_e32 v3, 20, v3
	v_or3_b32 v3, v2, v4, v3
.LBB38_473:
	s_or_b32 exec_lo, exec_lo, s17
	v_bfe_u32 v2, v3, 16, 1
	v_cmp_o_f32_e32 vcc_lo, v3, v3
	v_add3_u32 v2, v3, v2, 0x7fff
	v_mov_b32_e32 v3, 0x7fc0
	v_cndmask_b32_sdwa v2, v3, v2, vcc_lo dst_sel:DWORD dst_unused:UNUSED_PAD src0_sel:DWORD src1_sel:WORD_1
.LBB38_474:
	s_mov_b32 s1, -1
.LBB38_475:
	s_mov_b32 s17, 0
.LBB38_476:
	s_and_b32 vcc_lo, exec_lo, s17
	s_cbranch_vccz .LBB38_511
; %bb.477:
	s_cmp_gt_i32 s0, 22
	s_cbranch_scc0 .LBB38_487
; %bb.478:
	s_cmp_lt_i32 s0, 24
	s_cbranch_scc1 .LBB38_490
; %bb.479:
	s_cmp_gt_i32 s0, 24
	s_cbranch_scc0 .LBB38_491
; %bb.480:
	global_load_ubyte v2, v[0:1], off
	s_mov_b32 s1, 0
	s_mov_b32 s17, exec_lo
	s_waitcnt vmcnt(0)
	v_cmpx_lt_i16_e32 0x7f, v2
	s_xor_b32 s17, exec_lo, s17
	s_cbranch_execz .LBB38_503
; %bb.481:
	s_mov_b32 s1, -1
	s_mov_b32 s19, exec_lo
	v_cmpx_eq_u16_e32 0x80, v2
; %bb.482:
	s_xor_b32 s1, exec_lo, -1
; %bb.483:
	s_or_b32 exec_lo, exec_lo, s19
	s_and_b32 s1, s1, exec_lo
	s_or_saveexec_b32 s17, s17
	v_mov_b32_e32 v3, 0x7f800001
	s_xor_b32 exec_lo, exec_lo, s17
	s_cbranch_execnz .LBB38_504
.LBB38_484:
	s_or_b32 exec_lo, exec_lo, s17
	s_and_saveexec_b32 s17, s1
	s_cbranch_execz .LBB38_486
.LBB38_485:
	v_and_b32_e32 v3, 0xffff, v2
	v_lshlrev_b32_e32 v2, 24, v2
	v_and_b32_e32 v4, 3, v3
	v_bfe_u32 v8, v3, 2, 5
	v_and_b32_e32 v2, 0x80000000, v2
	v_ffbh_u32_e32 v5, v4
	v_cmp_eq_u32_e32 vcc_lo, 0, v8
	v_min_u32_e32 v5, 32, v5
	v_subrev_nc_u32_e32 v7, 29, v5
	v_sub_nc_u32_e32 v5, 30, v5
	v_lshlrev_b32_e32 v3, v7, v3
	v_cndmask_b32_e32 v5, v8, v5, vcc_lo
	v_and_b32_e32 v3, 3, v3
	v_cndmask_b32_e32 v3, v4, v3, vcc_lo
	v_lshl_add_u32 v4, v5, 23, 0x37800000
	v_lshlrev_b32_e32 v3, 21, v3
	v_or3_b32 v3, v2, v4, v3
.LBB38_486:
	s_or_b32 exec_lo, exec_lo, s17
	v_bfe_u32 v2, v3, 16, 1
	v_cmp_o_f32_e32 vcc_lo, v3, v3
	s_mov_b32 s1, 0
	v_add3_u32 v2, v3, v2, 0x7fff
	v_mov_b32_e32 v3, 0x7fc0
	v_cndmask_b32_sdwa v2, v3, v2, vcc_lo dst_sel:DWORD dst_unused:UNUSED_PAD src0_sel:DWORD src1_sel:WORD_1
	s_branch .LBB38_492
.LBB38_487:
	s_mov_b32 s17, -1
                                        ; implicit-def: $vgpr2
	s_branch .LBB38_498
.LBB38_488:
	s_or_saveexec_b32 s17, s17
	v_mov_b32_e32 v3, 0x7f800001
	s_xor_b32 exec_lo, exec_lo, s17
	s_cbranch_execz .LBB38_471
.LBB38_489:
	v_cmp_ne_u16_e32 vcc_lo, 0, v2
	v_mov_b32_e32 v3, 0
	s_andn2_b32 s1, s1, exec_lo
	s_and_b32 s19, vcc_lo, exec_lo
	s_or_b32 s1, s1, s19
	s_or_b32 exec_lo, exec_lo, s17
	s_and_saveexec_b32 s17, s1
	s_cbranch_execnz .LBB38_472
	s_branch .LBB38_473
.LBB38_490:
	s_mov_b32 s1, -1
                                        ; implicit-def: $vgpr2
	s_branch .LBB38_495
.LBB38_491:
	s_mov_b32 s1, -1
                                        ; implicit-def: $vgpr2
.LBB38_492:
	s_and_b32 vcc_lo, exec_lo, s1
	s_cbranch_vccz .LBB38_494
; %bb.493:
	global_load_ubyte v2, v[0:1], off
	s_waitcnt vmcnt(0)
	v_lshlrev_b32_e32 v2, 24, v2
	v_and_b32_e32 v3, 0x7f000000, v2
	v_ffbh_u32_e32 v4, v3
	v_add_nc_u32_e32 v7, 0x1000000, v3
	v_cmp_ne_u32_e32 vcc_lo, 0, v3
	v_min_u32_e32 v4, 32, v4
	v_sub_nc_u32_e64 v4, v4, 4 clamp
	v_lshlrev_b32_e32 v5, v4, v3
	v_lshlrev_b32_e32 v4, 23, v4
	v_lshrrev_b32_e32 v5, 4, v5
	v_sub_nc_u32_e32 v4, v5, v4
	v_ashrrev_i32_e32 v5, 8, v7
	v_add_nc_u32_e32 v4, 0x3c000000, v4
	v_and_or_b32 v4, 0x7f800000, v5, v4
	v_cndmask_b32_e32 v3, 0, v4, vcc_lo
	v_and_or_b32 v2, 0x80000000, v2, v3
	v_bfe_u32 v3, v3, 16, 1
	v_cmp_o_f32_e32 vcc_lo, v2, v2
	v_add3_u32 v2, v2, v3, 0x7fff
	v_mov_b32_e32 v3, 0x7fc0
	v_cndmask_b32_sdwa v2, v3, v2, vcc_lo dst_sel:DWORD dst_unused:UNUSED_PAD src0_sel:DWORD src1_sel:WORD_1
.LBB38_494:
	s_mov_b32 s1, 0
.LBB38_495:
	s_andn2_b32 vcc_lo, exec_lo, s1
	s_cbranch_vccnz .LBB38_497
; %bb.496:
	global_load_ubyte v2, v[0:1], off
	s_waitcnt vmcnt(0)
	v_lshlrev_b32_e32 v3, 25, v2
	v_lshlrev_b16 v2, 8, v2
	v_lshrrev_b32_e32 v4, 4, v3
	v_and_or_b32 v5, 0x7f00, v2, 0.5
	v_cmp_gt_u32_e32 vcc_lo, 0x8000000, v3
	v_bfe_i32 v2, v2, 0, 16
	v_or_b32_e32 v4, 0x70000000, v4
	v_add_f32_e32 v5, -0.5, v5
	v_mul_f32_e32 v4, 0x7800000, v4
	v_cndmask_b32_e32 v3, v4, v5, vcc_lo
	v_and_or_b32 v2, 0x80000000, v2, v3
	v_bfe_u32 v3, v3, 16, 1
	v_cmp_o_f32_e32 vcc_lo, v2, v2
	v_add3_u32 v2, v2, v3, 0x7fff
	v_mov_b32_e32 v3, 0x7fc0
	v_cndmask_b32_sdwa v2, v3, v2, vcc_lo dst_sel:DWORD dst_unused:UNUSED_PAD src0_sel:DWORD src1_sel:WORD_1
.LBB38_497:
	s_mov_b32 s17, 0
	s_mov_b32 s1, -1
.LBB38_498:
	s_andn2_b32 vcc_lo, exec_lo, s17
	s_cbranch_vccnz .LBB38_511
; %bb.499:
	s_cmp_gt_i32 s0, 14
	s_cbranch_scc0 .LBB38_502
; %bb.500:
	s_cmp_eq_u32 s0, 15
	s_cbranch_scc0 .LBB38_505
; %bb.501:
	global_load_ushort v2, v[0:1], off
	s_mov_b32 s1, -1
	s_mov_b32 s16, 0
	s_branch .LBB38_506
.LBB38_502:
	s_mov_b32 s17, -1
                                        ; implicit-def: $vgpr2
	s_branch .LBB38_507
.LBB38_503:
	s_or_saveexec_b32 s17, s17
	v_mov_b32_e32 v3, 0x7f800001
	s_xor_b32 exec_lo, exec_lo, s17
	s_cbranch_execz .LBB38_484
.LBB38_504:
	v_cmp_ne_u16_e32 vcc_lo, 0, v2
	v_mov_b32_e32 v3, 0
	s_andn2_b32 s1, s1, exec_lo
	s_and_b32 s19, vcc_lo, exec_lo
	s_or_b32 s1, s1, s19
	s_or_b32 exec_lo, exec_lo, s17
	s_and_saveexec_b32 s17, s1
	s_cbranch_execnz .LBB38_485
	s_branch .LBB38_486
.LBB38_505:
	s_mov_b32 s16, -1
                                        ; implicit-def: $vgpr2
.LBB38_506:
	s_mov_b32 s17, 0
.LBB38_507:
	s_and_b32 vcc_lo, exec_lo, s17
	s_cbranch_vccz .LBB38_511
; %bb.508:
	s_cmp_eq_u32 s0, 11
	s_cbranch_scc0 .LBB38_510
; %bb.509:
	global_load_ubyte v2, v[0:1], off
	s_mov_b32 s16, 0
	s_mov_b32 s1, -1
	s_waitcnt vmcnt(0)
	v_cmp_ne_u16_e32 vcc_lo, 0, v2
	v_cndmask_b32_e64 v2, 0, 1.0, vcc_lo
	v_lshrrev_b32_e32 v2, 16, v2
	s_branch .LBB38_511
.LBB38_510:
	s_mov_b32 s16, -1
                                        ; implicit-def: $vgpr2
.LBB38_511:
	s_branch .LBB38_289
.LBB38_512:
	s_cmp_lt_i32 s0, 5
	s_cbranch_scc1 .LBB38_517
; %bb.513:
	s_cmp_lt_i32 s0, 8
	s_cbranch_scc1 .LBB38_518
; %bb.514:
	;; [unrolled: 3-line block ×3, first 2 shown]
	s_cmp_gt_i32 s0, 9
	s_cbranch_scc0 .LBB38_520
; %bb.516:
	global_load_dwordx2 v[2:3], v[0:1], off
	s_mov_b32 s1, 0
	s_waitcnt vmcnt(0)
	v_cvt_f32_f64_e32 v2, v[2:3]
	v_bfe_u32 v3, v2, 16, 1
	v_cmp_o_f32_e32 vcc_lo, v2, v2
	v_add3_u32 v2, v2, v3, 0x7fff
	v_mov_b32_e32 v3, 0x7fc0
	v_cndmask_b32_sdwa v2, v3, v2, vcc_lo dst_sel:DWORD dst_unused:UNUSED_PAD src0_sel:DWORD src1_sel:WORD_1
	s_branch .LBB38_521
.LBB38_517:
	s_mov_b32 s1, -1
                                        ; implicit-def: $vgpr2
	s_branch .LBB38_539
.LBB38_518:
	s_mov_b32 s1, -1
                                        ; implicit-def: $vgpr2
	s_branch .LBB38_527
.LBB38_519:
	s_mov_b32 s1, -1
                                        ; implicit-def: $vgpr2
	s_branch .LBB38_524
.LBB38_520:
	s_mov_b32 s1, -1
                                        ; implicit-def: $vgpr2
.LBB38_521:
	s_andn2_b32 vcc_lo, exec_lo, s1
	s_cbranch_vccnz .LBB38_523
; %bb.522:
	global_load_dword v2, v[0:1], off
	s_waitcnt vmcnt(0)
	v_bfe_u32 v3, v2, 16, 1
	v_cmp_o_f32_e32 vcc_lo, v2, v2
	v_add3_u32 v2, v2, v3, 0x7fff
	v_mov_b32_e32 v3, 0x7fc0
	v_cndmask_b32_sdwa v2, v3, v2, vcc_lo dst_sel:DWORD dst_unused:UNUSED_PAD src0_sel:DWORD src1_sel:WORD_1
.LBB38_523:
	s_mov_b32 s1, 0
.LBB38_524:
	s_andn2_b32 vcc_lo, exec_lo, s1
	s_cbranch_vccnz .LBB38_526
; %bb.525:
	global_load_dword v2, v[0:1], off
	s_waitcnt vmcnt(0)
	v_cvt_f32_f16_e32 v3, v2
	v_cmp_o_f16_e32 vcc_lo, v2, v2
	v_bfe_u32 v4, v3, 16, 1
	v_add3_u32 v2, v3, v4, 0x7fff
	v_mov_b32_e32 v3, 0x7fc0
	v_cndmask_b32_sdwa v2, v3, v2, vcc_lo dst_sel:DWORD dst_unused:UNUSED_PAD src0_sel:DWORD src1_sel:WORD_1
.LBB38_526:
	s_mov_b32 s1, 0
.LBB38_527:
	s_andn2_b32 vcc_lo, exec_lo, s1
	s_cbranch_vccnz .LBB38_538
; %bb.528:
	s_cmp_lt_i32 s0, 6
	s_cbranch_scc1 .LBB38_531
; %bb.529:
	s_cmp_gt_i32 s0, 6
	s_cbranch_scc0 .LBB38_532
; %bb.530:
	global_load_dwordx2 v[2:3], v[0:1], off
	s_mov_b32 s1, 0
	s_waitcnt vmcnt(0)
	v_cvt_f32_f64_e32 v2, v[2:3]
	v_bfe_u32 v3, v2, 16, 1
	v_cmp_o_f32_e32 vcc_lo, v2, v2
	v_add3_u32 v2, v2, v3, 0x7fff
	v_mov_b32_e32 v3, 0x7fc0
	v_cndmask_b32_sdwa v2, v3, v2, vcc_lo dst_sel:DWORD dst_unused:UNUSED_PAD src0_sel:DWORD src1_sel:WORD_1
	s_branch .LBB38_533
.LBB38_531:
	s_mov_b32 s1, -1
                                        ; implicit-def: $vgpr2
	s_branch .LBB38_536
.LBB38_532:
	s_mov_b32 s1, -1
                                        ; implicit-def: $vgpr2
.LBB38_533:
	s_andn2_b32 vcc_lo, exec_lo, s1
	s_cbranch_vccnz .LBB38_535
; %bb.534:
	global_load_dword v2, v[0:1], off
	s_waitcnt vmcnt(0)
	v_bfe_u32 v3, v2, 16, 1
	v_cmp_o_f32_e32 vcc_lo, v2, v2
	v_add3_u32 v2, v2, v3, 0x7fff
	v_mov_b32_e32 v3, 0x7fc0
	v_cndmask_b32_sdwa v2, v3, v2, vcc_lo dst_sel:DWORD dst_unused:UNUSED_PAD src0_sel:DWORD src1_sel:WORD_1
.LBB38_535:
	s_mov_b32 s1, 0
.LBB38_536:
	s_andn2_b32 vcc_lo, exec_lo, s1
	s_cbranch_vccnz .LBB38_538
; %bb.537:
	global_load_ushort v2, v[0:1], off
	s_waitcnt vmcnt(0)
	v_cvt_f32_f16_e32 v3, v2
	v_cmp_o_f16_e32 vcc_lo, v2, v2
	v_bfe_u32 v4, v3, 16, 1
	v_add3_u32 v2, v3, v4, 0x7fff
	v_mov_b32_e32 v3, 0x7fc0
	v_cndmask_b32_sdwa v2, v3, v2, vcc_lo dst_sel:DWORD dst_unused:UNUSED_PAD src0_sel:DWORD src1_sel:WORD_1
.LBB38_538:
	s_mov_b32 s1, 0
.LBB38_539:
	s_andn2_b32 vcc_lo, exec_lo, s1
	s_cbranch_vccnz .LBB38_559
; %bb.540:
	s_cmp_lt_i32 s0, 2
	s_cbranch_scc1 .LBB38_544
; %bb.541:
	s_cmp_lt_i32 s0, 3
	s_cbranch_scc1 .LBB38_545
; %bb.542:
	s_cmp_gt_i32 s0, 3
	s_cbranch_scc0 .LBB38_546
; %bb.543:
	global_load_dwordx2 v[2:3], v[0:1], off
	s_mov_b32 s1, 0
	s_waitcnt vmcnt(0)
	v_xor_b32_e32 v4, v2, v3
	v_ffbh_i32_e32 v5, v3
	v_ashrrev_i32_e32 v4, 31, v4
	v_add_nc_u32_e32 v5, -1, v5
	v_add_nc_u32_e32 v4, 32, v4
	v_min_u32_e32 v4, v5, v4
	v_lshlrev_b64 v[2:3], v4, v[2:3]
	v_min_u32_e32 v2, 1, v2
	v_or_b32_e32 v2, v3, v2
	v_sub_nc_u32_e32 v3, 32, v4
	v_cvt_f32_i32_e32 v2, v2
	v_ldexp_f32 v2, v2, v3
	v_bfe_u32 v3, v2, 16, 1
	v_add3_u32 v2, v2, v3, 0x7fff
	v_lshrrev_b32_e32 v2, 16, v2
	s_branch .LBB38_547
.LBB38_544:
	s_mov_b32 s1, -1
                                        ; implicit-def: $vgpr2
	s_branch .LBB38_553
.LBB38_545:
	s_mov_b32 s1, -1
                                        ; implicit-def: $vgpr2
	s_branch .LBB38_550
.LBB38_546:
	s_mov_b32 s1, -1
                                        ; implicit-def: $vgpr2
.LBB38_547:
	s_andn2_b32 vcc_lo, exec_lo, s1
	s_cbranch_vccnz .LBB38_549
; %bb.548:
	global_load_dword v2, v[0:1], off
	s_waitcnt vmcnt(0)
	v_cvt_f32_i32_e32 v2, v2
	v_bfe_u32 v3, v2, 16, 1
	v_add3_u32 v2, v2, v3, 0x7fff
	v_lshrrev_b32_e32 v2, 16, v2
.LBB38_549:
	s_mov_b32 s1, 0
.LBB38_550:
	s_andn2_b32 vcc_lo, exec_lo, s1
	s_cbranch_vccnz .LBB38_552
; %bb.551:
	global_load_sshort v2, v[0:1], off
	s_waitcnt vmcnt(0)
	v_cvt_f32_i32_e32 v2, v2
	v_bfe_u32 v3, v2, 16, 1
	v_add3_u32 v2, v2, v3, 0x7fff
	v_lshrrev_b32_e32 v2, 16, v2
.LBB38_552:
	s_mov_b32 s1, 0
.LBB38_553:
	s_andn2_b32 vcc_lo, exec_lo, s1
	s_cbranch_vccnz .LBB38_559
; %bb.554:
	s_cmp_gt_i32 s0, 0
	s_mov_b32 s0, 0
	s_cbranch_scc0 .LBB38_556
; %bb.555:
	global_load_sbyte v2, v[0:1], off
	s_waitcnt vmcnt(0)
	v_cvt_f32_i32_e32 v2, v2
	v_bfe_u32 v3, v2, 16, 1
	v_add3_u32 v2, v2, v3, 0x7fff
	v_lshrrev_b32_e32 v2, 16, v2
	s_branch .LBB38_557
.LBB38_556:
	s_mov_b32 s0, -1
                                        ; implicit-def: $vgpr2
.LBB38_557:
	s_andn2_b32 vcc_lo, exec_lo, s0
	s_cbranch_vccnz .LBB38_559
; %bb.558:
	global_load_ubyte v0, v[0:1], off
	s_waitcnt vmcnt(0)
	v_cvt_f32_ubyte0_e32 v0, v0
	v_bfe_u32 v1, v0, 16, 1
	v_add3_u32 v0, v0, v1, 0x7fff
	v_lshrrev_b32_e32 v2, 16, v0
.LBB38_559:
	s_branch .LBB38_290
.LBB38_560:
	s_mov_b32 s1, 0
	s_mov_b32 s0, s12
.LBB38_561:
                                        ; implicit-def: $vgpr6
.LBB38_562:
	s_andn2_b32 s17, s12, exec_lo
	s_and_b32 s0, s0, exec_lo
	s_andn2_b32 s19, s14, exec_lo
	s_and_b32 s16, s16, exec_lo
	s_or_b32 s17, s17, s0
	s_or_b32 s16, s19, s16
	s_orn2_b32 s0, s1, exec_lo
.LBB38_563:
	s_or_b32 exec_lo, exec_lo, s18
	s_mov_b32 s1, 0
	s_mov_b32 s19, 0
	;; [unrolled: 1-line block ×3, first 2 shown]
                                        ; implicit-def: $vgpr0_vgpr1
                                        ; implicit-def: $vgpr3
	s_and_saveexec_b32 s18, s0
	s_cbranch_execz .LBB38_934
; %bb.564:
	s_mov_b32 s20, -1
	s_mov_b32 s0, s16
	s_mov_b32 s1, s17
	s_mov_b32 s19, exec_lo
	v_cmpx_gt_i32_e64 s13, v6
	s_cbranch_execz .LBB38_848
; %bb.565:
	v_mul_lo_u32 v0, v6, s3
	s_and_b32 s0, 0xffff, s6
	s_cmp_lt_i32 s0, 11
	v_ashrrev_i32_e32 v1, 31, v0
	v_add_co_u32 v0, vcc_lo, s10, v0
	v_add_co_ci_u32_e64 v1, null, s11, v1, vcc_lo
	s_cbranch_scc1 .LBB38_572
; %bb.566:
	s_cmp_gt_i32 s0, 25
	s_cbranch_scc0 .LBB38_573
; %bb.567:
	s_cmp_gt_i32 s0, 28
	s_cbranch_scc0 .LBB38_574
	;; [unrolled: 3-line block ×4, first 2 shown]
; %bb.570:
	s_cmp_eq_u32 s0, 46
	s_mov_b32 s21, 0
	s_cbranch_scc0 .LBB38_581
; %bb.571:
	global_load_dword v2, v[0:1], off
	s_mov_b32 s1, -1
	s_mov_b32 s20, 0
	s_branch .LBB38_583
.LBB38_572:
	s_mov_b32 s21, -1
	s_mov_b32 s1, 0
	s_mov_b32 s20, s16
                                        ; implicit-def: $vgpr2
	s_branch .LBB38_648
.LBB38_573:
	s_mov_b32 s21, -1
	s_mov_b32 s1, 0
	s_mov_b32 s20, s16
                                        ; implicit-def: $vgpr2
	s_branch .LBB38_612
.LBB38_574:
	s_mov_b32 s21, -1
	s_mov_b32 s1, 0
	s_mov_b32 s20, s16
                                        ; implicit-def: $vgpr2
	s_branch .LBB38_593
.LBB38_575:
	s_mov_b32 s21, -1
	s_mov_b32 s1, 0
	s_mov_b32 s20, s16
                                        ; implicit-def: $vgpr2
	s_branch .LBB38_588
.LBB38_576:
	s_andn2_saveexec_b32 s21, s21
	s_cbranch_execz .LBB38_360
.LBB38_577:
	v_add_f32_e64 v4, 0x46000000, |v5|
	s_andn2_b32 s20, s20, exec_lo
	v_and_b32_e32 v4, 0xff, v4
	v_cmp_ne_u32_e32 vcc_lo, 0, v4
	s_and_b32 s22, vcc_lo, exec_lo
	s_or_b32 s20, s20, s22
	s_or_b32 exec_lo, exec_lo, s21
	v_mov_b32_e32 v7, 0
	s_and_saveexec_b32 s21, s20
	s_cbranch_execnz .LBB38_361
	s_branch .LBB38_362
.LBB38_578:
	s_mov_b32 s21, -1
	s_mov_b32 s1, 0
	s_mov_b32 s20, s16
	s_branch .LBB38_582
.LBB38_579:
	s_andn2_saveexec_b32 s21, s21
	s_cbranch_execz .LBB38_373
.LBB38_580:
	v_add_f32_e64 v4, 0x42800000, |v5|
	s_andn2_b32 s20, s20, exec_lo
	v_and_b32_e32 v4, 0xff, v4
	v_cmp_ne_u32_e32 vcc_lo, 0, v4
	s_and_b32 s22, vcc_lo, exec_lo
	s_or_b32 s20, s20, s22
	s_or_b32 exec_lo, exec_lo, s21
	v_mov_b32_e32 v7, 0
	s_and_saveexec_b32 s21, s20
	s_cbranch_execnz .LBB38_374
	s_branch .LBB38_375
.LBB38_581:
	s_mov_b32 s1, 0
.LBB38_582:
                                        ; implicit-def: $vgpr2
.LBB38_583:
	s_and_b32 vcc_lo, exec_lo, s21
	s_cbranch_vccz .LBB38_587
; %bb.584:
	s_cmp_eq_u32 s0, 44
	s_cbranch_scc0 .LBB38_586
; %bb.585:
	global_load_ubyte v2, v[0:1], off
	s_mov_b32 s20, 0
	s_mov_b32 s1, -1
	s_waitcnt vmcnt(0)
	v_lshlrev_b32_e32 v3, 23, v2
	v_cmp_ne_u32_e32 vcc_lo, 0xff, v2
	v_cndmask_b32_e32 v3, 0x7f800001, v3, vcc_lo
	v_cmp_ne_u32_e32 vcc_lo, 0, v2
	v_cndmask_b32_e32 v2, 0x400000, v3, vcc_lo
	v_mov_b32_e32 v3, 0x7fc0
	v_cmp_o_f32_e32 vcc_lo, v2, v2
	v_add_nc_u32_e32 v2, 0x7fff, v2
	v_cndmask_b32_sdwa v2, v3, v2, vcc_lo dst_sel:DWORD dst_unused:UNUSED_PAD src0_sel:DWORD src1_sel:WORD_1
	s_branch .LBB38_587
.LBB38_586:
	s_mov_b32 s20, -1
                                        ; implicit-def: $vgpr2
.LBB38_587:
	s_mov_b32 s21, 0
.LBB38_588:
	s_and_b32 vcc_lo, exec_lo, s21
	s_cbranch_vccz .LBB38_592
; %bb.589:
	s_cmp_eq_u32 s0, 29
	s_cbranch_scc0 .LBB38_591
; %bb.590:
	global_load_dwordx2 v[2:3], v[0:1], off
	s_mov_b32 s1, -1
	s_mov_b32 s20, 0
	s_mov_b32 s21, 0
	s_waitcnt vmcnt(0)
	v_ffbh_u32_e32 v4, v3
	v_min_u32_e32 v4, 32, v4
	v_lshlrev_b64 v[2:3], v4, v[2:3]
	v_min_u32_e32 v2, 1, v2
	v_or_b32_e32 v2, v3, v2
	v_sub_nc_u32_e32 v3, 32, v4
	v_cvt_f32_u32_e32 v2, v2
	v_ldexp_f32 v2, v2, v3
	v_bfe_u32 v3, v2, 16, 1
	v_add3_u32 v2, v2, v3, 0x7fff
	v_lshrrev_b32_e32 v2, 16, v2
	s_branch .LBB38_593
.LBB38_591:
	s_mov_b32 s20, -1
                                        ; implicit-def: $vgpr2
.LBB38_592:
	s_mov_b32 s21, 0
.LBB38_593:
	s_and_b32 vcc_lo, exec_lo, s21
	s_cbranch_vccz .LBB38_611
; %bb.594:
	s_cmp_lt_i32 s0, 27
	s_cbranch_scc1 .LBB38_597
; %bb.595:
	s_cmp_gt_i32 s0, 27
	s_cbranch_scc0 .LBB38_598
; %bb.596:
	global_load_dword v2, v[0:1], off
	s_mov_b32 s1, 0
	s_waitcnt vmcnt(0)
	v_cvt_f32_u32_e32 v2, v2
	v_bfe_u32 v3, v2, 16, 1
	v_add3_u32 v2, v2, v3, 0x7fff
	v_lshrrev_b32_e32 v2, 16, v2
	s_branch .LBB38_599
.LBB38_597:
	s_mov_b32 s1, -1
                                        ; implicit-def: $vgpr2
	s_branch .LBB38_602
.LBB38_598:
	s_mov_b32 s1, -1
                                        ; implicit-def: $vgpr2
.LBB38_599:
	s_andn2_b32 vcc_lo, exec_lo, s1
	s_cbranch_vccnz .LBB38_601
; %bb.600:
	global_load_ushort v2, v[0:1], off
	s_waitcnt vmcnt(0)
	v_cvt_f32_u32_e32 v2, v2
	v_bfe_u32 v3, v2, 16, 1
	v_add3_u32 v2, v2, v3, 0x7fff
	v_lshrrev_b32_e32 v2, 16, v2
.LBB38_601:
	s_mov_b32 s1, 0
.LBB38_602:
	s_andn2_b32 vcc_lo, exec_lo, s1
	s_cbranch_vccnz .LBB38_610
; %bb.603:
	global_load_ubyte v2, v[0:1], off
	s_mov_b32 s1, 0
	s_mov_b32 s21, exec_lo
	s_waitcnt vmcnt(0)
	v_cmpx_lt_i16_e32 0x7f, v2
	s_xor_b32 s21, exec_lo, s21
	s_cbranch_execz .LBB38_624
; %bb.604:
	s_mov_b32 s1, -1
	s_mov_b32 s22, exec_lo
	v_cmpx_eq_u16_e32 0x80, v2
; %bb.605:
	s_xor_b32 s1, exec_lo, -1
; %bb.606:
	s_or_b32 exec_lo, exec_lo, s22
	s_and_b32 s1, s1, exec_lo
	s_or_saveexec_b32 s21, s21
	v_mov_b32_e32 v3, 0x7f800001
	s_xor_b32 exec_lo, exec_lo, s21
	s_cbranch_execnz .LBB38_625
.LBB38_607:
	s_or_b32 exec_lo, exec_lo, s21
	s_and_saveexec_b32 s21, s1
	s_cbranch_execz .LBB38_609
.LBB38_608:
	v_and_b32_e32 v3, 0xffff, v2
	v_lshlrev_b32_e32 v2, 24, v2
	v_and_b32_e32 v4, 7, v3
	v_bfe_u32 v8, v3, 3, 4
	v_and_b32_e32 v2, 0x80000000, v2
	v_ffbh_u32_e32 v5, v4
	v_cmp_eq_u32_e32 vcc_lo, 0, v8
	v_min_u32_e32 v5, 32, v5
	v_subrev_nc_u32_e32 v7, 28, v5
	v_sub_nc_u32_e32 v5, 29, v5
	v_lshlrev_b32_e32 v3, v7, v3
	v_cndmask_b32_e32 v5, v8, v5, vcc_lo
	v_and_b32_e32 v3, 7, v3
	v_cndmask_b32_e32 v3, v4, v3, vcc_lo
	v_lshl_add_u32 v4, v5, 23, 0x3b800000
	v_lshlrev_b32_e32 v3, 20, v3
	v_or3_b32 v3, v2, v4, v3
.LBB38_609:
	s_or_b32 exec_lo, exec_lo, s21
	v_bfe_u32 v2, v3, 16, 1
	v_cmp_o_f32_e32 vcc_lo, v3, v3
	v_add3_u32 v2, v3, v2, 0x7fff
	v_mov_b32_e32 v3, 0x7fc0
	v_cndmask_b32_sdwa v2, v3, v2, vcc_lo dst_sel:DWORD dst_unused:UNUSED_PAD src0_sel:DWORD src1_sel:WORD_1
.LBB38_610:
	s_mov_b32 s1, -1
.LBB38_611:
	s_mov_b32 s21, 0
.LBB38_612:
	s_and_b32 vcc_lo, exec_lo, s21
	s_cbranch_vccz .LBB38_647
; %bb.613:
	s_cmp_gt_i32 s0, 22
	s_cbranch_scc0 .LBB38_623
; %bb.614:
	s_cmp_lt_i32 s0, 24
	s_cbranch_scc1 .LBB38_626
; %bb.615:
	s_cmp_gt_i32 s0, 24
	s_cbranch_scc0 .LBB38_627
; %bb.616:
	global_load_ubyte v2, v[0:1], off
	s_mov_b32 s1, 0
	s_mov_b32 s21, exec_lo
	s_waitcnt vmcnt(0)
	v_cmpx_lt_i16_e32 0x7f, v2
	s_xor_b32 s21, exec_lo, s21
	s_cbranch_execz .LBB38_639
; %bb.617:
	s_mov_b32 s1, -1
	s_mov_b32 s22, exec_lo
	v_cmpx_eq_u16_e32 0x80, v2
; %bb.618:
	s_xor_b32 s1, exec_lo, -1
; %bb.619:
	s_or_b32 exec_lo, exec_lo, s22
	s_and_b32 s1, s1, exec_lo
	s_or_saveexec_b32 s21, s21
	v_mov_b32_e32 v3, 0x7f800001
	s_xor_b32 exec_lo, exec_lo, s21
	s_cbranch_execnz .LBB38_640
.LBB38_620:
	s_or_b32 exec_lo, exec_lo, s21
	s_and_saveexec_b32 s21, s1
	s_cbranch_execz .LBB38_622
.LBB38_621:
	v_and_b32_e32 v3, 0xffff, v2
	v_lshlrev_b32_e32 v2, 24, v2
	v_and_b32_e32 v4, 3, v3
	v_bfe_u32 v8, v3, 2, 5
	v_and_b32_e32 v2, 0x80000000, v2
	v_ffbh_u32_e32 v5, v4
	v_cmp_eq_u32_e32 vcc_lo, 0, v8
	v_min_u32_e32 v5, 32, v5
	v_subrev_nc_u32_e32 v7, 29, v5
	v_sub_nc_u32_e32 v5, 30, v5
	v_lshlrev_b32_e32 v3, v7, v3
	v_cndmask_b32_e32 v5, v8, v5, vcc_lo
	v_and_b32_e32 v3, 3, v3
	v_cndmask_b32_e32 v3, v4, v3, vcc_lo
	v_lshl_add_u32 v4, v5, 23, 0x37800000
	v_lshlrev_b32_e32 v3, 21, v3
	v_or3_b32 v3, v2, v4, v3
.LBB38_622:
	s_or_b32 exec_lo, exec_lo, s21
	v_bfe_u32 v2, v3, 16, 1
	v_cmp_o_f32_e32 vcc_lo, v3, v3
	s_mov_b32 s1, 0
	v_add3_u32 v2, v3, v2, 0x7fff
	v_mov_b32_e32 v3, 0x7fc0
	v_cndmask_b32_sdwa v2, v3, v2, vcc_lo dst_sel:DWORD dst_unused:UNUSED_PAD src0_sel:DWORD src1_sel:WORD_1
	s_branch .LBB38_628
.LBB38_623:
	s_mov_b32 s21, -1
                                        ; implicit-def: $vgpr2
	s_branch .LBB38_634
.LBB38_624:
	s_or_saveexec_b32 s21, s21
	v_mov_b32_e32 v3, 0x7f800001
	s_xor_b32 exec_lo, exec_lo, s21
	s_cbranch_execz .LBB38_607
.LBB38_625:
	v_cmp_ne_u16_e32 vcc_lo, 0, v2
	v_mov_b32_e32 v3, 0
	s_andn2_b32 s1, s1, exec_lo
	s_and_b32 s22, vcc_lo, exec_lo
	s_or_b32 s1, s1, s22
	s_or_b32 exec_lo, exec_lo, s21
	s_and_saveexec_b32 s21, s1
	s_cbranch_execnz .LBB38_608
	s_branch .LBB38_609
.LBB38_626:
	s_mov_b32 s1, -1
                                        ; implicit-def: $vgpr2
	s_branch .LBB38_631
.LBB38_627:
	s_mov_b32 s1, -1
                                        ; implicit-def: $vgpr2
.LBB38_628:
	s_and_b32 vcc_lo, exec_lo, s1
	s_cbranch_vccz .LBB38_630
; %bb.629:
	global_load_ubyte v2, v[0:1], off
	s_waitcnt vmcnt(0)
	v_lshlrev_b32_e32 v2, 24, v2
	v_and_b32_e32 v3, 0x7f000000, v2
	v_ffbh_u32_e32 v4, v3
	v_add_nc_u32_e32 v7, 0x1000000, v3
	v_cmp_ne_u32_e32 vcc_lo, 0, v3
	v_min_u32_e32 v4, 32, v4
	v_sub_nc_u32_e64 v4, v4, 4 clamp
	v_lshlrev_b32_e32 v5, v4, v3
	v_lshlrev_b32_e32 v4, 23, v4
	v_lshrrev_b32_e32 v5, 4, v5
	v_sub_nc_u32_e32 v4, v5, v4
	v_ashrrev_i32_e32 v5, 8, v7
	v_add_nc_u32_e32 v4, 0x3c000000, v4
	v_and_or_b32 v4, 0x7f800000, v5, v4
	v_cndmask_b32_e32 v3, 0, v4, vcc_lo
	v_and_or_b32 v2, 0x80000000, v2, v3
	v_bfe_u32 v3, v3, 16, 1
	v_cmp_o_f32_e32 vcc_lo, v2, v2
	v_add3_u32 v2, v2, v3, 0x7fff
	v_mov_b32_e32 v3, 0x7fc0
	v_cndmask_b32_sdwa v2, v3, v2, vcc_lo dst_sel:DWORD dst_unused:UNUSED_PAD src0_sel:DWORD src1_sel:WORD_1
.LBB38_630:
	s_mov_b32 s1, 0
.LBB38_631:
	s_andn2_b32 vcc_lo, exec_lo, s1
	s_cbranch_vccnz .LBB38_633
; %bb.632:
	global_load_ubyte v2, v[0:1], off
	s_waitcnt vmcnt(0)
	v_lshlrev_b32_e32 v3, 25, v2
	v_lshlrev_b16 v2, 8, v2
	v_lshrrev_b32_e32 v4, 4, v3
	v_and_or_b32 v5, 0x7f00, v2, 0.5
	v_cmp_gt_u32_e32 vcc_lo, 0x8000000, v3
	v_bfe_i32 v2, v2, 0, 16
	v_or_b32_e32 v4, 0x70000000, v4
	v_add_f32_e32 v5, -0.5, v5
	v_mul_f32_e32 v4, 0x7800000, v4
	v_cndmask_b32_e32 v3, v4, v5, vcc_lo
	v_and_or_b32 v2, 0x80000000, v2, v3
	v_bfe_u32 v3, v3, 16, 1
	v_cmp_o_f32_e32 vcc_lo, v2, v2
	v_add3_u32 v2, v2, v3, 0x7fff
	v_mov_b32_e32 v3, 0x7fc0
	v_cndmask_b32_sdwa v2, v3, v2, vcc_lo dst_sel:DWORD dst_unused:UNUSED_PAD src0_sel:DWORD src1_sel:WORD_1
.LBB38_633:
	s_mov_b32 s21, 0
	s_mov_b32 s1, -1
.LBB38_634:
	s_andn2_b32 vcc_lo, exec_lo, s21
	s_cbranch_vccnz .LBB38_647
; %bb.635:
	s_cmp_gt_i32 s0, 14
	s_cbranch_scc0 .LBB38_638
; %bb.636:
	s_cmp_eq_u32 s0, 15
	s_cbranch_scc0 .LBB38_641
; %bb.637:
	global_load_ushort v2, v[0:1], off
	s_mov_b32 s1, -1
	s_mov_b32 s20, 0
	s_branch .LBB38_642
.LBB38_638:
	s_mov_b32 s21, -1
                                        ; implicit-def: $vgpr2
	s_branch .LBB38_643
.LBB38_639:
	s_or_saveexec_b32 s21, s21
	v_mov_b32_e32 v3, 0x7f800001
	s_xor_b32 exec_lo, exec_lo, s21
	s_cbranch_execz .LBB38_620
.LBB38_640:
	v_cmp_ne_u16_e32 vcc_lo, 0, v2
	v_mov_b32_e32 v3, 0
	s_andn2_b32 s1, s1, exec_lo
	s_and_b32 s22, vcc_lo, exec_lo
	s_or_b32 s1, s1, s22
	s_or_b32 exec_lo, exec_lo, s21
	s_and_saveexec_b32 s21, s1
	s_cbranch_execnz .LBB38_621
	s_branch .LBB38_622
.LBB38_641:
	s_mov_b32 s20, -1
                                        ; implicit-def: $vgpr2
.LBB38_642:
	s_mov_b32 s21, 0
.LBB38_643:
	s_and_b32 vcc_lo, exec_lo, s21
	s_cbranch_vccz .LBB38_647
; %bb.644:
	s_cmp_eq_u32 s0, 11
	s_cbranch_scc0 .LBB38_646
; %bb.645:
	global_load_ubyte v2, v[0:1], off
	s_mov_b32 s20, 0
	s_mov_b32 s1, -1
	s_waitcnt vmcnt(0)
	v_cmp_ne_u16_e32 vcc_lo, 0, v2
	v_cndmask_b32_e64 v2, 0, 1.0, vcc_lo
	v_lshrrev_b32_e32 v2, 16, v2
	s_branch .LBB38_647
.LBB38_646:
	s_mov_b32 s20, -1
                                        ; implicit-def: $vgpr2
.LBB38_647:
	s_mov_b32 s21, 0
.LBB38_648:
	s_and_b32 vcc_lo, exec_lo, s21
	s_cbranch_vccz .LBB38_697
; %bb.649:
	s_cmp_lt_i32 s0, 5
	s_cbranch_scc1 .LBB38_654
; %bb.650:
	s_cmp_lt_i32 s0, 8
	s_cbranch_scc1 .LBB38_655
	;; [unrolled: 3-line block ×3, first 2 shown]
; %bb.652:
	s_cmp_gt_i32 s0, 9
	s_cbranch_scc0 .LBB38_657
; %bb.653:
	global_load_dwordx2 v[2:3], v[0:1], off
	s_mov_b32 s1, 0
	s_waitcnt vmcnt(0)
	v_cvt_f32_f64_e32 v2, v[2:3]
	v_bfe_u32 v3, v2, 16, 1
	v_cmp_o_f32_e32 vcc_lo, v2, v2
	v_add3_u32 v2, v2, v3, 0x7fff
	v_mov_b32_e32 v3, 0x7fc0
	v_cndmask_b32_sdwa v2, v3, v2, vcc_lo dst_sel:DWORD dst_unused:UNUSED_PAD src0_sel:DWORD src1_sel:WORD_1
	s_branch .LBB38_658
.LBB38_654:
	s_mov_b32 s1, -1
                                        ; implicit-def: $vgpr2
	s_branch .LBB38_676
.LBB38_655:
	s_mov_b32 s1, -1
                                        ; implicit-def: $vgpr2
	s_branch .LBB38_664
.LBB38_656:
	s_mov_b32 s1, -1
                                        ; implicit-def: $vgpr2
	s_branch .LBB38_661
.LBB38_657:
	s_mov_b32 s1, -1
                                        ; implicit-def: $vgpr2
.LBB38_658:
	s_andn2_b32 vcc_lo, exec_lo, s1
	s_cbranch_vccnz .LBB38_660
; %bb.659:
	global_load_dword v2, v[0:1], off
	s_waitcnt vmcnt(0)
	v_bfe_u32 v3, v2, 16, 1
	v_cmp_o_f32_e32 vcc_lo, v2, v2
	v_add3_u32 v2, v2, v3, 0x7fff
	v_mov_b32_e32 v3, 0x7fc0
	v_cndmask_b32_sdwa v2, v3, v2, vcc_lo dst_sel:DWORD dst_unused:UNUSED_PAD src0_sel:DWORD src1_sel:WORD_1
.LBB38_660:
	s_mov_b32 s1, 0
.LBB38_661:
	s_andn2_b32 vcc_lo, exec_lo, s1
	s_cbranch_vccnz .LBB38_663
; %bb.662:
	global_load_dword v2, v[0:1], off
	s_waitcnt vmcnt(0)
	v_cvt_f32_f16_e32 v3, v2
	v_cmp_o_f16_e32 vcc_lo, v2, v2
	v_bfe_u32 v4, v3, 16, 1
	v_add3_u32 v2, v3, v4, 0x7fff
	v_mov_b32_e32 v3, 0x7fc0
	v_cndmask_b32_sdwa v2, v3, v2, vcc_lo dst_sel:DWORD dst_unused:UNUSED_PAD src0_sel:DWORD src1_sel:WORD_1
.LBB38_663:
	s_mov_b32 s1, 0
.LBB38_664:
	s_andn2_b32 vcc_lo, exec_lo, s1
	s_cbranch_vccnz .LBB38_675
; %bb.665:
	s_cmp_lt_i32 s0, 6
	s_cbranch_scc1 .LBB38_668
; %bb.666:
	s_cmp_gt_i32 s0, 6
	s_cbranch_scc0 .LBB38_669
; %bb.667:
	global_load_dwordx2 v[2:3], v[0:1], off
	s_mov_b32 s1, 0
	s_waitcnt vmcnt(0)
	v_cvt_f32_f64_e32 v2, v[2:3]
	v_bfe_u32 v3, v2, 16, 1
	v_cmp_o_f32_e32 vcc_lo, v2, v2
	v_add3_u32 v2, v2, v3, 0x7fff
	v_mov_b32_e32 v3, 0x7fc0
	v_cndmask_b32_sdwa v2, v3, v2, vcc_lo dst_sel:DWORD dst_unused:UNUSED_PAD src0_sel:DWORD src1_sel:WORD_1
	s_branch .LBB38_670
.LBB38_668:
	s_mov_b32 s1, -1
                                        ; implicit-def: $vgpr2
	s_branch .LBB38_673
.LBB38_669:
	s_mov_b32 s1, -1
                                        ; implicit-def: $vgpr2
.LBB38_670:
	s_andn2_b32 vcc_lo, exec_lo, s1
	s_cbranch_vccnz .LBB38_672
; %bb.671:
	global_load_dword v2, v[0:1], off
	s_waitcnt vmcnt(0)
	v_bfe_u32 v3, v2, 16, 1
	v_cmp_o_f32_e32 vcc_lo, v2, v2
	v_add3_u32 v2, v2, v3, 0x7fff
	v_mov_b32_e32 v3, 0x7fc0
	v_cndmask_b32_sdwa v2, v3, v2, vcc_lo dst_sel:DWORD dst_unused:UNUSED_PAD src0_sel:DWORD src1_sel:WORD_1
.LBB38_672:
	s_mov_b32 s1, 0
.LBB38_673:
	s_andn2_b32 vcc_lo, exec_lo, s1
	s_cbranch_vccnz .LBB38_675
; %bb.674:
	global_load_ushort v2, v[0:1], off
	s_waitcnt vmcnt(0)
	v_cvt_f32_f16_e32 v3, v2
	v_cmp_o_f16_e32 vcc_lo, v2, v2
	v_bfe_u32 v4, v3, 16, 1
	v_add3_u32 v2, v3, v4, 0x7fff
	v_mov_b32_e32 v3, 0x7fc0
	v_cndmask_b32_sdwa v2, v3, v2, vcc_lo dst_sel:DWORD dst_unused:UNUSED_PAD src0_sel:DWORD src1_sel:WORD_1
.LBB38_675:
	s_mov_b32 s1, 0
.LBB38_676:
	s_andn2_b32 vcc_lo, exec_lo, s1
	s_cbranch_vccnz .LBB38_696
; %bb.677:
	s_cmp_lt_i32 s0, 2
	s_cbranch_scc1 .LBB38_681
; %bb.678:
	s_cmp_lt_i32 s0, 3
	s_cbranch_scc1 .LBB38_682
; %bb.679:
	s_cmp_gt_i32 s0, 3
	s_cbranch_scc0 .LBB38_683
; %bb.680:
	global_load_dwordx2 v[2:3], v[0:1], off
	s_mov_b32 s1, 0
	s_waitcnt vmcnt(0)
	v_xor_b32_e32 v4, v2, v3
	v_ffbh_i32_e32 v5, v3
	v_ashrrev_i32_e32 v4, 31, v4
	v_add_nc_u32_e32 v5, -1, v5
	v_add_nc_u32_e32 v4, 32, v4
	v_min_u32_e32 v4, v5, v4
	v_lshlrev_b64 v[2:3], v4, v[2:3]
	v_min_u32_e32 v2, 1, v2
	v_or_b32_e32 v2, v3, v2
	v_sub_nc_u32_e32 v3, 32, v4
	v_cvt_f32_i32_e32 v2, v2
	v_ldexp_f32 v2, v2, v3
	v_bfe_u32 v3, v2, 16, 1
	v_add3_u32 v2, v2, v3, 0x7fff
	v_lshrrev_b32_e32 v2, 16, v2
	s_branch .LBB38_684
.LBB38_681:
	s_mov_b32 s1, -1
                                        ; implicit-def: $vgpr2
	s_branch .LBB38_690
.LBB38_682:
	s_mov_b32 s1, -1
                                        ; implicit-def: $vgpr2
	s_branch .LBB38_687
.LBB38_683:
	s_mov_b32 s1, -1
                                        ; implicit-def: $vgpr2
.LBB38_684:
	s_andn2_b32 vcc_lo, exec_lo, s1
	s_cbranch_vccnz .LBB38_686
; %bb.685:
	global_load_dword v2, v[0:1], off
	s_waitcnt vmcnt(0)
	v_cvt_f32_i32_e32 v2, v2
	v_bfe_u32 v3, v2, 16, 1
	v_add3_u32 v2, v2, v3, 0x7fff
	v_lshrrev_b32_e32 v2, 16, v2
.LBB38_686:
	s_mov_b32 s1, 0
.LBB38_687:
	s_andn2_b32 vcc_lo, exec_lo, s1
	s_cbranch_vccnz .LBB38_689
; %bb.688:
	global_load_sshort v2, v[0:1], off
	s_waitcnt vmcnt(0)
	v_cvt_f32_i32_e32 v2, v2
	v_bfe_u32 v3, v2, 16, 1
	v_add3_u32 v2, v2, v3, 0x7fff
	v_lshrrev_b32_e32 v2, 16, v2
.LBB38_689:
	s_mov_b32 s1, 0
.LBB38_690:
	s_andn2_b32 vcc_lo, exec_lo, s1
	s_cbranch_vccnz .LBB38_696
; %bb.691:
	s_cmp_gt_i32 s0, 0
	s_mov_b32 s0, 0
	s_cbranch_scc0 .LBB38_693
; %bb.692:
	global_load_sbyte v2, v[0:1], off
	s_waitcnt vmcnt(0)
	v_cvt_f32_i32_e32 v2, v2
	v_bfe_u32 v3, v2, 16, 1
	v_add3_u32 v2, v2, v3, 0x7fff
	v_lshrrev_b32_e32 v2, 16, v2
	s_branch .LBB38_694
.LBB38_693:
	s_mov_b32 s0, -1
                                        ; implicit-def: $vgpr2
.LBB38_694:
	s_andn2_b32 vcc_lo, exec_lo, s0
	s_cbranch_vccnz .LBB38_696
; %bb.695:
	global_load_ubyte v0, v[0:1], off
	s_waitcnt vmcnt(0)
	v_cvt_f32_ubyte0_e32 v0, v0
	v_bfe_u32 v1, v0, 16, 1
	v_add3_u32 v0, v0, v1, 0x7fff
	v_lshrrev_b32_e32 v2, 16, v0
.LBB38_696:
	s_mov_b32 s1, -1
.LBB38_697:
	s_andn2_b32 vcc_lo, exec_lo, s1
	s_cbranch_vccnz .LBB38_729
; %bb.698:
	s_waitcnt vmcnt(0)
	v_lshlrev_b32_e32 v7, 16, v2
                                        ; implicit-def: $vgpr2
	s_mov_b32 s0, exec_lo
	v_cmpx_neq_f32_e32 0, v7
	s_xor_b32 s21, exec_lo, s0
	s_cbranch_execz .LBB38_720
; %bb.699:
	v_mov_b32_e32 v0, 0
	s_mov_b32 s0, -1
	s_mov_b32 s22, exec_lo
	v_cmpx_gt_f32_e32 0, v7
	s_cbranch_execz .LBB38_707
; %bb.700:
	v_trunc_f32_e32 v0, v7
	s_mov_b32 s1, 0
	v_cmp_neq_f32_e32 vcc_lo, v0, v7
	v_mov_b32_e32 v0, 0
	s_and_saveexec_b32 s23, vcc_lo
	s_cbranch_execz .LBB38_706
; %bb.701:
	v_cvt_f64_f32_e32 v[0:1], v7
	s_mov_b32 s1, 0xc00921fb
	s_mov_b32 s0, 0x54442d18
	s_mov_b32 s24, exec_lo
                                        ; implicit-def: $vgpr8
                                        ; implicit-def: $vgpr4_vgpr5
	v_trunc_f64_e32 v[2:3], v[0:1]
	v_cmp_neq_f64_e64 vcc_lo, 0x7ff00000, |v[0:1]|
	v_add_f64 v[2:3], v[0:1], -v[2:3]
	v_mul_f64 v[2:3], |v[2:3]|, s[0:1]
	v_cndmask_b32_e32 v1, 0x80000000, v3, vcc_lo
	v_cndmask_b32_e32 v0, 0, v2, vcc_lo
                                        ; implicit-def: $vgpr2_vgpr3
	v_cmpx_ngt_f64_e64 0x41d00000, |v[0:1]|
	s_xor_b32 s24, exec_lo, s24
	s_cbranch_execz .LBB38_703
; %bb.702:
	v_ldexp_f64 v[2:3], |v[0:1]|, 0xffffff80
	v_cmp_le_f64_e64 vcc_lo, 0x7b000000, |v[0:1]|
	v_trig_preop_f64 v[4:5], |v[0:1]|, 0
	v_and_b32_e32 v8, 0x7fffffff, v1
	v_trig_preop_f64 v[18:19], |v[0:1]|, 2
	v_mov_b32_e32 v26, 0
	s_mov_b32 s1, 0x3ff921fb
	s_mov_b32 s26, 0x33145c07
	;; [unrolled: 1-line block ×3, first 2 shown]
	v_cndmask_b32_e32 v3, v8, v3, vcc_lo
	v_cndmask_b32_e32 v2, v0, v2, vcc_lo
	v_trig_preop_f64 v[8:9], |v[0:1]|, 1
	v_mul_f64 v[10:11], v[4:5], v[2:3]
	v_mul_f64 v[24:25], v[18:19], v[2:3]
	;; [unrolled: 1-line block ×3, first 2 shown]
	v_fma_f64 v[4:5], v[4:5], v[2:3], -v[10:11]
	v_fma_f64 v[8:9], v[8:9], v[2:3], -v[12:13]
	;; [unrolled: 1-line block ×3, first 2 shown]
	v_add_f64 v[14:15], v[12:13], v[4:5]
	v_add_f64 v[16:17], v[14:15], -v[12:13]
	v_add_f64 v[22:23], v[10:11], v[14:15]
	v_add_f64 v[20:21], v[14:15], -v[16:17]
	v_add_f64 v[4:5], v[4:5], -v[16:17]
	v_ldexp_f64 v[16:17], v[22:23], -2
	v_add_f64 v[10:11], v[22:23], -v[10:11]
	v_add_f64 v[12:13], v[12:13], -v[20:21]
	v_add_f64 v[20:21], v[24:25], v[8:9]
	v_cmp_neq_f64_e64 vcc_lo, 0x7ff00000, |v[16:17]|
	v_add_f64 v[10:11], v[14:15], -v[10:11]
	v_add_f64 v[4:5], v[4:5], v[12:13]
	v_fract_f64_e32 v[12:13], v[16:17]
	v_add_f64 v[14:15], v[20:21], v[4:5]
	v_ldexp_f64 v[12:13], v[12:13], 2
	v_add_f64 v[16:17], v[10:11], v[14:15]
	v_cndmask_b32_e32 v13, 0, v13, vcc_lo
	v_cndmask_b32_e32 v12, 0, v12, vcc_lo
	v_add_f64 v[22:23], v[16:17], v[12:13]
	v_add_f64 v[10:11], v[16:17], -v[10:11]
	v_cmp_gt_f64_e32 vcc_lo, 0, v[22:23]
	v_add_f64 v[22:23], v[20:21], -v[24:25]
	v_cndmask_b32_e64 v27, 0, 0x40100000, vcc_lo
	v_add_f64 v[31:32], v[20:21], -v[22:23]
	v_add_f64 v[8:9], v[8:9], -v[22:23]
	v_add_f64 v[12:13], v[12:13], v[26:27]
	v_add_f64 v[27:28], v[14:15], -v[20:21]
	v_add_f64 v[22:23], v[24:25], -v[31:32]
	v_add_f64 v[29:30], v[16:17], v[12:13]
	;; [unrolled: 3-line block ×3, first 2 shown]
	v_cvt_i32_f64_e32 v29, v[29:30]
	v_add_f64 v[20:21], v[20:21], -v[33:34]
	v_cvt_f64_i32_e32 v[27:28], v29
	v_add_f64 v[4:5], v[4:5], v[20:21]
	v_add_f64 v[12:13], v[12:13], -v[27:28]
	v_add_f64 v[4:5], v[8:9], v[4:5]
	v_add_f64 v[8:9], v[14:15], -v[10:11]
	v_add_f64 v[18:19], v[16:17], v[12:13]
	v_add_f64 v[2:3], v[2:3], v[4:5]
	v_add_f64 v[4:5], v[18:19], -v[12:13]
	v_cmp_le_f64_e32 vcc_lo, 0.5, v[18:19]
	v_add_f64 v[2:3], v[8:9], v[2:3]
	v_add_f64 v[4:5], v[16:17], -v[4:5]
	v_cndmask_b32_e64 v27, 0, 0x3ff00000, vcc_lo
	v_add_co_ci_u32_e64 v8, null, 0, v29, vcc_lo
	v_add_f64 v[2:3], v[2:3], v[4:5]
	v_add_f64 v[4:5], v[18:19], -v[26:27]
	v_add_f64 v[9:10], v[4:5], v[2:3]
	v_mul_f64 v[11:12], v[9:10], s[0:1]
	v_add_f64 v[4:5], v[9:10], -v[4:5]
	v_fma_f64 v[13:14], v[9:10], s[0:1], -v[11:12]
	v_add_f64 v[2:3], v[2:3], -v[4:5]
	v_fma_f64 v[4:5], v[9:10], s[26:27], v[13:14]
	v_fma_f64 v[4:5], v[2:3], s[0:1], v[4:5]
	v_add_f64 v[2:3], v[11:12], v[4:5]
	v_add_f64 v[9:10], v[2:3], -v[11:12]
	v_add_f64 v[4:5], v[4:5], -v[9:10]
.LBB38_703:
	s_andn2_saveexec_b32 s0, s24
	s_cbranch_execz .LBB38_705
; %bb.704:
	s_mov_b32 s24, 0x6dc9c883
	s_mov_b32 s25, 0x3fe45f30
	;; [unrolled: 1-line block ×3, first 2 shown]
	v_mul_f64 v[2:3], |v[0:1]|, s[24:25]
	s_mov_b32 s24, 0x54442d18
	s_mov_b32 s25, 0xbff921fb
	;; [unrolled: 1-line block ×3, first 2 shown]
	v_rndne_f64_e32 v[8:9], v[2:3]
	v_fma_f64 v[2:3], v[8:9], s[24:25], |v[0:1]|
	v_mul_f64 v[4:5], v[8:9], s[26:27]
	s_mov_b32 s24, 0x252049c0
	s_mov_b32 s25, 0xb97b839a
	v_fma_f64 v[12:13], v[8:9], s[26:27], v[2:3]
	v_add_f64 v[10:11], v[2:3], v[4:5]
	s_mov_b32 s27, 0x3c91a626
	v_add_f64 v[2:3], v[2:3], -v[10:11]
	v_add_f64 v[10:11], v[10:11], -v[12:13]
	v_add_f64 v[2:3], v[2:3], v[4:5]
	v_fma_f64 v[4:5], v[8:9], s[26:27], v[4:5]
	v_add_f64 v[2:3], v[10:11], v[2:3]
	v_add_f64 v[2:3], v[2:3], -v[4:5]
	v_fma_f64 v[4:5], v[8:9], s[24:25], v[2:3]
	v_cvt_i32_f64_e32 v8, v[8:9]
	v_add_f64 v[2:3], v[12:13], v[4:5]
	v_add_f64 v[10:11], v[2:3], -v[12:13]
	v_add_f64 v[4:5], v[4:5], -v[10:11]
.LBB38_705:
	s_or_b32 exec_lo, exec_lo, s0
	v_mul_f64 v[9:10], v[2:3], v[2:3]
	v_add_f64 v[11:12], v[4:5], v[4:5]
	s_mov_b32 s24, 0xa9a29f71
	s_mov_b32 s26, 0xc751c08c
	;; [unrolled: 1-line block ×4, first 2 shown]
	v_cmp_class_f64_e64 s0, v[0:1], 0x1f8
	v_and_b32_e32 v8, 1, v8
	v_and_b32_e32 v1, 0x80000000, v1
	v_sub_f32_e32 v7, 1.0, v7
	s_mov_b32 s1, exec_lo
	v_cmp_eq_u32_e32 vcc_lo, 0, v8
	v_fma_f64 v[13:14], v[2:3], v[2:3], -v[9:10]
	v_fma_f64 v[11:12], v[2:3], v[11:12], v[13:14]
	v_add_f64 v[9:10], v[9:10], v[11:12]
	v_fma_f64 v[11:12], v[9:10], s[26:27], s[24:25]
	s_mov_b32 s24, 0x90a8aae0
	s_mov_b32 s25, 0x3f17746f
	v_fma_f64 v[11:12], v[9:10], v[11:12], s[24:25]
	s_mov_b32 s24, 0xa6fbf144
	s_mov_b32 s25, 0xbefbb44d
	;; [unrolled: 3-line block ×13, first 2 shown]
	v_mul_f64 v[9:10], v[9:10], v[11:12]
	v_mul_f64 v[11:12], v[2:3], v[9:10]
	v_add_f64 v[13:14], v[2:3], v[11:12]
	v_fma_f64 v[9:10], v[2:3], v[9:10], -v[11:12]
	v_add_f64 v[2:3], v[13:14], -v[2:3]
	v_add_f64 v[4:5], v[4:5], v[9:10]
	v_add_f64 v[2:3], v[11:12], -v[2:3]
	v_add_f64 v[2:3], v[4:5], v[2:3]
	v_add_f64 v[4:5], v[13:14], v[2:3]
	v_rcp_f64_e32 v[9:10], v[4:5]
	v_fma_f64 v[11:12], -v[4:5], v[9:10], 1.0
	v_fma_f64 v[9:10], v[11:12], v[9:10], v[9:10]
	v_fma_f64 v[11:12], -v[4:5], v[9:10], 1.0
	v_fma_f64 v[9:10], v[11:12], v[9:10], v[9:10]
	v_add_f64 v[11:12], v[4:5], -v[13:14]
	v_mul_f64 v[13:14], v[4:5], v[9:10]
	v_add_f64 v[2:3], v[2:3], -v[11:12]
	v_fma_f64 v[11:12], v[9:10], v[4:5], -v[13:14]
	v_fma_f64 v[2:3], v[9:10], v[2:3], v[11:12]
	v_add_f64 v[11:12], v[13:14], v[2:3]
	v_add_f64 v[15:16], -v[11:12], 1.0
	v_add_f64 v[13:14], v[11:12], -v[13:14]
	v_add_f64 v[17:18], -v[15:16], 1.0
	v_add_f64 v[2:3], v[13:14], -v[2:3]
	v_add_f64 v[11:12], v[17:18], -v[11:12]
	v_add_f64 v[2:3], v[2:3], v[11:12]
	v_add_f64 v[2:3], v[15:16], v[2:3]
	v_mul_f64 v[2:3], v[9:10], v[2:3]
	v_add_f64 v[2:3], v[9:10], v[2:3]
	v_xor_b32_e32 v0, 0x80000000, v3
	v_cndmask_b32_e32 v2, v2, v4, vcc_lo
	v_cndmask_b32_e32 v0, v0, v5, vcc_lo
	v_xor_b32_e32 v1, v0, v1
	v_cndmask_b32_e64 v0, 0, v2, s0
	v_cndmask_b32_e64 v1, 0x7ff80000, v1, s0
	v_div_scale_f64 v[2:3], null, v[0:1], v[0:1], s[24:25]
	v_rcp_f64_e32 v[4:5], v[2:3]
	v_fma_f64 v[8:9], -v[2:3], v[4:5], 1.0
	v_fma_f64 v[4:5], v[4:5], v[8:9], v[4:5]
	v_fma_f64 v[8:9], -v[2:3], v[4:5], 1.0
	v_fma_f64 v[4:5], v[4:5], v[8:9], v[4:5]
	v_div_scale_f64 v[8:9], vcc_lo, s[24:25], v[0:1], s[24:25]
	v_mul_f64 v[10:11], v[8:9], v[4:5]
	v_fma_f64 v[2:3], -v[2:3], v[10:11], v[8:9]
	v_div_fmas_f64 v[2:3], v[2:3], v[4:5], v[10:11]
	v_div_fixup_f64 v[0:1], v[2:3], v[0:1], s[24:25]
	v_cvt_f32_f64_e32 v0, v[0:1]
.LBB38_706:
	s_or_b32 exec_lo, exec_lo, s23
	s_orn2_b32 s0, s1, exec_lo
.LBB38_707:
	s_or_b32 exec_lo, exec_lo, s22
	v_mov_b32_e32 v2, 0x7fc0
	s_and_saveexec_b32 s1, s0
	s_cbranch_execz .LBB38_719
; %bb.708:
	s_mov_b32 s0, exec_lo
	v_cmpx_gt_f32_e32 0x41200000, v7
	s_cbranch_execz .LBB38_712
; %bb.709:
	s_mov_b32 s22, 0
.LBB38_710:                             ; =>This Inner Loop Header: Depth=1
	v_div_scale_f32 v1, null, v7, v7, 1.0
	v_div_scale_f32 v4, vcc_lo, 1.0, v7, 1.0
	v_rcp_f32_e32 v2, v1
	v_fma_f32 v3, -v1, v2, 1.0
	v_fmac_f32_e32 v2, v3, v2
	v_mul_f32_e32 v3, v4, v2
	v_fma_f32 v5, -v1, v3, v4
	v_fmac_f32_e32 v3, v5, v2
	v_fma_f32 v1, -v1, v3, v4
	v_div_fmas_f32 v1, v1, v2, v3
	v_div_fixup_f32 v1, v1, v7, 1.0
	v_add_f32_e32 v7, 1.0, v7
	v_sub_f32_e32 v0, v0, v1
	v_cmp_ngt_f32_e32 vcc_lo, 0x41200000, v7
	s_or_b32 s22, vcc_lo, s22
	s_andn2_b32 exec_lo, exec_lo, s22
	s_cbranch_execnz .LBB38_710
; %bb.711:
	s_or_b32 exec_lo, exec_lo, s22
.LBB38_712:
	s_or_b32 exec_lo, exec_lo, s0
                                        ; implicit-def: $vgpr2
	s_mov_b32 s0, exec_lo
	v_cmpx_neq_f32_e32 0x41200000, v7
	s_xor_b32 s22, exec_lo, s0
	s_cbranch_execz .LBB38_716
; %bb.713:
	v_cvt_f64_f32_e32 v[1:2], v7
	s_mov_b32 s24, 0x85d8a000
	s_mov_b32 s25, 0x43763457
	v_cmp_gt_f64_e32 vcc_lo, s[24:25], v[1:2]
	v_mov_b32_e32 v1, 0
	s_and_saveexec_b32 s0, vcc_lo
	s_cbranch_execz .LBB38_715
; %bb.714:
	v_mul_f32_e32 v1, v7, v7
	v_div_scale_f32 v2, null, v1, v1, 1.0
	v_rcp_f32_e32 v3, v2
	v_fma_f32 v4, -v2, v3, 1.0
	v_fmac_f32_e32 v3, v4, v3
	v_div_scale_f32 v4, vcc_lo, 1.0, v1, 1.0
	v_mul_f32_e32 v5, v4, v3
	v_fma_f32 v8, -v2, v5, v4
	v_fmac_f32_e32 v5, v8, v3
	v_fma_f32 v2, -v2, v5, v4
	v_div_fmas_f32 v2, v2, v3, v5
	v_div_fixup_f32 v1, v2, v1, 1.0
	v_fmaak_f32 v2, 0, v1, 0x3daaaaab
	v_fmaak_f32 v2, v1, v2, 0xbcaccacd
	;; [unrolled: 1-line block ×7, first 2 shown]
	v_mul_f32_e32 v1, v1, v2
.LBB38_715:
	s_or_b32 exec_lo, exec_lo, s0
	v_cmp_gt_f32_e32 vcc_lo, 0x800000, v7
	v_div_scale_f32 v2, null, v7, v7, -0.5
	v_div_scale_f32 v8, s0, -0.5, v7, -0.5
	v_cndmask_b32_e64 v3, 0, 32, vcc_lo
	v_rcp_f32_e32 v4, v2
	v_ldexp_f32 v3, v7, v3
	v_log_f32_e32 v3, v3
	v_fma_f32 v5, -v2, v4, 1.0
	v_fmac_f32_e32 v4, v5, v4
	v_mul_f32_e32 v5, 0x3f317217, v3
	v_mul_f32_e32 v9, v8, v4
	v_fma_f32 v5, 0x3f317217, v3, -v5
	v_fma_f32 v10, -v2, v9, v8
	v_fmamk_f32 v5, v3, 0x3377d1cf, v5
	v_fmac_f32_e32 v9, v10, v4
	v_cndmask_b32_e64 v10, 0, 0x41b17218, vcc_lo
	v_cmp_gt_f32_e64 vcc_lo, 0x7f800000, |v3|
	v_fmac_f32_e32 v5, 0x3f317217, v3
	v_fma_f32 v2, -v2, v9, v8
	v_cndmask_b32_e32 v3, v3, v5, vcc_lo
	s_mov_b32 vcc_lo, s0
	v_div_fmas_f32 v2, v2, v4, v9
	v_sub_f32_e32 v3, v3, v10
	v_div_fixup_f32 v2, v2, v7, -0.5
	v_add_f32_e32 v2, v3, v2
	v_sub_f32_e32 v1, v2, v1
	v_add_f32_e32 v0, v0, v1
	v_bfe_u32 v1, v0, 16, 1
	v_cmp_o_f32_e32 vcc_lo, v0, v0
	v_add3_u32 v0, v0, v1, 0x7fff
	v_mov_b32_e32 v1, 0x7fc0
	v_cndmask_b32_sdwa v2, v1, v0, vcc_lo dst_sel:DWORD dst_unused:UNUSED_PAD src0_sel:DWORD src1_sel:WORD_1
                                        ; implicit-def: $vgpr0
.LBB38_716:
	s_andn2_saveexec_b32 s0, s22
; %bb.717:
	v_add_f32_e32 v0, 0x40101cb7, v0
	v_bfe_u32 v1, v0, 16, 1
	v_cmp_o_f32_e32 vcc_lo, v0, v0
	v_add3_u32 v0, v0, v1, 0x7fff
	v_mov_b32_e32 v1, 0x7fc0
	v_cndmask_b32_sdwa v2, v1, v0, vcc_lo dst_sel:DWORD dst_unused:UNUSED_PAD src0_sel:DWORD src1_sel:WORD_1
; %bb.718:
	s_or_b32 exec_lo, exec_lo, s0
.LBB38_719:
	s_or_b32 exec_lo, exec_lo, s1
                                        ; implicit-def: $vgpr7
.LBB38_720:
	s_andn2_saveexec_b32 s0, s21
; %bb.721:
	v_xor_b32_e32 v0, 0x80000000, v7
	s_mov_b32 s1, 0x7f800000
	v_and_or_b32 v0, 0x80000000, v0, s1
	v_lshrrev_b32_e32 v2, 16, v0
; %bb.722:
	s_or_b32 exec_lo, exec_lo, s0
	v_mul_lo_u32 v0, v6, s2
	s_and_b32 s1, s4, 0xff
	s_cmp_lt_i32 s1, 11
	v_ashrrev_i32_e32 v1, 31, v0
	v_add_co_u32 v0, vcc_lo, s8, v0
	v_add_co_ci_u32_e64 v1, null, s9, v1, vcc_lo
	s_cbranch_scc1 .LBB38_730
; %bb.723:
	s_and_b32 s21, 0xffff, s1
	s_cmp_gt_i32 s21, 25
	s_cbranch_scc0 .LBB38_731
; %bb.724:
	s_cmp_gt_i32 s21, 28
	s_cbranch_scc0 .LBB38_732
; %bb.725:
	s_cmp_gt_i32 s21, 43
	s_cbranch_scc0 .LBB38_733
; %bb.726:
	s_cmp_gt_i32 s21, 45
	s_cbranch_scc0 .LBB38_734
; %bb.727:
	s_mov_b32 s23, 0
	s_mov_b32 s0, -1
	s_cmp_eq_u32 s21, 46
	s_mov_b32 s22, 0
	s_cbranch_scc0 .LBB38_735
; %bb.728:
	v_and_b32_e32 v3, 0xffff, v2
	s_mov_b32 s22, -1
	s_mov_b32 s0, 0
	global_store_dword v[0:1], v3, off
	s_branch .LBB38_735
.LBB38_729:
	s_mov_b32 s21, 0
	s_mov_b32 s0, s17
	s_branch .LBB38_846
.LBB38_730:
	s_mov_b32 s21, -1
	s_mov_b32 s22, 0
	s_mov_b32 s0, s17
	s_branch .LBB38_804
.LBB38_731:
	s_mov_b32 s23, -1
	s_mov_b32 s22, 0
	s_mov_b32 s0, s17
	s_branch .LBB38_762
.LBB38_732:
	s_mov_b32 s23, -1
	s_mov_b32 s22, 0
	s_mov_b32 s0, s17
	s_branch .LBB38_745
.LBB38_733:
	s_mov_b32 s23, -1
	s_mov_b32 s22, 0
	s_mov_b32 s0, s17
	s_branch .LBB38_741
.LBB38_734:
	s_mov_b32 s23, -1
	s_mov_b32 s22, 0
	s_mov_b32 s0, s17
.LBB38_735:
	s_and_b32 vcc_lo, exec_lo, s23
	s_cbranch_vccz .LBB38_740
; %bb.736:
	s_cmp_eq_u32 s21, 44
	s_mov_b32 s0, -1
	s_cbranch_scc0 .LBB38_740
; %bb.737:
	v_and_b32_e32 v3, 0xffff, v2
	v_mov_b32_e32 v4, 0xff
	s_mov_b32 s22, exec_lo
	v_bfe_u32 v5, v3, 7, 8
	v_cmpx_ne_u32_e32 0xff, v5
	s_cbranch_execz .LBB38_739
; %bb.738:
	v_lshlrev_b32_e32 v4, 16, v3
	v_and_b32_e32 v7, 64, v3
	v_lshrrev_b32_e32 v3, 7, v3
	v_and_or_b32 v4, 0x3f0000, v4, v5
	v_cmp_ne_u32_e32 vcc_lo, 0, v7
	v_cmp_ne_u32_e64 s0, 0, v4
	s_and_b32 s0, vcc_lo, s0
	v_cndmask_b32_e64 v4, 0, 1, s0
	v_add_nc_u32_e32 v4, v3, v4
.LBB38_739:
	s_or_b32 exec_lo, exec_lo, s22
	s_mov_b32 s22, -1
	s_mov_b32 s0, 0
	global_store_byte v[0:1], v4, off
.LBB38_740:
	s_mov_b32 s23, 0
.LBB38_741:
	s_and_b32 vcc_lo, exec_lo, s23
	s_cbranch_vccz .LBB38_744
; %bb.742:
	s_cmp_eq_u32 s21, 29
	s_mov_b32 s0, -1
	s_cbranch_scc0 .LBB38_744
; %bb.743:
	v_lshlrev_b32_e32 v3, 16, v2
	s_mov_b32 s22, -1
	s_mov_b32 s0, 0
	s_mov_b32 s23, 0
	v_trunc_f32_e32 v3, v3
	v_mul_f32_e32 v4, 0x2f800000, v3
	v_floor_f32_e32 v4, v4
	v_fmamk_f32 v3, v4, 0xcf800000, v3
	v_cvt_u32_f32_e32 v4, v4
	v_cvt_u32_f32_e32 v3, v3
	global_store_dwordx2 v[0:1], v[3:4], off
	s_branch .LBB38_745
.LBB38_744:
	s_mov_b32 s23, 0
.LBB38_745:
	s_and_b32 vcc_lo, exec_lo, s23
	s_cbranch_vccz .LBB38_761
; %bb.746:
	s_cmp_lt_i32 s21, 27
	s_mov_b32 s22, -1
	s_cbranch_scc1 .LBB38_752
; %bb.747:
	s_cmp_gt_i32 s21, 27
	s_cbranch_scc0 .LBB38_749
; %bb.748:
	v_lshlrev_b32_e32 v3, 16, v2
	s_mov_b32 s22, 0
	v_cvt_u32_f32_e32 v3, v3
	global_store_dword v[0:1], v3, off
.LBB38_749:
	s_andn2_b32 vcc_lo, exec_lo, s22
	s_cbranch_vccnz .LBB38_751
; %bb.750:
	v_lshlrev_b32_e32 v3, 16, v2
	v_cvt_u32_f32_e32 v3, v3
	global_store_short v[0:1], v3, off
.LBB38_751:
	s_mov_b32 s22, 0
.LBB38_752:
	s_andn2_b32 vcc_lo, exec_lo, s22
	s_cbranch_vccnz .LBB38_760
; %bb.753:
	v_lshlrev_b32_e32 v5, 16, v2
	v_mov_b32_e32 v7, 0x80
	s_mov_b32 s22, exec_lo
	v_and_b32_e32 v4, 0x7fffffff, v5
	v_cmpx_gt_u32_e32 0x43800000, v4
	s_cbranch_execz .LBB38_759
; %bb.754:
	v_and_b32_e32 v3, 0xffff, v2
	v_cmp_lt_u32_e32 vcc_lo, 0x3bffffff, v4
	s_mov_b32 s23, 0
                                        ; implicit-def: $vgpr4
	s_and_saveexec_b32 s24, vcc_lo
	s_xor_b32 s24, exec_lo, s24
	s_cbranch_execz .LBB38_861
; %bb.755:
	v_bfe_u32 v4, v3, 4, 1
	s_mov_b32 s23, exec_lo
	v_add3_u32 v4, v5, v4, 0x487ffff
                                        ; implicit-def: $vgpr5
	v_lshrrev_b32_e32 v4, 20, v4
	s_andn2_saveexec_b32 s24, s24
	s_cbranch_execnz .LBB38_862
.LBB38_756:
	s_or_b32 exec_lo, exec_lo, s24
	v_mov_b32_e32 v7, 0
	s_and_saveexec_b32 s24, s23
.LBB38_757:
	v_lshrrev_b32_e32 v3, 8, v3
	v_and_or_b32 v7, 0x80, v3, v4
.LBB38_758:
	s_or_b32 exec_lo, exec_lo, s24
.LBB38_759:
	s_or_b32 exec_lo, exec_lo, s22
	global_store_byte v[0:1], v7, off
.LBB38_760:
	s_mov_b32 s22, -1
.LBB38_761:
	s_mov_b32 s23, 0
.LBB38_762:
	s_and_b32 vcc_lo, exec_lo, s23
	s_cbranch_vccz .LBB38_803
; %bb.763:
	s_cmp_gt_i32 s21, 22
	s_mov_b32 s23, -1
	s_cbranch_scc0 .LBB38_795
; %bb.764:
	s_cmp_lt_i32 s21, 24
	s_mov_b32 s22, -1
	s_cbranch_scc1 .LBB38_784
; %bb.765:
	s_cmp_gt_i32 s21, 24
	s_cbranch_scc0 .LBB38_773
; %bb.766:
	v_lshlrev_b32_e32 v5, 16, v2
	v_mov_b32_e32 v7, 0x80
	s_mov_b32 s22, exec_lo
	v_and_b32_e32 v4, 0x7fffffff, v5
	v_cmpx_gt_u32_e32 0x47800000, v4
	s_cbranch_execz .LBB38_772
; %bb.767:
	v_and_b32_e32 v3, 0xffff, v2
	v_cmp_lt_u32_e32 vcc_lo, 0x37ffffff, v4
	s_mov_b32 s23, 0
                                        ; implicit-def: $vgpr4
	s_and_saveexec_b32 s24, vcc_lo
	s_xor_b32 s24, exec_lo, s24
	s_cbranch_execz .LBB38_864
; %bb.768:
	v_bfe_u32 v4, v3, 5, 1
	s_mov_b32 s23, exec_lo
	v_add3_u32 v4, v5, v4, 0x88fffff
                                        ; implicit-def: $vgpr5
	v_lshrrev_b32_e32 v4, 21, v4
	s_andn2_saveexec_b32 s24, s24
	s_cbranch_execnz .LBB38_865
.LBB38_769:
	s_or_b32 exec_lo, exec_lo, s24
	v_mov_b32_e32 v7, 0
	s_and_saveexec_b32 s24, s23
.LBB38_770:
	v_lshrrev_b32_e32 v3, 8, v3
	v_and_or_b32 v7, 0x80, v3, v4
.LBB38_771:
	s_or_b32 exec_lo, exec_lo, s24
.LBB38_772:
	s_or_b32 exec_lo, exec_lo, s22
	s_mov_b32 s22, 0
	global_store_byte v[0:1], v7, off
.LBB38_773:
	s_and_b32 vcc_lo, exec_lo, s22
	s_cbranch_vccz .LBB38_783
; %bb.774:
	v_lshlrev_b32_e32 v5, 16, v2
	v_and_b32_e32 v3, 0xffff, v2
	s_mov_b32 s22, exec_lo
                                        ; implicit-def: $vgpr4
	v_and_b32_e32 v7, 0x7fffffff, v5
	v_cmpx_gt_u32_e32 0x43f00000, v7
	s_xor_b32 s22, exec_lo, s22
	s_cbranch_execz .LBB38_780
; %bb.775:
	s_mov_b32 s23, exec_lo
                                        ; implicit-def: $vgpr4
	v_cmpx_lt_u32_e32 0x3c7fffff, v7
	s_xor_b32 s23, exec_lo, s23
; %bb.776:
	v_bfe_u32 v4, v3, 4, 1
	v_add3_u32 v4, v5, v4, 0x407ffff
	v_and_b32_e32 v5, 0xff00000, v4
	v_lshrrev_b32_e32 v4, 20, v4
	v_cmp_ne_u32_e32 vcc_lo, 0x7f00000, v5
                                        ; implicit-def: $vgpr5
	v_cndmask_b32_e32 v4, 0x7e, v4, vcc_lo
; %bb.777:
	s_andn2_saveexec_b32 s23, s23
; %bb.778:
	v_add_f32_e64 v4, 0x46800000, |v5|
; %bb.779:
	s_or_b32 exec_lo, exec_lo, s23
                                        ; implicit-def: $vgpr7
.LBB38_780:
	s_andn2_saveexec_b32 s22, s22
; %bb.781:
	v_mov_b32_e32 v4, 0x7f
	v_cmp_lt_u32_e32 vcc_lo, 0x7f800000, v7
	v_cndmask_b32_e32 v4, 0x7e, v4, vcc_lo
; %bb.782:
	s_or_b32 exec_lo, exec_lo, s22
	v_lshrrev_b32_e32 v3, 8, v3
	v_and_or_b32 v3, 0x80, v3, v4
	global_store_byte v[0:1], v3, off
.LBB38_783:
	s_mov_b32 s22, 0
.LBB38_784:
	s_andn2_b32 vcc_lo, exec_lo, s22
	s_cbranch_vccnz .LBB38_794
; %bb.785:
	v_lshlrev_b32_e32 v5, 16, v2
	v_and_b32_e32 v3, 0xffff, v2
	s_mov_b32 s22, exec_lo
                                        ; implicit-def: $vgpr4
	v_and_b32_e32 v7, 0x7fffffff, v5
	v_cmpx_gt_u32_e32 0x47800000, v7
	s_xor_b32 s22, exec_lo, s22
	s_cbranch_execz .LBB38_791
; %bb.786:
	s_mov_b32 s23, exec_lo
                                        ; implicit-def: $vgpr4
	v_cmpx_lt_u32_e32 0x387fffff, v7
	s_xor_b32 s23, exec_lo, s23
; %bb.787:
	v_bfe_u32 v4, v3, 5, 1
	v_add3_u32 v4, v5, v4, 0x80fffff
                                        ; implicit-def: $vgpr5
	v_lshrrev_b32_e32 v4, 21, v4
; %bb.788:
	s_andn2_saveexec_b32 s23, s23
; %bb.789:
	v_add_f32_e64 v4, 0x43000000, |v5|
; %bb.790:
	s_or_b32 exec_lo, exec_lo, s23
                                        ; implicit-def: $vgpr7
.LBB38_791:
	s_andn2_saveexec_b32 s22, s22
; %bb.792:
	v_mov_b32_e32 v4, 0x7f
	v_cmp_lt_u32_e32 vcc_lo, 0x7f800000, v7
	v_cndmask_b32_e32 v4, 0x7c, v4, vcc_lo
; %bb.793:
	s_or_b32 exec_lo, exec_lo, s22
	v_lshrrev_b32_e32 v3, 8, v3
	v_and_or_b32 v3, 0x80, v3, v4
	global_store_byte v[0:1], v3, off
.LBB38_794:
	s_mov_b32 s23, 0
	s_mov_b32 s22, -1
.LBB38_795:
	s_andn2_b32 vcc_lo, exec_lo, s23
	s_cbranch_vccnz .LBB38_803
; %bb.796:
	s_cmp_gt_i32 s21, 14
	s_mov_b32 s23, -1
	s_cbranch_scc0 .LBB38_800
; %bb.797:
	s_cmp_eq_u32 s21, 15
	s_mov_b32 s0, -1
	s_cbranch_scc0 .LBB38_799
; %bb.798:
	s_mov_b32 s22, -1
	s_mov_b32 s0, 0
	global_store_short v[0:1], v2, off
.LBB38_799:
	s_mov_b32 s23, 0
.LBB38_800:
	s_and_b32 vcc_lo, exec_lo, s23
	s_cbranch_vccz .LBB38_803
; %bb.801:
	s_cmp_eq_u32 s21, 11
	s_mov_b32 s0, -1
	s_cbranch_scc0 .LBB38_803
; %bb.802:
	v_and_b32_e32 v3, 0x7fff, v2
	s_mov_b32 s0, 0
	s_mov_b32 s22, -1
	v_cmp_ne_u16_e32 vcc_lo, 0, v3
	v_cndmask_b32_e64 v3, 0, 1, vcc_lo
	global_store_byte v[0:1], v3, off
.LBB38_803:
	s_mov_b32 s21, 0
.LBB38_804:
	s_and_b32 vcc_lo, exec_lo, s21
	s_cbranch_vccz .LBB38_843
; %bb.805:
	s_and_b32 s1, 0xffff, s1
	s_mov_b32 s21, -1
	s_cmp_lt_i32 s1, 5
	s_cbranch_scc1 .LBB38_826
; %bb.806:
	s_cmp_lt_i32 s1, 8
	s_cbranch_scc1 .LBB38_816
; %bb.807:
	;; [unrolled: 3-line block ×3, first 2 shown]
	s_cmp_gt_i32 s1, 9
	s_cbranch_scc0 .LBB38_810
; %bb.809:
	v_lshlrev_b32_e32 v3, 16, v2
	v_mov_b32_e32 v9, 0
	s_mov_b32 s21, 0
	v_cvt_f64_f32_e32 v[7:8], v3
	v_mov_b32_e32 v10, v9
	global_store_dwordx4 v[0:1], v[7:10], off
.LBB38_810:
	s_andn2_b32 vcc_lo, exec_lo, s21
	s_cbranch_vccnz .LBB38_812
; %bb.811:
	v_lshlrev_b32_e32 v3, 16, v2
	v_mov_b32_e32 v4, 0
	global_store_dwordx2 v[0:1], v[3:4], off
.LBB38_812:
	s_mov_b32 s21, 0
.LBB38_813:
	s_andn2_b32 vcc_lo, exec_lo, s21
	s_cbranch_vccnz .LBB38_815
; %bb.814:
	v_lshlrev_b32_e32 v3, 16, v2
	v_cvt_f16_f32_e32 v3, v3
	v_and_b32_e32 v3, 0xffff, v3
	global_store_dword v[0:1], v3, off
.LBB38_815:
	s_mov_b32 s21, 0
.LBB38_816:
	s_andn2_b32 vcc_lo, exec_lo, s21
	s_cbranch_vccnz .LBB38_825
; %bb.817:
	s_cmp_lt_i32 s1, 6
	s_mov_b32 s21, -1
	s_cbranch_scc1 .LBB38_823
; %bb.818:
	s_cmp_gt_i32 s1, 6
	s_cbranch_scc0 .LBB38_820
; %bb.819:
	v_lshlrev_b32_e32 v3, 16, v2
	s_mov_b32 s21, 0
	v_cvt_f64_f32_e32 v[3:4], v3
	global_store_dwordx2 v[0:1], v[3:4], off
.LBB38_820:
	s_andn2_b32 vcc_lo, exec_lo, s21
	s_cbranch_vccnz .LBB38_822
; %bb.821:
	v_lshlrev_b32_e32 v3, 16, v2
	global_store_dword v[0:1], v3, off
.LBB38_822:
	s_mov_b32 s21, 0
.LBB38_823:
	s_andn2_b32 vcc_lo, exec_lo, s21
	s_cbranch_vccnz .LBB38_825
; %bb.824:
	v_lshlrev_b32_e32 v3, 16, v2
	v_cvt_f16_f32_e32 v3, v3
	global_store_short v[0:1], v3, off
.LBB38_825:
	s_mov_b32 s21, 0
.LBB38_826:
	s_andn2_b32 vcc_lo, exec_lo, s21
	s_cbranch_vccnz .LBB38_842
; %bb.827:
	s_cmp_lt_i32 s1, 2
	s_mov_b32 s21, -1
	s_cbranch_scc1 .LBB38_837
; %bb.828:
	s_cmp_lt_i32 s1, 3
	s_cbranch_scc1 .LBB38_834
; %bb.829:
	s_cmp_gt_i32 s1, 3
	s_cbranch_scc0 .LBB38_831
; %bb.830:
	v_lshlrev_b32_e32 v3, 16, v2
	s_mov_b32 s21, 0
	v_trunc_f32_e32 v3, v3
	v_mul_f32_e64 v4, 0x2f800000, |v3|
	v_ashrrev_i32_e32 v7, 31, v3
	v_floor_f32_e32 v4, v4
	v_fma_f32 v5, 0xcf800000, v4, |v3|
	v_cvt_u32_f32_e32 v4, v4
	v_cvt_u32_f32_e32 v3, v5
	v_xor_b32_e32 v4, v4, v7
	v_xor_b32_e32 v3, v3, v7
	v_sub_co_u32 v3, vcc_lo, v3, v7
	v_sub_co_ci_u32_e64 v4, null, v4, v7, vcc_lo
	global_store_dwordx2 v[0:1], v[3:4], off
.LBB38_831:
	s_andn2_b32 vcc_lo, exec_lo, s21
	s_cbranch_vccnz .LBB38_833
; %bb.832:
	v_lshlrev_b32_e32 v3, 16, v2
	v_cvt_i32_f32_e32 v3, v3
	global_store_dword v[0:1], v3, off
.LBB38_833:
	s_mov_b32 s21, 0
.LBB38_834:
	s_andn2_b32 vcc_lo, exec_lo, s21
	s_cbranch_vccnz .LBB38_836
; %bb.835:
	v_lshlrev_b32_e32 v3, 16, v2
	v_cvt_i32_f32_e32 v3, v3
	global_store_short v[0:1], v3, off
.LBB38_836:
	s_mov_b32 s21, 0
.LBB38_837:
	s_andn2_b32 vcc_lo, exec_lo, s21
	s_cbranch_vccnz .LBB38_842
; %bb.838:
	v_lshlrev_b32_e32 v2, 16, v2
	s_cmp_gt_i32 s1, 0
	s_mov_b32 s1, -1
	s_cbranch_scc0 .LBB38_840
; %bb.839:
	v_cvt_i32_f32_e32 v3, v2
	s_mov_b32 s1, 0
	global_store_byte v[0:1], v3, off
.LBB38_840:
	s_andn2_b32 vcc_lo, exec_lo, s1
	s_cbranch_vccnz .LBB38_842
; %bb.841:
	v_trunc_f32_e32 v2, v2
	v_mul_f32_e64 v3, 0x2f800000, |v2|
	v_floor_f32_e32 v3, v3
	v_fma_f32 v3, 0xcf800000, v3, |v2|
	v_ashrrev_i32_e32 v2, 31, v2
	v_cvt_u32_f32_e32 v3, v3
	v_xor_b32_e32 v3, v3, v2
	v_sub_nc_u32_e32 v2, v3, v2
	global_store_byte v[0:1], v2, off
.LBB38_842:
	s_mov_b32 s22, -1
.LBB38_843:
	s_andn2_b32 vcc_lo, exec_lo, s22
	s_cbranch_vccnz .LBB38_845
; %bb.844:
	v_add_nc_u32_e32 v6, 0x80, v6
	s_mov_b32 s21, -1
	s_branch .LBB38_847
.LBB38_845:
	s_mov_b32 s21, 0
.LBB38_846:
                                        ; implicit-def: $vgpr6
.LBB38_847:
	s_andn2_b32 s1, s17, exec_lo
	s_and_b32 s0, s0, exec_lo
	s_andn2_b32 s22, s16, exec_lo
	s_and_b32 s20, s20, exec_lo
	s_or_b32 s1, s1, s0
	s_or_b32 s0, s22, s20
	s_orn2_b32 s20, s21, exec_lo
.LBB38_848:
	s_or_b32 exec_lo, exec_lo, s19
	s_mov_b32 s21, 0
	s_mov_b32 s22, 0
	;; [unrolled: 1-line block ×3, first 2 shown]
                                        ; implicit-def: $vgpr0_vgpr1
                                        ; implicit-def: $vgpr3
	s_and_saveexec_b32 s19, s20
	s_cbranch_execz .LBB38_933
; %bb.849:
	v_cmp_gt_i32_e32 vcc_lo, s13, v6
	s_mov_b32 s20, 0
	s_mov_b32 s21, s0
	;; [unrolled: 1-line block ×3, first 2 shown]
                                        ; implicit-def: $vgpr0_vgpr1
                                        ; implicit-def: $vgpr3
	s_and_saveexec_b32 s13, vcc_lo
	s_cbranch_execz .LBB38_932
; %bb.850:
	v_mul_lo_u32 v0, v6, s3
	s_and_b32 s20, 0xffff, s6
	s_cmp_lt_i32 s20, 11
	v_ashrrev_i32_e32 v1, 31, v0
	v_add_co_u32 v0, vcc_lo, s10, v0
	v_add_co_ci_u32_e64 v1, null, s11, v1, vcc_lo
	s_cbranch_scc1 .LBB38_857
; %bb.851:
	s_cmp_gt_i32 s20, 25
	s_cbranch_scc0 .LBB38_858
; %bb.852:
	s_cmp_gt_i32 s20, 28
	s_cbranch_scc0 .LBB38_859
	;; [unrolled: 3-line block ×4, first 2 shown]
; %bb.855:
	s_cmp_eq_u32 s20, 46
	s_cbranch_scc0 .LBB38_866
; %bb.856:
	global_load_dword v3, v[0:1], off
	s_mov_b32 s21, 0
	s_mov_b32 s23, -1
	s_branch .LBB38_868
.LBB38_857:
	s_mov_b32 s20, -1
	s_mov_b32 s21, s0
                                        ; implicit-def: $vgpr3
	s_branch .LBB38_931
.LBB38_858:
	s_mov_b32 s24, -1
	s_mov_b32 s21, s0
                                        ; implicit-def: $vgpr3
	s_branch .LBB38_897
.LBB38_859:
	s_mov_b32 s24, -1
	s_mov_b32 s21, s0
                                        ; implicit-def: $vgpr3
	s_branch .LBB38_878
.LBB38_860:
	s_mov_b32 s24, -1
	s_mov_b32 s21, s0
                                        ; implicit-def: $vgpr3
	s_branch .LBB38_873
.LBB38_861:
	s_andn2_saveexec_b32 s24, s24
	s_cbranch_execz .LBB38_756
.LBB38_862:
	v_add_f32_e64 v4, 0x46000000, |v5|
	s_andn2_b32 s23, s23, exec_lo
	v_and_b32_e32 v4, 0xff, v4
	v_cmp_ne_u32_e32 vcc_lo, 0, v4
	s_and_b32 s25, vcc_lo, exec_lo
	s_or_b32 s23, s23, s25
	s_or_b32 exec_lo, exec_lo, s24
	v_mov_b32_e32 v7, 0
	s_and_saveexec_b32 s24, s23
	s_cbranch_execnz .LBB38_757
	s_branch .LBB38_758
.LBB38_863:
	s_mov_b32 s24, -1
	s_mov_b32 s21, s0
	s_branch .LBB38_867
.LBB38_864:
	s_andn2_saveexec_b32 s24, s24
	s_cbranch_execz .LBB38_769
.LBB38_865:
	v_add_f32_e64 v4, 0x42800000, |v5|
	s_andn2_b32 s23, s23, exec_lo
	v_and_b32_e32 v4, 0xff, v4
	v_cmp_ne_u32_e32 vcc_lo, 0, v4
	s_and_b32 s25, vcc_lo, exec_lo
	s_or_b32 s23, s23, s25
	s_or_b32 exec_lo, exec_lo, s24
	v_mov_b32_e32 v7, 0
	s_and_saveexec_b32 s24, s23
	s_cbranch_execnz .LBB38_770
	s_branch .LBB38_771
.LBB38_866:
	s_mov_b32 s21, -1
.LBB38_867:
                                        ; implicit-def: $vgpr3
.LBB38_868:
	s_and_b32 vcc_lo, exec_lo, s24
	s_cbranch_vccz .LBB38_872
; %bb.869:
	s_cmp_eq_u32 s20, 44
	s_cbranch_scc0 .LBB38_871
; %bb.870:
	global_load_ubyte v2, v[0:1], off
	s_mov_b32 s21, 0
	s_mov_b32 s23, -1
	s_waitcnt vmcnt(0)
	v_lshlrev_b32_e32 v3, 23, v2
	v_cmp_ne_u32_e32 vcc_lo, 0xff, v2
	v_cndmask_b32_e32 v3, 0x7f800001, v3, vcc_lo
	v_cmp_ne_u32_e32 vcc_lo, 0, v2
	v_cndmask_b32_e32 v2, 0x400000, v3, vcc_lo
	v_mov_b32_e32 v3, 0x7fc0
	v_cmp_o_f32_e32 vcc_lo, v2, v2
	v_add_nc_u32_e32 v2, 0x7fff, v2
	v_cndmask_b32_sdwa v3, v3, v2, vcc_lo dst_sel:DWORD dst_unused:UNUSED_PAD src0_sel:DWORD src1_sel:WORD_1
	s_branch .LBB38_872
.LBB38_871:
	s_mov_b32 s21, -1
                                        ; implicit-def: $vgpr3
.LBB38_872:
	s_mov_b32 s24, 0
.LBB38_873:
	s_and_b32 vcc_lo, exec_lo, s24
	s_cbranch_vccz .LBB38_877
; %bb.874:
	s_cmp_eq_u32 s20, 29
	s_cbranch_scc0 .LBB38_876
; %bb.875:
	global_load_dwordx2 v[2:3], v[0:1], off
	s_mov_b32 s21, 0
	s_mov_b32 s23, -1
	s_mov_b32 s24, 0
	s_waitcnt vmcnt(0)
	v_ffbh_u32_e32 v4, v3
	v_min_u32_e32 v4, 32, v4
	v_lshlrev_b64 v[2:3], v4, v[2:3]
	v_min_u32_e32 v2, 1, v2
	v_or_b32_e32 v2, v3, v2
	v_sub_nc_u32_e32 v3, 32, v4
	v_cvt_f32_u32_e32 v2, v2
	v_ldexp_f32 v2, v2, v3
	v_bfe_u32 v3, v2, 16, 1
	v_add3_u32 v2, v2, v3, 0x7fff
	v_lshrrev_b32_e32 v3, 16, v2
	s_branch .LBB38_878
.LBB38_876:
	s_mov_b32 s21, -1
                                        ; implicit-def: $vgpr3
.LBB38_877:
	s_mov_b32 s24, 0
.LBB38_878:
	s_and_b32 vcc_lo, exec_lo, s24
	s_cbranch_vccz .LBB38_896
; %bb.879:
	s_cmp_lt_i32 s20, 27
	s_cbranch_scc1 .LBB38_882
; %bb.880:
	s_cmp_gt_i32 s20, 27
	s_cbranch_scc0 .LBB38_883
; %bb.881:
	global_load_dword v2, v[0:1], off
	s_mov_b32 s23, 0
	s_waitcnt vmcnt(0)
	v_cvt_f32_u32_e32 v2, v2
	v_bfe_u32 v3, v2, 16, 1
	v_add3_u32 v2, v2, v3, 0x7fff
	v_lshrrev_b32_e32 v3, 16, v2
	s_branch .LBB38_884
.LBB38_882:
	s_mov_b32 s23, -1
                                        ; implicit-def: $vgpr3
	s_branch .LBB38_887
.LBB38_883:
	s_mov_b32 s23, -1
                                        ; implicit-def: $vgpr3
.LBB38_884:
	s_andn2_b32 vcc_lo, exec_lo, s23
	s_cbranch_vccnz .LBB38_886
; %bb.885:
	global_load_ushort v2, v[0:1], off
	s_waitcnt vmcnt(0)
	v_cvt_f32_u32_e32 v2, v2
	v_bfe_u32 v3, v2, 16, 1
	v_add3_u32 v2, v2, v3, 0x7fff
	v_lshrrev_b32_e32 v3, 16, v2
.LBB38_886:
	s_mov_b32 s23, 0
.LBB38_887:
	s_andn2_b32 vcc_lo, exec_lo, s23
	s_cbranch_vccnz .LBB38_895
; %bb.888:
	global_load_ubyte v2, v[0:1], off
	s_mov_b32 s23, 0
	s_mov_b32 s24, exec_lo
	s_waitcnt vmcnt(0)
	v_cmpx_lt_i16_e32 0x7f, v2
	s_xor_b32 s24, exec_lo, s24
	s_cbranch_execz .LBB38_909
; %bb.889:
	s_mov_b32 s23, -1
	s_mov_b32 s25, exec_lo
	v_cmpx_eq_u16_e32 0x80, v2
; %bb.890:
	s_xor_b32 s23, exec_lo, -1
; %bb.891:
	s_or_b32 exec_lo, exec_lo, s25
	s_and_b32 s23, s23, exec_lo
	s_or_saveexec_b32 s24, s24
	v_mov_b32_e32 v3, 0x7f800001
	s_xor_b32 exec_lo, exec_lo, s24
	s_cbranch_execnz .LBB38_910
.LBB38_892:
	s_or_b32 exec_lo, exec_lo, s24
	s_and_saveexec_b32 s24, s23
	s_cbranch_execz .LBB38_894
.LBB38_893:
	v_and_b32_e32 v3, 0xffff, v2
	v_lshlrev_b32_e32 v2, 24, v2
	v_and_b32_e32 v4, 7, v3
	v_bfe_u32 v8, v3, 3, 4
	v_and_b32_e32 v2, 0x80000000, v2
	v_ffbh_u32_e32 v5, v4
	v_cmp_eq_u32_e32 vcc_lo, 0, v8
	v_min_u32_e32 v5, 32, v5
	v_subrev_nc_u32_e32 v7, 28, v5
	v_sub_nc_u32_e32 v5, 29, v5
	v_lshlrev_b32_e32 v3, v7, v3
	v_cndmask_b32_e32 v5, v8, v5, vcc_lo
	v_and_b32_e32 v3, 7, v3
	v_cndmask_b32_e32 v3, v4, v3, vcc_lo
	v_lshl_add_u32 v4, v5, 23, 0x3b800000
	v_lshlrev_b32_e32 v3, 20, v3
	v_or3_b32 v3, v2, v4, v3
.LBB38_894:
	s_or_b32 exec_lo, exec_lo, s24
	v_bfe_u32 v2, v3, 16, 1
	v_cmp_o_f32_e32 vcc_lo, v3, v3
	v_add3_u32 v2, v3, v2, 0x7fff
	v_mov_b32_e32 v3, 0x7fc0
	v_cndmask_b32_sdwa v3, v3, v2, vcc_lo dst_sel:DWORD dst_unused:UNUSED_PAD src0_sel:DWORD src1_sel:WORD_1
.LBB38_895:
	s_mov_b32 s23, -1
.LBB38_896:
	s_mov_b32 s24, 0
.LBB38_897:
	s_and_b32 vcc_lo, exec_lo, s24
	s_cbranch_vccz .LBB38_930
; %bb.898:
	s_cmp_gt_i32 s20, 22
	s_cbranch_scc0 .LBB38_908
; %bb.899:
	s_cmp_lt_i32 s20, 24
	s_cbranch_scc1 .LBB38_911
; %bb.900:
	s_cmp_gt_i32 s20, 24
	s_cbranch_scc0 .LBB38_912
; %bb.901:
	global_load_ubyte v2, v[0:1], off
	s_mov_b32 s23, exec_lo
	s_waitcnt vmcnt(0)
	v_cmpx_lt_i16_e32 0x7f, v2
	s_xor_b32 s23, exec_lo, s23
	s_cbranch_execz .LBB38_924
; %bb.902:
	s_mov_b32 s22, -1
	s_mov_b32 s24, exec_lo
	v_cmpx_eq_u16_e32 0x80, v2
; %bb.903:
	s_xor_b32 s22, exec_lo, -1
; %bb.904:
	s_or_b32 exec_lo, exec_lo, s24
	s_and_b32 s22, s22, exec_lo
	s_or_saveexec_b32 s23, s23
	v_mov_b32_e32 v3, 0x7f800001
	s_xor_b32 exec_lo, exec_lo, s23
	s_cbranch_execnz .LBB38_925
.LBB38_905:
	s_or_b32 exec_lo, exec_lo, s23
	s_and_saveexec_b32 s23, s22
	s_cbranch_execz .LBB38_907
.LBB38_906:
	v_and_b32_e32 v3, 0xffff, v2
	v_lshlrev_b32_e32 v2, 24, v2
	v_and_b32_e32 v4, 3, v3
	v_bfe_u32 v8, v3, 2, 5
	v_and_b32_e32 v2, 0x80000000, v2
	v_ffbh_u32_e32 v5, v4
	v_cmp_eq_u32_e32 vcc_lo, 0, v8
	v_min_u32_e32 v5, 32, v5
	v_subrev_nc_u32_e32 v7, 29, v5
	v_sub_nc_u32_e32 v5, 30, v5
	v_lshlrev_b32_e32 v3, v7, v3
	v_cndmask_b32_e32 v5, v8, v5, vcc_lo
	v_and_b32_e32 v3, 3, v3
	v_cndmask_b32_e32 v3, v4, v3, vcc_lo
	v_lshl_add_u32 v4, v5, 23, 0x37800000
	v_lshlrev_b32_e32 v3, 21, v3
	v_or3_b32 v3, v2, v4, v3
.LBB38_907:
	s_or_b32 exec_lo, exec_lo, s23
	v_bfe_u32 v2, v3, 16, 1
	v_cmp_o_f32_e32 vcc_lo, v3, v3
	s_mov_b32 s22, 0
	v_add3_u32 v2, v3, v2, 0x7fff
	v_mov_b32_e32 v3, 0x7fc0
	v_cndmask_b32_sdwa v3, v3, v2, vcc_lo dst_sel:DWORD dst_unused:UNUSED_PAD src0_sel:DWORD src1_sel:WORD_1
	s_branch .LBB38_913
.LBB38_908:
	s_mov_b32 s22, -1
                                        ; implicit-def: $vgpr3
	s_branch .LBB38_919
.LBB38_909:
	s_or_saveexec_b32 s24, s24
	v_mov_b32_e32 v3, 0x7f800001
	s_xor_b32 exec_lo, exec_lo, s24
	s_cbranch_execz .LBB38_892
.LBB38_910:
	v_cmp_ne_u16_e32 vcc_lo, 0, v2
	v_mov_b32_e32 v3, 0
	s_andn2_b32 s23, s23, exec_lo
	s_and_b32 s25, vcc_lo, exec_lo
	s_or_b32 s23, s23, s25
	s_or_b32 exec_lo, exec_lo, s24
	s_and_saveexec_b32 s24, s23
	s_cbranch_execnz .LBB38_893
	s_branch .LBB38_894
.LBB38_911:
	s_mov_b32 s22, -1
                                        ; implicit-def: $vgpr3
	s_branch .LBB38_916
.LBB38_912:
	s_mov_b32 s22, -1
                                        ; implicit-def: $vgpr3
.LBB38_913:
	s_and_b32 vcc_lo, exec_lo, s22
	s_cbranch_vccz .LBB38_915
; %bb.914:
	global_load_ubyte v2, v[0:1], off
	s_waitcnt vmcnt(0)
	v_lshlrev_b32_e32 v2, 24, v2
	v_and_b32_e32 v3, 0x7f000000, v2
	v_ffbh_u32_e32 v4, v3
	v_add_nc_u32_e32 v7, 0x1000000, v3
	v_cmp_ne_u32_e32 vcc_lo, 0, v3
	v_min_u32_e32 v4, 32, v4
	v_sub_nc_u32_e64 v4, v4, 4 clamp
	v_lshlrev_b32_e32 v5, v4, v3
	v_lshlrev_b32_e32 v4, 23, v4
	v_lshrrev_b32_e32 v5, 4, v5
	v_sub_nc_u32_e32 v4, v5, v4
	v_ashrrev_i32_e32 v5, 8, v7
	v_add_nc_u32_e32 v4, 0x3c000000, v4
	v_and_or_b32 v4, 0x7f800000, v5, v4
	v_cndmask_b32_e32 v3, 0, v4, vcc_lo
	v_and_or_b32 v2, 0x80000000, v2, v3
	v_bfe_u32 v3, v3, 16, 1
	v_cmp_o_f32_e32 vcc_lo, v2, v2
	v_add3_u32 v2, v2, v3, 0x7fff
	v_mov_b32_e32 v3, 0x7fc0
	v_cndmask_b32_sdwa v3, v3, v2, vcc_lo dst_sel:DWORD dst_unused:UNUSED_PAD src0_sel:DWORD src1_sel:WORD_1
.LBB38_915:
	s_mov_b32 s22, 0
.LBB38_916:
	s_andn2_b32 vcc_lo, exec_lo, s22
	s_cbranch_vccnz .LBB38_918
; %bb.917:
	global_load_ubyte v2, v[0:1], off
	s_waitcnt vmcnt(0)
	v_lshlrev_b32_e32 v3, 25, v2
	v_lshlrev_b16 v2, 8, v2
	v_lshrrev_b32_e32 v4, 4, v3
	v_and_or_b32 v5, 0x7f00, v2, 0.5
	v_cmp_gt_u32_e32 vcc_lo, 0x8000000, v3
	v_bfe_i32 v2, v2, 0, 16
	v_or_b32_e32 v4, 0x70000000, v4
	v_add_f32_e32 v5, -0.5, v5
	v_mul_f32_e32 v4, 0x7800000, v4
	v_cndmask_b32_e32 v3, v4, v5, vcc_lo
	v_and_or_b32 v2, 0x80000000, v2, v3
	v_bfe_u32 v3, v3, 16, 1
	v_cmp_o_f32_e32 vcc_lo, v2, v2
	v_add3_u32 v2, v2, v3, 0x7fff
	v_mov_b32_e32 v3, 0x7fc0
	v_cndmask_b32_sdwa v3, v3, v2, vcc_lo dst_sel:DWORD dst_unused:UNUSED_PAD src0_sel:DWORD src1_sel:WORD_1
.LBB38_918:
	s_mov_b32 s22, 0
	s_mov_b32 s23, -1
.LBB38_919:
	s_andn2_b32 vcc_lo, exec_lo, s22
	s_mov_b32 s22, 0
	s_cbranch_vccnz .LBB38_930
; %bb.920:
	s_cmp_gt_i32 s20, 14
	s_cbranch_scc0 .LBB38_923
; %bb.921:
	s_cmp_eq_u32 s20, 15
	s_cbranch_scc0 .LBB38_926
; %bb.922:
	global_load_ushort v3, v[0:1], off
	s_mov_b32 s21, 0
	s_mov_b32 s23, -1
	s_branch .LBB38_928
.LBB38_923:
	s_mov_b32 s22, -1
	s_branch .LBB38_927
.LBB38_924:
	s_or_saveexec_b32 s23, s23
	v_mov_b32_e32 v3, 0x7f800001
	s_xor_b32 exec_lo, exec_lo, s23
	s_cbranch_execz .LBB38_905
.LBB38_925:
	v_cmp_ne_u16_e32 vcc_lo, 0, v2
	v_mov_b32_e32 v3, 0
	s_andn2_b32 s22, s22, exec_lo
	s_and_b32 s24, vcc_lo, exec_lo
	s_or_b32 s22, s22, s24
	s_or_b32 exec_lo, exec_lo, s23
	s_and_saveexec_b32 s23, s22
	s_cbranch_execnz .LBB38_906
	s_branch .LBB38_907
.LBB38_926:
	s_mov_b32 s21, -1
.LBB38_927:
                                        ; implicit-def: $vgpr3
.LBB38_928:
	s_and_b32 vcc_lo, exec_lo, s22
	s_mov_b32 s22, 0
	s_cbranch_vccz .LBB38_930
; %bb.929:
	s_cmp_lg_u32 s20, 11
	s_mov_b32 s22, -1
	s_cselect_b32 s20, -1, 0
	s_andn2_b32 s21, s21, exec_lo
	s_and_b32 s20, s20, exec_lo
	s_or_b32 s21, s21, s20
.LBB38_930:
	s_mov_b32 s20, 0
.LBB38_931:
	s_andn2_b32 s25, s0, exec_lo
	s_and_b32 s21, s21, exec_lo
	s_and_b32 s23, s23, exec_lo
	;; [unrolled: 1-line block ×4, first 2 shown]
	s_or_b32 s21, s25, s21
.LBB38_932:
	s_or_b32 exec_lo, exec_lo, s13
	s_andn2_b32 s0, s0, exec_lo
	s_and_b32 s13, s21, exec_lo
	s_and_b32 s23, s23, exec_lo
	s_and_b32 s22, s24, exec_lo
	s_and_b32 s21, s20, exec_lo
	s_or_b32 s0, s0, s13
.LBB38_933:
	s_or_b32 exec_lo, exec_lo, s19
	s_andn2_b32 s13, s17, exec_lo
	s_and_b32 s1, s1, exec_lo
	s_and_b32 s0, s0, exec_lo
	s_or_b32 s17, s13, s1
	s_andn2_b32 s13, s16, exec_lo
	s_and_b32 s20, s23, exec_lo
	s_and_b32 s19, s22, exec_lo
	;; [unrolled: 1-line block ×3, first 2 shown]
	s_or_b32 s16, s13, s0
.LBB38_934:
	s_or_b32 exec_lo, exec_lo, s18
	s_andn2_b32 s0, s12, exec_lo
	s_and_b32 s12, s17, exec_lo
	s_andn2_b32 s13, s14, exec_lo
	s_and_b32 s14, s16, exec_lo
	s_or_b32 s12, s0, s12
	s_and_b32 s0, s20, exec_lo
	s_and_b32 s17, s19, exec_lo
	s_and_b32 s16, s1, exec_lo
	s_or_b32 s14, s13, s14
	s_or_b32 exec_lo, exec_lo, s15
	s_mov_b32 s13, 0
	s_and_saveexec_b32 s1, s14
	s_cbranch_execz .LBB38_286
.LBB38_935:
	s_mov_b32 s13, exec_lo
	s_andn2_b32 s16, s16, exec_lo
	s_trap 2
	s_or_b32 exec_lo, exec_lo, s1
	s_and_saveexec_b32 s1, s16
	s_xor_b32 s1, exec_lo, s1
	s_cbranch_execnz .LBB38_287
.LBB38_936:
	s_or_b32 exec_lo, exec_lo, s1
	s_and_saveexec_b32 s1, s17
	s_cbranch_execz .LBB38_982
.LBB38_937:
	s_sext_i32_i16 s14, s6
	s_cmp_lt_i32 s14, 5
	s_cbranch_scc1 .LBB38_942
; %bb.938:
	s_cmp_lt_i32 s14, 8
	s_cbranch_scc1 .LBB38_943
; %bb.939:
	;; [unrolled: 3-line block ×3, first 2 shown]
	s_cmp_gt_i32 s14, 9
	s_cbranch_scc0 .LBB38_945
; %bb.941:
	global_load_dwordx2 v[2:3], v[0:1], off
	s_mov_b32 s14, 0
	s_waitcnt vmcnt(0)
	v_cvt_f32_f64_e32 v2, v[2:3]
	v_bfe_u32 v3, v2, 16, 1
	v_cmp_o_f32_e32 vcc_lo, v2, v2
	v_add3_u32 v2, v2, v3, 0x7fff
	v_mov_b32_e32 v3, 0x7fc0
	v_cndmask_b32_sdwa v3, v3, v2, vcc_lo dst_sel:DWORD dst_unused:UNUSED_PAD src0_sel:DWORD src1_sel:WORD_1
	s_branch .LBB38_946
.LBB38_942:
                                        ; implicit-def: $vgpr3
	s_branch .LBB38_963
.LBB38_943:
                                        ; implicit-def: $vgpr3
	s_branch .LBB38_952
.LBB38_944:
	s_mov_b32 s14, -1
                                        ; implicit-def: $vgpr3
	s_branch .LBB38_949
.LBB38_945:
	s_mov_b32 s14, -1
                                        ; implicit-def: $vgpr3
.LBB38_946:
	s_andn2_b32 vcc_lo, exec_lo, s14
	s_cbranch_vccnz .LBB38_948
; %bb.947:
	global_load_dword v2, v[0:1], off
	s_waitcnt vmcnt(0)
	v_bfe_u32 v3, v2, 16, 1
	v_cmp_o_f32_e32 vcc_lo, v2, v2
	v_add3_u32 v2, v2, v3, 0x7fff
	v_mov_b32_e32 v3, 0x7fc0
	v_cndmask_b32_sdwa v3, v3, v2, vcc_lo dst_sel:DWORD dst_unused:UNUSED_PAD src0_sel:DWORD src1_sel:WORD_1
.LBB38_948:
	s_mov_b32 s14, 0
.LBB38_949:
	s_andn2_b32 vcc_lo, exec_lo, s14
	s_cbranch_vccnz .LBB38_951
; %bb.950:
	global_load_dword v2, v[0:1], off
	s_waitcnt vmcnt(0)
	v_cvt_f32_f16_e32 v3, v2
	v_cmp_o_f16_e32 vcc_lo, v2, v2
	v_bfe_u32 v4, v3, 16, 1
	v_add3_u32 v2, v3, v4, 0x7fff
	v_mov_b32_e32 v3, 0x7fc0
	v_cndmask_b32_sdwa v3, v3, v2, vcc_lo dst_sel:DWORD dst_unused:UNUSED_PAD src0_sel:DWORD src1_sel:WORD_1
.LBB38_951:
	s_cbranch_execnz .LBB38_962
.LBB38_952:
	s_sext_i32_i16 s14, s6
	s_cmp_lt_i32 s14, 6
	s_cbranch_scc1 .LBB38_955
; %bb.953:
	s_cmp_gt_i32 s14, 6
	s_cbranch_scc0 .LBB38_956
; %bb.954:
	global_load_dwordx2 v[2:3], v[0:1], off
	s_mov_b32 s14, 0
	s_waitcnt vmcnt(0)
	v_cvt_f32_f64_e32 v2, v[2:3]
	v_bfe_u32 v3, v2, 16, 1
	v_cmp_o_f32_e32 vcc_lo, v2, v2
	v_add3_u32 v2, v2, v3, 0x7fff
	v_mov_b32_e32 v3, 0x7fc0
	v_cndmask_b32_sdwa v3, v3, v2, vcc_lo dst_sel:DWORD dst_unused:UNUSED_PAD src0_sel:DWORD src1_sel:WORD_1
	s_branch .LBB38_957
.LBB38_955:
	s_mov_b32 s14, -1
                                        ; implicit-def: $vgpr3
	s_branch .LBB38_960
.LBB38_956:
	s_mov_b32 s14, -1
                                        ; implicit-def: $vgpr3
.LBB38_957:
	s_andn2_b32 vcc_lo, exec_lo, s14
	s_cbranch_vccnz .LBB38_959
; %bb.958:
	global_load_dword v2, v[0:1], off
	s_waitcnt vmcnt(0)
	v_bfe_u32 v3, v2, 16, 1
	v_cmp_o_f32_e32 vcc_lo, v2, v2
	v_add3_u32 v2, v2, v3, 0x7fff
	v_mov_b32_e32 v3, 0x7fc0
	v_cndmask_b32_sdwa v3, v3, v2, vcc_lo dst_sel:DWORD dst_unused:UNUSED_PAD src0_sel:DWORD src1_sel:WORD_1
.LBB38_959:
	s_mov_b32 s14, 0
.LBB38_960:
	s_andn2_b32 vcc_lo, exec_lo, s14
	s_cbranch_vccnz .LBB38_962
; %bb.961:
	global_load_ushort v2, v[0:1], off
	s_waitcnt vmcnt(0)
	v_cvt_f32_f16_e32 v3, v2
	v_cmp_o_f16_e32 vcc_lo, v2, v2
	v_bfe_u32 v4, v3, 16, 1
	v_add3_u32 v2, v3, v4, 0x7fff
	v_mov_b32_e32 v3, 0x7fc0
	v_cndmask_b32_sdwa v3, v3, v2, vcc_lo dst_sel:DWORD dst_unused:UNUSED_PAD src0_sel:DWORD src1_sel:WORD_1
.LBB38_962:
	s_cbranch_execnz .LBB38_981
.LBB38_963:
	s_sext_i32_i16 s14, s6
	s_cmp_lt_i32 s14, 2
	s_cbranch_scc1 .LBB38_967
; %bb.964:
	s_cmp_lt_i32 s14, 3
	s_cbranch_scc1 .LBB38_968
; %bb.965:
	s_cmp_gt_i32 s14, 3
	s_cbranch_scc0 .LBB38_969
; %bb.966:
	global_load_dwordx2 v[2:3], v[0:1], off
	s_mov_b32 s14, 0
	s_waitcnt vmcnt(0)
	v_xor_b32_e32 v4, v2, v3
	v_ffbh_i32_e32 v5, v3
	v_ashrrev_i32_e32 v4, 31, v4
	v_add_nc_u32_e32 v5, -1, v5
	v_add_nc_u32_e32 v4, 32, v4
	v_min_u32_e32 v4, v5, v4
	v_lshlrev_b64 v[2:3], v4, v[2:3]
	v_min_u32_e32 v2, 1, v2
	v_or_b32_e32 v2, v3, v2
	v_sub_nc_u32_e32 v3, 32, v4
	v_cvt_f32_i32_e32 v2, v2
	v_ldexp_f32 v2, v2, v3
	v_bfe_u32 v3, v2, 16, 1
	v_add3_u32 v2, v2, v3, 0x7fff
	v_lshrrev_b32_e32 v3, 16, v2
	s_branch .LBB38_970
.LBB38_967:
                                        ; implicit-def: $vgpr3
	s_branch .LBB38_976
.LBB38_968:
	s_mov_b32 s14, -1
                                        ; implicit-def: $vgpr3
	s_branch .LBB38_973
.LBB38_969:
	s_mov_b32 s14, -1
                                        ; implicit-def: $vgpr3
.LBB38_970:
	s_andn2_b32 vcc_lo, exec_lo, s14
	s_cbranch_vccnz .LBB38_972
; %bb.971:
	global_load_dword v2, v[0:1], off
	s_waitcnt vmcnt(0)
	v_cvt_f32_i32_e32 v2, v2
	v_bfe_u32 v3, v2, 16, 1
	v_add3_u32 v2, v2, v3, 0x7fff
	v_lshrrev_b32_e32 v3, 16, v2
.LBB38_972:
	s_mov_b32 s14, 0
.LBB38_973:
	s_andn2_b32 vcc_lo, exec_lo, s14
	s_cbranch_vccnz .LBB38_975
; %bb.974:
	global_load_sshort v2, v[0:1], off
	s_waitcnt vmcnt(0)
	v_cvt_f32_i32_e32 v2, v2
	v_bfe_u32 v3, v2, 16, 1
	v_add3_u32 v2, v2, v3, 0x7fff
	v_lshrrev_b32_e32 v3, 16, v2
.LBB38_975:
	s_cbranch_execnz .LBB38_981
.LBB38_976:
	s_sext_i32_i16 s14, s6
	s_cmp_gt_i32 s14, 0
	s_mov_b32 s14, 0
	s_cbranch_scc0 .LBB38_978
; %bb.977:
	global_load_sbyte v2, v[0:1], off
	s_waitcnt vmcnt(0)
	v_cvt_f32_i32_e32 v2, v2
	v_bfe_u32 v3, v2, 16, 1
	v_add3_u32 v2, v2, v3, 0x7fff
	v_lshrrev_b32_e32 v3, 16, v2
	s_branch .LBB38_979
.LBB38_978:
	s_mov_b32 s14, -1
                                        ; implicit-def: $vgpr3
.LBB38_979:
	s_andn2_b32 vcc_lo, exec_lo, s14
	s_cbranch_vccnz .LBB38_981
; %bb.980:
	global_load_ubyte v0, v[0:1], off
	s_waitcnt vmcnt(0)
	v_cvt_f32_ubyte0_e32 v0, v0
	v_bfe_u32 v1, v0, 16, 1
	v_add3_u32 v0, v0, v1, 0x7fff
	v_lshrrev_b32_e32 v3, 16, v0
.LBB38_981:
	s_or_b32 s0, s0, exec_lo
.LBB38_982:
	s_or_b32 exec_lo, exec_lo, s1
	s_mov_b32 s16, 0
	s_mov_b32 s15, 0
                                        ; implicit-def: $sgpr1
                                        ; implicit-def: $vgpr0_vgpr1
                                        ; implicit-def: $vgpr2
	s_and_saveexec_b32 s14, s0
	s_cbranch_execz .LBB38_1014
; %bb.983:
	s_waitcnt vmcnt(0)
	v_lshlrev_b32_e32 v7, 16, v3
                                        ; implicit-def: $vgpr2
	s_mov_b32 s0, exec_lo
	v_cmpx_neq_f32_e32 0, v7
	s_xor_b32 s15, exec_lo, s0
	s_cbranch_execz .LBB38_1005
; %bb.984:
	v_mov_b32_e32 v0, 0
	s_mov_b32 s0, -1
	s_mov_b32 s16, exec_lo
	v_cmpx_gt_f32_e32 0, v7
	s_cbranch_execz .LBB38_992
; %bb.985:
	v_trunc_f32_e32 v0, v7
	s_mov_b32 s1, 0
	v_cmp_neq_f32_e32 vcc_lo, v0, v7
	v_mov_b32_e32 v0, 0
	s_and_saveexec_b32 s17, vcc_lo
	s_cbranch_execz .LBB38_991
; %bb.986:
	v_cvt_f64_f32_e32 v[0:1], v7
	s_mov_b32 s1, 0xc00921fb
	s_mov_b32 s0, 0x54442d18
	s_mov_b32 s18, exec_lo
                                        ; implicit-def: $vgpr8
                                        ; implicit-def: $vgpr4_vgpr5
	v_trunc_f64_e32 v[2:3], v[0:1]
	v_cmp_neq_f64_e64 vcc_lo, 0x7ff00000, |v[0:1]|
	v_add_f64 v[2:3], v[0:1], -v[2:3]
	v_mul_f64 v[2:3], |v[2:3]|, s[0:1]
	v_cndmask_b32_e32 v1, 0x80000000, v3, vcc_lo
	v_cndmask_b32_e32 v0, 0, v2, vcc_lo
                                        ; implicit-def: $vgpr2_vgpr3
	v_cmpx_ngt_f64_e64 0x41d00000, |v[0:1]|
	s_xor_b32 s18, exec_lo, s18
	s_cbranch_execz .LBB38_988
; %bb.987:
	v_ldexp_f64 v[2:3], |v[0:1]|, 0xffffff80
	v_cmp_le_f64_e64 vcc_lo, 0x7b000000, |v[0:1]|
	v_trig_preop_f64 v[4:5], |v[0:1]|, 0
	v_and_b32_e32 v8, 0x7fffffff, v1
	v_trig_preop_f64 v[18:19], |v[0:1]|, 2
	v_mov_b32_e32 v26, 0
	s_mov_b32 s1, 0x3ff921fb
	s_mov_b32 s20, 0x33145c07
	;; [unrolled: 1-line block ×3, first 2 shown]
	v_cndmask_b32_e32 v3, v8, v3, vcc_lo
	v_cndmask_b32_e32 v2, v0, v2, vcc_lo
	v_trig_preop_f64 v[8:9], |v[0:1]|, 1
	v_mul_f64 v[10:11], v[4:5], v[2:3]
	v_mul_f64 v[24:25], v[18:19], v[2:3]
	;; [unrolled: 1-line block ×3, first 2 shown]
	v_fma_f64 v[4:5], v[4:5], v[2:3], -v[10:11]
	v_fma_f64 v[8:9], v[8:9], v[2:3], -v[12:13]
	;; [unrolled: 1-line block ×3, first 2 shown]
	v_add_f64 v[14:15], v[12:13], v[4:5]
	v_add_f64 v[16:17], v[14:15], -v[12:13]
	v_add_f64 v[22:23], v[10:11], v[14:15]
	v_add_f64 v[20:21], v[14:15], -v[16:17]
	v_add_f64 v[4:5], v[4:5], -v[16:17]
	v_ldexp_f64 v[16:17], v[22:23], -2
	v_add_f64 v[10:11], v[22:23], -v[10:11]
	v_add_f64 v[12:13], v[12:13], -v[20:21]
	v_add_f64 v[20:21], v[24:25], v[8:9]
	v_cmp_neq_f64_e64 vcc_lo, 0x7ff00000, |v[16:17]|
	v_add_f64 v[10:11], v[14:15], -v[10:11]
	v_add_f64 v[4:5], v[4:5], v[12:13]
	v_fract_f64_e32 v[12:13], v[16:17]
	v_add_f64 v[14:15], v[20:21], v[4:5]
	v_ldexp_f64 v[12:13], v[12:13], 2
	v_add_f64 v[16:17], v[10:11], v[14:15]
	v_cndmask_b32_e32 v13, 0, v13, vcc_lo
	v_cndmask_b32_e32 v12, 0, v12, vcc_lo
	v_add_f64 v[22:23], v[16:17], v[12:13]
	v_add_f64 v[10:11], v[16:17], -v[10:11]
	v_cmp_gt_f64_e32 vcc_lo, 0, v[22:23]
	v_add_f64 v[22:23], v[20:21], -v[24:25]
	v_cndmask_b32_e64 v27, 0, 0x40100000, vcc_lo
	v_add_f64 v[31:32], v[20:21], -v[22:23]
	v_add_f64 v[8:9], v[8:9], -v[22:23]
	v_add_f64 v[12:13], v[12:13], v[26:27]
	v_add_f64 v[27:28], v[14:15], -v[20:21]
	v_add_f64 v[22:23], v[24:25], -v[31:32]
	v_add_f64 v[29:30], v[16:17], v[12:13]
	;; [unrolled: 3-line block ×3, first 2 shown]
	v_cvt_i32_f64_e32 v29, v[29:30]
	v_add_f64 v[20:21], v[20:21], -v[33:34]
	v_cvt_f64_i32_e32 v[27:28], v29
	v_add_f64 v[4:5], v[4:5], v[20:21]
	v_add_f64 v[12:13], v[12:13], -v[27:28]
	v_add_f64 v[4:5], v[8:9], v[4:5]
	v_add_f64 v[8:9], v[14:15], -v[10:11]
	v_add_f64 v[18:19], v[16:17], v[12:13]
	v_add_f64 v[2:3], v[2:3], v[4:5]
	v_add_f64 v[4:5], v[18:19], -v[12:13]
	v_cmp_le_f64_e32 vcc_lo, 0.5, v[18:19]
	v_add_f64 v[2:3], v[8:9], v[2:3]
	v_add_f64 v[4:5], v[16:17], -v[4:5]
	v_cndmask_b32_e64 v27, 0, 0x3ff00000, vcc_lo
	v_add_co_ci_u32_e64 v8, null, 0, v29, vcc_lo
	v_add_f64 v[2:3], v[2:3], v[4:5]
	v_add_f64 v[4:5], v[18:19], -v[26:27]
	v_add_f64 v[9:10], v[4:5], v[2:3]
	v_mul_f64 v[11:12], v[9:10], s[0:1]
	v_add_f64 v[4:5], v[9:10], -v[4:5]
	v_fma_f64 v[13:14], v[9:10], s[0:1], -v[11:12]
	v_add_f64 v[2:3], v[2:3], -v[4:5]
	v_fma_f64 v[4:5], v[9:10], s[20:21], v[13:14]
	v_fma_f64 v[4:5], v[2:3], s[0:1], v[4:5]
	v_add_f64 v[2:3], v[11:12], v[4:5]
	v_add_f64 v[9:10], v[2:3], -v[11:12]
	v_add_f64 v[4:5], v[4:5], -v[9:10]
.LBB38_988:
	s_andn2_saveexec_b32 s0, s18
	s_cbranch_execz .LBB38_990
; %bb.989:
	s_mov_b32 s18, 0x6dc9c883
	s_mov_b32 s19, 0x3fe45f30
	;; [unrolled: 1-line block ×3, first 2 shown]
	v_mul_f64 v[2:3], |v[0:1]|, s[18:19]
	s_mov_b32 s18, 0x54442d18
	s_mov_b32 s19, 0xbff921fb
	s_mov_b32 s20, 0x33145c00
	v_rndne_f64_e32 v[8:9], v[2:3]
	v_fma_f64 v[2:3], v[8:9], s[18:19], |v[0:1]|
	v_mul_f64 v[4:5], v[8:9], s[20:21]
	s_mov_b32 s18, 0x252049c0
	s_mov_b32 s19, 0xb97b839a
	v_fma_f64 v[12:13], v[8:9], s[20:21], v[2:3]
	v_add_f64 v[10:11], v[2:3], v[4:5]
	s_mov_b32 s21, 0x3c91a626
	v_add_f64 v[2:3], v[2:3], -v[10:11]
	v_add_f64 v[10:11], v[10:11], -v[12:13]
	v_add_f64 v[2:3], v[2:3], v[4:5]
	v_fma_f64 v[4:5], v[8:9], s[20:21], v[4:5]
	v_add_f64 v[2:3], v[10:11], v[2:3]
	v_add_f64 v[2:3], v[2:3], -v[4:5]
	v_fma_f64 v[4:5], v[8:9], s[18:19], v[2:3]
	v_cvt_i32_f64_e32 v8, v[8:9]
	v_add_f64 v[2:3], v[12:13], v[4:5]
	v_add_f64 v[10:11], v[2:3], -v[12:13]
	v_add_f64 v[4:5], v[4:5], -v[10:11]
.LBB38_990:
	s_or_b32 exec_lo, exec_lo, s0
	v_mul_f64 v[9:10], v[2:3], v[2:3]
	v_add_f64 v[11:12], v[4:5], v[4:5]
	s_mov_b32 s18, 0xa9a29f71
	s_mov_b32 s20, 0xc751c08c
	;; [unrolled: 1-line block ×4, first 2 shown]
	v_cmp_class_f64_e64 s0, v[0:1], 0x1f8
	v_and_b32_e32 v8, 1, v8
	v_and_b32_e32 v1, 0x80000000, v1
	v_sub_f32_e32 v7, 1.0, v7
	s_mov_b32 s1, exec_lo
	v_cmp_eq_u32_e32 vcc_lo, 0, v8
	v_fma_f64 v[13:14], v[2:3], v[2:3], -v[9:10]
	v_fma_f64 v[11:12], v[2:3], v[11:12], v[13:14]
	v_add_f64 v[9:10], v[9:10], v[11:12]
	v_fma_f64 v[11:12], v[9:10], s[20:21], s[18:19]
	s_mov_b32 s18, 0x90a8aae0
	s_mov_b32 s19, 0x3f17746f
	v_fma_f64 v[11:12], v[9:10], v[11:12], s[18:19]
	s_mov_b32 s18, 0xa6fbf144
	s_mov_b32 s19, 0xbefbb44d
	;; [unrolled: 3-line block ×13, first 2 shown]
	v_mul_f64 v[9:10], v[9:10], v[11:12]
	v_mul_f64 v[11:12], v[2:3], v[9:10]
	v_add_f64 v[13:14], v[2:3], v[11:12]
	v_fma_f64 v[9:10], v[2:3], v[9:10], -v[11:12]
	v_add_f64 v[2:3], v[13:14], -v[2:3]
	v_add_f64 v[4:5], v[4:5], v[9:10]
	v_add_f64 v[2:3], v[11:12], -v[2:3]
	v_add_f64 v[2:3], v[4:5], v[2:3]
	v_add_f64 v[4:5], v[13:14], v[2:3]
	v_rcp_f64_e32 v[9:10], v[4:5]
	v_fma_f64 v[11:12], -v[4:5], v[9:10], 1.0
	v_fma_f64 v[9:10], v[11:12], v[9:10], v[9:10]
	v_fma_f64 v[11:12], -v[4:5], v[9:10], 1.0
	v_fma_f64 v[9:10], v[11:12], v[9:10], v[9:10]
	v_add_f64 v[11:12], v[4:5], -v[13:14]
	v_mul_f64 v[13:14], v[4:5], v[9:10]
	v_add_f64 v[2:3], v[2:3], -v[11:12]
	v_fma_f64 v[11:12], v[9:10], v[4:5], -v[13:14]
	v_fma_f64 v[2:3], v[9:10], v[2:3], v[11:12]
	v_add_f64 v[11:12], v[13:14], v[2:3]
	v_add_f64 v[15:16], -v[11:12], 1.0
	v_add_f64 v[13:14], v[11:12], -v[13:14]
	v_add_f64 v[17:18], -v[15:16], 1.0
	v_add_f64 v[2:3], v[13:14], -v[2:3]
	v_add_f64 v[11:12], v[17:18], -v[11:12]
	v_add_f64 v[2:3], v[2:3], v[11:12]
	v_add_f64 v[2:3], v[15:16], v[2:3]
	v_mul_f64 v[2:3], v[9:10], v[2:3]
	v_add_f64 v[2:3], v[9:10], v[2:3]
	v_xor_b32_e32 v0, 0x80000000, v3
	v_cndmask_b32_e32 v2, v2, v4, vcc_lo
	v_cndmask_b32_e32 v0, v0, v5, vcc_lo
	v_xor_b32_e32 v1, v0, v1
	v_cndmask_b32_e64 v0, 0, v2, s0
	v_cndmask_b32_e64 v1, 0x7ff80000, v1, s0
	v_div_scale_f64 v[2:3], null, v[0:1], v[0:1], s[18:19]
	v_rcp_f64_e32 v[4:5], v[2:3]
	v_fma_f64 v[8:9], -v[2:3], v[4:5], 1.0
	v_fma_f64 v[4:5], v[4:5], v[8:9], v[4:5]
	v_fma_f64 v[8:9], -v[2:3], v[4:5], 1.0
	v_fma_f64 v[4:5], v[4:5], v[8:9], v[4:5]
	v_div_scale_f64 v[8:9], vcc_lo, s[18:19], v[0:1], s[18:19]
	v_mul_f64 v[10:11], v[8:9], v[4:5]
	v_fma_f64 v[2:3], -v[2:3], v[10:11], v[8:9]
	v_div_fmas_f64 v[2:3], v[2:3], v[4:5], v[10:11]
	v_div_fixup_f64 v[0:1], v[2:3], v[0:1], s[18:19]
	v_cvt_f32_f64_e32 v0, v[0:1]
.LBB38_991:
	s_or_b32 exec_lo, exec_lo, s17
	s_orn2_b32 s0, s1, exec_lo
.LBB38_992:
	s_or_b32 exec_lo, exec_lo, s16
	v_mov_b32_e32 v2, 0x7fc0
	s_and_saveexec_b32 s1, s0
	s_cbranch_execz .LBB38_1004
; %bb.993:
	s_mov_b32 s0, exec_lo
	v_cmpx_gt_f32_e32 0x41200000, v7
	s_cbranch_execz .LBB38_997
; %bb.994:
	s_mov_b32 s16, 0
	.p2align	6
.LBB38_995:                             ; =>This Inner Loop Header: Depth=1
	v_div_scale_f32 v1, null, v7, v7, 1.0
	v_div_scale_f32 v4, vcc_lo, 1.0, v7, 1.0
	v_rcp_f32_e32 v2, v1
	v_fma_f32 v3, -v1, v2, 1.0
	v_fmac_f32_e32 v2, v3, v2
	v_mul_f32_e32 v3, v4, v2
	v_fma_f32 v5, -v1, v3, v4
	v_fmac_f32_e32 v3, v5, v2
	v_fma_f32 v1, -v1, v3, v4
	v_div_fmas_f32 v1, v1, v2, v3
	v_div_fixup_f32 v1, v1, v7, 1.0
	v_add_f32_e32 v7, 1.0, v7
	v_sub_f32_e32 v0, v0, v1
	v_cmp_ngt_f32_e32 vcc_lo, 0x41200000, v7
	s_or_b32 s16, vcc_lo, s16
	s_andn2_b32 exec_lo, exec_lo, s16
	s_cbranch_execnz .LBB38_995
; %bb.996:
	s_or_b32 exec_lo, exec_lo, s16
.LBB38_997:
	s_or_b32 exec_lo, exec_lo, s0
                                        ; implicit-def: $vgpr2
	s_mov_b32 s0, exec_lo
	v_cmpx_neq_f32_e32 0x41200000, v7
	s_xor_b32 s16, exec_lo, s0
	s_cbranch_execz .LBB38_1001
; %bb.998:
	v_cvt_f64_f32_e32 v[1:2], v7
	s_mov_b32 s18, 0x85d8a000
	s_mov_b32 s19, 0x43763457
	v_cmp_gt_f64_e32 vcc_lo, s[18:19], v[1:2]
	v_mov_b32_e32 v1, 0
	s_and_saveexec_b32 s0, vcc_lo
	s_cbranch_execz .LBB38_1000
; %bb.999:
	v_mul_f32_e32 v1, v7, v7
	v_div_scale_f32 v2, null, v1, v1, 1.0
	v_rcp_f32_e32 v3, v2
	v_fma_f32 v4, -v2, v3, 1.0
	v_fmac_f32_e32 v3, v4, v3
	v_div_scale_f32 v4, vcc_lo, 1.0, v1, 1.0
	v_mul_f32_e32 v5, v4, v3
	v_fma_f32 v8, -v2, v5, v4
	v_fmac_f32_e32 v5, v8, v3
	v_fma_f32 v2, -v2, v5, v4
	v_div_fmas_f32 v2, v2, v3, v5
	v_div_fixup_f32 v1, v2, v1, 1.0
	v_fmaak_f32 v2, 0, v1, 0x3daaaaab
	v_fmaak_f32 v2, v1, v2, 0xbcaccacd
	;; [unrolled: 1-line block ×7, first 2 shown]
	v_mul_f32_e32 v1, v1, v2
.LBB38_1000:
	s_or_b32 exec_lo, exec_lo, s0
	v_cmp_gt_f32_e32 vcc_lo, 0x800000, v7
	v_div_scale_f32 v2, null, v7, v7, -0.5
	v_div_scale_f32 v8, s0, -0.5, v7, -0.5
	v_cndmask_b32_e64 v3, 0, 32, vcc_lo
	v_rcp_f32_e32 v4, v2
	v_ldexp_f32 v3, v7, v3
	v_log_f32_e32 v3, v3
	v_fma_f32 v5, -v2, v4, 1.0
	v_fmac_f32_e32 v4, v5, v4
	v_mul_f32_e32 v5, 0x3f317217, v3
	v_mul_f32_e32 v9, v8, v4
	v_fma_f32 v5, 0x3f317217, v3, -v5
	v_fma_f32 v10, -v2, v9, v8
	v_fmamk_f32 v5, v3, 0x3377d1cf, v5
	v_fmac_f32_e32 v9, v10, v4
	v_cndmask_b32_e64 v10, 0, 0x41b17218, vcc_lo
	v_cmp_gt_f32_e64 vcc_lo, 0x7f800000, |v3|
	v_fmac_f32_e32 v5, 0x3f317217, v3
	v_fma_f32 v2, -v2, v9, v8
	v_cndmask_b32_e32 v3, v3, v5, vcc_lo
	s_mov_b32 vcc_lo, s0
	v_div_fmas_f32 v2, v2, v4, v9
	v_sub_f32_e32 v3, v3, v10
	v_div_fixup_f32 v2, v2, v7, -0.5
	v_add_f32_e32 v2, v3, v2
	v_sub_f32_e32 v1, v2, v1
	v_add_f32_e32 v0, v0, v1
	v_bfe_u32 v1, v0, 16, 1
	v_cmp_o_f32_e32 vcc_lo, v0, v0
	v_add3_u32 v0, v0, v1, 0x7fff
	v_mov_b32_e32 v1, 0x7fc0
	v_cndmask_b32_sdwa v2, v1, v0, vcc_lo dst_sel:DWORD dst_unused:UNUSED_PAD src0_sel:DWORD src1_sel:WORD_1
                                        ; implicit-def: $vgpr0
.LBB38_1001:
	s_andn2_saveexec_b32 s0, s16
; %bb.1002:
	v_add_f32_e32 v0, 0x40101cb7, v0
	v_bfe_u32 v1, v0, 16, 1
	v_cmp_o_f32_e32 vcc_lo, v0, v0
	v_add3_u32 v0, v0, v1, 0x7fff
	v_mov_b32_e32 v1, 0x7fc0
	v_cndmask_b32_sdwa v2, v1, v0, vcc_lo dst_sel:DWORD dst_unused:UNUSED_PAD src0_sel:DWORD src1_sel:WORD_1
; %bb.1003:
	s_or_b32 exec_lo, exec_lo, s0
.LBB38_1004:
	s_or_b32 exec_lo, exec_lo, s1
                                        ; implicit-def: $vgpr7
.LBB38_1005:
	s_andn2_saveexec_b32 s0, s15
; %bb.1006:
	v_xor_b32_e32 v0, 0x80000000, v7
	s_mov_b32 s1, 0x7f800000
	v_and_or_b32 v0, 0x80000000, v0, s1
	v_lshrrev_b32_e32 v2, 16, v0
; %bb.1007:
	s_or_b32 exec_lo, exec_lo, s0
	v_mul_lo_u32 v0, v6, s2
	s_and_b32 s1, s4, 0xff
	s_cmp_lt_i32 s1, 11
	v_ashrrev_i32_e32 v1, 31, v0
	v_add_co_u32 v0, vcc_lo, s8, v0
	v_add_co_ci_u32_e64 v1, null, s9, v1, vcc_lo
	s_cbranch_scc1 .LBB38_1017
; %bb.1008:
	s_and_b32 s15, 0xffff, s1
	s_mov_b32 s16, -1
	s_cmp_gt_i32 s15, 25
	s_mov_b32 s0, s12
	s_cbranch_scc0 .LBB38_1045
; %bb.1009:
	s_cmp_gt_i32 s15, 28
	s_mov_b32 s0, s12
	s_cbranch_scc0 .LBB38_1029
; %bb.1010:
	s_cmp_gt_i32 s15, 43
	s_mov_b32 s0, s12
	s_cbranch_scc0 .LBB38_1025
; %bb.1011:
	s_cmp_gt_i32 s15, 45
	s_mov_b32 s0, s12
	s_cbranch_scc0 .LBB38_1019
; %bb.1012:
	s_cmp_eq_u32 s15, 46
	s_mov_b32 s0, -1
	s_cbranch_scc0 .LBB38_1018
; %bb.1013:
	v_and_b32_e32 v3, 0xffff, v2
	s_mov_b32 s0, 0
	s_mov_b32 s16, 0
	global_store_dword v[0:1], v3, off
	s_branch .LBB38_1019
.LBB38_1014:
	s_or_b32 exec_lo, exec_lo, s14
	s_and_saveexec_b32 s0, s12
	s_cbranch_execnz .LBB38_1087
.LBB38_1015:
	s_or_b32 exec_lo, exec_lo, s0
	s_and_saveexec_b32 s0, s16
	s_xor_b32 s0, exec_lo, s0
	s_cbranch_execz .LBB38_1088
.LBB38_1016:
	s_waitcnt vmcnt(0)
	v_and_b32_e32 v3, 0x7fff, v2
	v_cmp_ne_u16_e32 vcc_lo, 0, v3
	v_cndmask_b32_e64 v3, 0, 1, vcc_lo
	global_store_byte v[0:1], v3, off
	s_or_b32 exec_lo, exec_lo, s0
	s_and_saveexec_b32 s0, s15
	s_xor_b32 s0, exec_lo, s0
	s_cbranch_execz .LBB38_1126
	s_branch .LBB38_1089
.LBB38_1017:
	s_mov_b32 s17, 0
	s_mov_b32 s16, -1
	s_mov_b32 s0, s12
	s_branch .LBB38_1086
.LBB38_1018:
	s_mov_b32 s16, 0
.LBB38_1019:
	s_and_b32 vcc_lo, exec_lo, s16
	s_cbranch_vccz .LBB38_1024
; %bb.1020:
	s_cmp_eq_u32 s15, 44
	s_mov_b32 s0, -1
	s_cbranch_scc0 .LBB38_1024
; %bb.1021:
	v_and_b32_e32 v3, 0xffff, v2
	v_mov_b32_e32 v4, 0xff
	s_mov_b32 s16, exec_lo
	v_bfe_u32 v5, v3, 7, 8
	v_cmpx_ne_u32_e32 0xff, v5
	s_cbranch_execz .LBB38_1023
; %bb.1022:
	v_lshlrev_b32_e32 v4, 16, v3
	v_and_b32_e32 v6, 64, v3
	v_lshrrev_b32_e32 v3, 7, v3
	v_and_or_b32 v4, 0x3f0000, v4, v5
	v_cmp_ne_u32_e32 vcc_lo, 0, v6
	v_cmp_ne_u32_e64 s0, 0, v4
	s_and_b32 s0, vcc_lo, s0
	v_cndmask_b32_e64 v4, 0, 1, s0
	v_add_nc_u32_e32 v4, v3, v4
.LBB38_1023:
	s_or_b32 exec_lo, exec_lo, s16
	s_mov_b32 s0, 0
	global_store_byte v[0:1], v4, off
.LBB38_1024:
	s_mov_b32 s16, 0
.LBB38_1025:
	s_and_b32 vcc_lo, exec_lo, s16
	s_cbranch_vccz .LBB38_1028
; %bb.1026:
	s_cmp_eq_u32 s15, 29
	s_mov_b32 s0, -1
	s_cbranch_scc0 .LBB38_1028
; %bb.1027:
	v_lshlrev_b32_e32 v3, 16, v2
	s_mov_b32 s0, 0
	s_mov_b32 s16, 0
	v_trunc_f32_e32 v3, v3
	v_mul_f32_e32 v4, 0x2f800000, v3
	v_floor_f32_e32 v4, v4
	v_fmamk_f32 v3, v4, 0xcf800000, v3
	v_cvt_u32_f32_e32 v4, v4
	v_cvt_u32_f32_e32 v3, v3
	global_store_dwordx2 v[0:1], v[3:4], off
	s_branch .LBB38_1029
.LBB38_1028:
	s_mov_b32 s16, 0
.LBB38_1029:
	s_and_b32 vcc_lo, exec_lo, s16
	s_cbranch_vccz .LBB38_1044
; %bb.1030:
	s_cmp_lt_i32 s15, 27
	s_mov_b32 s16, -1
	s_cbranch_scc1 .LBB38_1036
; %bb.1031:
	s_cmp_gt_i32 s15, 27
	s_cbranch_scc0 .LBB38_1033
; %bb.1032:
	v_lshlrev_b32_e32 v3, 16, v2
	s_mov_b32 s16, 0
	v_cvt_u32_f32_e32 v3, v3
	global_store_dword v[0:1], v3, off
.LBB38_1033:
	s_andn2_b32 vcc_lo, exec_lo, s16
	s_cbranch_vccnz .LBB38_1035
; %bb.1034:
	v_lshlrev_b32_e32 v3, 16, v2
	v_cvt_u32_f32_e32 v3, v3
	global_store_short v[0:1], v3, off
.LBB38_1035:
	s_mov_b32 s16, 0
.LBB38_1036:
	s_andn2_b32 vcc_lo, exec_lo, s16
	s_cbranch_vccnz .LBB38_1044
; %bb.1037:
	v_lshlrev_b32_e32 v5, 16, v2
	v_mov_b32_e32 v6, 0x80
	s_mov_b32 s16, exec_lo
	v_and_b32_e32 v4, 0x7fffffff, v5
	v_cmpx_gt_u32_e32 0x43800000, v4
	s_cbranch_execz .LBB38_1043
; %bb.1038:
	v_and_b32_e32 v3, 0xffff, v2
	v_cmp_lt_u32_e32 vcc_lo, 0x3bffffff, v4
	s_mov_b32 s17, 0
                                        ; implicit-def: $vgpr4
	s_and_saveexec_b32 s18, vcc_lo
	s_xor_b32 s18, exec_lo, s18
	s_cbranch_execz .LBB38_1141
; %bb.1039:
	v_bfe_u32 v4, v3, 4, 1
	s_mov_b32 s17, exec_lo
	v_add3_u32 v4, v5, v4, 0x487ffff
                                        ; implicit-def: $vgpr5
	v_lshrrev_b32_e32 v4, 20, v4
	s_andn2_saveexec_b32 s18, s18
	s_cbranch_execnz .LBB38_1142
.LBB38_1040:
	s_or_b32 exec_lo, exec_lo, s18
	v_mov_b32_e32 v6, 0
	s_and_saveexec_b32 s18, s17
.LBB38_1041:
	v_lshrrev_b32_e32 v3, 8, v3
	v_and_or_b32 v6, 0x80, v3, v4
.LBB38_1042:
	s_or_b32 exec_lo, exec_lo, s18
.LBB38_1043:
	s_or_b32 exec_lo, exec_lo, s16
	global_store_byte v[0:1], v6, off
.LBB38_1044:
	s_mov_b32 s16, 0
.LBB38_1045:
	s_and_b32 vcc_lo, exec_lo, s16
	s_mov_b32 s16, 0
	s_cbranch_vccz .LBB38_1085
; %bb.1046:
	s_cmp_gt_i32 s15, 22
	s_mov_b32 s17, -1
	s_cbranch_scc0 .LBB38_1078
; %bb.1047:
	s_cmp_lt_i32 s15, 24
	s_cbranch_scc1 .LBB38_1067
; %bb.1048:
	s_cmp_gt_i32 s15, 24
	s_cbranch_scc0 .LBB38_1056
; %bb.1049:
	v_lshlrev_b32_e32 v5, 16, v2
	v_mov_b32_e32 v6, 0x80
	s_mov_b32 s17, exec_lo
	v_and_b32_e32 v4, 0x7fffffff, v5
	v_cmpx_gt_u32_e32 0x47800000, v4
	s_cbranch_execz .LBB38_1055
; %bb.1050:
	v_and_b32_e32 v3, 0xffff, v2
	v_cmp_lt_u32_e32 vcc_lo, 0x37ffffff, v4
	s_mov_b32 s18, 0
                                        ; implicit-def: $vgpr4
	s_and_saveexec_b32 s19, vcc_lo
	s_xor_b32 s19, exec_lo, s19
	s_cbranch_execz .LBB38_1291
; %bb.1051:
	v_bfe_u32 v4, v3, 5, 1
	s_mov_b32 s18, exec_lo
	v_add3_u32 v4, v5, v4, 0x88fffff
                                        ; implicit-def: $vgpr5
	v_lshrrev_b32_e32 v4, 21, v4
	s_andn2_saveexec_b32 s19, s19
	s_cbranch_execnz .LBB38_1292
.LBB38_1052:
	s_or_b32 exec_lo, exec_lo, s19
	v_mov_b32_e32 v6, 0
	s_and_saveexec_b32 s19, s18
.LBB38_1053:
	v_lshrrev_b32_e32 v3, 8, v3
	v_and_or_b32 v6, 0x80, v3, v4
.LBB38_1054:
	s_or_b32 exec_lo, exec_lo, s19
.LBB38_1055:
	s_or_b32 exec_lo, exec_lo, s17
	s_mov_b32 s17, 0
	global_store_byte v[0:1], v6, off
.LBB38_1056:
	s_and_b32 vcc_lo, exec_lo, s17
	s_cbranch_vccz .LBB38_1066
; %bb.1057:
	v_lshlrev_b32_e32 v5, 16, v2
	v_and_b32_e32 v3, 0xffff, v2
	s_mov_b32 s17, exec_lo
                                        ; implicit-def: $vgpr4
	v_and_b32_e32 v6, 0x7fffffff, v5
	v_cmpx_gt_u32_e32 0x43f00000, v6
	s_xor_b32 s17, exec_lo, s17
	s_cbranch_execz .LBB38_1063
; %bb.1058:
	s_mov_b32 s18, exec_lo
                                        ; implicit-def: $vgpr4
	v_cmpx_lt_u32_e32 0x3c7fffff, v6
	s_xor_b32 s18, exec_lo, s18
; %bb.1059:
	v_bfe_u32 v4, v3, 4, 1
	v_add3_u32 v4, v5, v4, 0x407ffff
	v_and_b32_e32 v5, 0xff00000, v4
	v_lshrrev_b32_e32 v4, 20, v4
	v_cmp_ne_u32_e32 vcc_lo, 0x7f00000, v5
                                        ; implicit-def: $vgpr5
	v_cndmask_b32_e32 v4, 0x7e, v4, vcc_lo
; %bb.1060:
	s_andn2_saveexec_b32 s18, s18
; %bb.1061:
	v_add_f32_e64 v4, 0x46800000, |v5|
; %bb.1062:
	s_or_b32 exec_lo, exec_lo, s18
                                        ; implicit-def: $vgpr6
.LBB38_1063:
	s_andn2_saveexec_b32 s17, s17
; %bb.1064:
	v_mov_b32_e32 v4, 0x7f
	v_cmp_lt_u32_e32 vcc_lo, 0x7f800000, v6
	v_cndmask_b32_e32 v4, 0x7e, v4, vcc_lo
; %bb.1065:
	s_or_b32 exec_lo, exec_lo, s17
	v_lshrrev_b32_e32 v3, 8, v3
	v_and_or_b32 v3, 0x80, v3, v4
	global_store_byte v[0:1], v3, off
.LBB38_1066:
	s_mov_b32 s17, 0
.LBB38_1067:
	s_andn2_b32 vcc_lo, exec_lo, s17
	s_cbranch_vccnz .LBB38_1077
; %bb.1068:
	v_lshlrev_b32_e32 v5, 16, v2
	v_and_b32_e32 v3, 0xffff, v2
	s_mov_b32 s17, exec_lo
                                        ; implicit-def: $vgpr4
	v_and_b32_e32 v6, 0x7fffffff, v5
	v_cmpx_gt_u32_e32 0x47800000, v6
	s_xor_b32 s17, exec_lo, s17
	s_cbranch_execz .LBB38_1074
; %bb.1069:
	s_mov_b32 s18, exec_lo
                                        ; implicit-def: $vgpr4
	v_cmpx_lt_u32_e32 0x387fffff, v6
	s_xor_b32 s18, exec_lo, s18
; %bb.1070:
	v_bfe_u32 v4, v3, 5, 1
	v_add3_u32 v4, v5, v4, 0x80fffff
                                        ; implicit-def: $vgpr5
	v_lshrrev_b32_e32 v4, 21, v4
; %bb.1071:
	s_andn2_saveexec_b32 s18, s18
; %bb.1072:
	v_add_f32_e64 v4, 0x43000000, |v5|
; %bb.1073:
	s_or_b32 exec_lo, exec_lo, s18
                                        ; implicit-def: $vgpr6
.LBB38_1074:
	s_andn2_saveexec_b32 s17, s17
; %bb.1075:
	v_mov_b32_e32 v4, 0x7f
	v_cmp_lt_u32_e32 vcc_lo, 0x7f800000, v6
	v_cndmask_b32_e32 v4, 0x7c, v4, vcc_lo
; %bb.1076:
	s_or_b32 exec_lo, exec_lo, s17
	v_lshrrev_b32_e32 v3, 8, v3
	v_and_or_b32 v3, 0x80, v3, v4
	global_store_byte v[0:1], v3, off
.LBB38_1077:
	s_mov_b32 s17, 0
.LBB38_1078:
	s_andn2_b32 vcc_lo, exec_lo, s17
	s_mov_b32 s17, 0
	s_cbranch_vccnz .LBB38_1086
; %bb.1079:
	s_cmp_gt_i32 s15, 14
	s_mov_b32 s17, -1
	s_cbranch_scc0 .LBB38_1083
; %bb.1080:
	s_cmp_eq_u32 s15, 15
	s_mov_b32 s0, -1
	s_cbranch_scc0 .LBB38_1082
; %bb.1081:
	s_mov_b32 s0, 0
	global_store_short v[0:1], v2, off
.LBB38_1082:
	s_mov_b32 s17, 0
.LBB38_1083:
	s_and_b32 vcc_lo, exec_lo, s17
	s_mov_b32 s17, 0
	s_cbranch_vccz .LBB38_1086
; %bb.1084:
	s_cmp_lg_u32 s15, 11
	s_mov_b32 s17, -1
	s_cselect_b32 s15, -1, 0
	s_andn2_b32 s0, s0, exec_lo
	s_and_b32 s15, s15, exec_lo
	s_or_b32 s0, s0, s15
	s_branch .LBB38_1086
.LBB38_1085:
	s_mov_b32 s17, 0
.LBB38_1086:
	s_andn2_b32 s12, s12, exec_lo
	s_and_b32 s0, s0, exec_lo
	s_and_b32 s15, s16, exec_lo
	;; [unrolled: 1-line block ×3, first 2 shown]
	s_or_b32 s12, s12, s0
	s_or_b32 exec_lo, exec_lo, s14
	s_and_saveexec_b32 s0, s12
	s_cbranch_execz .LBB38_1015
.LBB38_1087:
	s_or_b32 s13, s13, exec_lo
	s_andn2_b32 s16, s16, exec_lo
	s_trap 2
	s_or_b32 exec_lo, exec_lo, s0
	s_and_saveexec_b32 s0, s16
	s_xor_b32 s0, exec_lo, s0
	s_cbranch_execnz .LBB38_1016
.LBB38_1088:
	s_or_b32 exec_lo, exec_lo, s0
	s_and_saveexec_b32 s0, s15
	s_xor_b32 s0, exec_lo, s0
	s_cbranch_execz .LBB38_1126
.LBB38_1089:
	s_sext_i32_i16 s14, s1
	s_mov_b32 s12, -1
	s_cmp_lt_i32 s14, 5
	s_cbranch_scc1 .LBB38_1110
; %bb.1090:
	s_cmp_lt_i32 s14, 8
	s_cbranch_scc1 .LBB38_1100
; %bb.1091:
	s_cmp_lt_i32 s14, 9
	s_cbranch_scc1 .LBB38_1097
; %bb.1092:
	s_cmp_gt_i32 s14, 9
	s_cbranch_scc0 .LBB38_1094
; %bb.1093:
	s_waitcnt vmcnt(0)
	v_lshlrev_b32_e32 v3, 16, v2
	v_mov_b32_e32 v5, 0
	s_mov_b32 s12, 0
	v_cvt_f64_f32_e32 v[3:4], v3
	v_mov_b32_e32 v6, v5
	global_store_dwordx4 v[0:1], v[3:6], off
.LBB38_1094:
	s_andn2_b32 vcc_lo, exec_lo, s12
	s_cbranch_vccnz .LBB38_1096
; %bb.1095:
	s_waitcnt vmcnt(0)
	v_lshlrev_b32_e32 v3, 16, v2
	v_mov_b32_e32 v4, 0
	global_store_dwordx2 v[0:1], v[3:4], off
.LBB38_1096:
	s_mov_b32 s12, 0
.LBB38_1097:
	s_andn2_b32 vcc_lo, exec_lo, s12
	s_cbranch_vccnz .LBB38_1099
; %bb.1098:
	s_waitcnt vmcnt(0)
	v_lshlrev_b32_e32 v3, 16, v2
	v_cvt_f16_f32_e32 v3, v3
	v_and_b32_e32 v3, 0xffff, v3
	global_store_dword v[0:1], v3, off
.LBB38_1099:
	s_mov_b32 s12, 0
.LBB38_1100:
	s_andn2_b32 vcc_lo, exec_lo, s12
	s_cbranch_vccnz .LBB38_1109
; %bb.1101:
	s_sext_i32_i16 s14, s1
	s_mov_b32 s12, -1
	s_cmp_lt_i32 s14, 6
	s_cbranch_scc1 .LBB38_1107
; %bb.1102:
	s_cmp_gt_i32 s14, 6
	s_cbranch_scc0 .LBB38_1104
; %bb.1103:
	s_waitcnt vmcnt(0)
	v_lshlrev_b32_e32 v3, 16, v2
	s_mov_b32 s12, 0
	v_cvt_f64_f32_e32 v[3:4], v3
	global_store_dwordx2 v[0:1], v[3:4], off
.LBB38_1104:
	s_andn2_b32 vcc_lo, exec_lo, s12
	s_cbranch_vccnz .LBB38_1106
; %bb.1105:
	s_waitcnt vmcnt(0)
	v_lshlrev_b32_e32 v3, 16, v2
	global_store_dword v[0:1], v3, off
.LBB38_1106:
	s_mov_b32 s12, 0
.LBB38_1107:
	s_andn2_b32 vcc_lo, exec_lo, s12
	s_cbranch_vccnz .LBB38_1109
; %bb.1108:
	s_waitcnt vmcnt(0)
	v_lshlrev_b32_e32 v3, 16, v2
	v_cvt_f16_f32_e32 v3, v3
	global_store_short v[0:1], v3, off
.LBB38_1109:
	s_mov_b32 s12, 0
.LBB38_1110:
	s_andn2_b32 vcc_lo, exec_lo, s12
	s_cbranch_vccnz .LBB38_1126
; %bb.1111:
	s_sext_i32_i16 s14, s1
	s_mov_b32 s12, -1
	s_cmp_lt_i32 s14, 2
	s_cbranch_scc1 .LBB38_1121
; %bb.1112:
	s_cmp_lt_i32 s14, 3
	s_cbranch_scc1 .LBB38_1118
; %bb.1113:
	s_cmp_gt_i32 s14, 3
	s_cbranch_scc0 .LBB38_1115
; %bb.1114:
	s_waitcnt vmcnt(0)
	v_lshlrev_b32_e32 v3, 16, v2
	s_mov_b32 s12, 0
	v_trunc_f32_e32 v3, v3
	v_mul_f32_e64 v4, 0x2f800000, |v3|
	v_ashrrev_i32_e32 v6, 31, v3
	v_floor_f32_e32 v4, v4
	v_fma_f32 v5, 0xcf800000, v4, |v3|
	v_cvt_u32_f32_e32 v4, v4
	v_cvt_u32_f32_e32 v3, v5
	v_xor_b32_e32 v4, v4, v6
	v_xor_b32_e32 v3, v3, v6
	v_sub_co_u32 v3, vcc_lo, v3, v6
	v_sub_co_ci_u32_e64 v4, null, v4, v6, vcc_lo
	global_store_dwordx2 v[0:1], v[3:4], off
.LBB38_1115:
	s_andn2_b32 vcc_lo, exec_lo, s12
	s_cbranch_vccnz .LBB38_1117
; %bb.1116:
	s_waitcnt vmcnt(0)
	v_lshlrev_b32_e32 v3, 16, v2
	v_cvt_i32_f32_e32 v3, v3
	global_store_dword v[0:1], v3, off
.LBB38_1117:
	s_mov_b32 s12, 0
.LBB38_1118:
	s_andn2_b32 vcc_lo, exec_lo, s12
	s_cbranch_vccnz .LBB38_1120
; %bb.1119:
	s_waitcnt vmcnt(0)
	v_lshlrev_b32_e32 v3, 16, v2
	v_cvt_i32_f32_e32 v3, v3
	global_store_short v[0:1], v3, off
.LBB38_1120:
	s_mov_b32 s12, 0
.LBB38_1121:
	s_andn2_b32 vcc_lo, exec_lo, s12
	s_cbranch_vccnz .LBB38_1126
; %bb.1122:
	s_waitcnt vmcnt(0)
	v_lshlrev_b32_e32 v2, 16, v2
	s_sext_i32_i16 s1, s1
	s_cmp_gt_i32 s1, 0
	s_mov_b32 s1, -1
	s_cbranch_scc0 .LBB38_1124
; %bb.1123:
	v_cvt_i32_f32_e32 v3, v2
	s_mov_b32 s1, 0
	global_store_byte v[0:1], v3, off
.LBB38_1124:
	s_andn2_b32 vcc_lo, exec_lo, s1
	s_cbranch_vccnz .LBB38_1126
; %bb.1125:
	v_trunc_f32_e32 v2, v2
	v_mul_f32_e64 v3, 0x2f800000, |v2|
	v_floor_f32_e32 v3, v3
	v_fma_f32 v3, 0xcf800000, v3, |v2|
	v_ashrrev_i32_e32 v2, 31, v2
	v_cvt_u32_f32_e32 v3, v3
	v_xor_b32_e32 v3, v3, v2
	v_sub_nc_u32_e32 v2, v3, v2
	global_store_byte v[0:1], v2, off
.LBB38_1126:
	s_or_b32 exec_lo, exec_lo, s0
	s_and_b32 s12, s13, exec_lo
                                        ; implicit-def: $vgpr6
.LBB38_1127:
	s_or_saveexec_b32 s7, s7
	s_mov_b32 s0, 0
                                        ; implicit-def: $sgpr1
                                        ; implicit-def: $vgpr0_vgpr1
                                        ; implicit-def: $vgpr2
	s_xor_b32 exec_lo, exec_lo, s7
	s_cbranch_execz .LBB38_1820
; %bb.1128:
	v_mul_lo_u32 v8, s3, v6
	s_and_b32 s6, 0xffff, s6
	s_cmp_lt_i32 s6, 11
	v_ashrrev_i32_e32 v1, 31, v8
	v_add_co_u32 v0, vcc_lo, s10, v8
	v_add_co_ci_u32_e64 v1, null, s11, v1, vcc_lo
	s_cbranch_scc1 .LBB38_1135
; %bb.1129:
	s_cmp_gt_i32 s6, 25
	s_mov_b32 s1, 0
	s_cbranch_scc0 .LBB38_1137
; %bb.1130:
	s_cmp_gt_i32 s6, 28
	s_cbranch_scc0 .LBB38_1138
; %bb.1131:
	s_cmp_gt_i32 s6, 43
	;; [unrolled: 3-line block ×3, first 2 shown]
	s_cbranch_scc0 .LBB38_1140
; %bb.1133:
	s_cmp_eq_u32 s6, 46
	s_mov_b32 s5, 0
	s_cbranch_scc0 .LBB38_1143
; %bb.1134:
	global_load_dword v2, v[0:1], off
	s_mov_b32 s13, -1
	s_branch .LBB38_1145
.LBB38_1135:
	s_mov_b32 s13, 0
	s_mov_b32 s5, s12
                                        ; implicit-def: $vgpr2
	s_cbranch_execnz .LBB38_1208
.LBB38_1136:
	s_andn2_b32 vcc_lo, exec_lo, s13
	s_cbranch_vccz .LBB38_1253
	s_branch .LBB38_1818
.LBB38_1137:
	s_mov_b32 s13, 0
                                        ; implicit-def: $vgpr2
	s_cbranch_execnz .LBB38_1173
	s_branch .LBB38_1204
.LBB38_1138:
	s_mov_b32 s5, -1
	s_mov_b32 s13, 0
                                        ; implicit-def: $vgpr2
	s_branch .LBB38_1154
.LBB38_1139:
	s_mov_b32 s13, 0
                                        ; implicit-def: $vgpr2
	s_cbranch_execnz .LBB38_1150
	s_branch .LBB38_1153
.LBB38_1140:
	s_mov_b32 s5, -1
	s_branch .LBB38_1144
.LBB38_1141:
	s_andn2_saveexec_b32 s18, s18
	s_cbranch_execz .LBB38_1040
.LBB38_1142:
	v_add_f32_e64 v4, 0x46000000, |v5|
	s_andn2_b32 s17, s17, exec_lo
	v_and_b32_e32 v4, 0xff, v4
	v_cmp_ne_u32_e32 vcc_lo, 0, v4
	s_and_b32 s19, vcc_lo, exec_lo
	s_or_b32 s17, s17, s19
	s_or_b32 exec_lo, exec_lo, s18
	v_mov_b32_e32 v6, 0
	s_and_saveexec_b32 s18, s17
	s_cbranch_execnz .LBB38_1041
	s_branch .LBB38_1042
.LBB38_1143:
	s_mov_b32 s0, -1
.LBB38_1144:
	s_mov_b32 s13, 0
                                        ; implicit-def: $vgpr2
.LBB38_1145:
	s_and_b32 vcc_lo, exec_lo, s5
	s_cbranch_vccz .LBB38_1148
; %bb.1146:
	s_cmp_eq_u32 s6, 44
	s_cbranch_scc0 .LBB38_1149
; %bb.1147:
	global_load_ubyte v2, v[0:1], off
	s_mov_b32 s0, 0
	s_mov_b32 s13, -1
	s_waitcnt vmcnt(0)
	v_lshlrev_b32_e32 v3, 23, v2
	v_cmp_ne_u32_e32 vcc_lo, 0xff, v2
	v_cndmask_b32_e32 v3, 0x7f800001, v3, vcc_lo
	v_cmp_ne_u32_e32 vcc_lo, 0, v2
	v_cndmask_b32_e32 v2, 0x400000, v3, vcc_lo
	v_mov_b32_e32 v3, 0x7fc0
	v_cmp_o_f32_e32 vcc_lo, v2, v2
	v_add_nc_u32_e32 v2, 0x7fff, v2
	v_cndmask_b32_sdwa v2, v3, v2, vcc_lo dst_sel:DWORD dst_unused:UNUSED_PAD src0_sel:DWORD src1_sel:WORD_1
.LBB38_1148:
	s_branch .LBB38_1153
.LBB38_1149:
	s_mov_b32 s0, -1
                                        ; implicit-def: $vgpr2
	s_branch .LBB38_1153
.LBB38_1150:
	s_cmp_eq_u32 s6, 29
	s_cbranch_scc0 .LBB38_1152
; %bb.1151:
	global_load_dwordx2 v[2:3], v[0:1], off
	s_mov_b32 s0, 0
	s_mov_b32 s13, -1
	s_mov_b32 s5, 0
	s_waitcnt vmcnt(0)
	v_ffbh_u32_e32 v4, v3
	v_min_u32_e32 v4, 32, v4
	v_lshlrev_b64 v[2:3], v4, v[2:3]
	v_min_u32_e32 v2, 1, v2
	v_or_b32_e32 v2, v3, v2
	v_sub_nc_u32_e32 v3, 32, v4
	v_cvt_f32_u32_e32 v2, v2
	v_ldexp_f32 v2, v2, v3
	v_bfe_u32 v3, v2, 16, 1
	v_add3_u32 v2, v2, v3, 0x7fff
	v_lshrrev_b32_e32 v2, 16, v2
	s_branch .LBB38_1154
.LBB38_1152:
	s_mov_b32 s0, -1
                                        ; implicit-def: $vgpr2
.LBB38_1153:
	s_mov_b32 s5, 0
.LBB38_1154:
	s_and_b32 vcc_lo, exec_lo, s5
	s_cbranch_vccz .LBB38_1172
; %bb.1155:
	s_cmp_lt_i32 s6, 27
	s_cbranch_scc1 .LBB38_1158
; %bb.1156:
	s_cmp_gt_i32 s6, 27
	s_cbranch_scc0 .LBB38_1159
; %bb.1157:
	global_load_dword v2, v[0:1], off
	s_mov_b32 s5, 0
	s_waitcnt vmcnt(0)
	v_cvt_f32_u32_e32 v2, v2
	v_bfe_u32 v3, v2, 16, 1
	v_add3_u32 v2, v2, v3, 0x7fff
	v_lshrrev_b32_e32 v2, 16, v2
	s_branch .LBB38_1160
.LBB38_1158:
	s_mov_b32 s5, -1
                                        ; implicit-def: $vgpr2
	s_branch .LBB38_1163
.LBB38_1159:
	s_mov_b32 s5, -1
                                        ; implicit-def: $vgpr2
.LBB38_1160:
	s_andn2_b32 vcc_lo, exec_lo, s5
	s_cbranch_vccnz .LBB38_1162
; %bb.1161:
	global_load_ushort v2, v[0:1], off
	s_waitcnt vmcnt(0)
	v_cvt_f32_u32_e32 v2, v2
	v_bfe_u32 v3, v2, 16, 1
	v_add3_u32 v2, v2, v3, 0x7fff
	v_lshrrev_b32_e32 v2, 16, v2
.LBB38_1162:
	s_mov_b32 s5, 0
.LBB38_1163:
	s_andn2_b32 vcc_lo, exec_lo, s5
	s_cbranch_vccnz .LBB38_1171
; %bb.1164:
	global_load_ubyte v2, v[0:1], off
	s_mov_b32 s5, 0
	s_mov_b32 s13, exec_lo
	s_waitcnt vmcnt(0)
	v_cmpx_lt_i16_e32 0x7f, v2
	s_xor_b32 s13, exec_lo, s13
	s_cbranch_execz .LBB38_1184
; %bb.1165:
	s_mov_b32 s5, -1
	s_mov_b32 s14, exec_lo
	v_cmpx_eq_u16_e32 0x80, v2
; %bb.1166:
	s_xor_b32 s5, exec_lo, -1
; %bb.1167:
	s_or_b32 exec_lo, exec_lo, s14
	s_and_b32 s5, s5, exec_lo
	s_or_saveexec_b32 s13, s13
	v_mov_b32_e32 v3, 0x7f800001
	s_xor_b32 exec_lo, exec_lo, s13
	s_cbranch_execnz .LBB38_1185
.LBB38_1168:
	s_or_b32 exec_lo, exec_lo, s13
	s_and_saveexec_b32 s13, s5
	s_cbranch_execz .LBB38_1170
.LBB38_1169:
	v_and_b32_e32 v3, 0xffff, v2
	v_lshlrev_b32_e32 v2, 24, v2
	v_and_b32_e32 v4, 7, v3
	v_bfe_u32 v9, v3, 3, 4
	v_and_b32_e32 v2, 0x80000000, v2
	v_ffbh_u32_e32 v5, v4
	v_cmp_eq_u32_e32 vcc_lo, 0, v9
	v_min_u32_e32 v5, 32, v5
	v_subrev_nc_u32_e32 v7, 28, v5
	v_sub_nc_u32_e32 v5, 29, v5
	v_lshlrev_b32_e32 v3, v7, v3
	v_cndmask_b32_e32 v5, v9, v5, vcc_lo
	v_and_b32_e32 v3, 7, v3
	v_cndmask_b32_e32 v3, v4, v3, vcc_lo
	v_lshl_add_u32 v4, v5, 23, 0x3b800000
	v_lshlrev_b32_e32 v3, 20, v3
	v_or3_b32 v3, v2, v4, v3
.LBB38_1170:
	s_or_b32 exec_lo, exec_lo, s13
	v_bfe_u32 v2, v3, 16, 1
	v_cmp_o_f32_e32 vcc_lo, v3, v3
	v_add3_u32 v2, v3, v2, 0x7fff
	v_mov_b32_e32 v3, 0x7fc0
	v_cndmask_b32_sdwa v2, v3, v2, vcc_lo dst_sel:DWORD dst_unused:UNUSED_PAD src0_sel:DWORD src1_sel:WORD_1
.LBB38_1171:
	s_mov_b32 s13, -1
.LBB38_1172:
	s_branch .LBB38_1204
.LBB38_1173:
	s_cmp_gt_i32 s6, 22
	s_cbranch_scc0 .LBB38_1183
; %bb.1174:
	s_cmp_lt_i32 s6, 24
	s_cbranch_scc1 .LBB38_1186
; %bb.1175:
	s_cmp_gt_i32 s6, 24
	s_cbranch_scc0 .LBB38_1187
; %bb.1176:
	global_load_ubyte v2, v[0:1], off
	s_mov_b32 s5, exec_lo
	s_waitcnt vmcnt(0)
	v_cmpx_lt_i16_e32 0x7f, v2
	s_xor_b32 s5, exec_lo, s5
	s_cbranch_execz .LBB38_1198
; %bb.1177:
	s_mov_b32 s1, -1
	s_mov_b32 s13, exec_lo
	v_cmpx_eq_u16_e32 0x80, v2
; %bb.1178:
	s_xor_b32 s1, exec_lo, -1
; %bb.1179:
	s_or_b32 exec_lo, exec_lo, s13
	s_and_b32 s1, s1, exec_lo
	s_or_saveexec_b32 s5, s5
	v_mov_b32_e32 v3, 0x7f800001
	s_xor_b32 exec_lo, exec_lo, s5
	s_cbranch_execnz .LBB38_1199
.LBB38_1180:
	s_or_b32 exec_lo, exec_lo, s5
	s_and_saveexec_b32 s5, s1
	s_cbranch_execz .LBB38_1182
.LBB38_1181:
	v_and_b32_e32 v3, 0xffff, v2
	v_lshlrev_b32_e32 v2, 24, v2
	v_and_b32_e32 v4, 3, v3
	v_bfe_u32 v9, v3, 2, 5
	v_and_b32_e32 v2, 0x80000000, v2
	v_ffbh_u32_e32 v5, v4
	v_cmp_eq_u32_e32 vcc_lo, 0, v9
	v_min_u32_e32 v5, 32, v5
	v_subrev_nc_u32_e32 v7, 29, v5
	v_sub_nc_u32_e32 v5, 30, v5
	v_lshlrev_b32_e32 v3, v7, v3
	v_cndmask_b32_e32 v5, v9, v5, vcc_lo
	v_and_b32_e32 v3, 3, v3
	v_cndmask_b32_e32 v3, v4, v3, vcc_lo
	v_lshl_add_u32 v4, v5, 23, 0x37800000
	v_lshlrev_b32_e32 v3, 21, v3
	v_or3_b32 v3, v2, v4, v3
.LBB38_1182:
	s_or_b32 exec_lo, exec_lo, s5
	v_bfe_u32 v2, v3, 16, 1
	v_cmp_o_f32_e32 vcc_lo, v3, v3
	s_mov_b32 s1, 0
	v_add3_u32 v2, v3, v2, 0x7fff
	v_mov_b32_e32 v3, 0x7fc0
	v_cndmask_b32_sdwa v2, v3, v2, vcc_lo dst_sel:DWORD dst_unused:UNUSED_PAD src0_sel:DWORD src1_sel:WORD_1
	s_branch .LBB38_1188
.LBB38_1183:
                                        ; implicit-def: $vgpr2
	s_mov_b32 s1, 0
	s_branch .LBB38_1194
.LBB38_1184:
	s_or_saveexec_b32 s13, s13
	v_mov_b32_e32 v3, 0x7f800001
	s_xor_b32 exec_lo, exec_lo, s13
	s_cbranch_execz .LBB38_1168
.LBB38_1185:
	v_cmp_ne_u16_e32 vcc_lo, 0, v2
	v_mov_b32_e32 v3, 0
	s_andn2_b32 s5, s5, exec_lo
	s_and_b32 s14, vcc_lo, exec_lo
	s_or_b32 s5, s5, s14
	s_or_b32 exec_lo, exec_lo, s13
	s_and_saveexec_b32 s13, s5
	s_cbranch_execnz .LBB38_1169
	s_branch .LBB38_1170
.LBB38_1186:
	s_mov_b32 s1, -1
                                        ; implicit-def: $vgpr2
	s_branch .LBB38_1191
.LBB38_1187:
	s_mov_b32 s1, -1
                                        ; implicit-def: $vgpr2
.LBB38_1188:
	s_and_b32 vcc_lo, exec_lo, s1
	s_cbranch_vccz .LBB38_1190
; %bb.1189:
	global_load_ubyte v2, v[0:1], off
	s_waitcnt vmcnt(0)
	v_lshlrev_b32_e32 v2, 24, v2
	v_and_b32_e32 v3, 0x7f000000, v2
	v_ffbh_u32_e32 v4, v3
	v_add_nc_u32_e32 v7, 0x1000000, v3
	v_cmp_ne_u32_e32 vcc_lo, 0, v3
	v_min_u32_e32 v4, 32, v4
	v_sub_nc_u32_e64 v4, v4, 4 clamp
	v_lshlrev_b32_e32 v5, v4, v3
	v_lshlrev_b32_e32 v4, 23, v4
	v_lshrrev_b32_e32 v5, 4, v5
	v_sub_nc_u32_e32 v4, v5, v4
	v_ashrrev_i32_e32 v5, 8, v7
	v_add_nc_u32_e32 v4, 0x3c000000, v4
	v_and_or_b32 v4, 0x7f800000, v5, v4
	v_cndmask_b32_e32 v3, 0, v4, vcc_lo
	v_and_or_b32 v2, 0x80000000, v2, v3
	v_bfe_u32 v3, v3, 16, 1
	v_cmp_o_f32_e32 vcc_lo, v2, v2
	v_add3_u32 v2, v2, v3, 0x7fff
	v_mov_b32_e32 v3, 0x7fc0
	v_cndmask_b32_sdwa v2, v3, v2, vcc_lo dst_sel:DWORD dst_unused:UNUSED_PAD src0_sel:DWORD src1_sel:WORD_1
.LBB38_1190:
	s_mov_b32 s1, 0
.LBB38_1191:
	s_andn2_b32 vcc_lo, exec_lo, s1
	s_cbranch_vccnz .LBB38_1193
; %bb.1192:
	global_load_ubyte v2, v[0:1], off
	s_waitcnt vmcnt(0)
	v_lshlrev_b32_e32 v3, 25, v2
	v_lshlrev_b16 v2, 8, v2
	v_lshrrev_b32_e32 v4, 4, v3
	v_and_or_b32 v5, 0x7f00, v2, 0.5
	v_cmp_gt_u32_e32 vcc_lo, 0x8000000, v3
	v_bfe_i32 v2, v2, 0, 16
	v_or_b32_e32 v4, 0x70000000, v4
	v_add_f32_e32 v5, -0.5, v5
	v_mul_f32_e32 v4, 0x7800000, v4
	v_cndmask_b32_e32 v3, v4, v5, vcc_lo
	v_and_or_b32 v2, 0x80000000, v2, v3
	v_bfe_u32 v3, v3, 16, 1
	v_cmp_o_f32_e32 vcc_lo, v2, v2
	v_add3_u32 v2, v2, v3, 0x7fff
	v_mov_b32_e32 v3, 0x7fc0
	v_cndmask_b32_sdwa v2, v3, v2, vcc_lo dst_sel:DWORD dst_unused:UNUSED_PAD src0_sel:DWORD src1_sel:WORD_1
.LBB38_1193:
	s_mov_b32 s13, -1
	s_mov_b32 s1, 0
	s_cbranch_execnz .LBB38_1204
.LBB38_1194:
	s_cmp_gt_i32 s6, 14
	s_cbranch_scc0 .LBB38_1197
; %bb.1195:
	s_cmp_eq_u32 s6, 15
	s_cbranch_scc0 .LBB38_1200
; %bb.1196:
	global_load_ushort v2, v[0:1], off
	s_mov_b32 s0, 0
	s_mov_b32 s13, -1
	s_branch .LBB38_1202
.LBB38_1197:
	s_mov_b32 s1, -1
	s_branch .LBB38_1201
.LBB38_1198:
	s_or_saveexec_b32 s5, s5
	v_mov_b32_e32 v3, 0x7f800001
	s_xor_b32 exec_lo, exec_lo, s5
	s_cbranch_execz .LBB38_1180
.LBB38_1199:
	v_cmp_ne_u16_e32 vcc_lo, 0, v2
	v_mov_b32_e32 v3, 0
	s_andn2_b32 s1, s1, exec_lo
	s_and_b32 s13, vcc_lo, exec_lo
	s_or_b32 s1, s1, s13
	s_or_b32 exec_lo, exec_lo, s5
	s_and_saveexec_b32 s5, s1
	s_cbranch_execnz .LBB38_1181
	s_branch .LBB38_1182
.LBB38_1200:
	s_mov_b32 s0, -1
.LBB38_1201:
                                        ; implicit-def: $vgpr2
.LBB38_1202:
	s_and_b32 vcc_lo, exec_lo, s1
	s_mov_b32 s1, 0
	s_cbranch_vccz .LBB38_1204
; %bb.1203:
	s_cmp_lg_u32 s6, 11
	s_mov_b32 s1, -1
	s_cselect_b32 s0, -1, 0
.LBB38_1204:
	s_and_b32 vcc_lo, exec_lo, s0
	s_mov_b32 s5, s12
	s_cbranch_vccnz .LBB38_1289
; %bb.1205:
	s_andn2_b32 vcc_lo, exec_lo, s1
	s_cbranch_vccnz .LBB38_1207
.LBB38_1206:
	global_load_ubyte v2, v[0:1], off
	s_mov_b32 s13, -1
	s_waitcnt vmcnt(0)
	v_cmp_ne_u16_e32 vcc_lo, 0, v2
	v_cndmask_b32_e64 v2, 0, 1.0, vcc_lo
	v_lshrrev_b32_e32 v2, 16, v2
.LBB38_1207:
	s_branch .LBB38_1136
.LBB38_1208:
	s_cmp_lt_i32 s6, 5
	s_cbranch_scc1 .LBB38_1213
; %bb.1209:
	s_cmp_lt_i32 s6, 8
	s_cbranch_scc1 .LBB38_1214
; %bb.1210:
	;; [unrolled: 3-line block ×3, first 2 shown]
	s_cmp_gt_i32 s6, 9
	s_cbranch_scc0 .LBB38_1216
; %bb.1212:
	global_load_dwordx2 v[2:3], v[0:1], off
	s_mov_b32 s0, 0
	s_waitcnt vmcnt(0)
	v_cvt_f32_f64_e32 v2, v[2:3]
	v_bfe_u32 v3, v2, 16, 1
	v_cmp_o_f32_e32 vcc_lo, v2, v2
	v_add3_u32 v2, v2, v3, 0x7fff
	v_mov_b32_e32 v3, 0x7fc0
	v_cndmask_b32_sdwa v2, v3, v2, vcc_lo dst_sel:DWORD dst_unused:UNUSED_PAD src0_sel:DWORD src1_sel:WORD_1
	s_branch .LBB38_1217
.LBB38_1213:
                                        ; implicit-def: $vgpr2
	s_branch .LBB38_1234
.LBB38_1214:
                                        ; implicit-def: $vgpr2
	s_branch .LBB38_1223
.LBB38_1215:
	s_mov_b32 s0, -1
                                        ; implicit-def: $vgpr2
	s_branch .LBB38_1220
.LBB38_1216:
	s_mov_b32 s0, -1
                                        ; implicit-def: $vgpr2
.LBB38_1217:
	s_andn2_b32 vcc_lo, exec_lo, s0
	s_cbranch_vccnz .LBB38_1219
; %bb.1218:
	global_load_dword v2, v[0:1], off
	s_waitcnt vmcnt(0)
	v_bfe_u32 v3, v2, 16, 1
	v_cmp_o_f32_e32 vcc_lo, v2, v2
	v_add3_u32 v2, v2, v3, 0x7fff
	v_mov_b32_e32 v3, 0x7fc0
	v_cndmask_b32_sdwa v2, v3, v2, vcc_lo dst_sel:DWORD dst_unused:UNUSED_PAD src0_sel:DWORD src1_sel:WORD_1
.LBB38_1219:
	s_mov_b32 s0, 0
.LBB38_1220:
	s_andn2_b32 vcc_lo, exec_lo, s0
	s_cbranch_vccnz .LBB38_1222
; %bb.1221:
	global_load_dword v2, v[0:1], off
	s_waitcnt vmcnt(0)
	v_cvt_f32_f16_e32 v3, v2
	v_cmp_o_f16_e32 vcc_lo, v2, v2
	v_bfe_u32 v4, v3, 16, 1
	v_add3_u32 v2, v3, v4, 0x7fff
	v_mov_b32_e32 v3, 0x7fc0
	v_cndmask_b32_sdwa v2, v3, v2, vcc_lo dst_sel:DWORD dst_unused:UNUSED_PAD src0_sel:DWORD src1_sel:WORD_1
.LBB38_1222:
	s_cbranch_execnz .LBB38_1233
.LBB38_1223:
	s_cmp_lt_i32 s6, 6
	s_cbranch_scc1 .LBB38_1226
; %bb.1224:
	s_cmp_gt_i32 s6, 6
	s_cbranch_scc0 .LBB38_1227
; %bb.1225:
	global_load_dwordx2 v[2:3], v[0:1], off
	s_mov_b32 s0, 0
	s_waitcnt vmcnt(0)
	v_cvt_f32_f64_e32 v2, v[2:3]
	v_bfe_u32 v3, v2, 16, 1
	v_cmp_o_f32_e32 vcc_lo, v2, v2
	v_add3_u32 v2, v2, v3, 0x7fff
	v_mov_b32_e32 v3, 0x7fc0
	v_cndmask_b32_sdwa v2, v3, v2, vcc_lo dst_sel:DWORD dst_unused:UNUSED_PAD src0_sel:DWORD src1_sel:WORD_1
	s_branch .LBB38_1228
.LBB38_1226:
	s_mov_b32 s0, -1
                                        ; implicit-def: $vgpr2
	s_branch .LBB38_1231
.LBB38_1227:
	s_mov_b32 s0, -1
                                        ; implicit-def: $vgpr2
.LBB38_1228:
	s_andn2_b32 vcc_lo, exec_lo, s0
	s_cbranch_vccnz .LBB38_1230
; %bb.1229:
	global_load_dword v2, v[0:1], off
	s_waitcnt vmcnt(0)
	v_bfe_u32 v3, v2, 16, 1
	v_cmp_o_f32_e32 vcc_lo, v2, v2
	v_add3_u32 v2, v2, v3, 0x7fff
	v_mov_b32_e32 v3, 0x7fc0
	v_cndmask_b32_sdwa v2, v3, v2, vcc_lo dst_sel:DWORD dst_unused:UNUSED_PAD src0_sel:DWORD src1_sel:WORD_1
.LBB38_1230:
	s_mov_b32 s0, 0
.LBB38_1231:
	s_andn2_b32 vcc_lo, exec_lo, s0
	s_cbranch_vccnz .LBB38_1233
; %bb.1232:
	global_load_ushort v2, v[0:1], off
	s_waitcnt vmcnt(0)
	v_cvt_f32_f16_e32 v3, v2
	v_cmp_o_f16_e32 vcc_lo, v2, v2
	v_bfe_u32 v4, v3, 16, 1
	v_add3_u32 v2, v3, v4, 0x7fff
	v_mov_b32_e32 v3, 0x7fc0
	v_cndmask_b32_sdwa v2, v3, v2, vcc_lo dst_sel:DWORD dst_unused:UNUSED_PAD src0_sel:DWORD src1_sel:WORD_1
.LBB38_1233:
	s_cbranch_execnz .LBB38_1252
.LBB38_1234:
	s_cmp_lt_i32 s6, 2
	s_cbranch_scc1 .LBB38_1238
; %bb.1235:
	s_cmp_lt_i32 s6, 3
	s_cbranch_scc1 .LBB38_1239
; %bb.1236:
	s_cmp_gt_i32 s6, 3
	s_cbranch_scc0 .LBB38_1240
; %bb.1237:
	global_load_dwordx2 v[2:3], v[0:1], off
	s_mov_b32 s0, 0
	s_waitcnt vmcnt(0)
	v_xor_b32_e32 v4, v2, v3
	v_ffbh_i32_e32 v5, v3
	v_ashrrev_i32_e32 v4, 31, v4
	v_add_nc_u32_e32 v5, -1, v5
	v_add_nc_u32_e32 v4, 32, v4
	v_min_u32_e32 v4, v5, v4
	v_lshlrev_b64 v[2:3], v4, v[2:3]
	v_min_u32_e32 v2, 1, v2
	v_or_b32_e32 v2, v3, v2
	v_sub_nc_u32_e32 v3, 32, v4
	v_cvt_f32_i32_e32 v2, v2
	v_ldexp_f32 v2, v2, v3
	v_bfe_u32 v3, v2, 16, 1
	v_add3_u32 v2, v2, v3, 0x7fff
	v_lshrrev_b32_e32 v2, 16, v2
	s_branch .LBB38_1241
.LBB38_1238:
                                        ; implicit-def: $vgpr2
	s_branch .LBB38_1247
.LBB38_1239:
	s_mov_b32 s0, -1
                                        ; implicit-def: $vgpr2
	s_branch .LBB38_1244
.LBB38_1240:
	s_mov_b32 s0, -1
                                        ; implicit-def: $vgpr2
.LBB38_1241:
	s_andn2_b32 vcc_lo, exec_lo, s0
	s_cbranch_vccnz .LBB38_1243
; %bb.1242:
	global_load_dword v2, v[0:1], off
	s_waitcnt vmcnt(0)
	v_cvt_f32_i32_e32 v2, v2
	v_bfe_u32 v3, v2, 16, 1
	v_add3_u32 v2, v2, v3, 0x7fff
	v_lshrrev_b32_e32 v2, 16, v2
.LBB38_1243:
	s_mov_b32 s0, 0
.LBB38_1244:
	s_andn2_b32 vcc_lo, exec_lo, s0
	s_cbranch_vccnz .LBB38_1246
; %bb.1245:
	global_load_sshort v2, v[0:1], off
	s_waitcnt vmcnt(0)
	v_cvt_f32_i32_e32 v2, v2
	v_bfe_u32 v3, v2, 16, 1
	v_add3_u32 v2, v2, v3, 0x7fff
	v_lshrrev_b32_e32 v2, 16, v2
.LBB38_1246:
	s_cbranch_execnz .LBB38_1252
.LBB38_1247:
	s_cmp_gt_i32 s6, 0
	s_mov_b32 s0, 0
	s_cbranch_scc0 .LBB38_1249
; %bb.1248:
	global_load_sbyte v2, v[0:1], off
	s_waitcnt vmcnt(0)
	v_cvt_f32_i32_e32 v2, v2
	v_bfe_u32 v3, v2, 16, 1
	v_add3_u32 v2, v2, v3, 0x7fff
	v_lshrrev_b32_e32 v2, 16, v2
	s_branch .LBB38_1250
.LBB38_1249:
	s_mov_b32 s0, -1
                                        ; implicit-def: $vgpr2
.LBB38_1250:
	s_andn2_b32 vcc_lo, exec_lo, s0
	s_cbranch_vccnz .LBB38_1252
; %bb.1251:
	global_load_ubyte v0, v[0:1], off
	s_waitcnt vmcnt(0)
	v_cvt_f32_ubyte0_e32 v0, v0
	v_bfe_u32 v1, v0, 16, 1
	v_add3_u32 v0, v0, v1, 0x7fff
	v_lshrrev_b32_e32 v2, 16, v0
.LBB38_1252:
.LBB38_1253:
	s_waitcnt vmcnt(0)
	v_lshlrev_b32_e32 v9, 16, v2
                                        ; implicit-def: $vgpr7
	s_mov_b32 s0, exec_lo
	v_cmpx_neq_f32_e32 0, v9
	s_xor_b32 s13, exec_lo, s0
	s_cbranch_execz .LBB38_1275
; %bb.1254:
	v_mov_b32_e32 v0, 0
	s_mov_b32 s0, -1
	s_mov_b32 s14, exec_lo
	v_cmpx_gt_f32_e32 0, v9
	s_cbranch_execz .LBB38_1262
; %bb.1255:
	v_trunc_f32_e32 v0, v9
	s_mov_b32 s1, 0
	v_cmp_neq_f32_e32 vcc_lo, v0, v9
	v_mov_b32_e32 v0, 0
	s_and_saveexec_b32 s15, vcc_lo
	s_cbranch_execz .LBB38_1261
; %bb.1256:
	v_cvt_f64_f32_e32 v[0:1], v9
	s_mov_b32 s1, 0xc00921fb
	s_mov_b32 s0, 0x54442d18
	s_mov_b32 s16, exec_lo
                                        ; implicit-def: $vgpr7
                                        ; implicit-def: $vgpr4_vgpr5
	v_trunc_f64_e32 v[2:3], v[0:1]
	v_cmp_neq_f64_e64 vcc_lo, 0x7ff00000, |v[0:1]|
	v_add_f64 v[2:3], v[0:1], -v[2:3]
	v_mul_f64 v[2:3], |v[2:3]|, s[0:1]
	v_cndmask_b32_e32 v1, 0x80000000, v3, vcc_lo
	v_cndmask_b32_e32 v0, 0, v2, vcc_lo
                                        ; implicit-def: $vgpr2_vgpr3
	v_cmpx_ngt_f64_e64 0x41d00000, |v[0:1]|
	s_xor_b32 s16, exec_lo, s16
	s_cbranch_execz .LBB38_1258
; %bb.1257:
	v_ldexp_f64 v[2:3], |v[0:1]|, 0xffffff80
	v_cmp_le_f64_e64 vcc_lo, 0x7b000000, |v[0:1]|
	v_trig_preop_f64 v[4:5], |v[0:1]|, 0
	v_and_b32_e32 v7, 0x7fffffff, v1
	v_trig_preop_f64 v[10:11], |v[0:1]|, 1
	v_trig_preop_f64 v[20:21], |v[0:1]|, 2
	v_mov_b32_e32 v28, 0
	s_mov_b32 s1, 0x3ff921fb
	s_mov_b32 s18, 0x33145c07
	;; [unrolled: 1-line block ×3, first 2 shown]
	v_cndmask_b32_e32 v3, v7, v3, vcc_lo
	v_cndmask_b32_e32 v2, v0, v2, vcc_lo
	v_mul_f64 v[12:13], v[4:5], v[2:3]
	v_mul_f64 v[14:15], v[10:11], v[2:3]
	;; [unrolled: 1-line block ×3, first 2 shown]
	v_fma_f64 v[4:5], v[4:5], v[2:3], -v[12:13]
	v_fma_f64 v[10:11], v[10:11], v[2:3], -v[14:15]
	;; [unrolled: 1-line block ×3, first 2 shown]
	v_add_f64 v[16:17], v[14:15], v[4:5]
	v_add_f64 v[18:19], v[16:17], -v[14:15]
	v_add_f64 v[24:25], v[12:13], v[16:17]
	v_add_f64 v[22:23], v[16:17], -v[18:19]
	v_add_f64 v[4:5], v[4:5], -v[18:19]
	v_ldexp_f64 v[18:19], v[24:25], -2
	v_add_f64 v[12:13], v[24:25], -v[12:13]
	v_add_f64 v[14:15], v[14:15], -v[22:23]
	v_add_f64 v[22:23], v[26:27], v[10:11]
	v_cmp_neq_f64_e64 vcc_lo, 0x7ff00000, |v[18:19]|
	v_add_f64 v[12:13], v[16:17], -v[12:13]
	v_add_f64 v[4:5], v[4:5], v[14:15]
	v_fract_f64_e32 v[14:15], v[18:19]
	v_add_f64 v[16:17], v[22:23], v[4:5]
	v_ldexp_f64 v[14:15], v[14:15], 2
	v_add_f64 v[18:19], v[12:13], v[16:17]
	v_cndmask_b32_e32 v15, 0, v15, vcc_lo
	v_cndmask_b32_e32 v14, 0, v14, vcc_lo
	v_add_f64 v[24:25], v[18:19], v[14:15]
	v_add_f64 v[12:13], v[18:19], -v[12:13]
	v_cmp_gt_f64_e32 vcc_lo, 0, v[24:25]
	v_add_f64 v[24:25], v[22:23], -v[26:27]
	v_add_f64 v[12:13], v[16:17], -v[12:13]
	v_cndmask_b32_e64 v29, 0, 0x40100000, vcc_lo
	v_add_f64 v[33:34], v[22:23], -v[24:25]
	v_add_f64 v[10:11], v[10:11], -v[24:25]
	v_add_f64 v[14:15], v[14:15], v[28:29]
	v_add_f64 v[29:30], v[16:17], -v[22:23]
	v_add_f64 v[24:25], v[26:27], -v[33:34]
	v_add_f64 v[31:32], v[18:19], v[14:15]
	;; [unrolled: 3-line block ×3, first 2 shown]
	v_cvt_i32_f64_e32 v7, v[31:32]
	v_add_f64 v[22:23], v[22:23], -v[35:36]
	v_cvt_f64_i32_e32 v[29:30], v7
	v_add_f64 v[4:5], v[4:5], v[22:23]
	v_add_f64 v[14:15], v[14:15], -v[29:30]
	v_add_f64 v[4:5], v[10:11], v[4:5]
	v_add_f64 v[10:11], v[18:19], v[14:15]
	;; [unrolled: 1-line block ×3, first 2 shown]
	v_add_f64 v[4:5], v[10:11], -v[14:15]
	v_cmp_le_f64_e32 vcc_lo, 0.5, v[10:11]
	v_add_f64 v[2:3], v[12:13], v[2:3]
	v_add_f64 v[4:5], v[18:19], -v[4:5]
	v_cndmask_b32_e64 v29, 0, 0x3ff00000, vcc_lo
	v_add_co_ci_u32_e64 v7, null, 0, v7, vcc_lo
	v_add_f64 v[2:3], v[2:3], v[4:5]
	v_add_f64 v[4:5], v[10:11], -v[28:29]
	v_add_f64 v[10:11], v[4:5], v[2:3]
	v_mul_f64 v[12:13], v[10:11], s[0:1]
	v_add_f64 v[4:5], v[10:11], -v[4:5]
	v_fma_f64 v[14:15], v[10:11], s[0:1], -v[12:13]
	v_add_f64 v[2:3], v[2:3], -v[4:5]
	v_fma_f64 v[4:5], v[10:11], s[18:19], v[14:15]
	v_fma_f64 v[4:5], v[2:3], s[0:1], v[4:5]
	v_add_f64 v[2:3], v[12:13], v[4:5]
	v_add_f64 v[10:11], v[2:3], -v[12:13]
	v_add_f64 v[4:5], v[4:5], -v[10:11]
.LBB38_1258:
	s_andn2_saveexec_b32 s0, s16
	s_cbranch_execz .LBB38_1260
; %bb.1259:
	s_mov_b32 s16, 0x6dc9c883
	s_mov_b32 s17, 0x3fe45f30
	;; [unrolled: 1-line block ×3, first 2 shown]
	v_mul_f64 v[2:3], |v[0:1]|, s[16:17]
	s_mov_b32 s16, 0x54442d18
	s_mov_b32 s17, 0xbff921fb
	;; [unrolled: 1-line block ×3, first 2 shown]
	v_rndne_f64_e32 v[10:11], v[2:3]
	v_fma_f64 v[2:3], v[10:11], s[16:17], |v[0:1]|
	v_mul_f64 v[4:5], v[10:11], s[18:19]
	s_mov_b32 s16, 0x252049c0
	s_mov_b32 s17, 0xb97b839a
	v_cvt_i32_f64_e32 v7, v[10:11]
	v_fma_f64 v[14:15], v[10:11], s[18:19], v[2:3]
	v_add_f64 v[12:13], v[2:3], v[4:5]
	s_mov_b32 s19, 0x3c91a626
	v_add_f64 v[2:3], v[2:3], -v[12:13]
	v_add_f64 v[12:13], v[12:13], -v[14:15]
	v_add_f64 v[2:3], v[2:3], v[4:5]
	v_fma_f64 v[4:5], v[10:11], s[18:19], v[4:5]
	v_add_f64 v[2:3], v[12:13], v[2:3]
	v_add_f64 v[2:3], v[2:3], -v[4:5]
	v_fma_f64 v[4:5], v[10:11], s[16:17], v[2:3]
	v_add_f64 v[2:3], v[14:15], v[4:5]
	v_add_f64 v[12:13], v[2:3], -v[14:15]
	v_add_f64 v[4:5], v[4:5], -v[12:13]
.LBB38_1260:
	s_or_b32 exec_lo, exec_lo, s0
	v_mul_f64 v[10:11], v[2:3], v[2:3]
	v_add_f64 v[12:13], v[4:5], v[4:5]
	s_mov_b32 s16, 0xa9a29f71
	s_mov_b32 s18, 0xc751c08c
	;; [unrolled: 1-line block ×4, first 2 shown]
	v_cmp_class_f64_e64 s0, v[0:1], 0x1f8
	v_and_b32_e32 v7, 1, v7
	v_and_b32_e32 v1, 0x80000000, v1
	v_sub_f32_e32 v9, 1.0, v9
	s_mov_b32 s1, exec_lo
	v_cmp_eq_u32_e32 vcc_lo, 0, v7
	v_fma_f64 v[14:15], v[2:3], v[2:3], -v[10:11]
	v_fma_f64 v[12:13], v[2:3], v[12:13], v[14:15]
	v_add_f64 v[10:11], v[10:11], v[12:13]
	v_fma_f64 v[12:13], v[10:11], s[18:19], s[16:17]
	s_mov_b32 s16, 0x90a8aae0
	s_mov_b32 s17, 0x3f17746f
	v_fma_f64 v[12:13], v[10:11], v[12:13], s[16:17]
	s_mov_b32 s16, 0xa6fbf144
	s_mov_b32 s17, 0xbefbb44d
	v_fma_f64 v[12:13], v[10:11], v[12:13], s[16:17]
	s_mov_b32 s16, 0xa7943acf
	s_mov_b32 s17, 0x3f21e634
	v_fma_f64 v[12:13], v[10:11], v[12:13], s[16:17]
	s_mov_b32 s16, 0xdeb68feb
	s_mov_b32 s17, 0x3f2d250f
	v_fma_f64 v[12:13], v[10:11], v[12:13], s[16:17]
	s_mov_b32 s16, 0xb58c4d95
	s_mov_b32 s17, 0x3f437fd9
	v_fma_f64 v[12:13], v[10:11], v[12:13], s[16:17]
	s_mov_b32 s16, 0x15120e2c
	s_mov_b32 s17, 0x3f57d5af
	v_fma_f64 v[12:13], v[10:11], v[12:13], s[16:17]
	s_mov_b32 s16, 0xe09491df
	s_mov_b32 s17, 0x3f6d6d93
	v_fma_f64 v[12:13], v[10:11], v[12:13], s[16:17]
	s_mov_b32 s16, 0x2033784d
	s_mov_b32 s17, 0x3f8226e1
	v_fma_f64 v[12:13], v[10:11], v[12:13], s[16:17]
	s_mov_b32 s16, 0x9ac36ae2
	s_mov_b32 s17, 0x3f9664f4
	v_fma_f64 v[12:13], v[10:11], v[12:13], s[16:17]
	s_mov_b32 s16, 0x1b451c21
	s_mov_b32 s17, 0x3faba1ba
	v_fma_f64 v[12:13], v[10:11], v[12:13], s[16:17]
	s_mov_b32 s16, 0x111185b7
	s_mov_b32 s17, 0x3fc11111
	v_fma_f64 v[12:13], v[10:11], v[12:13], s[16:17]
	s_mov_b32 s16, 0x555554ee
	s_mov_b32 s17, 0x3fd55555
	v_fma_f64 v[12:13], v[10:11], v[12:13], s[16:17]
	s_mov_b32 s16, 0x54442d18
	s_mov_b32 s17, 0xc00921fb
	v_mul_f64 v[10:11], v[10:11], v[12:13]
	v_mul_f64 v[12:13], v[2:3], v[10:11]
	v_add_f64 v[14:15], v[2:3], v[12:13]
	v_fma_f64 v[10:11], v[2:3], v[10:11], -v[12:13]
	v_add_f64 v[2:3], v[14:15], -v[2:3]
	v_add_f64 v[4:5], v[4:5], v[10:11]
	v_add_f64 v[2:3], v[12:13], -v[2:3]
	v_add_f64 v[2:3], v[4:5], v[2:3]
	v_add_f64 v[4:5], v[14:15], v[2:3]
	v_rcp_f64_e32 v[10:11], v[4:5]
	v_fma_f64 v[12:13], -v[4:5], v[10:11], 1.0
	v_fma_f64 v[10:11], v[12:13], v[10:11], v[10:11]
	v_fma_f64 v[12:13], -v[4:5], v[10:11], 1.0
	v_fma_f64 v[10:11], v[12:13], v[10:11], v[10:11]
	v_add_f64 v[12:13], v[4:5], -v[14:15]
	v_mul_f64 v[14:15], v[4:5], v[10:11]
	v_add_f64 v[2:3], v[2:3], -v[12:13]
	v_fma_f64 v[12:13], v[10:11], v[4:5], -v[14:15]
	v_fma_f64 v[2:3], v[10:11], v[2:3], v[12:13]
	v_add_f64 v[12:13], v[14:15], v[2:3]
	v_add_f64 v[16:17], -v[12:13], 1.0
	v_add_f64 v[14:15], v[12:13], -v[14:15]
	v_add_f64 v[18:19], -v[16:17], 1.0
	v_add_f64 v[2:3], v[14:15], -v[2:3]
	v_add_f64 v[12:13], v[18:19], -v[12:13]
	v_add_f64 v[2:3], v[2:3], v[12:13]
	v_add_f64 v[2:3], v[16:17], v[2:3]
	v_mul_f64 v[2:3], v[10:11], v[2:3]
	v_add_f64 v[2:3], v[10:11], v[2:3]
	v_xor_b32_e32 v0, 0x80000000, v3
	v_cndmask_b32_e32 v2, v2, v4, vcc_lo
	v_cndmask_b32_e32 v0, v0, v5, vcc_lo
	v_xor_b32_e32 v1, v0, v1
	v_cndmask_b32_e64 v0, 0, v2, s0
	v_cndmask_b32_e64 v1, 0x7ff80000, v1, s0
	v_div_scale_f64 v[2:3], null, v[0:1], v[0:1], s[16:17]
	v_rcp_f64_e32 v[4:5], v[2:3]
	v_fma_f64 v[10:11], -v[2:3], v[4:5], 1.0
	v_fma_f64 v[4:5], v[4:5], v[10:11], v[4:5]
	v_fma_f64 v[10:11], -v[2:3], v[4:5], 1.0
	v_fma_f64 v[4:5], v[4:5], v[10:11], v[4:5]
	v_div_scale_f64 v[10:11], vcc_lo, s[16:17], v[0:1], s[16:17]
	v_mul_f64 v[12:13], v[10:11], v[4:5]
	v_fma_f64 v[2:3], -v[2:3], v[12:13], v[10:11]
	v_div_fmas_f64 v[2:3], v[2:3], v[4:5], v[12:13]
	v_div_fixup_f64 v[0:1], v[2:3], v[0:1], s[16:17]
	v_cvt_f32_f64_e32 v0, v[0:1]
.LBB38_1261:
	s_or_b32 exec_lo, exec_lo, s15
	s_orn2_b32 s0, s1, exec_lo
.LBB38_1262:
	s_or_b32 exec_lo, exec_lo, s14
	v_mov_b32_e32 v7, 0x7fc0
	s_and_saveexec_b32 s1, s0
	s_cbranch_execz .LBB38_1274
; %bb.1263:
	s_mov_b32 s0, exec_lo
	v_cmpx_gt_f32_e32 0x41200000, v9
	s_cbranch_execz .LBB38_1267
; %bb.1264:
	s_mov_b32 s14, 0
	.p2align	6
.LBB38_1265:                            ; =>This Inner Loop Header: Depth=1
	v_div_scale_f32 v1, null, v9, v9, 1.0
	v_div_scale_f32 v4, vcc_lo, 1.0, v9, 1.0
	v_rcp_f32_e32 v2, v1
	v_fma_f32 v3, -v1, v2, 1.0
	v_fmac_f32_e32 v2, v3, v2
	v_mul_f32_e32 v3, v4, v2
	v_fma_f32 v5, -v1, v3, v4
	v_fmac_f32_e32 v3, v5, v2
	v_fma_f32 v1, -v1, v3, v4
	v_div_fmas_f32 v1, v1, v2, v3
	v_div_fixup_f32 v1, v1, v9, 1.0
	v_add_f32_e32 v9, 1.0, v9
	v_sub_f32_e32 v0, v0, v1
	v_cmp_ngt_f32_e32 vcc_lo, 0x41200000, v9
	s_or_b32 s14, vcc_lo, s14
	s_andn2_b32 exec_lo, exec_lo, s14
	s_cbranch_execnz .LBB38_1265
; %bb.1266:
	s_or_b32 exec_lo, exec_lo, s14
.LBB38_1267:
	s_or_b32 exec_lo, exec_lo, s0
                                        ; implicit-def: $vgpr7
	s_mov_b32 s0, exec_lo
	v_cmpx_neq_f32_e32 0x41200000, v9
	s_xor_b32 s14, exec_lo, s0
	s_cbranch_execz .LBB38_1271
; %bb.1268:
	v_cvt_f64_f32_e32 v[1:2], v9
	s_mov_b32 s16, 0x85d8a000
	s_mov_b32 s17, 0x43763457
	v_cmp_gt_f64_e32 vcc_lo, s[16:17], v[1:2]
	v_mov_b32_e32 v1, 0
	s_and_saveexec_b32 s0, vcc_lo
	s_cbranch_execz .LBB38_1270
; %bb.1269:
	v_mul_f32_e32 v1, v9, v9
	v_div_scale_f32 v2, null, v1, v1, 1.0
	v_rcp_f32_e32 v3, v2
	v_fma_f32 v4, -v2, v3, 1.0
	v_fmac_f32_e32 v3, v4, v3
	v_div_scale_f32 v4, vcc_lo, 1.0, v1, 1.0
	v_mul_f32_e32 v5, v4, v3
	v_fma_f32 v7, -v2, v5, v4
	v_fmac_f32_e32 v5, v7, v3
	v_fma_f32 v2, -v2, v5, v4
	v_div_fmas_f32 v2, v2, v3, v5
	v_div_fixup_f32 v1, v2, v1, 1.0
	v_fmaak_f32 v2, 0, v1, 0x3daaaaab
	v_fmaak_f32 v2, v1, v2, 0xbcaccacd
	;; [unrolled: 1-line block ×7, first 2 shown]
	v_mul_f32_e32 v1, v1, v2
.LBB38_1270:
	s_or_b32 exec_lo, exec_lo, s0
	v_cmp_gt_f32_e32 vcc_lo, 0x800000, v9
	v_div_scale_f32 v2, null, v9, v9, -0.5
	v_div_scale_f32 v7, s0, -0.5, v9, -0.5
	v_cndmask_b32_e64 v3, 0, 32, vcc_lo
	v_rcp_f32_e32 v4, v2
	v_ldexp_f32 v3, v9, v3
	v_log_f32_e32 v3, v3
	v_fma_f32 v5, -v2, v4, 1.0
	v_fmac_f32_e32 v4, v5, v4
	v_mul_f32_e32 v5, 0x3f317217, v3
	v_mul_f32_e32 v10, v7, v4
	v_fma_f32 v5, 0x3f317217, v3, -v5
	v_fma_f32 v11, -v2, v10, v7
	v_fmamk_f32 v5, v3, 0x3377d1cf, v5
	v_fmac_f32_e32 v10, v11, v4
	v_cndmask_b32_e64 v11, 0, 0x41b17218, vcc_lo
	v_cmp_gt_f32_e64 vcc_lo, 0x7f800000, |v3|
	v_fmac_f32_e32 v5, 0x3f317217, v3
	v_fma_f32 v2, -v2, v10, v7
	v_cndmask_b32_e32 v3, v3, v5, vcc_lo
	s_mov_b32 vcc_lo, s0
	v_div_fmas_f32 v2, v2, v4, v10
	v_sub_f32_e32 v3, v3, v11
	v_div_fixup_f32 v2, v2, v9, -0.5
	v_add_f32_e32 v2, v3, v2
	v_sub_f32_e32 v1, v2, v1
	v_add_f32_e32 v0, v0, v1
	v_bfe_u32 v1, v0, 16, 1
	v_cmp_o_f32_e32 vcc_lo, v0, v0
	v_add3_u32 v0, v0, v1, 0x7fff
	v_mov_b32_e32 v1, 0x7fc0
	v_cndmask_b32_sdwa v7, v1, v0, vcc_lo dst_sel:DWORD dst_unused:UNUSED_PAD src0_sel:DWORD src1_sel:WORD_1
                                        ; implicit-def: $vgpr0
.LBB38_1271:
	s_andn2_saveexec_b32 s0, s14
; %bb.1272:
	v_add_f32_e32 v0, 0x40101cb7, v0
	v_bfe_u32 v1, v0, 16, 1
	v_cmp_o_f32_e32 vcc_lo, v0, v0
	v_add3_u32 v0, v0, v1, 0x7fff
	v_mov_b32_e32 v1, 0x7fc0
	v_cndmask_b32_sdwa v7, v1, v0, vcc_lo dst_sel:DWORD dst_unused:UNUSED_PAD src0_sel:DWORD src1_sel:WORD_1
; %bb.1273:
	s_or_b32 exec_lo, exec_lo, s0
.LBB38_1274:
	s_or_b32 exec_lo, exec_lo, s1
                                        ; implicit-def: $vgpr9
.LBB38_1275:
	s_andn2_saveexec_b32 s0, s13
; %bb.1276:
	v_xor_b32_e32 v0, 0x80000000, v9
	s_mov_b32 s1, 0x7f800000
	v_and_or_b32 v0, 0x80000000, v0, s1
	v_lshrrev_b32_e32 v7, 16, v0
; %bb.1277:
	s_or_b32 exec_lo, exec_lo, s0
	s_lshl_b32 s3, s3, 7
	s_cmp_lt_i32 s6, 11
	v_add_nc_u32_e32 v9, s3, v8
	v_ashrrev_i32_e32 v1, 31, v9
	v_add_co_u32 v0, vcc_lo, s10, v9
	v_add_co_ci_u32_e64 v1, null, s11, v1, vcc_lo
	s_cbranch_scc1 .LBB38_1284
; %bb.1278:
	s_cmp_gt_i32 s6, 25
	s_mov_b32 s1, 0
	s_cbranch_scc0 .LBB38_1286
; %bb.1279:
	s_cmp_gt_i32 s6, 28
	s_cbranch_scc0 .LBB38_1287
; %bb.1280:
	s_cmp_gt_i32 s6, 43
	;; [unrolled: 3-line block ×3, first 2 shown]
	s_cbranch_scc0 .LBB38_1290
; %bb.1282:
	s_cmp_eq_u32 s6, 46
	s_mov_b32 s14, 0
	s_cbranch_scc0 .LBB38_1293
; %bb.1283:
	global_load_dword v2, v[0:1], off
	s_mov_b32 s0, 0
	s_mov_b32 s13, -1
	s_branch .LBB38_1295
.LBB38_1284:
	s_mov_b32 s13, 0
                                        ; implicit-def: $vgpr2
	s_cbranch_execnz .LBB38_1360
.LBB38_1285:
	s_andn2_b32 vcc_lo, exec_lo, s13
	s_cbranch_vccnz .LBB38_1818
	s_branch .LBB38_1407
.LBB38_1286:
	s_mov_b32 s13, 0
	s_mov_b32 s0, 0
                                        ; implicit-def: $vgpr2
	s_cbranch_execnz .LBB38_1324
	s_branch .LBB38_1356
.LBB38_1287:
	s_mov_b32 s14, -1
	s_mov_b32 s13, 0
	s_mov_b32 s0, 0
                                        ; implicit-def: $vgpr2
	s_branch .LBB38_1305
.LBB38_1288:
	s_mov_b32 s14, -1
	s_mov_b32 s13, 0
	s_mov_b32 s0, 0
                                        ; implicit-def: $vgpr2
	s_branch .LBB38_1300
.LBB38_1289:
	s_or_b32 s5, s12, exec_lo
	s_trap 2
	s_cbranch_execz .LBB38_1206
	s_branch .LBB38_1207
.LBB38_1290:
	s_mov_b32 s14, -1
	s_mov_b32 s13, 0
	s_mov_b32 s0, 0
	s_branch .LBB38_1294
.LBB38_1291:
	s_andn2_saveexec_b32 s19, s19
	s_cbranch_execz .LBB38_1052
.LBB38_1292:
	v_add_f32_e64 v4, 0x42800000, |v5|
	s_andn2_b32 s18, s18, exec_lo
	v_and_b32_e32 v4, 0xff, v4
	v_cmp_ne_u32_e32 vcc_lo, 0, v4
	s_and_b32 s20, vcc_lo, exec_lo
	s_or_b32 s18, s18, s20
	s_or_b32 exec_lo, exec_lo, s19
	v_mov_b32_e32 v6, 0
	s_and_saveexec_b32 s19, s18
	s_cbranch_execnz .LBB38_1053
	s_branch .LBB38_1054
.LBB38_1293:
	s_mov_b32 s0, -1
	s_mov_b32 s13, 0
.LBB38_1294:
                                        ; implicit-def: $vgpr2
.LBB38_1295:
	s_and_b32 vcc_lo, exec_lo, s14
	s_cbranch_vccz .LBB38_1299
; %bb.1296:
	s_cmp_eq_u32 s6, 44
	s_cbranch_scc0 .LBB38_1298
; %bb.1297:
	global_load_ubyte v2, v[0:1], off
	s_mov_b32 s0, 0
	s_mov_b32 s13, -1
	s_waitcnt vmcnt(0)
	v_lshlrev_b32_e32 v3, 23, v2
	v_cmp_ne_u32_e32 vcc_lo, 0xff, v2
	v_cndmask_b32_e32 v3, 0x7f800001, v3, vcc_lo
	v_cmp_ne_u32_e32 vcc_lo, 0, v2
	v_cndmask_b32_e32 v2, 0x400000, v3, vcc_lo
	v_mov_b32_e32 v3, 0x7fc0
	v_cmp_o_f32_e32 vcc_lo, v2, v2
	v_add_nc_u32_e32 v2, 0x7fff, v2
	v_cndmask_b32_sdwa v2, v3, v2, vcc_lo dst_sel:DWORD dst_unused:UNUSED_PAD src0_sel:DWORD src1_sel:WORD_1
	s_branch .LBB38_1299
.LBB38_1298:
	s_mov_b32 s0, -1
                                        ; implicit-def: $vgpr2
.LBB38_1299:
	s_mov_b32 s14, 0
.LBB38_1300:
	s_and_b32 vcc_lo, exec_lo, s14
	s_cbranch_vccz .LBB38_1304
; %bb.1301:
	s_cmp_eq_u32 s6, 29
	s_cbranch_scc0 .LBB38_1303
; %bb.1302:
	global_load_dwordx2 v[2:3], v[0:1], off
	s_mov_b32 s0, 0
	s_mov_b32 s13, -1
	s_mov_b32 s14, 0
	s_waitcnt vmcnt(0)
	v_ffbh_u32_e32 v4, v3
	v_min_u32_e32 v4, 32, v4
	v_lshlrev_b64 v[2:3], v4, v[2:3]
	v_min_u32_e32 v2, 1, v2
	v_or_b32_e32 v2, v3, v2
	v_sub_nc_u32_e32 v3, 32, v4
	v_cvt_f32_u32_e32 v2, v2
	v_ldexp_f32 v2, v2, v3
	v_bfe_u32 v3, v2, 16, 1
	v_add3_u32 v2, v2, v3, 0x7fff
	v_lshrrev_b32_e32 v2, 16, v2
	s_branch .LBB38_1305
.LBB38_1303:
	s_mov_b32 s0, -1
                                        ; implicit-def: $vgpr2
.LBB38_1304:
	s_mov_b32 s14, 0
.LBB38_1305:
	s_and_b32 vcc_lo, exec_lo, s14
	s_cbranch_vccz .LBB38_1323
; %bb.1306:
	s_cmp_lt_i32 s6, 27
	s_cbranch_scc1 .LBB38_1309
; %bb.1307:
	s_cmp_gt_i32 s6, 27
	s_cbranch_scc0 .LBB38_1310
; %bb.1308:
	global_load_dword v2, v[0:1], off
	s_mov_b32 s13, 0
	s_waitcnt vmcnt(0)
	v_cvt_f32_u32_e32 v2, v2
	v_bfe_u32 v3, v2, 16, 1
	v_add3_u32 v2, v2, v3, 0x7fff
	v_lshrrev_b32_e32 v2, 16, v2
	s_branch .LBB38_1311
.LBB38_1309:
	s_mov_b32 s13, -1
                                        ; implicit-def: $vgpr2
	s_branch .LBB38_1314
.LBB38_1310:
	s_mov_b32 s13, -1
                                        ; implicit-def: $vgpr2
.LBB38_1311:
	s_andn2_b32 vcc_lo, exec_lo, s13
	s_cbranch_vccnz .LBB38_1313
; %bb.1312:
	global_load_ushort v2, v[0:1], off
	s_waitcnt vmcnt(0)
	v_cvt_f32_u32_e32 v2, v2
	v_bfe_u32 v3, v2, 16, 1
	v_add3_u32 v2, v2, v3, 0x7fff
	v_lshrrev_b32_e32 v2, 16, v2
.LBB38_1313:
	s_mov_b32 s13, 0
.LBB38_1314:
	s_andn2_b32 vcc_lo, exec_lo, s13
	s_cbranch_vccnz .LBB38_1322
; %bb.1315:
	global_load_ubyte v2, v[0:1], off
	s_mov_b32 s13, 0
	s_mov_b32 s14, exec_lo
	s_waitcnt vmcnt(0)
	v_cmpx_lt_i16_e32 0x7f, v2
	s_xor_b32 s14, exec_lo, s14
	s_cbranch_execz .LBB38_1335
; %bb.1316:
	s_mov_b32 s13, -1
	s_mov_b32 s15, exec_lo
	v_cmpx_eq_u16_e32 0x80, v2
; %bb.1317:
	s_xor_b32 s13, exec_lo, -1
; %bb.1318:
	s_or_b32 exec_lo, exec_lo, s15
	s_and_b32 s13, s13, exec_lo
	s_or_saveexec_b32 s14, s14
	v_mov_b32_e32 v3, 0x7f800001
	s_xor_b32 exec_lo, exec_lo, s14
	s_cbranch_execnz .LBB38_1336
.LBB38_1319:
	s_or_b32 exec_lo, exec_lo, s14
	s_and_saveexec_b32 s14, s13
	s_cbranch_execz .LBB38_1321
.LBB38_1320:
	v_and_b32_e32 v3, 0xffff, v2
	v_lshlrev_b32_e32 v2, 24, v2
	v_and_b32_e32 v4, 7, v3
	v_bfe_u32 v10, v3, 3, 4
	v_and_b32_e32 v2, 0x80000000, v2
	v_ffbh_u32_e32 v5, v4
	v_cmp_eq_u32_e32 vcc_lo, 0, v10
	v_min_u32_e32 v5, 32, v5
	v_subrev_nc_u32_e32 v8, 28, v5
	v_sub_nc_u32_e32 v5, 29, v5
	v_lshlrev_b32_e32 v3, v8, v3
	v_cndmask_b32_e32 v5, v10, v5, vcc_lo
	v_and_b32_e32 v3, 7, v3
	v_cndmask_b32_e32 v3, v4, v3, vcc_lo
	v_lshl_add_u32 v4, v5, 23, 0x3b800000
	v_lshlrev_b32_e32 v3, 20, v3
	v_or3_b32 v3, v2, v4, v3
.LBB38_1321:
	s_or_b32 exec_lo, exec_lo, s14
	v_bfe_u32 v2, v3, 16, 1
	v_cmp_o_f32_e32 vcc_lo, v3, v3
	v_add3_u32 v2, v3, v2, 0x7fff
	v_mov_b32_e32 v3, 0x7fc0
	v_cndmask_b32_sdwa v2, v3, v2, vcc_lo dst_sel:DWORD dst_unused:UNUSED_PAD src0_sel:DWORD src1_sel:WORD_1
.LBB38_1322:
	s_mov_b32 s13, -1
.LBB38_1323:
	s_branch .LBB38_1356
.LBB38_1324:
	s_cmp_gt_i32 s6, 22
	s_cbranch_scc0 .LBB38_1334
; %bb.1325:
	s_cmp_lt_i32 s6, 24
	s_cbranch_scc1 .LBB38_1337
; %bb.1326:
	s_cmp_gt_i32 s6, 24
	s_cbranch_scc0 .LBB38_1338
; %bb.1327:
	global_load_ubyte v2, v[0:1], off
	s_mov_b32 s13, exec_lo
	s_waitcnt vmcnt(0)
	v_cmpx_lt_i16_e32 0x7f, v2
	s_xor_b32 s13, exec_lo, s13
	s_cbranch_execz .LBB38_1350
; %bb.1328:
	s_mov_b32 s1, -1
	s_mov_b32 s14, exec_lo
	v_cmpx_eq_u16_e32 0x80, v2
; %bb.1329:
	s_xor_b32 s1, exec_lo, -1
; %bb.1330:
	s_or_b32 exec_lo, exec_lo, s14
	s_and_b32 s1, s1, exec_lo
	s_or_saveexec_b32 s13, s13
	v_mov_b32_e32 v3, 0x7f800001
	s_xor_b32 exec_lo, exec_lo, s13
	s_cbranch_execnz .LBB38_1351
.LBB38_1331:
	s_or_b32 exec_lo, exec_lo, s13
	s_and_saveexec_b32 s13, s1
	s_cbranch_execz .LBB38_1333
.LBB38_1332:
	v_and_b32_e32 v3, 0xffff, v2
	v_lshlrev_b32_e32 v2, 24, v2
	v_and_b32_e32 v4, 3, v3
	v_bfe_u32 v10, v3, 2, 5
	v_and_b32_e32 v2, 0x80000000, v2
	v_ffbh_u32_e32 v5, v4
	v_cmp_eq_u32_e32 vcc_lo, 0, v10
	v_min_u32_e32 v5, 32, v5
	v_subrev_nc_u32_e32 v8, 29, v5
	v_sub_nc_u32_e32 v5, 30, v5
	v_lshlrev_b32_e32 v3, v8, v3
	v_cndmask_b32_e32 v5, v10, v5, vcc_lo
	v_and_b32_e32 v3, 3, v3
	v_cndmask_b32_e32 v3, v4, v3, vcc_lo
	v_lshl_add_u32 v4, v5, 23, 0x37800000
	v_lshlrev_b32_e32 v3, 21, v3
	v_or3_b32 v3, v2, v4, v3
.LBB38_1333:
	s_or_b32 exec_lo, exec_lo, s13
	v_bfe_u32 v2, v3, 16, 1
	v_cmp_o_f32_e32 vcc_lo, v3, v3
	s_mov_b32 s1, 0
	v_add3_u32 v2, v3, v2, 0x7fff
	v_mov_b32_e32 v3, 0x7fc0
	v_cndmask_b32_sdwa v2, v3, v2, vcc_lo dst_sel:DWORD dst_unused:UNUSED_PAD src0_sel:DWORD src1_sel:WORD_1
	s_branch .LBB38_1339
.LBB38_1334:
	s_mov_b32 s1, -1
                                        ; implicit-def: $vgpr2
	s_branch .LBB38_1345
.LBB38_1335:
	s_or_saveexec_b32 s14, s14
	v_mov_b32_e32 v3, 0x7f800001
	s_xor_b32 exec_lo, exec_lo, s14
	s_cbranch_execz .LBB38_1319
.LBB38_1336:
	v_cmp_ne_u16_e32 vcc_lo, 0, v2
	v_mov_b32_e32 v3, 0
	s_andn2_b32 s13, s13, exec_lo
	s_and_b32 s15, vcc_lo, exec_lo
	s_or_b32 s13, s13, s15
	s_or_b32 exec_lo, exec_lo, s14
	s_and_saveexec_b32 s14, s13
	s_cbranch_execnz .LBB38_1320
	s_branch .LBB38_1321
.LBB38_1337:
	s_mov_b32 s1, -1
                                        ; implicit-def: $vgpr2
	s_branch .LBB38_1342
.LBB38_1338:
	s_mov_b32 s1, -1
                                        ; implicit-def: $vgpr2
.LBB38_1339:
	s_and_b32 vcc_lo, exec_lo, s1
	s_cbranch_vccz .LBB38_1341
; %bb.1340:
	global_load_ubyte v2, v[0:1], off
	s_waitcnt vmcnt(0)
	v_lshlrev_b32_e32 v2, 24, v2
	v_and_b32_e32 v3, 0x7f000000, v2
	v_ffbh_u32_e32 v4, v3
	v_add_nc_u32_e32 v8, 0x1000000, v3
	v_cmp_ne_u32_e32 vcc_lo, 0, v3
	v_min_u32_e32 v4, 32, v4
	v_sub_nc_u32_e64 v4, v4, 4 clamp
	v_lshlrev_b32_e32 v5, v4, v3
	v_lshlrev_b32_e32 v4, 23, v4
	v_lshrrev_b32_e32 v5, 4, v5
	v_sub_nc_u32_e32 v4, v5, v4
	v_ashrrev_i32_e32 v5, 8, v8
	v_add_nc_u32_e32 v4, 0x3c000000, v4
	v_and_or_b32 v4, 0x7f800000, v5, v4
	v_cndmask_b32_e32 v3, 0, v4, vcc_lo
	v_and_or_b32 v2, 0x80000000, v2, v3
	v_bfe_u32 v3, v3, 16, 1
	v_cmp_o_f32_e32 vcc_lo, v2, v2
	v_add3_u32 v2, v2, v3, 0x7fff
	v_mov_b32_e32 v3, 0x7fc0
	v_cndmask_b32_sdwa v2, v3, v2, vcc_lo dst_sel:DWORD dst_unused:UNUSED_PAD src0_sel:DWORD src1_sel:WORD_1
.LBB38_1341:
	s_mov_b32 s1, 0
.LBB38_1342:
	s_andn2_b32 vcc_lo, exec_lo, s1
	s_cbranch_vccnz .LBB38_1344
; %bb.1343:
	global_load_ubyte v2, v[0:1], off
	s_waitcnt vmcnt(0)
	v_lshlrev_b32_e32 v3, 25, v2
	v_lshlrev_b16 v2, 8, v2
	v_lshrrev_b32_e32 v4, 4, v3
	v_and_or_b32 v5, 0x7f00, v2, 0.5
	v_cmp_gt_u32_e32 vcc_lo, 0x8000000, v3
	v_bfe_i32 v2, v2, 0, 16
	v_or_b32_e32 v4, 0x70000000, v4
	v_add_f32_e32 v5, -0.5, v5
	v_mul_f32_e32 v4, 0x7800000, v4
	v_cndmask_b32_e32 v3, v4, v5, vcc_lo
	v_and_or_b32 v2, 0x80000000, v2, v3
	v_bfe_u32 v3, v3, 16, 1
	v_cmp_o_f32_e32 vcc_lo, v2, v2
	v_add3_u32 v2, v2, v3, 0x7fff
	v_mov_b32_e32 v3, 0x7fc0
	v_cndmask_b32_sdwa v2, v3, v2, vcc_lo dst_sel:DWORD dst_unused:UNUSED_PAD src0_sel:DWORD src1_sel:WORD_1
.LBB38_1344:
	s_mov_b32 s1, 0
	s_mov_b32 s13, -1
.LBB38_1345:
	s_andn2_b32 vcc_lo, exec_lo, s1
	s_mov_b32 s1, 0
	s_cbranch_vccnz .LBB38_1356
; %bb.1346:
	s_cmp_gt_i32 s6, 14
	s_cbranch_scc0 .LBB38_1349
; %bb.1347:
	s_cmp_eq_u32 s6, 15
	s_cbranch_scc0 .LBB38_1352
; %bb.1348:
	global_load_ushort v2, v[0:1], off
	s_mov_b32 s0, 0
	s_mov_b32 s13, -1
	s_branch .LBB38_1354
.LBB38_1349:
	s_mov_b32 s1, -1
	s_branch .LBB38_1353
.LBB38_1350:
	s_or_saveexec_b32 s13, s13
	v_mov_b32_e32 v3, 0x7f800001
	s_xor_b32 exec_lo, exec_lo, s13
	s_cbranch_execz .LBB38_1331
.LBB38_1351:
	v_cmp_ne_u16_e32 vcc_lo, 0, v2
	v_mov_b32_e32 v3, 0
	s_andn2_b32 s1, s1, exec_lo
	s_and_b32 s14, vcc_lo, exec_lo
	s_or_b32 s1, s1, s14
	s_or_b32 exec_lo, exec_lo, s13
	s_and_saveexec_b32 s13, s1
	s_cbranch_execnz .LBB38_1332
	s_branch .LBB38_1333
.LBB38_1352:
	s_mov_b32 s0, -1
.LBB38_1353:
                                        ; implicit-def: $vgpr2
.LBB38_1354:
	s_and_b32 vcc_lo, exec_lo, s1
	s_mov_b32 s1, 0
	s_cbranch_vccz .LBB38_1356
; %bb.1355:
	s_cmp_lg_u32 s6, 11
	s_mov_b32 s1, -1
	s_cselect_b32 s0, -1, 0
.LBB38_1356:
	s_and_b32 vcc_lo, exec_lo, s0
	s_cbranch_vccnz .LBB38_1443
; %bb.1357:
	s_andn2_b32 vcc_lo, exec_lo, s1
	s_cbranch_vccnz .LBB38_1359
.LBB38_1358:
	global_load_ubyte v2, v[0:1], off
	s_mov_b32 s13, -1
	s_waitcnt vmcnt(0)
	v_cmp_ne_u16_e32 vcc_lo, 0, v2
	v_cndmask_b32_e64 v2, 0, 1.0, vcc_lo
	v_lshrrev_b32_e32 v2, 16, v2
.LBB38_1359:
	s_branch .LBB38_1285
.LBB38_1360:
	s_cmp_lt_i32 s6, 5
	s_cbranch_scc1 .LBB38_1365
; %bb.1361:
	s_cmp_lt_i32 s6, 8
	s_cbranch_scc1 .LBB38_1366
; %bb.1362:
	;; [unrolled: 3-line block ×3, first 2 shown]
	s_cmp_gt_i32 s6, 9
	s_cbranch_scc0 .LBB38_1368
; %bb.1364:
	global_load_dwordx2 v[2:3], v[0:1], off
	s_mov_b32 s0, 0
	s_waitcnt vmcnt(0)
	v_cvt_f32_f64_e32 v2, v[2:3]
	v_bfe_u32 v3, v2, 16, 1
	v_cmp_o_f32_e32 vcc_lo, v2, v2
	v_add3_u32 v2, v2, v3, 0x7fff
	v_mov_b32_e32 v3, 0x7fc0
	v_cndmask_b32_sdwa v2, v3, v2, vcc_lo dst_sel:DWORD dst_unused:UNUSED_PAD src0_sel:DWORD src1_sel:WORD_1
	s_branch .LBB38_1369
.LBB38_1365:
                                        ; implicit-def: $vgpr2
	s_branch .LBB38_1387
.LBB38_1366:
	s_mov_b32 s0, -1
                                        ; implicit-def: $vgpr2
	s_branch .LBB38_1375
.LBB38_1367:
	s_mov_b32 s0, -1
                                        ; implicit-def: $vgpr2
	s_branch .LBB38_1372
.LBB38_1368:
	s_mov_b32 s0, -1
                                        ; implicit-def: $vgpr2
.LBB38_1369:
	s_andn2_b32 vcc_lo, exec_lo, s0
	s_cbranch_vccnz .LBB38_1371
; %bb.1370:
	global_load_dword v2, v[0:1], off
	s_waitcnt vmcnt(0)
	v_bfe_u32 v3, v2, 16, 1
	v_cmp_o_f32_e32 vcc_lo, v2, v2
	v_add3_u32 v2, v2, v3, 0x7fff
	v_mov_b32_e32 v3, 0x7fc0
	v_cndmask_b32_sdwa v2, v3, v2, vcc_lo dst_sel:DWORD dst_unused:UNUSED_PAD src0_sel:DWORD src1_sel:WORD_1
.LBB38_1371:
	s_mov_b32 s0, 0
.LBB38_1372:
	s_andn2_b32 vcc_lo, exec_lo, s0
	s_cbranch_vccnz .LBB38_1374
; %bb.1373:
	global_load_dword v2, v[0:1], off
	s_waitcnt vmcnt(0)
	v_cvt_f32_f16_e32 v3, v2
	v_cmp_o_f16_e32 vcc_lo, v2, v2
	v_bfe_u32 v4, v3, 16, 1
	v_add3_u32 v2, v3, v4, 0x7fff
	v_mov_b32_e32 v3, 0x7fc0
	v_cndmask_b32_sdwa v2, v3, v2, vcc_lo dst_sel:DWORD dst_unused:UNUSED_PAD src0_sel:DWORD src1_sel:WORD_1
.LBB38_1374:
	s_mov_b32 s0, 0
.LBB38_1375:
	s_andn2_b32 vcc_lo, exec_lo, s0
	s_cbranch_vccnz .LBB38_1386
; %bb.1376:
	s_cmp_lt_i32 s6, 6
	s_cbranch_scc1 .LBB38_1379
; %bb.1377:
	s_cmp_gt_i32 s6, 6
	s_cbranch_scc0 .LBB38_1380
; %bb.1378:
	global_load_dwordx2 v[2:3], v[0:1], off
	s_mov_b32 s0, 0
	s_waitcnt vmcnt(0)
	v_cvt_f32_f64_e32 v2, v[2:3]
	v_bfe_u32 v3, v2, 16, 1
	v_cmp_o_f32_e32 vcc_lo, v2, v2
	v_add3_u32 v2, v2, v3, 0x7fff
	v_mov_b32_e32 v3, 0x7fc0
	v_cndmask_b32_sdwa v2, v3, v2, vcc_lo dst_sel:DWORD dst_unused:UNUSED_PAD src0_sel:DWORD src1_sel:WORD_1
	s_branch .LBB38_1381
.LBB38_1379:
	s_mov_b32 s0, -1
                                        ; implicit-def: $vgpr2
	s_branch .LBB38_1384
.LBB38_1380:
	s_mov_b32 s0, -1
                                        ; implicit-def: $vgpr2
.LBB38_1381:
	s_andn2_b32 vcc_lo, exec_lo, s0
	s_cbranch_vccnz .LBB38_1383
; %bb.1382:
	global_load_dword v2, v[0:1], off
	s_waitcnt vmcnt(0)
	v_bfe_u32 v3, v2, 16, 1
	v_cmp_o_f32_e32 vcc_lo, v2, v2
	v_add3_u32 v2, v2, v3, 0x7fff
	v_mov_b32_e32 v3, 0x7fc0
	v_cndmask_b32_sdwa v2, v3, v2, vcc_lo dst_sel:DWORD dst_unused:UNUSED_PAD src0_sel:DWORD src1_sel:WORD_1
.LBB38_1383:
	s_mov_b32 s0, 0
.LBB38_1384:
	s_andn2_b32 vcc_lo, exec_lo, s0
	s_cbranch_vccnz .LBB38_1386
; %bb.1385:
	global_load_ushort v2, v[0:1], off
	s_waitcnt vmcnt(0)
	v_cvt_f32_f16_e32 v3, v2
	v_cmp_o_f16_e32 vcc_lo, v2, v2
	v_bfe_u32 v4, v3, 16, 1
	v_add3_u32 v2, v3, v4, 0x7fff
	v_mov_b32_e32 v3, 0x7fc0
	v_cndmask_b32_sdwa v2, v3, v2, vcc_lo dst_sel:DWORD dst_unused:UNUSED_PAD src0_sel:DWORD src1_sel:WORD_1
.LBB38_1386:
	s_cbranch_execnz .LBB38_1406
.LBB38_1387:
	s_cmp_lt_i32 s6, 2
	s_cbranch_scc1 .LBB38_1391
; %bb.1388:
	s_cmp_lt_i32 s6, 3
	s_cbranch_scc1 .LBB38_1392
; %bb.1389:
	s_cmp_gt_i32 s6, 3
	s_cbranch_scc0 .LBB38_1393
; %bb.1390:
	global_load_dwordx2 v[2:3], v[0:1], off
	s_mov_b32 s0, 0
	s_waitcnt vmcnt(0)
	v_xor_b32_e32 v4, v2, v3
	v_ffbh_i32_e32 v5, v3
	v_ashrrev_i32_e32 v4, 31, v4
	v_add_nc_u32_e32 v5, -1, v5
	v_add_nc_u32_e32 v4, 32, v4
	v_min_u32_e32 v4, v5, v4
	v_lshlrev_b64 v[2:3], v4, v[2:3]
	v_min_u32_e32 v2, 1, v2
	v_or_b32_e32 v2, v3, v2
	v_sub_nc_u32_e32 v3, 32, v4
	v_cvt_f32_i32_e32 v2, v2
	v_ldexp_f32 v2, v2, v3
	v_bfe_u32 v3, v2, 16, 1
	v_add3_u32 v2, v2, v3, 0x7fff
	v_lshrrev_b32_e32 v2, 16, v2
	s_branch .LBB38_1394
.LBB38_1391:
	s_mov_b32 s0, -1
                                        ; implicit-def: $vgpr2
	s_branch .LBB38_1400
.LBB38_1392:
	s_mov_b32 s0, -1
                                        ; implicit-def: $vgpr2
	s_branch .LBB38_1397
.LBB38_1393:
	s_mov_b32 s0, -1
                                        ; implicit-def: $vgpr2
.LBB38_1394:
	s_andn2_b32 vcc_lo, exec_lo, s0
	s_cbranch_vccnz .LBB38_1396
; %bb.1395:
	global_load_dword v2, v[0:1], off
	s_waitcnt vmcnt(0)
	v_cvt_f32_i32_e32 v2, v2
	v_bfe_u32 v3, v2, 16, 1
	v_add3_u32 v2, v2, v3, 0x7fff
	v_lshrrev_b32_e32 v2, 16, v2
.LBB38_1396:
	s_mov_b32 s0, 0
.LBB38_1397:
	s_andn2_b32 vcc_lo, exec_lo, s0
	s_cbranch_vccnz .LBB38_1399
; %bb.1398:
	global_load_sshort v2, v[0:1], off
	s_waitcnt vmcnt(0)
	v_cvt_f32_i32_e32 v2, v2
	v_bfe_u32 v3, v2, 16, 1
	v_add3_u32 v2, v2, v3, 0x7fff
	v_lshrrev_b32_e32 v2, 16, v2
.LBB38_1399:
	s_mov_b32 s0, 0
.LBB38_1400:
	s_andn2_b32 vcc_lo, exec_lo, s0
	s_cbranch_vccnz .LBB38_1406
; %bb.1401:
	s_cmp_gt_i32 s6, 0
	s_mov_b32 s0, 0
	s_cbranch_scc0 .LBB38_1403
; %bb.1402:
	global_load_sbyte v2, v[0:1], off
	s_waitcnt vmcnt(0)
	v_cvt_f32_i32_e32 v2, v2
	v_bfe_u32 v3, v2, 16, 1
	v_add3_u32 v2, v2, v3, 0x7fff
	v_lshrrev_b32_e32 v2, 16, v2
	s_branch .LBB38_1404
.LBB38_1403:
	s_mov_b32 s0, -1
                                        ; implicit-def: $vgpr2
.LBB38_1404:
	s_andn2_b32 vcc_lo, exec_lo, s0
	s_cbranch_vccnz .LBB38_1406
; %bb.1405:
	global_load_ubyte v0, v[0:1], off
	s_waitcnt vmcnt(0)
	v_cvt_f32_ubyte0_e32 v0, v0
	v_bfe_u32 v1, v0, 16, 1
	v_add3_u32 v0, v0, v1, 0x7fff
	v_lshrrev_b32_e32 v2, 16, v0
.LBB38_1406:
.LBB38_1407:
	s_waitcnt vmcnt(0)
	v_lshlrev_b32_e32 v10, 16, v2
                                        ; implicit-def: $vgpr8
	s_mov_b32 s0, exec_lo
	v_cmpx_neq_f32_e32 0, v10
	s_xor_b32 s13, exec_lo, s0
	s_cbranch_execz .LBB38_1429
; %bb.1408:
	v_mov_b32_e32 v0, 0
	s_mov_b32 s0, -1
	s_mov_b32 s14, exec_lo
	v_cmpx_gt_f32_e32 0, v10
	s_cbranch_execz .LBB38_1416
; %bb.1409:
	v_trunc_f32_e32 v0, v10
	s_mov_b32 s1, 0
	v_cmp_neq_f32_e32 vcc_lo, v0, v10
	v_mov_b32_e32 v0, 0
	s_and_saveexec_b32 s15, vcc_lo
	s_cbranch_execz .LBB38_1415
; %bb.1410:
	v_cvt_f64_f32_e32 v[0:1], v10
	s_mov_b32 s1, 0xc00921fb
	s_mov_b32 s0, 0x54442d18
	s_mov_b32 s16, exec_lo
                                        ; implicit-def: $vgpr8
                                        ; implicit-def: $vgpr4_vgpr5
	v_trunc_f64_e32 v[2:3], v[0:1]
	v_cmp_neq_f64_e64 vcc_lo, 0x7ff00000, |v[0:1]|
	v_add_f64 v[2:3], v[0:1], -v[2:3]
	v_mul_f64 v[2:3], |v[2:3]|, s[0:1]
	v_cndmask_b32_e32 v1, 0x80000000, v3, vcc_lo
	v_cndmask_b32_e32 v0, 0, v2, vcc_lo
                                        ; implicit-def: $vgpr2_vgpr3
	v_cmpx_ngt_f64_e64 0x41d00000, |v[0:1]|
	s_xor_b32 s16, exec_lo, s16
	s_cbranch_execz .LBB38_1412
; %bb.1411:
	v_ldexp_f64 v[2:3], |v[0:1]|, 0xffffff80
	v_cmp_le_f64_e64 vcc_lo, 0x7b000000, |v[0:1]|
	v_trig_preop_f64 v[4:5], |v[0:1]|, 0
	v_and_b32_e32 v8, 0x7fffffff, v1
	v_trig_preop_f64 v[11:12], |v[0:1]|, 1
	v_trig_preop_f64 v[21:22], |v[0:1]|, 2
	v_mov_b32_e32 v29, 0
	s_mov_b32 s1, 0x3ff921fb
	s_mov_b32 s18, 0x33145c07
	;; [unrolled: 1-line block ×3, first 2 shown]
	v_cndmask_b32_e32 v3, v8, v3, vcc_lo
	v_cndmask_b32_e32 v2, v0, v2, vcc_lo
	v_mul_f64 v[13:14], v[4:5], v[2:3]
	v_mul_f64 v[15:16], v[11:12], v[2:3]
	v_mul_f64 v[27:28], v[21:22], v[2:3]
	v_fma_f64 v[4:5], v[4:5], v[2:3], -v[13:14]
	v_fma_f64 v[11:12], v[11:12], v[2:3], -v[15:16]
	;; [unrolled: 1-line block ×3, first 2 shown]
	v_add_f64 v[17:18], v[15:16], v[4:5]
	v_add_f64 v[19:20], v[17:18], -v[15:16]
	v_add_f64 v[25:26], v[13:14], v[17:18]
	v_add_f64 v[23:24], v[17:18], -v[19:20]
	v_add_f64 v[4:5], v[4:5], -v[19:20]
	v_ldexp_f64 v[19:20], v[25:26], -2
	v_add_f64 v[13:14], v[25:26], -v[13:14]
	v_add_f64 v[15:16], v[15:16], -v[23:24]
	v_add_f64 v[23:24], v[27:28], v[11:12]
	v_cmp_neq_f64_e64 vcc_lo, 0x7ff00000, |v[19:20]|
	v_add_f64 v[13:14], v[17:18], -v[13:14]
	v_add_f64 v[4:5], v[4:5], v[15:16]
	v_fract_f64_e32 v[15:16], v[19:20]
	v_add_f64 v[17:18], v[23:24], v[4:5]
	v_ldexp_f64 v[15:16], v[15:16], 2
	v_add_f64 v[19:20], v[13:14], v[17:18]
	v_cndmask_b32_e32 v16, 0, v16, vcc_lo
	v_cndmask_b32_e32 v15, 0, v15, vcc_lo
	v_add_f64 v[25:26], v[19:20], v[15:16]
	v_add_f64 v[13:14], v[19:20], -v[13:14]
	v_cmp_gt_f64_e32 vcc_lo, 0, v[25:26]
	v_add_f64 v[25:26], v[23:24], -v[27:28]
	v_add_f64 v[13:14], v[17:18], -v[13:14]
	v_cndmask_b32_e64 v30, 0, 0x40100000, vcc_lo
	v_add_f64 v[34:35], v[23:24], -v[25:26]
	v_add_f64 v[11:12], v[11:12], -v[25:26]
	v_add_f64 v[15:16], v[15:16], v[29:30]
	v_add_f64 v[30:31], v[17:18], -v[23:24]
	v_add_f64 v[25:26], v[27:28], -v[34:35]
	v_add_f64 v[32:33], v[19:20], v[15:16]
	;; [unrolled: 3-line block ×3, first 2 shown]
	v_cvt_i32_f64_e32 v8, v[32:33]
	v_add_f64 v[23:24], v[23:24], -v[36:37]
	v_cvt_f64_i32_e32 v[30:31], v8
	v_add_f64 v[4:5], v[4:5], v[23:24]
	v_add_f64 v[15:16], v[15:16], -v[30:31]
	v_add_f64 v[4:5], v[11:12], v[4:5]
	v_add_f64 v[11:12], v[19:20], v[15:16]
	;; [unrolled: 1-line block ×3, first 2 shown]
	v_add_f64 v[4:5], v[11:12], -v[15:16]
	v_cmp_le_f64_e32 vcc_lo, 0.5, v[11:12]
	v_add_f64 v[2:3], v[13:14], v[2:3]
	v_add_f64 v[4:5], v[19:20], -v[4:5]
	v_cndmask_b32_e64 v30, 0, 0x3ff00000, vcc_lo
	v_add_co_ci_u32_e64 v8, null, 0, v8, vcc_lo
	v_add_f64 v[2:3], v[2:3], v[4:5]
	v_add_f64 v[4:5], v[11:12], -v[29:30]
	v_add_f64 v[11:12], v[4:5], v[2:3]
	v_mul_f64 v[13:14], v[11:12], s[0:1]
	v_add_f64 v[4:5], v[11:12], -v[4:5]
	v_fma_f64 v[15:16], v[11:12], s[0:1], -v[13:14]
	v_add_f64 v[2:3], v[2:3], -v[4:5]
	v_fma_f64 v[4:5], v[11:12], s[18:19], v[15:16]
	v_fma_f64 v[4:5], v[2:3], s[0:1], v[4:5]
	v_add_f64 v[2:3], v[13:14], v[4:5]
	v_add_f64 v[11:12], v[2:3], -v[13:14]
	v_add_f64 v[4:5], v[4:5], -v[11:12]
.LBB38_1412:
	s_andn2_saveexec_b32 s0, s16
	s_cbranch_execz .LBB38_1414
; %bb.1413:
	s_mov_b32 s16, 0x6dc9c883
	s_mov_b32 s17, 0x3fe45f30
	;; [unrolled: 1-line block ×3, first 2 shown]
	v_mul_f64 v[2:3], |v[0:1]|, s[16:17]
	s_mov_b32 s16, 0x54442d18
	s_mov_b32 s17, 0xbff921fb
	;; [unrolled: 1-line block ×3, first 2 shown]
	v_rndne_f64_e32 v[11:12], v[2:3]
	v_fma_f64 v[2:3], v[11:12], s[16:17], |v[0:1]|
	v_mul_f64 v[4:5], v[11:12], s[18:19]
	s_mov_b32 s16, 0x252049c0
	s_mov_b32 s17, 0xb97b839a
	v_cvt_i32_f64_e32 v8, v[11:12]
	v_fma_f64 v[15:16], v[11:12], s[18:19], v[2:3]
	v_add_f64 v[13:14], v[2:3], v[4:5]
	s_mov_b32 s19, 0x3c91a626
	v_add_f64 v[2:3], v[2:3], -v[13:14]
	v_add_f64 v[13:14], v[13:14], -v[15:16]
	v_add_f64 v[2:3], v[2:3], v[4:5]
	v_fma_f64 v[4:5], v[11:12], s[18:19], v[4:5]
	v_add_f64 v[2:3], v[13:14], v[2:3]
	v_add_f64 v[2:3], v[2:3], -v[4:5]
	v_fma_f64 v[4:5], v[11:12], s[16:17], v[2:3]
	v_add_f64 v[2:3], v[15:16], v[4:5]
	v_add_f64 v[13:14], v[2:3], -v[15:16]
	v_add_f64 v[4:5], v[4:5], -v[13:14]
.LBB38_1414:
	s_or_b32 exec_lo, exec_lo, s0
	v_mul_f64 v[11:12], v[2:3], v[2:3]
	v_add_f64 v[13:14], v[4:5], v[4:5]
	s_mov_b32 s16, 0xa9a29f71
	s_mov_b32 s18, 0xc751c08c
	s_mov_b32 s17, 0xbf078809
	s_mov_b32 s19, 0x3ef5e089
	v_cmp_class_f64_e64 s0, v[0:1], 0x1f8
	v_and_b32_e32 v8, 1, v8
	v_and_b32_e32 v1, 0x80000000, v1
	v_sub_f32_e32 v10, 1.0, v10
	s_mov_b32 s1, exec_lo
	v_cmp_eq_u32_e32 vcc_lo, 0, v8
	v_fma_f64 v[15:16], v[2:3], v[2:3], -v[11:12]
	v_fma_f64 v[13:14], v[2:3], v[13:14], v[15:16]
	v_add_f64 v[11:12], v[11:12], v[13:14]
	v_fma_f64 v[13:14], v[11:12], s[18:19], s[16:17]
	s_mov_b32 s16, 0x90a8aae0
	s_mov_b32 s17, 0x3f17746f
	v_fma_f64 v[13:14], v[11:12], v[13:14], s[16:17]
	s_mov_b32 s16, 0xa6fbf144
	s_mov_b32 s17, 0xbefbb44d
	;; [unrolled: 3-line block ×13, first 2 shown]
	v_mul_f64 v[11:12], v[11:12], v[13:14]
	v_mul_f64 v[13:14], v[2:3], v[11:12]
	v_add_f64 v[15:16], v[2:3], v[13:14]
	v_fma_f64 v[11:12], v[2:3], v[11:12], -v[13:14]
	v_add_f64 v[2:3], v[15:16], -v[2:3]
	v_add_f64 v[4:5], v[4:5], v[11:12]
	v_add_f64 v[2:3], v[13:14], -v[2:3]
	v_add_f64 v[2:3], v[4:5], v[2:3]
	v_add_f64 v[4:5], v[15:16], v[2:3]
	v_rcp_f64_e32 v[11:12], v[4:5]
	v_fma_f64 v[13:14], -v[4:5], v[11:12], 1.0
	v_fma_f64 v[11:12], v[13:14], v[11:12], v[11:12]
	v_fma_f64 v[13:14], -v[4:5], v[11:12], 1.0
	v_fma_f64 v[11:12], v[13:14], v[11:12], v[11:12]
	v_add_f64 v[13:14], v[4:5], -v[15:16]
	v_mul_f64 v[15:16], v[4:5], v[11:12]
	v_add_f64 v[2:3], v[2:3], -v[13:14]
	v_fma_f64 v[13:14], v[11:12], v[4:5], -v[15:16]
	v_fma_f64 v[2:3], v[11:12], v[2:3], v[13:14]
	v_add_f64 v[13:14], v[15:16], v[2:3]
	v_add_f64 v[17:18], -v[13:14], 1.0
	v_add_f64 v[15:16], v[13:14], -v[15:16]
	v_add_f64 v[19:20], -v[17:18], 1.0
	v_add_f64 v[2:3], v[15:16], -v[2:3]
	v_add_f64 v[13:14], v[19:20], -v[13:14]
	v_add_f64 v[2:3], v[2:3], v[13:14]
	v_add_f64 v[2:3], v[17:18], v[2:3]
	v_mul_f64 v[2:3], v[11:12], v[2:3]
	v_add_f64 v[2:3], v[11:12], v[2:3]
	v_xor_b32_e32 v0, 0x80000000, v3
	v_cndmask_b32_e32 v2, v2, v4, vcc_lo
	v_cndmask_b32_e32 v0, v0, v5, vcc_lo
	v_xor_b32_e32 v1, v0, v1
	v_cndmask_b32_e64 v0, 0, v2, s0
	v_cndmask_b32_e64 v1, 0x7ff80000, v1, s0
	v_div_scale_f64 v[2:3], null, v[0:1], v[0:1], s[16:17]
	v_rcp_f64_e32 v[4:5], v[2:3]
	v_fma_f64 v[11:12], -v[2:3], v[4:5], 1.0
	v_fma_f64 v[4:5], v[4:5], v[11:12], v[4:5]
	v_fma_f64 v[11:12], -v[2:3], v[4:5], 1.0
	v_fma_f64 v[4:5], v[4:5], v[11:12], v[4:5]
	v_div_scale_f64 v[11:12], vcc_lo, s[16:17], v[0:1], s[16:17]
	v_mul_f64 v[13:14], v[11:12], v[4:5]
	v_fma_f64 v[2:3], -v[2:3], v[13:14], v[11:12]
	v_div_fmas_f64 v[2:3], v[2:3], v[4:5], v[13:14]
	v_div_fixup_f64 v[0:1], v[2:3], v[0:1], s[16:17]
	v_cvt_f32_f64_e32 v0, v[0:1]
.LBB38_1415:
	s_or_b32 exec_lo, exec_lo, s15
	s_orn2_b32 s0, s1, exec_lo
.LBB38_1416:
	s_or_b32 exec_lo, exec_lo, s14
	v_mov_b32_e32 v8, 0x7fc0
	s_and_saveexec_b32 s1, s0
	s_cbranch_execz .LBB38_1428
; %bb.1417:
	s_mov_b32 s0, exec_lo
	v_cmpx_gt_f32_e32 0x41200000, v10
	s_cbranch_execz .LBB38_1421
; %bb.1418:
	s_mov_b32 s14, 0
	.p2align	6
.LBB38_1419:                            ; =>This Inner Loop Header: Depth=1
	v_div_scale_f32 v1, null, v10, v10, 1.0
	v_div_scale_f32 v4, vcc_lo, 1.0, v10, 1.0
	v_rcp_f32_e32 v2, v1
	v_fma_f32 v3, -v1, v2, 1.0
	v_fmac_f32_e32 v2, v3, v2
	v_mul_f32_e32 v3, v4, v2
	v_fma_f32 v5, -v1, v3, v4
	v_fmac_f32_e32 v3, v5, v2
	v_fma_f32 v1, -v1, v3, v4
	v_div_fmas_f32 v1, v1, v2, v3
	v_div_fixup_f32 v1, v1, v10, 1.0
	v_add_f32_e32 v10, 1.0, v10
	v_sub_f32_e32 v0, v0, v1
	v_cmp_ngt_f32_e32 vcc_lo, 0x41200000, v10
	s_or_b32 s14, vcc_lo, s14
	s_andn2_b32 exec_lo, exec_lo, s14
	s_cbranch_execnz .LBB38_1419
; %bb.1420:
	s_or_b32 exec_lo, exec_lo, s14
.LBB38_1421:
	s_or_b32 exec_lo, exec_lo, s0
                                        ; implicit-def: $vgpr8
	s_mov_b32 s0, exec_lo
	v_cmpx_neq_f32_e32 0x41200000, v10
	s_xor_b32 s14, exec_lo, s0
	s_cbranch_execz .LBB38_1425
; %bb.1422:
	v_cvt_f64_f32_e32 v[1:2], v10
	s_mov_b32 s16, 0x85d8a000
	s_mov_b32 s17, 0x43763457
	v_cmp_gt_f64_e32 vcc_lo, s[16:17], v[1:2]
	v_mov_b32_e32 v1, 0
	s_and_saveexec_b32 s0, vcc_lo
	s_cbranch_execz .LBB38_1424
; %bb.1423:
	v_mul_f32_e32 v1, v10, v10
	v_div_scale_f32 v2, null, v1, v1, 1.0
	v_rcp_f32_e32 v3, v2
	v_fma_f32 v4, -v2, v3, 1.0
	v_fmac_f32_e32 v3, v4, v3
	v_div_scale_f32 v4, vcc_lo, 1.0, v1, 1.0
	v_mul_f32_e32 v5, v4, v3
	v_fma_f32 v8, -v2, v5, v4
	v_fmac_f32_e32 v5, v8, v3
	v_fma_f32 v2, -v2, v5, v4
	v_div_fmas_f32 v2, v2, v3, v5
	v_div_fixup_f32 v1, v2, v1, 1.0
	v_fmaak_f32 v2, 0, v1, 0x3daaaaab
	v_fmaak_f32 v2, v1, v2, 0xbcaccacd
	;; [unrolled: 1-line block ×7, first 2 shown]
	v_mul_f32_e32 v1, v1, v2
.LBB38_1424:
	s_or_b32 exec_lo, exec_lo, s0
	v_cmp_gt_f32_e32 vcc_lo, 0x800000, v10
	v_div_scale_f32 v2, null, v10, v10, -0.5
	v_div_scale_f32 v8, s0, -0.5, v10, -0.5
	v_cndmask_b32_e64 v3, 0, 32, vcc_lo
	v_rcp_f32_e32 v4, v2
	v_ldexp_f32 v3, v10, v3
	v_log_f32_e32 v3, v3
	v_fma_f32 v5, -v2, v4, 1.0
	v_fmac_f32_e32 v4, v5, v4
	v_mul_f32_e32 v5, 0x3f317217, v3
	v_mul_f32_e32 v11, v8, v4
	v_fma_f32 v5, 0x3f317217, v3, -v5
	v_fma_f32 v12, -v2, v11, v8
	v_fmamk_f32 v5, v3, 0x3377d1cf, v5
	v_fmac_f32_e32 v11, v12, v4
	v_cndmask_b32_e64 v12, 0, 0x41b17218, vcc_lo
	v_cmp_gt_f32_e64 vcc_lo, 0x7f800000, |v3|
	v_fmac_f32_e32 v5, 0x3f317217, v3
	v_fma_f32 v2, -v2, v11, v8
	v_cndmask_b32_e32 v3, v3, v5, vcc_lo
	s_mov_b32 vcc_lo, s0
	v_div_fmas_f32 v2, v2, v4, v11
	v_sub_f32_e32 v3, v3, v12
	v_div_fixup_f32 v2, v2, v10, -0.5
	v_add_f32_e32 v2, v3, v2
	v_sub_f32_e32 v1, v2, v1
	v_add_f32_e32 v0, v0, v1
	v_bfe_u32 v1, v0, 16, 1
	v_cmp_o_f32_e32 vcc_lo, v0, v0
	v_add3_u32 v0, v0, v1, 0x7fff
	v_mov_b32_e32 v1, 0x7fc0
	v_cndmask_b32_sdwa v8, v1, v0, vcc_lo dst_sel:DWORD dst_unused:UNUSED_PAD src0_sel:DWORD src1_sel:WORD_1
                                        ; implicit-def: $vgpr0
.LBB38_1425:
	s_andn2_saveexec_b32 s0, s14
; %bb.1426:
	v_add_f32_e32 v0, 0x40101cb7, v0
	v_bfe_u32 v1, v0, 16, 1
	v_cmp_o_f32_e32 vcc_lo, v0, v0
	v_add3_u32 v0, v0, v1, 0x7fff
	v_mov_b32_e32 v1, 0x7fc0
	v_cndmask_b32_sdwa v8, v1, v0, vcc_lo dst_sel:DWORD dst_unused:UNUSED_PAD src0_sel:DWORD src1_sel:WORD_1
; %bb.1427:
	s_or_b32 exec_lo, exec_lo, s0
.LBB38_1428:
	s_or_b32 exec_lo, exec_lo, s1
                                        ; implicit-def: $vgpr10
.LBB38_1429:
	s_andn2_saveexec_b32 s0, s13
; %bb.1430:
	v_xor_b32_e32 v0, 0x80000000, v10
	s_mov_b32 s1, 0x7f800000
	v_and_or_b32 v0, 0x80000000, v0, s1
	v_lshrrev_b32_e32 v8, 16, v0
; %bb.1431:
	s_or_b32 exec_lo, exec_lo, s0
	v_add_nc_u32_e32 v10, s3, v9
	s_cmp_lt_i32 s6, 11
	v_ashrrev_i32_e32 v1, 31, v10
	v_add_co_u32 v0, vcc_lo, s10, v10
	v_add_co_ci_u32_e64 v1, null, s11, v1, vcc_lo
	s_cbranch_scc1 .LBB38_1438
; %bb.1432:
	s_cmp_gt_i32 s6, 25
	s_mov_b32 s1, 0
	s_cbranch_scc0 .LBB38_1440
; %bb.1433:
	s_cmp_gt_i32 s6, 28
	s_cbranch_scc0 .LBB38_1441
; %bb.1434:
	s_cmp_gt_i32 s6, 43
	;; [unrolled: 3-line block ×3, first 2 shown]
	s_cbranch_scc0 .LBB38_1444
; %bb.1436:
	s_cmp_eq_u32 s6, 46
	s_mov_b32 s14, 0
	s_cbranch_scc0 .LBB38_1445
; %bb.1437:
	global_load_dword v2, v[0:1], off
	s_mov_b32 s0, 0
	s_mov_b32 s13, -1
	s_branch .LBB38_1447
.LBB38_1438:
	s_mov_b32 s13, 0
                                        ; implicit-def: $vgpr2
	s_cbranch_execnz .LBB38_1513
.LBB38_1439:
	s_andn2_b32 vcc_lo, exec_lo, s13
	s_cbranch_vccnz .LBB38_1818
	s_branch .LBB38_1561
.LBB38_1440:
	s_mov_b32 s14, -1
	s_mov_b32 s13, 0
	s_mov_b32 s0, 0
                                        ; implicit-def: $vgpr2
	s_branch .LBB38_1476
.LBB38_1441:
	s_mov_b32 s14, -1
	s_mov_b32 s13, 0
	s_mov_b32 s0, 0
                                        ; implicit-def: $vgpr2
	s_branch .LBB38_1457
.LBB38_1442:
	s_mov_b32 s14, -1
	s_mov_b32 s13, 0
	s_mov_b32 s0, 0
                                        ; implicit-def: $vgpr2
	s_branch .LBB38_1452
.LBB38_1443:
	s_or_b32 s5, s5, exec_lo
	s_trap 2
	s_cbranch_execz .LBB38_1358
	s_branch .LBB38_1359
.LBB38_1444:
	s_mov_b32 s14, -1
	s_mov_b32 s13, 0
	s_mov_b32 s0, 0
	s_branch .LBB38_1446
.LBB38_1445:
	s_mov_b32 s0, -1
	s_mov_b32 s13, 0
.LBB38_1446:
                                        ; implicit-def: $vgpr2
.LBB38_1447:
	s_and_b32 vcc_lo, exec_lo, s14
	s_cbranch_vccz .LBB38_1451
; %bb.1448:
	s_cmp_eq_u32 s6, 44
	s_cbranch_scc0 .LBB38_1450
; %bb.1449:
	global_load_ubyte v2, v[0:1], off
	s_mov_b32 s0, 0
	s_mov_b32 s13, -1
	s_waitcnt vmcnt(0)
	v_lshlrev_b32_e32 v3, 23, v2
	v_cmp_ne_u32_e32 vcc_lo, 0xff, v2
	v_cndmask_b32_e32 v3, 0x7f800001, v3, vcc_lo
	v_cmp_ne_u32_e32 vcc_lo, 0, v2
	v_cndmask_b32_e32 v2, 0x400000, v3, vcc_lo
	v_mov_b32_e32 v3, 0x7fc0
	v_cmp_o_f32_e32 vcc_lo, v2, v2
	v_add_nc_u32_e32 v2, 0x7fff, v2
	v_cndmask_b32_sdwa v2, v3, v2, vcc_lo dst_sel:DWORD dst_unused:UNUSED_PAD src0_sel:DWORD src1_sel:WORD_1
	s_branch .LBB38_1451
.LBB38_1450:
	s_mov_b32 s0, -1
                                        ; implicit-def: $vgpr2
.LBB38_1451:
	s_mov_b32 s14, 0
.LBB38_1452:
	s_and_b32 vcc_lo, exec_lo, s14
	s_cbranch_vccz .LBB38_1456
; %bb.1453:
	s_cmp_eq_u32 s6, 29
	s_cbranch_scc0 .LBB38_1455
; %bb.1454:
	global_load_dwordx2 v[2:3], v[0:1], off
	s_mov_b32 s0, 0
	s_mov_b32 s13, -1
	s_mov_b32 s14, 0
	s_waitcnt vmcnt(0)
	v_ffbh_u32_e32 v4, v3
	v_min_u32_e32 v4, 32, v4
	v_lshlrev_b64 v[2:3], v4, v[2:3]
	v_min_u32_e32 v2, 1, v2
	v_or_b32_e32 v2, v3, v2
	v_sub_nc_u32_e32 v3, 32, v4
	v_cvt_f32_u32_e32 v2, v2
	v_ldexp_f32 v2, v2, v3
	v_bfe_u32 v3, v2, 16, 1
	v_add3_u32 v2, v2, v3, 0x7fff
	v_lshrrev_b32_e32 v2, 16, v2
	s_branch .LBB38_1457
.LBB38_1455:
	s_mov_b32 s0, -1
                                        ; implicit-def: $vgpr2
.LBB38_1456:
	s_mov_b32 s14, 0
.LBB38_1457:
	s_and_b32 vcc_lo, exec_lo, s14
	s_cbranch_vccz .LBB38_1475
; %bb.1458:
	s_cmp_lt_i32 s6, 27
	s_cbranch_scc1 .LBB38_1461
; %bb.1459:
	s_cmp_gt_i32 s6, 27
	s_cbranch_scc0 .LBB38_1462
; %bb.1460:
	global_load_dword v2, v[0:1], off
	s_mov_b32 s13, 0
	s_waitcnt vmcnt(0)
	v_cvt_f32_u32_e32 v2, v2
	v_bfe_u32 v3, v2, 16, 1
	v_add3_u32 v2, v2, v3, 0x7fff
	v_lshrrev_b32_e32 v2, 16, v2
	s_branch .LBB38_1463
.LBB38_1461:
	s_mov_b32 s13, -1
                                        ; implicit-def: $vgpr2
	s_branch .LBB38_1466
.LBB38_1462:
	s_mov_b32 s13, -1
                                        ; implicit-def: $vgpr2
.LBB38_1463:
	s_andn2_b32 vcc_lo, exec_lo, s13
	s_cbranch_vccnz .LBB38_1465
; %bb.1464:
	global_load_ushort v2, v[0:1], off
	s_waitcnt vmcnt(0)
	v_cvt_f32_u32_e32 v2, v2
	v_bfe_u32 v3, v2, 16, 1
	v_add3_u32 v2, v2, v3, 0x7fff
	v_lshrrev_b32_e32 v2, 16, v2
.LBB38_1465:
	s_mov_b32 s13, 0
.LBB38_1466:
	s_andn2_b32 vcc_lo, exec_lo, s13
	s_cbranch_vccnz .LBB38_1474
; %bb.1467:
	global_load_ubyte v2, v[0:1], off
	s_mov_b32 s13, 0
	s_mov_b32 s14, exec_lo
	s_waitcnt vmcnt(0)
	v_cmpx_lt_i16_e32 0x7f, v2
	s_xor_b32 s14, exec_lo, s14
	s_cbranch_execz .LBB38_1488
; %bb.1468:
	s_mov_b32 s13, -1
	s_mov_b32 s15, exec_lo
	v_cmpx_eq_u16_e32 0x80, v2
; %bb.1469:
	s_xor_b32 s13, exec_lo, -1
; %bb.1470:
	s_or_b32 exec_lo, exec_lo, s15
	s_and_b32 s13, s13, exec_lo
	s_or_saveexec_b32 s14, s14
	v_mov_b32_e32 v3, 0x7f800001
	s_xor_b32 exec_lo, exec_lo, s14
	s_cbranch_execnz .LBB38_1489
.LBB38_1471:
	s_or_b32 exec_lo, exec_lo, s14
	s_and_saveexec_b32 s14, s13
	s_cbranch_execz .LBB38_1473
.LBB38_1472:
	v_and_b32_e32 v3, 0xffff, v2
	v_lshlrev_b32_e32 v2, 24, v2
	v_and_b32_e32 v4, 7, v3
	v_bfe_u32 v11, v3, 3, 4
	v_and_b32_e32 v2, 0x80000000, v2
	v_ffbh_u32_e32 v5, v4
	v_cmp_eq_u32_e32 vcc_lo, 0, v11
	v_min_u32_e32 v5, 32, v5
	v_subrev_nc_u32_e32 v9, 28, v5
	v_sub_nc_u32_e32 v5, 29, v5
	v_lshlrev_b32_e32 v3, v9, v3
	v_cndmask_b32_e32 v5, v11, v5, vcc_lo
	v_and_b32_e32 v3, 7, v3
	v_cndmask_b32_e32 v3, v4, v3, vcc_lo
	v_lshl_add_u32 v4, v5, 23, 0x3b800000
	v_lshlrev_b32_e32 v3, 20, v3
	v_or3_b32 v3, v2, v4, v3
.LBB38_1473:
	s_or_b32 exec_lo, exec_lo, s14
	v_bfe_u32 v2, v3, 16, 1
	v_cmp_o_f32_e32 vcc_lo, v3, v3
	v_add3_u32 v2, v3, v2, 0x7fff
	v_mov_b32_e32 v3, 0x7fc0
	v_cndmask_b32_sdwa v2, v3, v2, vcc_lo dst_sel:DWORD dst_unused:UNUSED_PAD src0_sel:DWORD src1_sel:WORD_1
.LBB38_1474:
	s_mov_b32 s13, -1
.LBB38_1475:
	s_mov_b32 s14, 0
.LBB38_1476:
	s_and_b32 vcc_lo, exec_lo, s14
	s_cbranch_vccz .LBB38_1509
; %bb.1477:
	s_cmp_gt_i32 s6, 22
	s_cbranch_scc0 .LBB38_1487
; %bb.1478:
	s_cmp_lt_i32 s6, 24
	s_cbranch_scc1 .LBB38_1490
; %bb.1479:
	s_cmp_gt_i32 s6, 24
	s_cbranch_scc0 .LBB38_1491
; %bb.1480:
	global_load_ubyte v2, v[0:1], off
	s_mov_b32 s13, exec_lo
	s_waitcnt vmcnt(0)
	v_cmpx_lt_i16_e32 0x7f, v2
	s_xor_b32 s13, exec_lo, s13
	s_cbranch_execz .LBB38_1503
; %bb.1481:
	s_mov_b32 s1, -1
	s_mov_b32 s14, exec_lo
	v_cmpx_eq_u16_e32 0x80, v2
; %bb.1482:
	s_xor_b32 s1, exec_lo, -1
; %bb.1483:
	s_or_b32 exec_lo, exec_lo, s14
	s_and_b32 s1, s1, exec_lo
	s_or_saveexec_b32 s13, s13
	v_mov_b32_e32 v3, 0x7f800001
	s_xor_b32 exec_lo, exec_lo, s13
	s_cbranch_execnz .LBB38_1504
.LBB38_1484:
	s_or_b32 exec_lo, exec_lo, s13
	s_and_saveexec_b32 s13, s1
	s_cbranch_execz .LBB38_1486
.LBB38_1485:
	v_and_b32_e32 v3, 0xffff, v2
	v_lshlrev_b32_e32 v2, 24, v2
	v_and_b32_e32 v4, 3, v3
	v_bfe_u32 v11, v3, 2, 5
	v_and_b32_e32 v2, 0x80000000, v2
	v_ffbh_u32_e32 v5, v4
	v_cmp_eq_u32_e32 vcc_lo, 0, v11
	v_min_u32_e32 v5, 32, v5
	v_subrev_nc_u32_e32 v9, 29, v5
	v_sub_nc_u32_e32 v5, 30, v5
	v_lshlrev_b32_e32 v3, v9, v3
	v_cndmask_b32_e32 v5, v11, v5, vcc_lo
	v_and_b32_e32 v3, 3, v3
	v_cndmask_b32_e32 v3, v4, v3, vcc_lo
	v_lshl_add_u32 v4, v5, 23, 0x37800000
	v_lshlrev_b32_e32 v3, 21, v3
	v_or3_b32 v3, v2, v4, v3
.LBB38_1486:
	s_or_b32 exec_lo, exec_lo, s13
	v_bfe_u32 v2, v3, 16, 1
	v_cmp_o_f32_e32 vcc_lo, v3, v3
	s_mov_b32 s1, 0
	v_add3_u32 v2, v3, v2, 0x7fff
	v_mov_b32_e32 v3, 0x7fc0
	v_cndmask_b32_sdwa v2, v3, v2, vcc_lo dst_sel:DWORD dst_unused:UNUSED_PAD src0_sel:DWORD src1_sel:WORD_1
	s_branch .LBB38_1492
.LBB38_1487:
	s_mov_b32 s1, -1
                                        ; implicit-def: $vgpr2
	s_branch .LBB38_1498
.LBB38_1488:
	s_or_saveexec_b32 s14, s14
	v_mov_b32_e32 v3, 0x7f800001
	s_xor_b32 exec_lo, exec_lo, s14
	s_cbranch_execz .LBB38_1471
.LBB38_1489:
	v_cmp_ne_u16_e32 vcc_lo, 0, v2
	v_mov_b32_e32 v3, 0
	s_andn2_b32 s13, s13, exec_lo
	s_and_b32 s15, vcc_lo, exec_lo
	s_or_b32 s13, s13, s15
	s_or_b32 exec_lo, exec_lo, s14
	s_and_saveexec_b32 s14, s13
	s_cbranch_execnz .LBB38_1472
	s_branch .LBB38_1473
.LBB38_1490:
	s_mov_b32 s1, -1
                                        ; implicit-def: $vgpr2
	s_branch .LBB38_1495
.LBB38_1491:
	s_mov_b32 s1, -1
                                        ; implicit-def: $vgpr2
.LBB38_1492:
	s_and_b32 vcc_lo, exec_lo, s1
	s_cbranch_vccz .LBB38_1494
; %bb.1493:
	global_load_ubyte v2, v[0:1], off
	s_waitcnt vmcnt(0)
	v_lshlrev_b32_e32 v2, 24, v2
	v_and_b32_e32 v3, 0x7f000000, v2
	v_ffbh_u32_e32 v4, v3
	v_add_nc_u32_e32 v9, 0x1000000, v3
	v_cmp_ne_u32_e32 vcc_lo, 0, v3
	v_min_u32_e32 v4, 32, v4
	v_sub_nc_u32_e64 v4, v4, 4 clamp
	v_lshlrev_b32_e32 v5, v4, v3
	v_lshlrev_b32_e32 v4, 23, v4
	v_lshrrev_b32_e32 v5, 4, v5
	v_sub_nc_u32_e32 v4, v5, v4
	v_ashrrev_i32_e32 v5, 8, v9
	v_add_nc_u32_e32 v4, 0x3c000000, v4
	v_and_or_b32 v4, 0x7f800000, v5, v4
	v_cndmask_b32_e32 v3, 0, v4, vcc_lo
	v_and_or_b32 v2, 0x80000000, v2, v3
	v_bfe_u32 v3, v3, 16, 1
	v_cmp_o_f32_e32 vcc_lo, v2, v2
	v_add3_u32 v2, v2, v3, 0x7fff
	v_mov_b32_e32 v3, 0x7fc0
	v_cndmask_b32_sdwa v2, v3, v2, vcc_lo dst_sel:DWORD dst_unused:UNUSED_PAD src0_sel:DWORD src1_sel:WORD_1
.LBB38_1494:
	s_mov_b32 s1, 0
.LBB38_1495:
	s_andn2_b32 vcc_lo, exec_lo, s1
	s_cbranch_vccnz .LBB38_1497
; %bb.1496:
	global_load_ubyte v2, v[0:1], off
	s_waitcnt vmcnt(0)
	v_lshlrev_b32_e32 v3, 25, v2
	v_lshlrev_b16 v2, 8, v2
	v_lshrrev_b32_e32 v4, 4, v3
	v_and_or_b32 v5, 0x7f00, v2, 0.5
	v_cmp_gt_u32_e32 vcc_lo, 0x8000000, v3
	v_bfe_i32 v2, v2, 0, 16
	v_or_b32_e32 v4, 0x70000000, v4
	v_add_f32_e32 v5, -0.5, v5
	v_mul_f32_e32 v4, 0x7800000, v4
	v_cndmask_b32_e32 v3, v4, v5, vcc_lo
	v_and_or_b32 v2, 0x80000000, v2, v3
	v_bfe_u32 v3, v3, 16, 1
	v_cmp_o_f32_e32 vcc_lo, v2, v2
	v_add3_u32 v2, v2, v3, 0x7fff
	v_mov_b32_e32 v3, 0x7fc0
	v_cndmask_b32_sdwa v2, v3, v2, vcc_lo dst_sel:DWORD dst_unused:UNUSED_PAD src0_sel:DWORD src1_sel:WORD_1
.LBB38_1497:
	s_mov_b32 s1, 0
	s_mov_b32 s13, -1
.LBB38_1498:
	s_andn2_b32 vcc_lo, exec_lo, s1
	s_mov_b32 s1, 0
	s_cbranch_vccnz .LBB38_1509
; %bb.1499:
	s_cmp_gt_i32 s6, 14
	s_cbranch_scc0 .LBB38_1502
; %bb.1500:
	s_cmp_eq_u32 s6, 15
	s_cbranch_scc0 .LBB38_1505
; %bb.1501:
	global_load_ushort v2, v[0:1], off
	s_mov_b32 s0, 0
	s_mov_b32 s13, -1
	s_branch .LBB38_1507
.LBB38_1502:
	s_mov_b32 s1, -1
	s_branch .LBB38_1506
.LBB38_1503:
	s_or_saveexec_b32 s13, s13
	v_mov_b32_e32 v3, 0x7f800001
	s_xor_b32 exec_lo, exec_lo, s13
	s_cbranch_execz .LBB38_1484
.LBB38_1504:
	v_cmp_ne_u16_e32 vcc_lo, 0, v2
	v_mov_b32_e32 v3, 0
	s_andn2_b32 s1, s1, exec_lo
	s_and_b32 s14, vcc_lo, exec_lo
	s_or_b32 s1, s1, s14
	s_or_b32 exec_lo, exec_lo, s13
	s_and_saveexec_b32 s13, s1
	s_cbranch_execnz .LBB38_1485
	s_branch .LBB38_1486
.LBB38_1505:
	s_mov_b32 s0, -1
.LBB38_1506:
                                        ; implicit-def: $vgpr2
.LBB38_1507:
	s_and_b32 vcc_lo, exec_lo, s1
	s_mov_b32 s1, 0
	s_cbranch_vccz .LBB38_1509
; %bb.1508:
	s_cmp_lg_u32 s6, 11
	s_mov_b32 s1, -1
	s_cselect_b32 s0, -1, 0
.LBB38_1509:
	s_and_b32 vcc_lo, exec_lo, s0
	s_cbranch_vccnz .LBB38_1596
; %bb.1510:
	s_andn2_b32 vcc_lo, exec_lo, s1
	s_cbranch_vccnz .LBB38_1512
.LBB38_1511:
	global_load_ubyte v2, v[0:1], off
	s_mov_b32 s13, -1
	s_waitcnt vmcnt(0)
	v_cmp_ne_u16_e32 vcc_lo, 0, v2
	v_cndmask_b32_e64 v2, 0, 1.0, vcc_lo
	v_lshrrev_b32_e32 v2, 16, v2
.LBB38_1512:
	s_branch .LBB38_1439
.LBB38_1513:
	s_cmp_lt_i32 s6, 5
	s_cbranch_scc1 .LBB38_1518
; %bb.1514:
	s_cmp_lt_i32 s6, 8
	s_cbranch_scc1 .LBB38_1519
; %bb.1515:
	;; [unrolled: 3-line block ×3, first 2 shown]
	s_cmp_gt_i32 s6, 9
	s_cbranch_scc0 .LBB38_1521
; %bb.1517:
	global_load_dwordx2 v[2:3], v[0:1], off
	s_mov_b32 s0, 0
	s_waitcnt vmcnt(0)
	v_cvt_f32_f64_e32 v2, v[2:3]
	v_bfe_u32 v3, v2, 16, 1
	v_cmp_o_f32_e32 vcc_lo, v2, v2
	v_add3_u32 v2, v2, v3, 0x7fff
	v_mov_b32_e32 v3, 0x7fc0
	v_cndmask_b32_sdwa v2, v3, v2, vcc_lo dst_sel:DWORD dst_unused:UNUSED_PAD src0_sel:DWORD src1_sel:WORD_1
	s_branch .LBB38_1522
.LBB38_1518:
	s_mov_b32 s0, -1
                                        ; implicit-def: $vgpr2
	s_branch .LBB38_1540
.LBB38_1519:
	s_mov_b32 s0, -1
                                        ; implicit-def: $vgpr2
	s_branch .LBB38_1528
.LBB38_1520:
	s_mov_b32 s0, -1
                                        ; implicit-def: $vgpr2
	s_branch .LBB38_1525
.LBB38_1521:
	s_mov_b32 s0, -1
                                        ; implicit-def: $vgpr2
.LBB38_1522:
	s_andn2_b32 vcc_lo, exec_lo, s0
	s_cbranch_vccnz .LBB38_1524
; %bb.1523:
	global_load_dword v2, v[0:1], off
	s_waitcnt vmcnt(0)
	v_bfe_u32 v3, v2, 16, 1
	v_cmp_o_f32_e32 vcc_lo, v2, v2
	v_add3_u32 v2, v2, v3, 0x7fff
	v_mov_b32_e32 v3, 0x7fc0
	v_cndmask_b32_sdwa v2, v3, v2, vcc_lo dst_sel:DWORD dst_unused:UNUSED_PAD src0_sel:DWORD src1_sel:WORD_1
.LBB38_1524:
	s_mov_b32 s0, 0
.LBB38_1525:
	s_andn2_b32 vcc_lo, exec_lo, s0
	s_cbranch_vccnz .LBB38_1527
; %bb.1526:
	global_load_dword v2, v[0:1], off
	s_waitcnt vmcnt(0)
	v_cvt_f32_f16_e32 v3, v2
	v_cmp_o_f16_e32 vcc_lo, v2, v2
	v_bfe_u32 v4, v3, 16, 1
	v_add3_u32 v2, v3, v4, 0x7fff
	v_mov_b32_e32 v3, 0x7fc0
	v_cndmask_b32_sdwa v2, v3, v2, vcc_lo dst_sel:DWORD dst_unused:UNUSED_PAD src0_sel:DWORD src1_sel:WORD_1
.LBB38_1527:
	s_mov_b32 s0, 0
.LBB38_1528:
	s_andn2_b32 vcc_lo, exec_lo, s0
	s_cbranch_vccnz .LBB38_1539
; %bb.1529:
	s_cmp_lt_i32 s6, 6
	s_cbranch_scc1 .LBB38_1532
; %bb.1530:
	s_cmp_gt_i32 s6, 6
	s_cbranch_scc0 .LBB38_1533
; %bb.1531:
	global_load_dwordx2 v[2:3], v[0:1], off
	s_mov_b32 s0, 0
	s_waitcnt vmcnt(0)
	v_cvt_f32_f64_e32 v2, v[2:3]
	v_bfe_u32 v3, v2, 16, 1
	v_cmp_o_f32_e32 vcc_lo, v2, v2
	v_add3_u32 v2, v2, v3, 0x7fff
	v_mov_b32_e32 v3, 0x7fc0
	v_cndmask_b32_sdwa v2, v3, v2, vcc_lo dst_sel:DWORD dst_unused:UNUSED_PAD src0_sel:DWORD src1_sel:WORD_1
	s_branch .LBB38_1534
.LBB38_1532:
	s_mov_b32 s0, -1
                                        ; implicit-def: $vgpr2
	s_branch .LBB38_1537
.LBB38_1533:
	s_mov_b32 s0, -1
                                        ; implicit-def: $vgpr2
.LBB38_1534:
	s_andn2_b32 vcc_lo, exec_lo, s0
	s_cbranch_vccnz .LBB38_1536
; %bb.1535:
	global_load_dword v2, v[0:1], off
	s_waitcnt vmcnt(0)
	v_bfe_u32 v3, v2, 16, 1
	v_cmp_o_f32_e32 vcc_lo, v2, v2
	v_add3_u32 v2, v2, v3, 0x7fff
	v_mov_b32_e32 v3, 0x7fc0
	v_cndmask_b32_sdwa v2, v3, v2, vcc_lo dst_sel:DWORD dst_unused:UNUSED_PAD src0_sel:DWORD src1_sel:WORD_1
.LBB38_1536:
	s_mov_b32 s0, 0
.LBB38_1537:
	s_andn2_b32 vcc_lo, exec_lo, s0
	s_cbranch_vccnz .LBB38_1539
; %bb.1538:
	global_load_ushort v2, v[0:1], off
	s_waitcnt vmcnt(0)
	v_cvt_f32_f16_e32 v3, v2
	v_cmp_o_f16_e32 vcc_lo, v2, v2
	v_bfe_u32 v4, v3, 16, 1
	v_add3_u32 v2, v3, v4, 0x7fff
	v_mov_b32_e32 v3, 0x7fc0
	v_cndmask_b32_sdwa v2, v3, v2, vcc_lo dst_sel:DWORD dst_unused:UNUSED_PAD src0_sel:DWORD src1_sel:WORD_1
.LBB38_1539:
	s_mov_b32 s0, 0
.LBB38_1540:
	s_andn2_b32 vcc_lo, exec_lo, s0
	s_cbranch_vccnz .LBB38_1560
; %bb.1541:
	s_cmp_lt_i32 s6, 2
	s_cbranch_scc1 .LBB38_1545
; %bb.1542:
	s_cmp_lt_i32 s6, 3
	s_cbranch_scc1 .LBB38_1546
; %bb.1543:
	s_cmp_gt_i32 s6, 3
	s_cbranch_scc0 .LBB38_1547
; %bb.1544:
	global_load_dwordx2 v[2:3], v[0:1], off
	s_mov_b32 s0, 0
	s_waitcnt vmcnt(0)
	v_xor_b32_e32 v4, v2, v3
	v_ffbh_i32_e32 v5, v3
	v_ashrrev_i32_e32 v4, 31, v4
	v_add_nc_u32_e32 v5, -1, v5
	v_add_nc_u32_e32 v4, 32, v4
	v_min_u32_e32 v4, v5, v4
	v_lshlrev_b64 v[2:3], v4, v[2:3]
	v_min_u32_e32 v2, 1, v2
	v_or_b32_e32 v2, v3, v2
	v_sub_nc_u32_e32 v3, 32, v4
	v_cvt_f32_i32_e32 v2, v2
	v_ldexp_f32 v2, v2, v3
	v_bfe_u32 v3, v2, 16, 1
	v_add3_u32 v2, v2, v3, 0x7fff
	v_lshrrev_b32_e32 v2, 16, v2
	s_branch .LBB38_1548
.LBB38_1545:
	s_mov_b32 s0, -1
                                        ; implicit-def: $vgpr2
	s_branch .LBB38_1554
.LBB38_1546:
	s_mov_b32 s0, -1
                                        ; implicit-def: $vgpr2
	s_branch .LBB38_1551
.LBB38_1547:
	s_mov_b32 s0, -1
                                        ; implicit-def: $vgpr2
.LBB38_1548:
	s_andn2_b32 vcc_lo, exec_lo, s0
	s_cbranch_vccnz .LBB38_1550
; %bb.1549:
	global_load_dword v2, v[0:1], off
	s_waitcnt vmcnt(0)
	v_cvt_f32_i32_e32 v2, v2
	v_bfe_u32 v3, v2, 16, 1
	v_add3_u32 v2, v2, v3, 0x7fff
	v_lshrrev_b32_e32 v2, 16, v2
.LBB38_1550:
	s_mov_b32 s0, 0
.LBB38_1551:
	s_andn2_b32 vcc_lo, exec_lo, s0
	s_cbranch_vccnz .LBB38_1553
; %bb.1552:
	global_load_sshort v2, v[0:1], off
	s_waitcnt vmcnt(0)
	v_cvt_f32_i32_e32 v2, v2
	v_bfe_u32 v3, v2, 16, 1
	v_add3_u32 v2, v2, v3, 0x7fff
	v_lshrrev_b32_e32 v2, 16, v2
.LBB38_1553:
	s_mov_b32 s0, 0
.LBB38_1554:
	s_andn2_b32 vcc_lo, exec_lo, s0
	s_cbranch_vccnz .LBB38_1560
; %bb.1555:
	s_cmp_gt_i32 s6, 0
	s_mov_b32 s0, 0
	s_cbranch_scc0 .LBB38_1557
; %bb.1556:
	global_load_sbyte v2, v[0:1], off
	s_waitcnt vmcnt(0)
	v_cvt_f32_i32_e32 v2, v2
	v_bfe_u32 v3, v2, 16, 1
	v_add3_u32 v2, v2, v3, 0x7fff
	v_lshrrev_b32_e32 v2, 16, v2
	s_branch .LBB38_1558
.LBB38_1557:
	s_mov_b32 s0, -1
                                        ; implicit-def: $vgpr2
.LBB38_1558:
	s_andn2_b32 vcc_lo, exec_lo, s0
	s_cbranch_vccnz .LBB38_1560
; %bb.1559:
	global_load_ubyte v0, v[0:1], off
	s_waitcnt vmcnt(0)
	v_cvt_f32_ubyte0_e32 v0, v0
	v_bfe_u32 v1, v0, 16, 1
	v_add3_u32 v0, v0, v1, 0x7fff
	v_lshrrev_b32_e32 v2, 16, v0
.LBB38_1560:
.LBB38_1561:
	s_waitcnt vmcnt(0)
	v_lshlrev_b32_e32 v11, 16, v2
                                        ; implicit-def: $vgpr9
	s_mov_b32 s0, exec_lo
	v_cmpx_neq_f32_e32 0, v11
	s_xor_b32 s13, exec_lo, s0
	s_cbranch_execz .LBB38_1583
; %bb.1562:
	v_mov_b32_e32 v0, 0
	s_mov_b32 s0, -1
	s_mov_b32 s14, exec_lo
	v_cmpx_gt_f32_e32 0, v11
	s_cbranch_execz .LBB38_1570
; %bb.1563:
	v_trunc_f32_e32 v0, v11
	s_mov_b32 s1, 0
	v_cmp_neq_f32_e32 vcc_lo, v0, v11
	v_mov_b32_e32 v0, 0
	s_and_saveexec_b32 s15, vcc_lo
	s_cbranch_execz .LBB38_1569
; %bb.1564:
	v_cvt_f64_f32_e32 v[0:1], v11
	s_mov_b32 s1, 0xc00921fb
	s_mov_b32 s0, 0x54442d18
	s_mov_b32 s16, exec_lo
                                        ; implicit-def: $vgpr9
                                        ; implicit-def: $vgpr4_vgpr5
	v_trunc_f64_e32 v[2:3], v[0:1]
	v_cmp_neq_f64_e64 vcc_lo, 0x7ff00000, |v[0:1]|
	v_add_f64 v[2:3], v[0:1], -v[2:3]
	v_mul_f64 v[2:3], |v[2:3]|, s[0:1]
	v_cndmask_b32_e32 v1, 0x80000000, v3, vcc_lo
	v_cndmask_b32_e32 v0, 0, v2, vcc_lo
                                        ; implicit-def: $vgpr2_vgpr3
	v_cmpx_ngt_f64_e64 0x41d00000, |v[0:1]|
	s_xor_b32 s16, exec_lo, s16
	s_cbranch_execz .LBB38_1566
; %bb.1565:
	v_ldexp_f64 v[2:3], |v[0:1]|, 0xffffff80
	v_cmp_le_f64_e64 vcc_lo, 0x7b000000, |v[0:1]|
	v_trig_preop_f64 v[4:5], |v[0:1]|, 0
	v_and_b32_e32 v9, 0x7fffffff, v1
	v_trig_preop_f64 v[12:13], |v[0:1]|, 1
	v_trig_preop_f64 v[22:23], |v[0:1]|, 2
	v_mov_b32_e32 v30, 0
	s_mov_b32 s1, 0x3ff921fb
	s_mov_b32 s18, 0x33145c07
	;; [unrolled: 1-line block ×3, first 2 shown]
	v_cndmask_b32_e32 v3, v9, v3, vcc_lo
	v_cndmask_b32_e32 v2, v0, v2, vcc_lo
	v_mul_f64 v[14:15], v[4:5], v[2:3]
	v_mul_f64 v[16:17], v[12:13], v[2:3]
	v_mul_f64 v[28:29], v[22:23], v[2:3]
	v_fma_f64 v[4:5], v[4:5], v[2:3], -v[14:15]
	v_fma_f64 v[12:13], v[12:13], v[2:3], -v[16:17]
	;; [unrolled: 1-line block ×3, first 2 shown]
	v_add_f64 v[18:19], v[16:17], v[4:5]
	v_add_f64 v[20:21], v[18:19], -v[16:17]
	v_add_f64 v[26:27], v[14:15], v[18:19]
	v_add_f64 v[24:25], v[18:19], -v[20:21]
	v_add_f64 v[4:5], v[4:5], -v[20:21]
	v_ldexp_f64 v[20:21], v[26:27], -2
	v_add_f64 v[14:15], v[26:27], -v[14:15]
	v_add_f64 v[16:17], v[16:17], -v[24:25]
	v_add_f64 v[24:25], v[28:29], v[12:13]
	v_cmp_neq_f64_e64 vcc_lo, 0x7ff00000, |v[20:21]|
	v_add_f64 v[14:15], v[18:19], -v[14:15]
	v_add_f64 v[4:5], v[4:5], v[16:17]
	v_fract_f64_e32 v[16:17], v[20:21]
	v_add_f64 v[18:19], v[24:25], v[4:5]
	v_ldexp_f64 v[16:17], v[16:17], 2
	v_add_f64 v[20:21], v[14:15], v[18:19]
	v_cndmask_b32_e32 v17, 0, v17, vcc_lo
	v_cndmask_b32_e32 v16, 0, v16, vcc_lo
	v_add_f64 v[26:27], v[20:21], v[16:17]
	v_add_f64 v[14:15], v[20:21], -v[14:15]
	v_cmp_gt_f64_e32 vcc_lo, 0, v[26:27]
	v_add_f64 v[26:27], v[24:25], -v[28:29]
	v_add_f64 v[14:15], v[18:19], -v[14:15]
	v_cndmask_b32_e64 v31, 0, 0x40100000, vcc_lo
	v_add_f64 v[35:36], v[24:25], -v[26:27]
	v_add_f64 v[12:13], v[12:13], -v[26:27]
	v_add_f64 v[16:17], v[16:17], v[30:31]
	v_add_f64 v[31:32], v[18:19], -v[24:25]
	v_add_f64 v[26:27], v[28:29], -v[35:36]
	v_add_f64 v[33:34], v[20:21], v[16:17]
	;; [unrolled: 3-line block ×3, first 2 shown]
	v_cvt_i32_f64_e32 v9, v[33:34]
	v_add_f64 v[24:25], v[24:25], -v[37:38]
	v_cvt_f64_i32_e32 v[31:32], v9
	v_add_f64 v[4:5], v[4:5], v[24:25]
	v_add_f64 v[16:17], v[16:17], -v[31:32]
	v_add_f64 v[4:5], v[12:13], v[4:5]
	v_add_f64 v[12:13], v[20:21], v[16:17]
	;; [unrolled: 1-line block ×3, first 2 shown]
	v_add_f64 v[4:5], v[12:13], -v[16:17]
	v_cmp_le_f64_e32 vcc_lo, 0.5, v[12:13]
	v_add_f64 v[2:3], v[14:15], v[2:3]
	v_add_f64 v[4:5], v[20:21], -v[4:5]
	v_cndmask_b32_e64 v31, 0, 0x3ff00000, vcc_lo
	v_add_co_ci_u32_e64 v9, null, 0, v9, vcc_lo
	v_add_f64 v[2:3], v[2:3], v[4:5]
	v_add_f64 v[4:5], v[12:13], -v[30:31]
	v_add_f64 v[12:13], v[4:5], v[2:3]
	v_mul_f64 v[14:15], v[12:13], s[0:1]
	v_add_f64 v[4:5], v[12:13], -v[4:5]
	v_fma_f64 v[16:17], v[12:13], s[0:1], -v[14:15]
	v_add_f64 v[2:3], v[2:3], -v[4:5]
	v_fma_f64 v[4:5], v[12:13], s[18:19], v[16:17]
	v_fma_f64 v[4:5], v[2:3], s[0:1], v[4:5]
	v_add_f64 v[2:3], v[14:15], v[4:5]
	v_add_f64 v[12:13], v[2:3], -v[14:15]
	v_add_f64 v[4:5], v[4:5], -v[12:13]
.LBB38_1566:
	s_andn2_saveexec_b32 s0, s16
	s_cbranch_execz .LBB38_1568
; %bb.1567:
	s_mov_b32 s16, 0x6dc9c883
	s_mov_b32 s17, 0x3fe45f30
	;; [unrolled: 1-line block ×3, first 2 shown]
	v_mul_f64 v[2:3], |v[0:1]|, s[16:17]
	s_mov_b32 s16, 0x54442d18
	s_mov_b32 s17, 0xbff921fb
	s_mov_b32 s18, 0x33145c00
	v_rndne_f64_e32 v[12:13], v[2:3]
	v_fma_f64 v[2:3], v[12:13], s[16:17], |v[0:1]|
	v_mul_f64 v[4:5], v[12:13], s[18:19]
	s_mov_b32 s16, 0x252049c0
	s_mov_b32 s17, 0xb97b839a
	v_cvt_i32_f64_e32 v9, v[12:13]
	v_fma_f64 v[16:17], v[12:13], s[18:19], v[2:3]
	v_add_f64 v[14:15], v[2:3], v[4:5]
	s_mov_b32 s19, 0x3c91a626
	v_add_f64 v[2:3], v[2:3], -v[14:15]
	v_add_f64 v[14:15], v[14:15], -v[16:17]
	v_add_f64 v[2:3], v[2:3], v[4:5]
	v_fma_f64 v[4:5], v[12:13], s[18:19], v[4:5]
	v_add_f64 v[2:3], v[14:15], v[2:3]
	v_add_f64 v[2:3], v[2:3], -v[4:5]
	v_fma_f64 v[4:5], v[12:13], s[16:17], v[2:3]
	v_add_f64 v[2:3], v[16:17], v[4:5]
	v_add_f64 v[14:15], v[2:3], -v[16:17]
	v_add_f64 v[4:5], v[4:5], -v[14:15]
.LBB38_1568:
	s_or_b32 exec_lo, exec_lo, s0
	v_mul_f64 v[12:13], v[2:3], v[2:3]
	v_add_f64 v[14:15], v[4:5], v[4:5]
	s_mov_b32 s16, 0xa9a29f71
	s_mov_b32 s18, 0xc751c08c
	;; [unrolled: 1-line block ×4, first 2 shown]
	v_cmp_class_f64_e64 s0, v[0:1], 0x1f8
	v_and_b32_e32 v9, 1, v9
	v_and_b32_e32 v1, 0x80000000, v1
	v_sub_f32_e32 v11, 1.0, v11
	s_mov_b32 s1, exec_lo
	v_cmp_eq_u32_e32 vcc_lo, 0, v9
	v_fma_f64 v[16:17], v[2:3], v[2:3], -v[12:13]
	v_fma_f64 v[14:15], v[2:3], v[14:15], v[16:17]
	v_add_f64 v[12:13], v[12:13], v[14:15]
	v_fma_f64 v[14:15], v[12:13], s[18:19], s[16:17]
	s_mov_b32 s16, 0x90a8aae0
	s_mov_b32 s17, 0x3f17746f
	v_fma_f64 v[14:15], v[12:13], v[14:15], s[16:17]
	s_mov_b32 s16, 0xa6fbf144
	s_mov_b32 s17, 0xbefbb44d
	;; [unrolled: 3-line block ×13, first 2 shown]
	v_mul_f64 v[12:13], v[12:13], v[14:15]
	v_mul_f64 v[14:15], v[2:3], v[12:13]
	v_add_f64 v[16:17], v[2:3], v[14:15]
	v_fma_f64 v[12:13], v[2:3], v[12:13], -v[14:15]
	v_add_f64 v[2:3], v[16:17], -v[2:3]
	v_add_f64 v[4:5], v[4:5], v[12:13]
	v_add_f64 v[2:3], v[14:15], -v[2:3]
	v_add_f64 v[2:3], v[4:5], v[2:3]
	v_add_f64 v[4:5], v[16:17], v[2:3]
	v_rcp_f64_e32 v[12:13], v[4:5]
	v_fma_f64 v[14:15], -v[4:5], v[12:13], 1.0
	v_fma_f64 v[12:13], v[14:15], v[12:13], v[12:13]
	v_fma_f64 v[14:15], -v[4:5], v[12:13], 1.0
	v_fma_f64 v[12:13], v[14:15], v[12:13], v[12:13]
	v_add_f64 v[14:15], v[4:5], -v[16:17]
	v_mul_f64 v[16:17], v[4:5], v[12:13]
	v_add_f64 v[2:3], v[2:3], -v[14:15]
	v_fma_f64 v[14:15], v[12:13], v[4:5], -v[16:17]
	v_fma_f64 v[2:3], v[12:13], v[2:3], v[14:15]
	v_add_f64 v[14:15], v[16:17], v[2:3]
	v_add_f64 v[18:19], -v[14:15], 1.0
	v_add_f64 v[16:17], v[14:15], -v[16:17]
	v_add_f64 v[20:21], -v[18:19], 1.0
	v_add_f64 v[2:3], v[16:17], -v[2:3]
	v_add_f64 v[14:15], v[20:21], -v[14:15]
	v_add_f64 v[2:3], v[2:3], v[14:15]
	v_add_f64 v[2:3], v[18:19], v[2:3]
	v_mul_f64 v[2:3], v[12:13], v[2:3]
	v_add_f64 v[2:3], v[12:13], v[2:3]
	v_xor_b32_e32 v0, 0x80000000, v3
	v_cndmask_b32_e32 v2, v2, v4, vcc_lo
	v_cndmask_b32_e32 v0, v0, v5, vcc_lo
	v_xor_b32_e32 v1, v0, v1
	v_cndmask_b32_e64 v0, 0, v2, s0
	v_cndmask_b32_e64 v1, 0x7ff80000, v1, s0
	v_div_scale_f64 v[2:3], null, v[0:1], v[0:1], s[16:17]
	v_rcp_f64_e32 v[4:5], v[2:3]
	v_fma_f64 v[12:13], -v[2:3], v[4:5], 1.0
	v_fma_f64 v[4:5], v[4:5], v[12:13], v[4:5]
	v_fma_f64 v[12:13], -v[2:3], v[4:5], 1.0
	v_fma_f64 v[4:5], v[4:5], v[12:13], v[4:5]
	v_div_scale_f64 v[12:13], vcc_lo, s[16:17], v[0:1], s[16:17]
	v_mul_f64 v[14:15], v[12:13], v[4:5]
	v_fma_f64 v[2:3], -v[2:3], v[14:15], v[12:13]
	v_div_fmas_f64 v[2:3], v[2:3], v[4:5], v[14:15]
	v_div_fixup_f64 v[0:1], v[2:3], v[0:1], s[16:17]
	v_cvt_f32_f64_e32 v0, v[0:1]
.LBB38_1569:
	s_or_b32 exec_lo, exec_lo, s15
	s_orn2_b32 s0, s1, exec_lo
.LBB38_1570:
	s_or_b32 exec_lo, exec_lo, s14
	v_mov_b32_e32 v9, 0x7fc0
	s_and_saveexec_b32 s1, s0
	s_cbranch_execz .LBB38_1582
; %bb.1571:
	s_mov_b32 s0, exec_lo
	v_cmpx_gt_f32_e32 0x41200000, v11
	s_cbranch_execz .LBB38_1575
; %bb.1572:
	s_mov_b32 s14, 0
	.p2align	6
.LBB38_1573:                            ; =>This Inner Loop Header: Depth=1
	v_div_scale_f32 v1, null, v11, v11, 1.0
	v_div_scale_f32 v4, vcc_lo, 1.0, v11, 1.0
	v_rcp_f32_e32 v2, v1
	v_fma_f32 v3, -v1, v2, 1.0
	v_fmac_f32_e32 v2, v3, v2
	v_mul_f32_e32 v3, v4, v2
	v_fma_f32 v5, -v1, v3, v4
	v_fmac_f32_e32 v3, v5, v2
	v_fma_f32 v1, -v1, v3, v4
	v_div_fmas_f32 v1, v1, v2, v3
	v_div_fixup_f32 v1, v1, v11, 1.0
	v_add_f32_e32 v11, 1.0, v11
	v_sub_f32_e32 v0, v0, v1
	v_cmp_ngt_f32_e32 vcc_lo, 0x41200000, v11
	s_or_b32 s14, vcc_lo, s14
	s_andn2_b32 exec_lo, exec_lo, s14
	s_cbranch_execnz .LBB38_1573
; %bb.1574:
	s_or_b32 exec_lo, exec_lo, s14
.LBB38_1575:
	s_or_b32 exec_lo, exec_lo, s0
                                        ; implicit-def: $vgpr9
	s_mov_b32 s0, exec_lo
	v_cmpx_neq_f32_e32 0x41200000, v11
	s_xor_b32 s14, exec_lo, s0
	s_cbranch_execz .LBB38_1579
; %bb.1576:
	v_cvt_f64_f32_e32 v[1:2], v11
	s_mov_b32 s16, 0x85d8a000
	s_mov_b32 s17, 0x43763457
	v_cmp_gt_f64_e32 vcc_lo, s[16:17], v[1:2]
	v_mov_b32_e32 v1, 0
	s_and_saveexec_b32 s0, vcc_lo
	s_cbranch_execz .LBB38_1578
; %bb.1577:
	v_mul_f32_e32 v1, v11, v11
	v_div_scale_f32 v2, null, v1, v1, 1.0
	v_rcp_f32_e32 v3, v2
	v_fma_f32 v4, -v2, v3, 1.0
	v_fmac_f32_e32 v3, v4, v3
	v_div_scale_f32 v4, vcc_lo, 1.0, v1, 1.0
	v_mul_f32_e32 v5, v4, v3
	v_fma_f32 v9, -v2, v5, v4
	v_fmac_f32_e32 v5, v9, v3
	v_fma_f32 v2, -v2, v5, v4
	v_div_fmas_f32 v2, v2, v3, v5
	v_div_fixup_f32 v1, v2, v1, 1.0
	v_fmaak_f32 v2, 0, v1, 0x3daaaaab
	v_fmaak_f32 v2, v1, v2, 0xbcaccacd
	;; [unrolled: 1-line block ×7, first 2 shown]
	v_mul_f32_e32 v1, v1, v2
.LBB38_1578:
	s_or_b32 exec_lo, exec_lo, s0
	v_cmp_gt_f32_e32 vcc_lo, 0x800000, v11
	v_div_scale_f32 v2, null, v11, v11, -0.5
	v_div_scale_f32 v9, s0, -0.5, v11, -0.5
	v_cndmask_b32_e64 v3, 0, 32, vcc_lo
	v_rcp_f32_e32 v4, v2
	v_ldexp_f32 v3, v11, v3
	v_log_f32_e32 v3, v3
	v_fma_f32 v5, -v2, v4, 1.0
	v_fmac_f32_e32 v4, v5, v4
	v_mul_f32_e32 v5, 0x3f317217, v3
	v_mul_f32_e32 v12, v9, v4
	v_fma_f32 v5, 0x3f317217, v3, -v5
	v_fma_f32 v13, -v2, v12, v9
	v_fmamk_f32 v5, v3, 0x3377d1cf, v5
	v_fmac_f32_e32 v12, v13, v4
	v_cndmask_b32_e64 v13, 0, 0x41b17218, vcc_lo
	v_cmp_gt_f32_e64 vcc_lo, 0x7f800000, |v3|
	v_fmac_f32_e32 v5, 0x3f317217, v3
	v_fma_f32 v2, -v2, v12, v9
	v_cndmask_b32_e32 v3, v3, v5, vcc_lo
	s_mov_b32 vcc_lo, s0
	v_div_fmas_f32 v2, v2, v4, v12
	v_sub_f32_e32 v3, v3, v13
	v_div_fixup_f32 v2, v2, v11, -0.5
	v_add_f32_e32 v2, v3, v2
	v_sub_f32_e32 v1, v2, v1
	v_add_f32_e32 v0, v0, v1
	v_bfe_u32 v1, v0, 16, 1
	v_cmp_o_f32_e32 vcc_lo, v0, v0
	v_add3_u32 v0, v0, v1, 0x7fff
	v_mov_b32_e32 v1, 0x7fc0
	v_cndmask_b32_sdwa v9, v1, v0, vcc_lo dst_sel:DWORD dst_unused:UNUSED_PAD src0_sel:DWORD src1_sel:WORD_1
                                        ; implicit-def: $vgpr0
.LBB38_1579:
	s_andn2_saveexec_b32 s0, s14
; %bb.1580:
	v_add_f32_e32 v0, 0x40101cb7, v0
	v_bfe_u32 v1, v0, 16, 1
	v_cmp_o_f32_e32 vcc_lo, v0, v0
	v_add3_u32 v0, v0, v1, 0x7fff
	v_mov_b32_e32 v1, 0x7fc0
	v_cndmask_b32_sdwa v9, v1, v0, vcc_lo dst_sel:DWORD dst_unused:UNUSED_PAD src0_sel:DWORD src1_sel:WORD_1
; %bb.1581:
	s_or_b32 exec_lo, exec_lo, s0
.LBB38_1582:
	s_or_b32 exec_lo, exec_lo, s1
                                        ; implicit-def: $vgpr11
.LBB38_1583:
	s_andn2_saveexec_b32 s0, s13
; %bb.1584:
	v_xor_b32_e32 v0, 0x80000000, v11
	s_mov_b32 s1, 0x7f800000
	v_and_or_b32 v0, 0x80000000, v0, s1
	v_lshrrev_b32_e32 v9, 16, v0
; %bb.1585:
	s_or_b32 exec_lo, exec_lo, s0
	v_add_nc_u32_e32 v0, s3, v10
	s_cmp_lt_i32 s6, 11
	v_ashrrev_i32_e32 v1, 31, v0
	v_add_co_u32 v0, vcc_lo, s10, v0
	v_add_co_ci_u32_e64 v1, null, s11, v1, vcc_lo
	s_cbranch_scc1 .LBB38_1592
; %bb.1586:
	s_cmp_gt_i32 s6, 25
	s_mov_b32 s1, 0
	s_cbranch_scc0 .LBB38_1593
; %bb.1587:
	s_cmp_gt_i32 s6, 28
	s_cbranch_scc0 .LBB38_1594
; %bb.1588:
	s_cmp_gt_i32 s6, 43
	;; [unrolled: 3-line block ×3, first 2 shown]
	s_cbranch_scc0 .LBB38_1597
; %bb.1590:
	s_cmp_eq_u32 s6, 46
	s_mov_b32 s10, 0
	s_cbranch_scc0 .LBB38_1598
; %bb.1591:
	global_load_dword v2, v[0:1], off
	s_mov_b32 s0, 0
	s_mov_b32 s3, -1
	s_branch .LBB38_1600
.LBB38_1592:
	s_mov_b32 s0, -1
	s_mov_b32 s3, 0
                                        ; implicit-def: $vgpr2
	s_branch .LBB38_1666
.LBB38_1593:
	s_mov_b32 s10, -1
	s_mov_b32 s3, 0
	s_mov_b32 s0, 0
                                        ; implicit-def: $vgpr2
	s_branch .LBB38_1629
.LBB38_1594:
	s_mov_b32 s10, -1
	s_mov_b32 s3, 0
	s_mov_b32 s0, 0
                                        ; implicit-def: $vgpr2
	s_branch .LBB38_1610
.LBB38_1595:
	s_mov_b32 s10, -1
	s_mov_b32 s3, 0
	s_mov_b32 s0, 0
                                        ; implicit-def: $vgpr2
	s_branch .LBB38_1605
.LBB38_1596:
	s_or_b32 s5, s5, exec_lo
	s_trap 2
	s_cbranch_execz .LBB38_1511
	s_branch .LBB38_1512
.LBB38_1597:
	s_mov_b32 s10, -1
	s_mov_b32 s3, 0
	s_mov_b32 s0, 0
	s_branch .LBB38_1599
.LBB38_1598:
	s_mov_b32 s0, -1
	s_mov_b32 s3, 0
.LBB38_1599:
                                        ; implicit-def: $vgpr2
.LBB38_1600:
	s_and_b32 vcc_lo, exec_lo, s10
	s_cbranch_vccz .LBB38_1604
; %bb.1601:
	s_cmp_eq_u32 s6, 44
	s_cbranch_scc0 .LBB38_1603
; %bb.1602:
	global_load_ubyte v2, v[0:1], off
	s_mov_b32 s0, 0
	s_mov_b32 s3, -1
	s_waitcnt vmcnt(0)
	v_lshlrev_b32_e32 v3, 23, v2
	v_cmp_ne_u32_e32 vcc_lo, 0xff, v2
	v_cndmask_b32_e32 v3, 0x7f800001, v3, vcc_lo
	v_cmp_ne_u32_e32 vcc_lo, 0, v2
	v_cndmask_b32_e32 v2, 0x400000, v3, vcc_lo
	v_mov_b32_e32 v3, 0x7fc0
	v_cmp_o_f32_e32 vcc_lo, v2, v2
	v_add_nc_u32_e32 v2, 0x7fff, v2
	v_cndmask_b32_sdwa v2, v3, v2, vcc_lo dst_sel:DWORD dst_unused:UNUSED_PAD src0_sel:DWORD src1_sel:WORD_1
	s_branch .LBB38_1604
.LBB38_1603:
	s_mov_b32 s0, -1
                                        ; implicit-def: $vgpr2
.LBB38_1604:
	s_mov_b32 s10, 0
.LBB38_1605:
	s_and_b32 vcc_lo, exec_lo, s10
	s_cbranch_vccz .LBB38_1609
; %bb.1606:
	s_cmp_eq_u32 s6, 29
	s_cbranch_scc0 .LBB38_1608
; %bb.1607:
	global_load_dwordx2 v[2:3], v[0:1], off
	s_mov_b32 s0, 0
	s_mov_b32 s3, -1
	s_mov_b32 s10, 0
	s_waitcnt vmcnt(0)
	v_ffbh_u32_e32 v4, v3
	v_min_u32_e32 v4, 32, v4
	v_lshlrev_b64 v[2:3], v4, v[2:3]
	v_min_u32_e32 v2, 1, v2
	v_or_b32_e32 v2, v3, v2
	v_sub_nc_u32_e32 v3, 32, v4
	v_cvt_f32_u32_e32 v2, v2
	v_ldexp_f32 v2, v2, v3
	v_bfe_u32 v3, v2, 16, 1
	v_add3_u32 v2, v2, v3, 0x7fff
	v_lshrrev_b32_e32 v2, 16, v2
	s_branch .LBB38_1610
.LBB38_1608:
	s_mov_b32 s0, -1
                                        ; implicit-def: $vgpr2
.LBB38_1609:
	s_mov_b32 s10, 0
.LBB38_1610:
	s_and_b32 vcc_lo, exec_lo, s10
	s_cbranch_vccz .LBB38_1628
; %bb.1611:
	s_cmp_lt_i32 s6, 27
	s_cbranch_scc1 .LBB38_1614
; %bb.1612:
	s_cmp_gt_i32 s6, 27
	s_cbranch_scc0 .LBB38_1615
; %bb.1613:
	global_load_dword v2, v[0:1], off
	s_mov_b32 s3, 0
	s_waitcnt vmcnt(0)
	v_cvt_f32_u32_e32 v2, v2
	v_bfe_u32 v3, v2, 16, 1
	v_add3_u32 v2, v2, v3, 0x7fff
	v_lshrrev_b32_e32 v2, 16, v2
	s_branch .LBB38_1616
.LBB38_1614:
	s_mov_b32 s3, -1
                                        ; implicit-def: $vgpr2
	s_branch .LBB38_1619
.LBB38_1615:
	s_mov_b32 s3, -1
                                        ; implicit-def: $vgpr2
.LBB38_1616:
	s_andn2_b32 vcc_lo, exec_lo, s3
	s_cbranch_vccnz .LBB38_1618
; %bb.1617:
	global_load_ushort v2, v[0:1], off
	s_waitcnt vmcnt(0)
	v_cvt_f32_u32_e32 v2, v2
	v_bfe_u32 v3, v2, 16, 1
	v_add3_u32 v2, v2, v3, 0x7fff
	v_lshrrev_b32_e32 v2, 16, v2
.LBB38_1618:
	s_mov_b32 s3, 0
.LBB38_1619:
	s_andn2_b32 vcc_lo, exec_lo, s3
	s_cbranch_vccnz .LBB38_1627
; %bb.1620:
	global_load_ubyte v2, v[0:1], off
	s_mov_b32 s3, 0
	s_mov_b32 s10, exec_lo
	s_waitcnt vmcnt(0)
	v_cmpx_lt_i16_e32 0x7f, v2
	s_xor_b32 s10, exec_lo, s10
	s_cbranch_execz .LBB38_1641
; %bb.1621:
	s_mov_b32 s3, -1
	s_mov_b32 s11, exec_lo
	v_cmpx_eq_u16_e32 0x80, v2
; %bb.1622:
	s_xor_b32 s3, exec_lo, -1
; %bb.1623:
	s_or_b32 exec_lo, exec_lo, s11
	s_and_b32 s3, s3, exec_lo
	s_or_saveexec_b32 s10, s10
	v_mov_b32_e32 v3, 0x7f800001
	s_xor_b32 exec_lo, exec_lo, s10
	s_cbranch_execnz .LBB38_1642
.LBB38_1624:
	s_or_b32 exec_lo, exec_lo, s10
	s_and_saveexec_b32 s10, s3
	s_cbranch_execz .LBB38_1626
.LBB38_1625:
	v_and_b32_e32 v3, 0xffff, v2
	v_lshlrev_b32_e32 v2, 24, v2
	v_and_b32_e32 v4, 7, v3
	v_bfe_u32 v11, v3, 3, 4
	v_and_b32_e32 v2, 0x80000000, v2
	v_ffbh_u32_e32 v5, v4
	v_cmp_eq_u32_e32 vcc_lo, 0, v11
	v_min_u32_e32 v5, 32, v5
	v_subrev_nc_u32_e32 v10, 28, v5
	v_sub_nc_u32_e32 v5, 29, v5
	v_lshlrev_b32_e32 v3, v10, v3
	v_cndmask_b32_e32 v5, v11, v5, vcc_lo
	v_and_b32_e32 v3, 7, v3
	v_cndmask_b32_e32 v3, v4, v3, vcc_lo
	v_lshl_add_u32 v4, v5, 23, 0x3b800000
	v_lshlrev_b32_e32 v3, 20, v3
	v_or3_b32 v3, v2, v4, v3
.LBB38_1626:
	s_or_b32 exec_lo, exec_lo, s10
	v_bfe_u32 v2, v3, 16, 1
	v_cmp_o_f32_e32 vcc_lo, v3, v3
	v_add3_u32 v2, v3, v2, 0x7fff
	v_mov_b32_e32 v3, 0x7fc0
	v_cndmask_b32_sdwa v2, v3, v2, vcc_lo dst_sel:DWORD dst_unused:UNUSED_PAD src0_sel:DWORD src1_sel:WORD_1
.LBB38_1627:
	s_mov_b32 s3, -1
.LBB38_1628:
	s_mov_b32 s10, 0
.LBB38_1629:
	s_and_b32 vcc_lo, exec_lo, s10
	s_cbranch_vccz .LBB38_1662
; %bb.1630:
	s_cmp_gt_i32 s6, 22
	s_cbranch_scc0 .LBB38_1640
; %bb.1631:
	s_cmp_lt_i32 s6, 24
	s_cbranch_scc1 .LBB38_1643
; %bb.1632:
	s_cmp_gt_i32 s6, 24
	s_cbranch_scc0 .LBB38_1644
; %bb.1633:
	global_load_ubyte v2, v[0:1], off
	s_mov_b32 s3, exec_lo
	s_waitcnt vmcnt(0)
	v_cmpx_lt_i16_e32 0x7f, v2
	s_xor_b32 s3, exec_lo, s3
	s_cbranch_execz .LBB38_1656
; %bb.1634:
	s_mov_b32 s1, -1
	s_mov_b32 s10, exec_lo
	v_cmpx_eq_u16_e32 0x80, v2
; %bb.1635:
	s_xor_b32 s1, exec_lo, -1
; %bb.1636:
	s_or_b32 exec_lo, exec_lo, s10
	s_and_b32 s1, s1, exec_lo
	s_or_saveexec_b32 s3, s3
	v_mov_b32_e32 v3, 0x7f800001
	s_xor_b32 exec_lo, exec_lo, s3
	s_cbranch_execnz .LBB38_1657
.LBB38_1637:
	s_or_b32 exec_lo, exec_lo, s3
	s_and_saveexec_b32 s3, s1
	s_cbranch_execz .LBB38_1639
.LBB38_1638:
	v_and_b32_e32 v3, 0xffff, v2
	v_lshlrev_b32_e32 v2, 24, v2
	v_and_b32_e32 v4, 3, v3
	v_bfe_u32 v11, v3, 2, 5
	v_and_b32_e32 v2, 0x80000000, v2
	v_ffbh_u32_e32 v5, v4
	v_cmp_eq_u32_e32 vcc_lo, 0, v11
	v_min_u32_e32 v5, 32, v5
	v_subrev_nc_u32_e32 v10, 29, v5
	v_sub_nc_u32_e32 v5, 30, v5
	v_lshlrev_b32_e32 v3, v10, v3
	v_cndmask_b32_e32 v5, v11, v5, vcc_lo
	v_and_b32_e32 v3, 3, v3
	v_cndmask_b32_e32 v3, v4, v3, vcc_lo
	v_lshl_add_u32 v4, v5, 23, 0x37800000
	v_lshlrev_b32_e32 v3, 21, v3
	v_or3_b32 v3, v2, v4, v3
.LBB38_1639:
	s_or_b32 exec_lo, exec_lo, s3
	v_bfe_u32 v2, v3, 16, 1
	v_cmp_o_f32_e32 vcc_lo, v3, v3
	s_mov_b32 s1, 0
	v_add3_u32 v2, v3, v2, 0x7fff
	v_mov_b32_e32 v3, 0x7fc0
	v_cndmask_b32_sdwa v2, v3, v2, vcc_lo dst_sel:DWORD dst_unused:UNUSED_PAD src0_sel:DWORD src1_sel:WORD_1
	s_branch .LBB38_1645
.LBB38_1640:
	s_mov_b32 s1, -1
                                        ; implicit-def: $vgpr2
	s_branch .LBB38_1651
.LBB38_1641:
	s_or_saveexec_b32 s10, s10
	v_mov_b32_e32 v3, 0x7f800001
	s_xor_b32 exec_lo, exec_lo, s10
	s_cbranch_execz .LBB38_1624
.LBB38_1642:
	v_cmp_ne_u16_e32 vcc_lo, 0, v2
	v_mov_b32_e32 v3, 0
	s_andn2_b32 s3, s3, exec_lo
	s_and_b32 s11, vcc_lo, exec_lo
	s_or_b32 s3, s3, s11
	s_or_b32 exec_lo, exec_lo, s10
	s_and_saveexec_b32 s10, s3
	s_cbranch_execnz .LBB38_1625
	s_branch .LBB38_1626
.LBB38_1643:
	s_mov_b32 s1, -1
                                        ; implicit-def: $vgpr2
	s_branch .LBB38_1648
.LBB38_1644:
	s_mov_b32 s1, -1
                                        ; implicit-def: $vgpr2
.LBB38_1645:
	s_and_b32 vcc_lo, exec_lo, s1
	s_cbranch_vccz .LBB38_1647
; %bb.1646:
	global_load_ubyte v2, v[0:1], off
	s_waitcnt vmcnt(0)
	v_lshlrev_b32_e32 v2, 24, v2
	v_and_b32_e32 v3, 0x7f000000, v2
	v_ffbh_u32_e32 v4, v3
	v_add_nc_u32_e32 v10, 0x1000000, v3
	v_cmp_ne_u32_e32 vcc_lo, 0, v3
	v_min_u32_e32 v4, 32, v4
	v_sub_nc_u32_e64 v4, v4, 4 clamp
	v_lshlrev_b32_e32 v5, v4, v3
	v_lshlrev_b32_e32 v4, 23, v4
	v_lshrrev_b32_e32 v5, 4, v5
	v_sub_nc_u32_e32 v4, v5, v4
	v_ashrrev_i32_e32 v5, 8, v10
	v_add_nc_u32_e32 v4, 0x3c000000, v4
	v_and_or_b32 v4, 0x7f800000, v5, v4
	v_cndmask_b32_e32 v3, 0, v4, vcc_lo
	v_and_or_b32 v2, 0x80000000, v2, v3
	v_bfe_u32 v3, v3, 16, 1
	v_cmp_o_f32_e32 vcc_lo, v2, v2
	v_add3_u32 v2, v2, v3, 0x7fff
	v_mov_b32_e32 v3, 0x7fc0
	v_cndmask_b32_sdwa v2, v3, v2, vcc_lo dst_sel:DWORD dst_unused:UNUSED_PAD src0_sel:DWORD src1_sel:WORD_1
.LBB38_1647:
	s_mov_b32 s1, 0
.LBB38_1648:
	s_andn2_b32 vcc_lo, exec_lo, s1
	s_cbranch_vccnz .LBB38_1650
; %bb.1649:
	global_load_ubyte v2, v[0:1], off
	s_waitcnt vmcnt(0)
	v_lshlrev_b32_e32 v3, 25, v2
	v_lshlrev_b16 v2, 8, v2
	v_lshrrev_b32_e32 v4, 4, v3
	v_and_or_b32 v5, 0x7f00, v2, 0.5
	v_cmp_gt_u32_e32 vcc_lo, 0x8000000, v3
	v_bfe_i32 v2, v2, 0, 16
	v_or_b32_e32 v4, 0x70000000, v4
	v_add_f32_e32 v5, -0.5, v5
	v_mul_f32_e32 v4, 0x7800000, v4
	v_cndmask_b32_e32 v3, v4, v5, vcc_lo
	v_and_or_b32 v2, 0x80000000, v2, v3
	v_bfe_u32 v3, v3, 16, 1
	v_cmp_o_f32_e32 vcc_lo, v2, v2
	v_add3_u32 v2, v2, v3, 0x7fff
	v_mov_b32_e32 v3, 0x7fc0
	v_cndmask_b32_sdwa v2, v3, v2, vcc_lo dst_sel:DWORD dst_unused:UNUSED_PAD src0_sel:DWORD src1_sel:WORD_1
.LBB38_1650:
	s_mov_b32 s1, 0
	s_mov_b32 s3, -1
.LBB38_1651:
	s_andn2_b32 vcc_lo, exec_lo, s1
	s_mov_b32 s1, 0
	s_cbranch_vccnz .LBB38_1662
; %bb.1652:
	s_cmp_gt_i32 s6, 14
	s_cbranch_scc0 .LBB38_1655
; %bb.1653:
	s_cmp_eq_u32 s6, 15
	s_cbranch_scc0 .LBB38_1658
; %bb.1654:
	global_load_ushort v2, v[0:1], off
	s_mov_b32 s0, 0
	s_mov_b32 s3, -1
	s_branch .LBB38_1660
.LBB38_1655:
	s_mov_b32 s1, -1
	s_branch .LBB38_1659
.LBB38_1656:
	s_or_saveexec_b32 s3, s3
	v_mov_b32_e32 v3, 0x7f800001
	s_xor_b32 exec_lo, exec_lo, s3
	s_cbranch_execz .LBB38_1637
.LBB38_1657:
	v_cmp_ne_u16_e32 vcc_lo, 0, v2
	v_mov_b32_e32 v3, 0
	s_andn2_b32 s1, s1, exec_lo
	s_and_b32 s10, vcc_lo, exec_lo
	s_or_b32 s1, s1, s10
	s_or_b32 exec_lo, exec_lo, s3
	s_and_saveexec_b32 s3, s1
	s_cbranch_execnz .LBB38_1638
	s_branch .LBB38_1639
.LBB38_1658:
	s_mov_b32 s0, -1
.LBB38_1659:
                                        ; implicit-def: $vgpr2
.LBB38_1660:
	s_and_b32 vcc_lo, exec_lo, s1
	s_mov_b32 s1, 0
	s_cbranch_vccz .LBB38_1662
; %bb.1661:
	s_cmp_lg_u32 s6, 11
	s_mov_b32 s1, -1
	s_cselect_b32 s0, -1, 0
.LBB38_1662:
	s_and_b32 vcc_lo, exec_lo, s0
	s_cbranch_vccnz .LBB38_2220
; %bb.1663:
	s_andn2_b32 vcc_lo, exec_lo, s1
	s_cbranch_vccnz .LBB38_1665
.LBB38_1664:
	global_load_ubyte v2, v[0:1], off
	s_mov_b32 s3, -1
	s_waitcnt vmcnt(0)
	v_cmp_ne_u16_e32 vcc_lo, 0, v2
	v_cndmask_b32_e64 v2, 0, 1.0, vcc_lo
	v_lshrrev_b32_e32 v2, 16, v2
.LBB38_1665:
	s_mov_b32 s0, 0
.LBB38_1666:
	s_and_b32 vcc_lo, exec_lo, s0
	s_cbranch_vccz .LBB38_1715
; %bb.1667:
	s_cmp_lt_i32 s6, 5
	s_cbranch_scc1 .LBB38_1672
; %bb.1668:
	s_cmp_lt_i32 s6, 8
	s_cbranch_scc1 .LBB38_1673
	;; [unrolled: 3-line block ×3, first 2 shown]
; %bb.1670:
	s_cmp_gt_i32 s6, 9
	s_cbranch_scc0 .LBB38_1675
; %bb.1671:
	global_load_dwordx2 v[2:3], v[0:1], off
	s_mov_b32 s0, 0
	s_waitcnt vmcnt(0)
	v_cvt_f32_f64_e32 v2, v[2:3]
	v_bfe_u32 v3, v2, 16, 1
	v_cmp_o_f32_e32 vcc_lo, v2, v2
	v_add3_u32 v2, v2, v3, 0x7fff
	v_mov_b32_e32 v3, 0x7fc0
	v_cndmask_b32_sdwa v2, v3, v2, vcc_lo dst_sel:DWORD dst_unused:UNUSED_PAD src0_sel:DWORD src1_sel:WORD_1
	s_branch .LBB38_1676
.LBB38_1672:
	s_mov_b32 s0, -1
                                        ; implicit-def: $vgpr2
	s_branch .LBB38_1694
.LBB38_1673:
	s_mov_b32 s0, -1
                                        ; implicit-def: $vgpr2
	s_branch .LBB38_1682
.LBB38_1674:
	s_mov_b32 s0, -1
                                        ; implicit-def: $vgpr2
	s_branch .LBB38_1679
.LBB38_1675:
	s_mov_b32 s0, -1
                                        ; implicit-def: $vgpr2
.LBB38_1676:
	s_andn2_b32 vcc_lo, exec_lo, s0
	s_cbranch_vccnz .LBB38_1678
; %bb.1677:
	global_load_dword v2, v[0:1], off
	s_waitcnt vmcnt(0)
	v_bfe_u32 v3, v2, 16, 1
	v_cmp_o_f32_e32 vcc_lo, v2, v2
	v_add3_u32 v2, v2, v3, 0x7fff
	v_mov_b32_e32 v3, 0x7fc0
	v_cndmask_b32_sdwa v2, v3, v2, vcc_lo dst_sel:DWORD dst_unused:UNUSED_PAD src0_sel:DWORD src1_sel:WORD_1
.LBB38_1678:
	s_mov_b32 s0, 0
.LBB38_1679:
	s_andn2_b32 vcc_lo, exec_lo, s0
	s_cbranch_vccnz .LBB38_1681
; %bb.1680:
	global_load_dword v2, v[0:1], off
	s_waitcnt vmcnt(0)
	v_cvt_f32_f16_e32 v3, v2
	v_cmp_o_f16_e32 vcc_lo, v2, v2
	v_bfe_u32 v4, v3, 16, 1
	v_add3_u32 v2, v3, v4, 0x7fff
	v_mov_b32_e32 v3, 0x7fc0
	v_cndmask_b32_sdwa v2, v3, v2, vcc_lo dst_sel:DWORD dst_unused:UNUSED_PAD src0_sel:DWORD src1_sel:WORD_1
.LBB38_1681:
	s_mov_b32 s0, 0
.LBB38_1682:
	s_andn2_b32 vcc_lo, exec_lo, s0
	s_cbranch_vccnz .LBB38_1693
; %bb.1683:
	s_cmp_lt_i32 s6, 6
	s_cbranch_scc1 .LBB38_1686
; %bb.1684:
	s_cmp_gt_i32 s6, 6
	s_cbranch_scc0 .LBB38_1687
; %bb.1685:
	global_load_dwordx2 v[2:3], v[0:1], off
	s_mov_b32 s0, 0
	s_waitcnt vmcnt(0)
	v_cvt_f32_f64_e32 v2, v[2:3]
	v_bfe_u32 v3, v2, 16, 1
	v_cmp_o_f32_e32 vcc_lo, v2, v2
	v_add3_u32 v2, v2, v3, 0x7fff
	v_mov_b32_e32 v3, 0x7fc0
	v_cndmask_b32_sdwa v2, v3, v2, vcc_lo dst_sel:DWORD dst_unused:UNUSED_PAD src0_sel:DWORD src1_sel:WORD_1
	s_branch .LBB38_1688
.LBB38_1686:
	s_mov_b32 s0, -1
                                        ; implicit-def: $vgpr2
	s_branch .LBB38_1691
.LBB38_1687:
	s_mov_b32 s0, -1
                                        ; implicit-def: $vgpr2
.LBB38_1688:
	s_andn2_b32 vcc_lo, exec_lo, s0
	s_cbranch_vccnz .LBB38_1690
; %bb.1689:
	global_load_dword v2, v[0:1], off
	s_waitcnt vmcnt(0)
	v_bfe_u32 v3, v2, 16, 1
	v_cmp_o_f32_e32 vcc_lo, v2, v2
	v_add3_u32 v2, v2, v3, 0x7fff
	v_mov_b32_e32 v3, 0x7fc0
	v_cndmask_b32_sdwa v2, v3, v2, vcc_lo dst_sel:DWORD dst_unused:UNUSED_PAD src0_sel:DWORD src1_sel:WORD_1
.LBB38_1690:
	s_mov_b32 s0, 0
.LBB38_1691:
	s_andn2_b32 vcc_lo, exec_lo, s0
	s_cbranch_vccnz .LBB38_1693
; %bb.1692:
	global_load_ushort v2, v[0:1], off
	s_waitcnt vmcnt(0)
	v_cvt_f32_f16_e32 v3, v2
	v_cmp_o_f16_e32 vcc_lo, v2, v2
	v_bfe_u32 v4, v3, 16, 1
	v_add3_u32 v2, v3, v4, 0x7fff
	v_mov_b32_e32 v3, 0x7fc0
	v_cndmask_b32_sdwa v2, v3, v2, vcc_lo dst_sel:DWORD dst_unused:UNUSED_PAD src0_sel:DWORD src1_sel:WORD_1
.LBB38_1693:
	s_mov_b32 s0, 0
.LBB38_1694:
	s_andn2_b32 vcc_lo, exec_lo, s0
	s_cbranch_vccnz .LBB38_1714
; %bb.1695:
	s_cmp_lt_i32 s6, 2
	s_cbranch_scc1 .LBB38_1699
; %bb.1696:
	s_cmp_lt_i32 s6, 3
	s_cbranch_scc1 .LBB38_1700
; %bb.1697:
	s_cmp_gt_i32 s6, 3
	s_cbranch_scc0 .LBB38_1701
; %bb.1698:
	global_load_dwordx2 v[2:3], v[0:1], off
	s_mov_b32 s0, 0
	s_waitcnt vmcnt(0)
	v_xor_b32_e32 v4, v2, v3
	v_ffbh_i32_e32 v5, v3
	v_ashrrev_i32_e32 v4, 31, v4
	v_add_nc_u32_e32 v5, -1, v5
	v_add_nc_u32_e32 v4, 32, v4
	v_min_u32_e32 v4, v5, v4
	v_lshlrev_b64 v[2:3], v4, v[2:3]
	v_min_u32_e32 v2, 1, v2
	v_or_b32_e32 v2, v3, v2
	v_sub_nc_u32_e32 v3, 32, v4
	v_cvt_f32_i32_e32 v2, v2
	v_ldexp_f32 v2, v2, v3
	v_bfe_u32 v3, v2, 16, 1
	v_add3_u32 v2, v2, v3, 0x7fff
	v_lshrrev_b32_e32 v2, 16, v2
	s_branch .LBB38_1702
.LBB38_1699:
	s_mov_b32 s0, -1
                                        ; implicit-def: $vgpr2
	s_branch .LBB38_1708
.LBB38_1700:
	s_mov_b32 s0, -1
                                        ; implicit-def: $vgpr2
	s_branch .LBB38_1705
.LBB38_1701:
	s_mov_b32 s0, -1
                                        ; implicit-def: $vgpr2
.LBB38_1702:
	s_andn2_b32 vcc_lo, exec_lo, s0
	s_cbranch_vccnz .LBB38_1704
; %bb.1703:
	global_load_dword v2, v[0:1], off
	s_waitcnt vmcnt(0)
	v_cvt_f32_i32_e32 v2, v2
	v_bfe_u32 v3, v2, 16, 1
	v_add3_u32 v2, v2, v3, 0x7fff
	v_lshrrev_b32_e32 v2, 16, v2
.LBB38_1704:
	s_mov_b32 s0, 0
.LBB38_1705:
	s_andn2_b32 vcc_lo, exec_lo, s0
	s_cbranch_vccnz .LBB38_1707
; %bb.1706:
	global_load_sshort v2, v[0:1], off
	s_waitcnt vmcnt(0)
	v_cvt_f32_i32_e32 v2, v2
	v_bfe_u32 v3, v2, 16, 1
	v_add3_u32 v2, v2, v3, 0x7fff
	v_lshrrev_b32_e32 v2, 16, v2
.LBB38_1707:
	s_mov_b32 s0, 0
.LBB38_1708:
	s_andn2_b32 vcc_lo, exec_lo, s0
	s_cbranch_vccnz .LBB38_1714
; %bb.1709:
	s_cmp_gt_i32 s6, 0
	s_mov_b32 s0, 0
	s_cbranch_scc0 .LBB38_1711
; %bb.1710:
	global_load_sbyte v2, v[0:1], off
	s_waitcnt vmcnt(0)
	v_cvt_f32_i32_e32 v2, v2
	v_bfe_u32 v3, v2, 16, 1
	v_add3_u32 v2, v2, v3, 0x7fff
	v_lshrrev_b32_e32 v2, 16, v2
	s_branch .LBB38_1712
.LBB38_1711:
	s_mov_b32 s0, -1
                                        ; implicit-def: $vgpr2
.LBB38_1712:
	s_andn2_b32 vcc_lo, exec_lo, s0
	s_cbranch_vccnz .LBB38_1714
; %bb.1713:
	global_load_ubyte v0, v[0:1], off
	s_waitcnt vmcnt(0)
	v_cvt_f32_ubyte0_e32 v0, v0
	v_bfe_u32 v1, v0, 16, 1
	v_add3_u32 v0, v0, v1, 0x7fff
	v_lshrrev_b32_e32 v2, 16, v0
.LBB38_1714:
	s_mov_b32 s3, -1
.LBB38_1715:
	s_andn2_b32 vcc_lo, exec_lo, s3
	s_cbranch_vccnz .LBB38_1818
; %bb.1716:
	s_waitcnt vmcnt(0)
	v_lshlrev_b32_e32 v10, 16, v2
                                        ; implicit-def: $vgpr2
	s_mov_b32 s0, exec_lo
	v_cmpx_neq_f32_e32 0, v10
	s_xor_b32 s3, exec_lo, s0
	s_cbranch_execz .LBB38_1738
; %bb.1717:
	v_mov_b32_e32 v0, 0
	s_mov_b32 s0, -1
	s_mov_b32 s6, exec_lo
	v_cmpx_gt_f32_e32 0, v10
	s_cbranch_execz .LBB38_1725
; %bb.1718:
	v_trunc_f32_e32 v0, v10
	s_mov_b32 s1, 0
	v_cmp_neq_f32_e32 vcc_lo, v0, v10
	v_mov_b32_e32 v0, 0
	s_and_saveexec_b32 s10, vcc_lo
	s_cbranch_execz .LBB38_1724
; %bb.1719:
	v_cvt_f64_f32_e32 v[0:1], v10
	s_mov_b32 s1, 0xc00921fb
	s_mov_b32 s0, 0x54442d18
	s_mov_b32 s11, exec_lo
                                        ; implicit-def: $vgpr11
                                        ; implicit-def: $vgpr4_vgpr5
	v_trunc_f64_e32 v[2:3], v[0:1]
	v_cmp_neq_f64_e64 vcc_lo, 0x7ff00000, |v[0:1]|
	v_add_f64 v[2:3], v[0:1], -v[2:3]
	v_mul_f64 v[2:3], |v[2:3]|, s[0:1]
	v_cndmask_b32_e32 v1, 0x80000000, v3, vcc_lo
	v_cndmask_b32_e32 v0, 0, v2, vcc_lo
                                        ; implicit-def: $vgpr2_vgpr3
	v_cmpx_ngt_f64_e64 0x41d00000, |v[0:1]|
	s_xor_b32 s11, exec_lo, s11
	s_cbranch_execz .LBB38_1721
; %bb.1720:
	v_ldexp_f64 v[2:3], |v[0:1]|, 0xffffff80
	v_cmp_le_f64_e64 vcc_lo, 0x7b000000, |v[0:1]|
	v_trig_preop_f64 v[4:5], |v[0:1]|, 0
	v_and_b32_e32 v11, 0x7fffffff, v1
	v_trig_preop_f64 v[21:22], |v[0:1]|, 2
	v_mov_b32_e32 v29, 0
	s_mov_b32 s1, 0x3ff921fb
	s_mov_b32 s14, 0x33145c07
	;; [unrolled: 1-line block ×3, first 2 shown]
	v_cndmask_b32_e32 v3, v11, v3, vcc_lo
	v_cndmask_b32_e32 v2, v0, v2, vcc_lo
	v_trig_preop_f64 v[11:12], |v[0:1]|, 1
	v_mul_f64 v[13:14], v[4:5], v[2:3]
	v_mul_f64 v[27:28], v[21:22], v[2:3]
	;; [unrolled: 1-line block ×3, first 2 shown]
	v_fma_f64 v[4:5], v[4:5], v[2:3], -v[13:14]
	v_fma_f64 v[11:12], v[11:12], v[2:3], -v[15:16]
	;; [unrolled: 1-line block ×3, first 2 shown]
	v_add_f64 v[17:18], v[15:16], v[4:5]
	v_add_f64 v[19:20], v[17:18], -v[15:16]
	v_add_f64 v[25:26], v[13:14], v[17:18]
	v_add_f64 v[23:24], v[17:18], -v[19:20]
	v_add_f64 v[4:5], v[4:5], -v[19:20]
	v_ldexp_f64 v[19:20], v[25:26], -2
	v_add_f64 v[13:14], v[25:26], -v[13:14]
	v_add_f64 v[15:16], v[15:16], -v[23:24]
	v_add_f64 v[23:24], v[27:28], v[11:12]
	v_cmp_neq_f64_e64 vcc_lo, 0x7ff00000, |v[19:20]|
	v_add_f64 v[13:14], v[17:18], -v[13:14]
	v_add_f64 v[4:5], v[4:5], v[15:16]
	v_fract_f64_e32 v[15:16], v[19:20]
	v_add_f64 v[17:18], v[23:24], v[4:5]
	v_ldexp_f64 v[15:16], v[15:16], 2
	v_add_f64 v[19:20], v[13:14], v[17:18]
	v_cndmask_b32_e32 v16, 0, v16, vcc_lo
	v_cndmask_b32_e32 v15, 0, v15, vcc_lo
	v_add_f64 v[25:26], v[19:20], v[15:16]
	v_add_f64 v[13:14], v[19:20], -v[13:14]
	v_cmp_gt_f64_e32 vcc_lo, 0, v[25:26]
	v_add_f64 v[25:26], v[23:24], -v[27:28]
	v_cndmask_b32_e64 v30, 0, 0x40100000, vcc_lo
	v_add_f64 v[34:35], v[23:24], -v[25:26]
	v_add_f64 v[11:12], v[11:12], -v[25:26]
	v_add_f64 v[15:16], v[15:16], v[29:30]
	v_add_f64 v[30:31], v[17:18], -v[23:24]
	v_add_f64 v[25:26], v[27:28], -v[34:35]
	v_add_f64 v[32:33], v[19:20], v[15:16]
	v_add_f64 v[36:37], v[17:18], -v[30:31]
	v_add_f64 v[4:5], v[4:5], -v[30:31]
	v_add_f64 v[11:12], v[11:12], v[25:26]
	v_cvt_i32_f64_e32 v32, v[32:33]
	v_add_f64 v[23:24], v[23:24], -v[36:37]
	v_cvt_f64_i32_e32 v[30:31], v32
	v_add_f64 v[4:5], v[4:5], v[23:24]
	v_add_f64 v[15:16], v[15:16], -v[30:31]
	v_add_f64 v[4:5], v[11:12], v[4:5]
	v_add_f64 v[11:12], v[17:18], -v[13:14]
	v_add_f64 v[21:22], v[19:20], v[15:16]
	v_add_f64 v[2:3], v[2:3], v[4:5]
	v_add_f64 v[4:5], v[21:22], -v[15:16]
	v_cmp_le_f64_e32 vcc_lo, 0.5, v[21:22]
	v_add_f64 v[2:3], v[11:12], v[2:3]
	v_add_f64 v[4:5], v[19:20], -v[4:5]
	v_cndmask_b32_e64 v30, 0, 0x3ff00000, vcc_lo
	v_add_co_ci_u32_e64 v11, null, 0, v32, vcc_lo
	v_add_f64 v[2:3], v[2:3], v[4:5]
	v_add_f64 v[4:5], v[21:22], -v[29:30]
	v_add_f64 v[12:13], v[4:5], v[2:3]
	v_mul_f64 v[14:15], v[12:13], s[0:1]
	v_add_f64 v[4:5], v[12:13], -v[4:5]
	v_fma_f64 v[16:17], v[12:13], s[0:1], -v[14:15]
	v_add_f64 v[2:3], v[2:3], -v[4:5]
	v_fma_f64 v[4:5], v[12:13], s[14:15], v[16:17]
	v_fma_f64 v[4:5], v[2:3], s[0:1], v[4:5]
	v_add_f64 v[2:3], v[14:15], v[4:5]
	v_add_f64 v[12:13], v[2:3], -v[14:15]
	v_add_f64 v[4:5], v[4:5], -v[12:13]
.LBB38_1721:
	s_andn2_saveexec_b32 s0, s11
	s_cbranch_execz .LBB38_1723
; %bb.1722:
	s_mov_b32 s14, 0x6dc9c883
	s_mov_b32 s15, 0x3fe45f30
	;; [unrolled: 1-line block ×3, first 2 shown]
	v_mul_f64 v[2:3], |v[0:1]|, s[14:15]
	s_mov_b32 s14, 0x54442d18
	s_mov_b32 s15, 0xbff921fb
	;; [unrolled: 1-line block ×3, first 2 shown]
	v_rndne_f64_e32 v[11:12], v[2:3]
	v_fma_f64 v[2:3], v[11:12], s[14:15], |v[0:1]|
	v_mul_f64 v[4:5], v[11:12], s[16:17]
	s_mov_b32 s14, 0x252049c0
	s_mov_b32 s15, 0xb97b839a
	v_fma_f64 v[15:16], v[11:12], s[16:17], v[2:3]
	v_add_f64 v[13:14], v[2:3], v[4:5]
	s_mov_b32 s17, 0x3c91a626
	v_add_f64 v[2:3], v[2:3], -v[13:14]
	v_add_f64 v[13:14], v[13:14], -v[15:16]
	v_add_f64 v[2:3], v[2:3], v[4:5]
	v_fma_f64 v[4:5], v[11:12], s[16:17], v[4:5]
	v_add_f64 v[2:3], v[13:14], v[2:3]
	v_add_f64 v[2:3], v[2:3], -v[4:5]
	v_fma_f64 v[4:5], v[11:12], s[14:15], v[2:3]
	v_cvt_i32_f64_e32 v11, v[11:12]
	v_add_f64 v[2:3], v[15:16], v[4:5]
	v_add_f64 v[13:14], v[2:3], -v[15:16]
	v_add_f64 v[4:5], v[4:5], -v[13:14]
.LBB38_1723:
	s_or_b32 exec_lo, exec_lo, s0
	v_mul_f64 v[12:13], v[2:3], v[2:3]
	v_add_f64 v[14:15], v[4:5], v[4:5]
	s_mov_b32 s14, 0xa9a29f71
	s_mov_b32 s16, 0xc751c08c
	;; [unrolled: 1-line block ×4, first 2 shown]
	v_cmp_class_f64_e64 s0, v[0:1], 0x1f8
	v_and_b32_e32 v11, 1, v11
	v_and_b32_e32 v1, 0x80000000, v1
	v_sub_f32_e32 v10, 1.0, v10
	s_mov_b32 s1, exec_lo
	v_cmp_eq_u32_e32 vcc_lo, 0, v11
	v_fma_f64 v[16:17], v[2:3], v[2:3], -v[12:13]
	v_fma_f64 v[14:15], v[2:3], v[14:15], v[16:17]
	v_add_f64 v[12:13], v[12:13], v[14:15]
	v_fma_f64 v[14:15], v[12:13], s[16:17], s[14:15]
	s_mov_b32 s14, 0x90a8aae0
	s_mov_b32 s15, 0x3f17746f
	v_fma_f64 v[14:15], v[12:13], v[14:15], s[14:15]
	s_mov_b32 s14, 0xa6fbf144
	s_mov_b32 s15, 0xbefbb44d
	;; [unrolled: 3-line block ×13, first 2 shown]
	v_mul_f64 v[12:13], v[12:13], v[14:15]
	v_mul_f64 v[14:15], v[2:3], v[12:13]
	v_add_f64 v[16:17], v[2:3], v[14:15]
	v_fma_f64 v[12:13], v[2:3], v[12:13], -v[14:15]
	v_add_f64 v[2:3], v[16:17], -v[2:3]
	v_add_f64 v[4:5], v[4:5], v[12:13]
	v_add_f64 v[2:3], v[14:15], -v[2:3]
	v_add_f64 v[2:3], v[4:5], v[2:3]
	v_add_f64 v[4:5], v[16:17], v[2:3]
	v_rcp_f64_e32 v[12:13], v[4:5]
	v_fma_f64 v[14:15], -v[4:5], v[12:13], 1.0
	v_fma_f64 v[12:13], v[14:15], v[12:13], v[12:13]
	v_fma_f64 v[14:15], -v[4:5], v[12:13], 1.0
	v_fma_f64 v[12:13], v[14:15], v[12:13], v[12:13]
	v_add_f64 v[14:15], v[4:5], -v[16:17]
	v_mul_f64 v[16:17], v[4:5], v[12:13]
	v_add_f64 v[2:3], v[2:3], -v[14:15]
	v_fma_f64 v[14:15], v[12:13], v[4:5], -v[16:17]
	v_fma_f64 v[2:3], v[12:13], v[2:3], v[14:15]
	v_add_f64 v[14:15], v[16:17], v[2:3]
	v_add_f64 v[18:19], -v[14:15], 1.0
	v_add_f64 v[16:17], v[14:15], -v[16:17]
	v_add_f64 v[20:21], -v[18:19], 1.0
	v_add_f64 v[2:3], v[16:17], -v[2:3]
	v_add_f64 v[14:15], v[20:21], -v[14:15]
	v_add_f64 v[2:3], v[2:3], v[14:15]
	v_add_f64 v[2:3], v[18:19], v[2:3]
	v_mul_f64 v[2:3], v[12:13], v[2:3]
	v_add_f64 v[2:3], v[12:13], v[2:3]
	v_xor_b32_e32 v0, 0x80000000, v3
	v_cndmask_b32_e32 v2, v2, v4, vcc_lo
	v_cndmask_b32_e32 v0, v0, v5, vcc_lo
	v_xor_b32_e32 v1, v0, v1
	v_cndmask_b32_e64 v0, 0, v2, s0
	v_cndmask_b32_e64 v1, 0x7ff80000, v1, s0
	v_div_scale_f64 v[2:3], null, v[0:1], v[0:1], s[14:15]
	v_rcp_f64_e32 v[4:5], v[2:3]
	v_fma_f64 v[11:12], -v[2:3], v[4:5], 1.0
	v_fma_f64 v[4:5], v[4:5], v[11:12], v[4:5]
	v_fma_f64 v[11:12], -v[2:3], v[4:5], 1.0
	v_fma_f64 v[4:5], v[4:5], v[11:12], v[4:5]
	v_div_scale_f64 v[11:12], vcc_lo, s[14:15], v[0:1], s[14:15]
	v_mul_f64 v[13:14], v[11:12], v[4:5]
	v_fma_f64 v[2:3], -v[2:3], v[13:14], v[11:12]
	v_div_fmas_f64 v[2:3], v[2:3], v[4:5], v[13:14]
	v_div_fixup_f64 v[0:1], v[2:3], v[0:1], s[14:15]
	v_cvt_f32_f64_e32 v0, v[0:1]
.LBB38_1724:
	s_or_b32 exec_lo, exec_lo, s10
	s_orn2_b32 s0, s1, exec_lo
.LBB38_1725:
	s_or_b32 exec_lo, exec_lo, s6
	v_mov_b32_e32 v2, 0x7fc0
	s_and_saveexec_b32 s1, s0
	s_cbranch_execz .LBB38_1737
; %bb.1726:
	s_mov_b32 s0, exec_lo
	v_cmpx_gt_f32_e32 0x41200000, v10
	s_cbranch_execz .LBB38_1730
; %bb.1727:
	s_mov_b32 s6, 0
.LBB38_1728:                            ; =>This Inner Loop Header: Depth=1
	v_div_scale_f32 v1, null, v10, v10, 1.0
	v_div_scale_f32 v4, vcc_lo, 1.0, v10, 1.0
	v_rcp_f32_e32 v2, v1
	v_fma_f32 v3, -v1, v2, 1.0
	v_fmac_f32_e32 v2, v3, v2
	v_mul_f32_e32 v3, v4, v2
	v_fma_f32 v5, -v1, v3, v4
	v_fmac_f32_e32 v3, v5, v2
	v_fma_f32 v1, -v1, v3, v4
	v_div_fmas_f32 v1, v1, v2, v3
	v_div_fixup_f32 v1, v1, v10, 1.0
	v_add_f32_e32 v10, 1.0, v10
	v_sub_f32_e32 v0, v0, v1
	v_cmp_ngt_f32_e32 vcc_lo, 0x41200000, v10
	s_or_b32 s6, vcc_lo, s6
	s_andn2_b32 exec_lo, exec_lo, s6
	s_cbranch_execnz .LBB38_1728
; %bb.1729:
	s_or_b32 exec_lo, exec_lo, s6
.LBB38_1730:
	s_or_b32 exec_lo, exec_lo, s0
                                        ; implicit-def: $vgpr2
	s_mov_b32 s0, exec_lo
	v_cmpx_neq_f32_e32 0x41200000, v10
	s_xor_b32 s6, exec_lo, s0
	s_cbranch_execz .LBB38_1734
; %bb.1731:
	v_cvt_f64_f32_e32 v[1:2], v10
	s_mov_b32 s10, 0x85d8a000
	s_mov_b32 s11, 0x43763457
	v_cmp_gt_f64_e32 vcc_lo, s[10:11], v[1:2]
	v_mov_b32_e32 v1, 0
	s_and_saveexec_b32 s0, vcc_lo
	s_cbranch_execz .LBB38_1733
; %bb.1732:
	v_mul_f32_e32 v1, v10, v10
	v_div_scale_f32 v2, null, v1, v1, 1.0
	v_rcp_f32_e32 v3, v2
	v_fma_f32 v4, -v2, v3, 1.0
	v_fmac_f32_e32 v3, v4, v3
	v_div_scale_f32 v4, vcc_lo, 1.0, v1, 1.0
	v_mul_f32_e32 v5, v4, v3
	v_fma_f32 v11, -v2, v5, v4
	v_fmac_f32_e32 v5, v11, v3
	v_fma_f32 v2, -v2, v5, v4
	v_div_fmas_f32 v2, v2, v3, v5
	v_div_fixup_f32 v1, v2, v1, 1.0
	v_fmaak_f32 v2, 0, v1, 0x3daaaaab
	v_fmaak_f32 v2, v1, v2, 0xbcaccacd
	;; [unrolled: 1-line block ×7, first 2 shown]
	v_mul_f32_e32 v1, v1, v2
.LBB38_1733:
	s_or_b32 exec_lo, exec_lo, s0
	v_cmp_gt_f32_e32 vcc_lo, 0x800000, v10
	v_div_scale_f32 v2, null, v10, v10, -0.5
	v_div_scale_f32 v11, s0, -0.5, v10, -0.5
	v_cndmask_b32_e64 v3, 0, 32, vcc_lo
	v_rcp_f32_e32 v4, v2
	v_ldexp_f32 v3, v10, v3
	v_log_f32_e32 v3, v3
	v_fma_f32 v5, -v2, v4, 1.0
	v_fmac_f32_e32 v4, v5, v4
	v_mul_f32_e32 v5, 0x3f317217, v3
	v_mul_f32_e32 v12, v11, v4
	v_fma_f32 v5, 0x3f317217, v3, -v5
	v_fma_f32 v13, -v2, v12, v11
	v_fmamk_f32 v5, v3, 0x3377d1cf, v5
	v_fmac_f32_e32 v12, v13, v4
	v_cndmask_b32_e64 v13, 0, 0x41b17218, vcc_lo
	v_cmp_gt_f32_e64 vcc_lo, 0x7f800000, |v3|
	v_fmac_f32_e32 v5, 0x3f317217, v3
	v_fma_f32 v2, -v2, v12, v11
	v_cndmask_b32_e32 v3, v3, v5, vcc_lo
	s_mov_b32 vcc_lo, s0
	v_div_fmas_f32 v2, v2, v4, v12
	v_sub_f32_e32 v3, v3, v13
	v_div_fixup_f32 v2, v2, v10, -0.5
	v_add_f32_e32 v2, v3, v2
	v_sub_f32_e32 v1, v2, v1
	v_add_f32_e32 v0, v0, v1
	v_bfe_u32 v1, v0, 16, 1
	v_cmp_o_f32_e32 vcc_lo, v0, v0
	v_add3_u32 v0, v0, v1, 0x7fff
	v_mov_b32_e32 v1, 0x7fc0
	v_cndmask_b32_sdwa v2, v1, v0, vcc_lo dst_sel:DWORD dst_unused:UNUSED_PAD src0_sel:DWORD src1_sel:WORD_1
                                        ; implicit-def: $vgpr0
.LBB38_1734:
	s_andn2_saveexec_b32 s0, s6
; %bb.1735:
	v_add_f32_e32 v0, 0x40101cb7, v0
	v_bfe_u32 v1, v0, 16, 1
	v_cmp_o_f32_e32 vcc_lo, v0, v0
	v_add3_u32 v0, v0, v1, 0x7fff
	v_mov_b32_e32 v1, 0x7fc0
	v_cndmask_b32_sdwa v2, v1, v0, vcc_lo dst_sel:DWORD dst_unused:UNUSED_PAD src0_sel:DWORD src1_sel:WORD_1
; %bb.1736:
	s_or_b32 exec_lo, exec_lo, s0
.LBB38_1737:
	s_or_b32 exec_lo, exec_lo, s1
                                        ; implicit-def: $vgpr10
.LBB38_1738:
	s_andn2_saveexec_b32 s0, s3
; %bb.1739:
	v_xor_b32_e32 v0, 0x80000000, v10
	s_mov_b32 s1, 0x7f800000
	v_and_or_b32 v0, 0x80000000, v0, s1
	v_lshrrev_b32_e32 v2, 16, v0
; %bb.1740:
	s_or_b32 exec_lo, exec_lo, s0
	v_mul_lo_u32 v3, s2, v6
	s_and_b32 s1, s4, 0xff
	s_cmp_lt_i32 s1, 11
	v_ashrrev_i32_e32 v1, 31, v3
	v_add_co_u32 v0, vcc_lo, s8, v3
	v_add_co_ci_u32_e64 v1, null, s9, v1, vcc_lo
	s_cbranch_scc1 .LBB38_1863
; %bb.1741:
	s_and_b32 s3, 0xffff, s1
	s_mov_b32 s10, -1
	s_mov_b32 s4, 0
	s_cmp_gt_i32 s3, 25
	s_mov_b32 s6, 0
	s_mov_b32 s0, 0
	s_cbranch_scc0 .LBB38_1774
; %bb.1742:
	s_cmp_gt_i32 s3, 28
	s_cbranch_scc0 .LBB38_1757
; %bb.1743:
	s_cmp_gt_i32 s3, 43
	;; [unrolled: 3-line block ×3, first 2 shown]
	s_cbranch_scc0 .LBB38_1747
; %bb.1745:
	s_mov_b32 s0, -1
	s_mov_b32 s10, 0
	s_cmp_eq_u32 s3, 46
	s_cbranch_scc0 .LBB38_1747
; %bb.1746:
	v_and_b32_e32 v4, 0xffff, v7
	s_mov_b32 s0, 0
	s_mov_b32 s6, -1
	global_store_dword v[0:1], v4, off
.LBB38_1747:
	s_and_b32 vcc_lo, exec_lo, s10
	s_cbranch_vccz .LBB38_1752
; %bb.1748:
	s_cmp_eq_u32 s3, 44
	s_mov_b32 s0, -1
	s_cbranch_scc0 .LBB38_1752
; %bb.1749:
	v_and_b32_e32 v4, 0xffff, v7
	v_mov_b32_e32 v5, 0xff
	s_mov_b32 s6, exec_lo
	v_bfe_u32 v6, v4, 7, 8
	v_cmpx_ne_u32_e32 0xff, v6
	s_cbranch_execz .LBB38_1751
; %bb.1750:
	v_lshlrev_b32_e32 v5, 16, v4
	v_and_b32_e32 v10, 64, v4
	v_lshrrev_b32_e32 v4, 7, v4
	v_and_or_b32 v5, 0x3f0000, v5, v6
	v_cmp_ne_u32_e32 vcc_lo, 0, v10
	v_cmp_ne_u32_e64 s0, 0, v5
	s_and_b32 s0, vcc_lo, s0
	v_cndmask_b32_e64 v5, 0, 1, s0
	v_add_nc_u32_e32 v5, v4, v5
.LBB38_1751:
	s_or_b32 exec_lo, exec_lo, s6
	s_mov_b32 s0, 0
	s_mov_b32 s6, -1
	global_store_byte v[0:1], v5, off
.LBB38_1752:
	s_mov_b32 s10, 0
.LBB38_1753:
	s_and_b32 vcc_lo, exec_lo, s10
	s_cbranch_vccz .LBB38_1756
; %bb.1754:
	s_cmp_eq_u32 s3, 29
	s_mov_b32 s0, -1
	s_cbranch_scc0 .LBB38_1756
; %bb.1755:
	v_lshlrev_b32_e32 v4, 16, v7
	s_mov_b32 s0, 0
	s_mov_b32 s6, -1
	v_trunc_f32_e32 v4, v4
	v_mul_f32_e32 v5, 0x2f800000, v4
	v_floor_f32_e32 v5, v5
	v_fmamk_f32 v4, v5, 0xcf800000, v4
	v_cvt_u32_f32_e32 v5, v5
	v_cvt_u32_f32_e32 v4, v4
	global_store_dwordx2 v[0:1], v[4:5], off
.LBB38_1756:
	s_mov_b32 s10, 0
.LBB38_1757:
	s_and_b32 vcc_lo, exec_lo, s10
	s_cbranch_vccz .LBB38_1773
; %bb.1758:
	s_cmp_lt_i32 s3, 27
	s_mov_b32 s6, -1
	s_cbranch_scc1 .LBB38_1764
; %bb.1759:
	s_cmp_gt_i32 s3, 27
	s_cbranch_scc0 .LBB38_1761
; %bb.1760:
	v_lshlrev_b32_e32 v4, 16, v7
	s_mov_b32 s6, 0
	v_cvt_u32_f32_e32 v4, v4
	global_store_dword v[0:1], v4, off
.LBB38_1761:
	s_andn2_b32 vcc_lo, exec_lo, s6
	s_cbranch_vccnz .LBB38_1763
; %bb.1762:
	v_lshlrev_b32_e32 v4, 16, v7
	v_cvt_u32_f32_e32 v4, v4
	global_store_short v[0:1], v4, off
.LBB38_1763:
	s_mov_b32 s6, 0
.LBB38_1764:
	s_andn2_b32 vcc_lo, exec_lo, s6
	s_cbranch_vccnz .LBB38_1772
; %bb.1765:
	v_lshlrev_b32_e32 v6, 16, v7
	v_mov_b32_e32 v10, 0x80
	s_mov_b32 s6, exec_lo
	v_and_b32_e32 v5, 0x7fffffff, v6
	v_cmpx_gt_u32_e32 0x43800000, v5
	s_cbranch_execz .LBB38_1771
; %bb.1766:
	v_and_b32_e32 v4, 0xffff, v7
	v_cmp_lt_u32_e32 vcc_lo, 0x3bffffff, v5
	s_mov_b32 s10, 0
                                        ; implicit-def: $vgpr5
	s_and_saveexec_b32 s11, vcc_lo
	s_xor_b32 s11, exec_lo, s11
	s_cbranch_execz .LBB38_2221
; %bb.1767:
	v_bfe_u32 v5, v4, 4, 1
	s_mov_b32 s10, exec_lo
	v_add3_u32 v5, v6, v5, 0x487ffff
                                        ; implicit-def: $vgpr6
	v_lshrrev_b32_e32 v5, 20, v5
	s_andn2_saveexec_b32 s11, s11
	s_cbranch_execnz .LBB38_2222
.LBB38_1768:
	s_or_b32 exec_lo, exec_lo, s11
	v_mov_b32_e32 v10, 0
	s_and_saveexec_b32 s11, s10
.LBB38_1769:
	v_lshrrev_b32_e32 v4, 8, v4
	v_and_or_b32 v10, 0x80, v4, v5
.LBB38_1770:
	s_or_b32 exec_lo, exec_lo, s11
.LBB38_1771:
	s_or_b32 exec_lo, exec_lo, s6
	global_store_byte v[0:1], v10, off
.LBB38_1772:
	s_mov_b32 s6, -1
.LBB38_1773:
	s_mov_b32 s10, 0
.LBB38_1774:
	s_and_b32 vcc_lo, exec_lo, s10
	s_cbranch_vccz .LBB38_1814
; %bb.1775:
	s_cmp_gt_i32 s3, 22
	s_mov_b32 s4, -1
	s_cbranch_scc0 .LBB38_1807
; %bb.1776:
	s_cmp_lt_i32 s3, 24
	s_cbranch_scc1 .LBB38_1796
; %bb.1777:
	s_cmp_gt_i32 s3, 24
	s_cbranch_scc0 .LBB38_1785
; %bb.1778:
	v_lshlrev_b32_e32 v6, 16, v7
	v_mov_b32_e32 v10, 0x80
	s_mov_b32 s4, exec_lo
	v_and_b32_e32 v5, 0x7fffffff, v6
	v_cmpx_gt_u32_e32 0x47800000, v5
	s_cbranch_execz .LBB38_1784
; %bb.1779:
	v_and_b32_e32 v4, 0xffff, v7
	v_cmp_lt_u32_e32 vcc_lo, 0x37ffffff, v5
	s_mov_b32 s6, 0
                                        ; implicit-def: $vgpr5
	s_and_saveexec_b32 s10, vcc_lo
	s_xor_b32 s10, exec_lo, s10
	s_cbranch_execz .LBB38_2224
; %bb.1780:
	v_bfe_u32 v5, v4, 5, 1
	s_mov_b32 s6, exec_lo
	v_add3_u32 v5, v6, v5, 0x88fffff
                                        ; implicit-def: $vgpr6
	v_lshrrev_b32_e32 v5, 21, v5
	s_andn2_saveexec_b32 s10, s10
	s_cbranch_execnz .LBB38_2225
.LBB38_1781:
	s_or_b32 exec_lo, exec_lo, s10
	v_mov_b32_e32 v10, 0
	s_and_saveexec_b32 s10, s6
.LBB38_1782:
	v_lshrrev_b32_e32 v4, 8, v4
	v_and_or_b32 v10, 0x80, v4, v5
.LBB38_1783:
	s_or_b32 exec_lo, exec_lo, s10
.LBB38_1784:
	s_or_b32 exec_lo, exec_lo, s4
	s_mov_b32 s4, 0
	global_store_byte v[0:1], v10, off
.LBB38_1785:
	s_and_b32 vcc_lo, exec_lo, s4
	s_cbranch_vccz .LBB38_1795
; %bb.1786:
	v_lshlrev_b32_e32 v6, 16, v7
	v_and_b32_e32 v4, 0xffff, v7
	s_mov_b32 s4, exec_lo
                                        ; implicit-def: $vgpr5
	v_and_b32_e32 v10, 0x7fffffff, v6
	v_cmpx_gt_u32_e32 0x43f00000, v10
	s_xor_b32 s4, exec_lo, s4
	s_cbranch_execz .LBB38_1792
; %bb.1787:
	s_mov_b32 s6, exec_lo
                                        ; implicit-def: $vgpr5
	v_cmpx_lt_u32_e32 0x3c7fffff, v10
	s_xor_b32 s6, exec_lo, s6
; %bb.1788:
	v_bfe_u32 v5, v4, 4, 1
	v_add3_u32 v5, v6, v5, 0x407ffff
	v_and_b32_e32 v6, 0xff00000, v5
	v_lshrrev_b32_e32 v5, 20, v5
	v_cmp_ne_u32_e32 vcc_lo, 0x7f00000, v6
                                        ; implicit-def: $vgpr6
	v_cndmask_b32_e32 v5, 0x7e, v5, vcc_lo
; %bb.1789:
	s_andn2_saveexec_b32 s6, s6
; %bb.1790:
	v_add_f32_e64 v5, 0x46800000, |v6|
; %bb.1791:
	s_or_b32 exec_lo, exec_lo, s6
                                        ; implicit-def: $vgpr10
.LBB38_1792:
	s_andn2_saveexec_b32 s4, s4
; %bb.1793:
	v_mov_b32_e32 v5, 0x7f
	v_cmp_lt_u32_e32 vcc_lo, 0x7f800000, v10
	v_cndmask_b32_e32 v5, 0x7e, v5, vcc_lo
; %bb.1794:
	s_or_b32 exec_lo, exec_lo, s4
	v_lshrrev_b32_e32 v4, 8, v4
	v_and_or_b32 v4, 0x80, v4, v5
	global_store_byte v[0:1], v4, off
.LBB38_1795:
	s_mov_b32 s4, 0
.LBB38_1796:
	s_andn2_b32 vcc_lo, exec_lo, s4
	s_cbranch_vccnz .LBB38_1806
; %bb.1797:
	v_lshlrev_b32_e32 v6, 16, v7
	v_and_b32_e32 v4, 0xffff, v7
	s_mov_b32 s4, exec_lo
                                        ; implicit-def: $vgpr5
	v_and_b32_e32 v10, 0x7fffffff, v6
	v_cmpx_gt_u32_e32 0x47800000, v10
	s_xor_b32 s4, exec_lo, s4
	s_cbranch_execz .LBB38_1803
; %bb.1798:
	s_mov_b32 s6, exec_lo
                                        ; implicit-def: $vgpr5
	v_cmpx_lt_u32_e32 0x387fffff, v10
	s_xor_b32 s6, exec_lo, s6
; %bb.1799:
	v_bfe_u32 v5, v4, 5, 1
	v_add3_u32 v5, v6, v5, 0x80fffff
                                        ; implicit-def: $vgpr6
	v_lshrrev_b32_e32 v5, 21, v5
; %bb.1800:
	s_andn2_saveexec_b32 s6, s6
; %bb.1801:
	v_add_f32_e64 v5, 0x43000000, |v6|
; %bb.1802:
	s_or_b32 exec_lo, exec_lo, s6
                                        ; implicit-def: $vgpr10
.LBB38_1803:
	s_andn2_saveexec_b32 s4, s4
; %bb.1804:
	v_mov_b32_e32 v5, 0x7f
	v_cmp_lt_u32_e32 vcc_lo, 0x7f800000, v10
	v_cndmask_b32_e32 v5, 0x7c, v5, vcc_lo
; %bb.1805:
	s_or_b32 exec_lo, exec_lo, s4
	v_lshrrev_b32_e32 v4, 8, v4
	v_and_or_b32 v4, 0x80, v4, v5
	global_store_byte v[0:1], v4, off
.LBB38_1806:
	s_mov_b32 s4, 0
	s_mov_b32 s6, -1
.LBB38_1807:
	s_andn2_b32 vcc_lo, exec_lo, s4
	s_mov_b32 s4, 0
	s_cbranch_vccnz .LBB38_1814
; %bb.1808:
	s_cmp_gt_i32 s3, 14
	s_mov_b32 s4, -1
	s_cbranch_scc0 .LBB38_1812
; %bb.1809:
	s_cmp_eq_u32 s3, 15
	s_mov_b32 s0, -1
	s_cbranch_scc0 .LBB38_1811
; %bb.1810:
	s_mov_b32 s0, 0
	s_mov_b32 s6, -1
	global_store_short v[0:1], v7, off
.LBB38_1811:
	s_mov_b32 s4, 0
.LBB38_1812:
	s_and_b32 vcc_lo, exec_lo, s4
	s_mov_b32 s4, 0
	s_cbranch_vccz .LBB38_1814
; %bb.1813:
	s_cmp_lg_u32 s3, 11
	s_mov_b32 s4, -1
	s_cselect_b32 s0, -1, 0
.LBB38_1814:
	s_and_b32 vcc_lo, exec_lo, s0
	s_cbranch_vccnz .LBB38_2223
; %bb.1815:
	s_andn2_b32 vcc_lo, exec_lo, s4
	s_cbranch_vccnz .LBB38_1817
.LBB38_1816:
	v_and_b32_e32 v4, 0x7fff, v7
	s_mov_b32 s6, -1
	v_cmp_ne_u16_e32 vcc_lo, 0, v4
	v_cndmask_b32_e64 v4, 0, 1, vcc_lo
	global_store_byte v[0:1], v4, off
.LBB38_1817:
	s_mov_b32 s0, 0
	s_branch .LBB38_1864
.LBB38_1818:
	s_mov_b32 s0, 0
	s_mov_b32 s3, 0
                                        ; implicit-def: $sgpr1
                                        ; implicit-def: $vgpr0_vgpr1
                                        ; implicit-def: $vgpr2
.LBB38_1819:
	s_andn2_b32 s2, s12, exec_lo
	s_and_b32 s4, s5, exec_lo
	s_and_b32 s0, s0, exec_lo
	;; [unrolled: 1-line block ×3, first 2 shown]
	s_or_b32 s12, s2, s4
.LBB38_1820:
	s_or_b32 exec_lo, exec_lo, s7
	s_and_saveexec_b32 s2, s12
	s_cbranch_execz .LBB38_1823
; %bb.1821:
	; divergent unreachable
	s_or_b32 exec_lo, exec_lo, s2
	s_and_saveexec_b32 s2, s5
	s_xor_b32 s2, exec_lo, s2
	s_cbranch_execnz .LBB38_1824
.LBB38_1822:
	s_or_b32 exec_lo, exec_lo, s2
	s_and_saveexec_b32 s2, s0
	s_cbranch_execnz .LBB38_1825
	s_branch .LBB38_1862
.LBB38_1823:
	s_or_b32 exec_lo, exec_lo, s2
	s_and_saveexec_b32 s2, s5
	s_xor_b32 s2, exec_lo, s2
	s_cbranch_execz .LBB38_1822
.LBB38_1824:
	s_waitcnt vmcnt(0)
	v_and_b32_e32 v3, 0x7fff, v2
	v_cmp_ne_u16_e32 vcc_lo, 0, v3
	v_cndmask_b32_e64 v3, 0, 1, vcc_lo
	global_store_byte v[0:1], v3, off
	s_or_b32 exec_lo, exec_lo, s2
	s_and_saveexec_b32 s2, s0
	s_cbranch_execz .LBB38_1862
.LBB38_1825:
	s_sext_i32_i16 s2, s1
	s_mov_b32 s0, -1
	s_cmp_lt_i32 s2, 5
	s_cbranch_scc1 .LBB38_1846
; %bb.1826:
	s_cmp_lt_i32 s2, 8
	s_cbranch_scc1 .LBB38_1836
; %bb.1827:
	;; [unrolled: 3-line block ×3, first 2 shown]
	s_cmp_gt_i32 s2, 9
	s_cbranch_scc0 .LBB38_1830
; %bb.1829:
	s_waitcnt vmcnt(0)
	v_lshlrev_b32_e32 v3, 16, v2
	v_mov_b32_e32 v5, 0
	s_mov_b32 s0, 0
	v_cvt_f64_f32_e32 v[3:4], v3
	v_mov_b32_e32 v6, v5
	global_store_dwordx4 v[0:1], v[3:6], off
.LBB38_1830:
	s_andn2_b32 vcc_lo, exec_lo, s0
	s_cbranch_vccnz .LBB38_1832
; %bb.1831:
	s_waitcnt vmcnt(0)
	v_lshlrev_b32_e32 v3, 16, v2
	v_mov_b32_e32 v4, 0
	global_store_dwordx2 v[0:1], v[3:4], off
.LBB38_1832:
	s_mov_b32 s0, 0
.LBB38_1833:
	s_andn2_b32 vcc_lo, exec_lo, s0
	s_cbranch_vccnz .LBB38_1835
; %bb.1834:
	s_waitcnt vmcnt(0)
	v_lshlrev_b32_e32 v3, 16, v2
	v_cvt_f16_f32_e32 v3, v3
	v_and_b32_e32 v3, 0xffff, v3
	global_store_dword v[0:1], v3, off
.LBB38_1835:
	s_mov_b32 s0, 0
.LBB38_1836:
	s_andn2_b32 vcc_lo, exec_lo, s0
	s_cbranch_vccnz .LBB38_1845
; %bb.1837:
	s_sext_i32_i16 s2, s1
	s_mov_b32 s0, -1
	s_cmp_lt_i32 s2, 6
	s_cbranch_scc1 .LBB38_1843
; %bb.1838:
	s_cmp_gt_i32 s2, 6
	s_cbranch_scc0 .LBB38_1840
; %bb.1839:
	s_waitcnt vmcnt(0)
	v_lshlrev_b32_e32 v3, 16, v2
	s_mov_b32 s0, 0
	v_cvt_f64_f32_e32 v[3:4], v3
	global_store_dwordx2 v[0:1], v[3:4], off
.LBB38_1840:
	s_andn2_b32 vcc_lo, exec_lo, s0
	s_cbranch_vccnz .LBB38_1842
; %bb.1841:
	s_waitcnt vmcnt(0)
	v_lshlrev_b32_e32 v3, 16, v2
	global_store_dword v[0:1], v3, off
.LBB38_1842:
	s_mov_b32 s0, 0
.LBB38_1843:
	s_andn2_b32 vcc_lo, exec_lo, s0
	s_cbranch_vccnz .LBB38_1845
; %bb.1844:
	s_waitcnt vmcnt(0)
	v_lshlrev_b32_e32 v3, 16, v2
	v_cvt_f16_f32_e32 v3, v3
	global_store_short v[0:1], v3, off
.LBB38_1845:
	s_mov_b32 s0, 0
.LBB38_1846:
	s_andn2_b32 vcc_lo, exec_lo, s0
	s_cbranch_vccnz .LBB38_1862
; %bb.1847:
	s_sext_i32_i16 s2, s1
	s_mov_b32 s0, -1
	s_cmp_lt_i32 s2, 2
	s_cbranch_scc1 .LBB38_1857
; %bb.1848:
	s_cmp_lt_i32 s2, 3
	s_cbranch_scc1 .LBB38_1854
; %bb.1849:
	s_cmp_gt_i32 s2, 3
	s_cbranch_scc0 .LBB38_1851
; %bb.1850:
	s_waitcnt vmcnt(0)
	v_lshlrev_b32_e32 v3, 16, v2
	s_mov_b32 s0, 0
	v_trunc_f32_e32 v3, v3
	v_mul_f32_e64 v4, 0x2f800000, |v3|
	v_ashrrev_i32_e32 v6, 31, v3
	v_floor_f32_e32 v4, v4
	v_fma_f32 v5, 0xcf800000, v4, |v3|
	v_cvt_u32_f32_e32 v4, v4
	v_cvt_u32_f32_e32 v3, v5
	v_xor_b32_e32 v4, v4, v6
	v_xor_b32_e32 v3, v3, v6
	v_sub_co_u32 v3, vcc_lo, v3, v6
	v_sub_co_ci_u32_e64 v4, null, v4, v6, vcc_lo
	global_store_dwordx2 v[0:1], v[3:4], off
.LBB38_1851:
	s_andn2_b32 vcc_lo, exec_lo, s0
	s_cbranch_vccnz .LBB38_1853
; %bb.1852:
	s_waitcnt vmcnt(0)
	v_lshlrev_b32_e32 v3, 16, v2
	v_cvt_i32_f32_e32 v3, v3
	global_store_dword v[0:1], v3, off
.LBB38_1853:
	s_mov_b32 s0, 0
.LBB38_1854:
	s_andn2_b32 vcc_lo, exec_lo, s0
	s_cbranch_vccnz .LBB38_1856
; %bb.1855:
	s_waitcnt vmcnt(0)
	v_lshlrev_b32_e32 v3, 16, v2
	v_cvt_i32_f32_e32 v3, v3
	global_store_short v[0:1], v3, off
.LBB38_1856:
	s_mov_b32 s0, 0
.LBB38_1857:
	s_andn2_b32 vcc_lo, exec_lo, s0
	s_cbranch_vccnz .LBB38_1862
; %bb.1858:
	s_waitcnt vmcnt(0)
	v_lshlrev_b32_e32 v2, 16, v2
	s_sext_i32_i16 s0, s1
	s_cmp_gt_i32 s0, 0
	s_mov_b32 s0, -1
	s_cbranch_scc0 .LBB38_1860
; %bb.1859:
	v_cvt_i32_f32_e32 v3, v2
	s_mov_b32 s0, 0
	global_store_byte v[0:1], v3, off
.LBB38_1860:
	s_andn2_b32 vcc_lo, exec_lo, s0
	s_cbranch_vccnz .LBB38_1862
; %bb.1861:
	v_trunc_f32_e32 v2, v2
	v_mul_f32_e64 v3, 0x2f800000, |v2|
	v_floor_f32_e32 v3, v3
	v_fma_f32 v3, 0xcf800000, v3, |v2|
	v_ashrrev_i32_e32 v2, 31, v2
	v_cvt_u32_f32_e32 v3, v3
	v_xor_b32_e32 v3, v3, v2
	v_sub_nc_u32_e32 v2, v3, v2
	global_store_byte v[0:1], v2, off
	s_endpgm
.LBB38_1862:
	s_endpgm
.LBB38_1863:
	s_mov_b32 s0, -1
	s_mov_b32 s6, 0
.LBB38_1864:
	s_and_b32 vcc_lo, exec_lo, s0
	s_cbranch_vccz .LBB38_1903
; %bb.1865:
	s_and_b32 s0, 0xffff, s1
	s_mov_b32 s3, -1
	s_cmp_lt_i32 s0, 5
	s_cbranch_scc1 .LBB38_1886
; %bb.1866:
	s_cmp_lt_i32 s0, 8
	s_cbranch_scc1 .LBB38_1876
; %bb.1867:
	;; [unrolled: 3-line block ×3, first 2 shown]
	s_cmp_gt_i32 s0, 9
	s_cbranch_scc0 .LBB38_1870
; %bb.1869:
	v_lshlrev_b32_e32 v4, 16, v7
	v_mov_b32_e32 v12, 0
	s_mov_b32 s3, 0
	v_cvt_f64_f32_e32 v[10:11], v4
	v_mov_b32_e32 v13, v12
	global_store_dwordx4 v[0:1], v[10:13], off
.LBB38_1870:
	s_andn2_b32 vcc_lo, exec_lo, s3
	s_cbranch_vccnz .LBB38_1872
; %bb.1871:
	v_lshlrev_b32_e32 v4, 16, v7
	v_mov_b32_e32 v5, 0
	global_store_dwordx2 v[0:1], v[4:5], off
.LBB38_1872:
	s_mov_b32 s3, 0
.LBB38_1873:
	s_andn2_b32 vcc_lo, exec_lo, s3
	s_cbranch_vccnz .LBB38_1875
; %bb.1874:
	v_lshlrev_b32_e32 v4, 16, v7
	v_cvt_f16_f32_e32 v4, v4
	v_and_b32_e32 v4, 0xffff, v4
	global_store_dword v[0:1], v4, off
.LBB38_1875:
	s_mov_b32 s3, 0
.LBB38_1876:
	s_andn2_b32 vcc_lo, exec_lo, s3
	s_cbranch_vccnz .LBB38_1885
; %bb.1877:
	s_cmp_lt_i32 s0, 6
	s_mov_b32 s3, -1
	s_cbranch_scc1 .LBB38_1883
; %bb.1878:
	s_cmp_gt_i32 s0, 6
	s_cbranch_scc0 .LBB38_1880
; %bb.1879:
	v_lshlrev_b32_e32 v4, 16, v7
	s_mov_b32 s3, 0
	v_cvt_f64_f32_e32 v[4:5], v4
	global_store_dwordx2 v[0:1], v[4:5], off
.LBB38_1880:
	s_andn2_b32 vcc_lo, exec_lo, s3
	s_cbranch_vccnz .LBB38_1882
; %bb.1881:
	v_lshlrev_b32_e32 v4, 16, v7
	global_store_dword v[0:1], v4, off
.LBB38_1882:
	s_mov_b32 s3, 0
.LBB38_1883:
	s_andn2_b32 vcc_lo, exec_lo, s3
	s_cbranch_vccnz .LBB38_1885
; %bb.1884:
	v_lshlrev_b32_e32 v4, 16, v7
	v_cvt_f16_f32_e32 v4, v4
	global_store_short v[0:1], v4, off
.LBB38_1885:
	s_mov_b32 s3, 0
.LBB38_1886:
	s_andn2_b32 vcc_lo, exec_lo, s3
	s_cbranch_vccnz .LBB38_1902
; %bb.1887:
	s_cmp_lt_i32 s0, 2
	s_mov_b32 s3, -1
	s_cbranch_scc1 .LBB38_1897
; %bb.1888:
	s_cmp_lt_i32 s0, 3
	s_cbranch_scc1 .LBB38_1894
; %bb.1889:
	s_cmp_gt_i32 s0, 3
	s_cbranch_scc0 .LBB38_1891
; %bb.1890:
	v_lshlrev_b32_e32 v4, 16, v7
	s_mov_b32 s3, 0
	v_trunc_f32_e32 v4, v4
	v_mul_f32_e64 v5, 0x2f800000, |v4|
	v_ashrrev_i32_e32 v10, 31, v4
	v_floor_f32_e32 v5, v5
	v_fma_f32 v6, 0xcf800000, v5, |v4|
	v_cvt_u32_f32_e32 v5, v5
	v_cvt_u32_f32_e32 v4, v6
	v_xor_b32_e32 v5, v5, v10
	v_xor_b32_e32 v4, v4, v10
	v_sub_co_u32 v4, vcc_lo, v4, v10
	v_sub_co_ci_u32_e64 v5, null, v5, v10, vcc_lo
	global_store_dwordx2 v[0:1], v[4:5], off
.LBB38_1891:
	s_andn2_b32 vcc_lo, exec_lo, s3
	s_cbranch_vccnz .LBB38_1893
; %bb.1892:
	v_lshlrev_b32_e32 v4, 16, v7
	v_cvt_i32_f32_e32 v4, v4
	global_store_dword v[0:1], v4, off
.LBB38_1893:
	s_mov_b32 s3, 0
.LBB38_1894:
	s_andn2_b32 vcc_lo, exec_lo, s3
	s_cbranch_vccnz .LBB38_1896
; %bb.1895:
	v_lshlrev_b32_e32 v4, 16, v7
	v_cvt_i32_f32_e32 v4, v4
	global_store_short v[0:1], v4, off
.LBB38_1896:
	s_mov_b32 s3, 0
.LBB38_1897:
	s_andn2_b32 vcc_lo, exec_lo, s3
	s_cbranch_vccnz .LBB38_1902
; %bb.1898:
	v_lshlrev_b32_e32 v4, 16, v7
	s_cmp_gt_i32 s0, 0
	s_mov_b32 s0, -1
	s_cbranch_scc0 .LBB38_1900
; %bb.1899:
	v_cvt_i32_f32_e32 v5, v4
	s_mov_b32 s0, 0
	global_store_byte v[0:1], v5, off
.LBB38_1900:
	s_andn2_b32 vcc_lo, exec_lo, s0
	s_cbranch_vccnz .LBB38_1902
; %bb.1901:
	v_trunc_f32_e32 v4, v4
	v_mul_f32_e64 v5, 0x2f800000, |v4|
	v_floor_f32_e32 v5, v5
	v_fma_f32 v5, 0xcf800000, v5, |v4|
	v_ashrrev_i32_e32 v4, 31, v4
	v_cvt_u32_f32_e32 v5, v5
	v_xor_b32_e32 v5, v5, v4
	v_sub_nc_u32_e32 v4, v5, v4
	global_store_byte v[0:1], v4, off
.LBB38_1902:
	s_mov_b32 s6, -1
.LBB38_1903:
	s_andn2_b32 vcc_lo, exec_lo, s6
	s_cbranch_vccnz .LBB38_2218
; %bb.1904:
	s_lshl_b32 s2, s2, 7
	s_cmp_lt_i32 s1, 11
	v_add_nc_u32_e32 v3, s2, v3
	v_ashrrev_i32_e32 v1, 31, v3
	v_add_co_u32 v0, vcc_lo, s8, v3
	v_add_co_ci_u32_e64 v1, null, s9, v1, vcc_lo
	s_cbranch_scc1 .LBB38_1982
; %bb.1905:
	s_and_b32 s3, 0xffff, s1
	s_mov_b32 s10, -1
	s_mov_b32 s4, 0
	s_cmp_gt_i32 s3, 25
	s_mov_b32 s6, 0
	s_mov_b32 s0, 0
	s_cbranch_scc0 .LBB38_1938
; %bb.1906:
	s_cmp_gt_i32 s3, 28
	s_cbranch_scc0 .LBB38_1921
; %bb.1907:
	s_cmp_gt_i32 s3, 43
	;; [unrolled: 3-line block ×3, first 2 shown]
	s_cbranch_scc0 .LBB38_1911
; %bb.1909:
	s_mov_b32 s0, -1
	s_mov_b32 s10, 0
	s_cmp_eq_u32 s3, 46
	s_cbranch_scc0 .LBB38_1911
; %bb.1910:
	v_and_b32_e32 v4, 0xffff, v8
	s_mov_b32 s0, 0
	s_mov_b32 s6, -1
	global_store_dword v[0:1], v4, off
.LBB38_1911:
	s_and_b32 vcc_lo, exec_lo, s10
	s_cbranch_vccz .LBB38_1916
; %bb.1912:
	s_cmp_eq_u32 s3, 44
	s_mov_b32 s0, -1
	s_cbranch_scc0 .LBB38_1916
; %bb.1913:
	v_and_b32_e32 v4, 0xffff, v8
	v_mov_b32_e32 v5, 0xff
	s_mov_b32 s6, exec_lo
	v_bfe_u32 v6, v4, 7, 8
	v_cmpx_ne_u32_e32 0xff, v6
	s_cbranch_execz .LBB38_1915
; %bb.1914:
	v_lshlrev_b32_e32 v5, 16, v4
	v_and_b32_e32 v7, 64, v4
	v_lshrrev_b32_e32 v4, 7, v4
	v_and_or_b32 v5, 0x3f0000, v5, v6
	v_cmp_ne_u32_e32 vcc_lo, 0, v7
	v_cmp_ne_u32_e64 s0, 0, v5
	s_and_b32 s0, vcc_lo, s0
	v_cndmask_b32_e64 v5, 0, 1, s0
	v_add_nc_u32_e32 v5, v4, v5
.LBB38_1915:
	s_or_b32 exec_lo, exec_lo, s6
	s_mov_b32 s0, 0
	s_mov_b32 s6, -1
	global_store_byte v[0:1], v5, off
.LBB38_1916:
	s_mov_b32 s10, 0
.LBB38_1917:
	s_and_b32 vcc_lo, exec_lo, s10
	s_cbranch_vccz .LBB38_1920
; %bb.1918:
	s_cmp_eq_u32 s3, 29
	s_mov_b32 s0, -1
	s_cbranch_scc0 .LBB38_1920
; %bb.1919:
	v_lshlrev_b32_e32 v4, 16, v8
	s_mov_b32 s0, 0
	s_mov_b32 s6, -1
	v_trunc_f32_e32 v4, v4
	v_mul_f32_e32 v5, 0x2f800000, v4
	v_floor_f32_e32 v5, v5
	v_fmamk_f32 v4, v5, 0xcf800000, v4
	v_cvt_u32_f32_e32 v5, v5
	v_cvt_u32_f32_e32 v4, v4
	global_store_dwordx2 v[0:1], v[4:5], off
.LBB38_1920:
	s_mov_b32 s10, 0
.LBB38_1921:
	s_and_b32 vcc_lo, exec_lo, s10
	s_cbranch_vccz .LBB38_1937
; %bb.1922:
	s_cmp_lt_i32 s3, 27
	s_mov_b32 s6, -1
	s_cbranch_scc1 .LBB38_1928
; %bb.1923:
	s_cmp_gt_i32 s3, 27
	s_cbranch_scc0 .LBB38_1925
; %bb.1924:
	v_lshlrev_b32_e32 v4, 16, v8
	s_mov_b32 s6, 0
	v_cvt_u32_f32_e32 v4, v4
	global_store_dword v[0:1], v4, off
.LBB38_1925:
	s_andn2_b32 vcc_lo, exec_lo, s6
	s_cbranch_vccnz .LBB38_1927
; %bb.1926:
	v_lshlrev_b32_e32 v4, 16, v8
	v_cvt_u32_f32_e32 v4, v4
	global_store_short v[0:1], v4, off
.LBB38_1927:
	s_mov_b32 s6, 0
.LBB38_1928:
	s_andn2_b32 vcc_lo, exec_lo, s6
	s_cbranch_vccnz .LBB38_1936
; %bb.1929:
	v_lshlrev_b32_e32 v6, 16, v8
	v_mov_b32_e32 v7, 0x80
	s_mov_b32 s6, exec_lo
	v_and_b32_e32 v5, 0x7fffffff, v6
	v_cmpx_gt_u32_e32 0x43800000, v5
	s_cbranch_execz .LBB38_1935
; %bb.1930:
	v_and_b32_e32 v4, 0xffff, v8
	v_cmp_lt_u32_e32 vcc_lo, 0x3bffffff, v5
	s_mov_b32 s10, 0
                                        ; implicit-def: $vgpr5
	s_and_saveexec_b32 s11, vcc_lo
	s_xor_b32 s11, exec_lo, s11
	s_cbranch_execz .LBB38_2226
; %bb.1931:
	v_bfe_u32 v5, v4, 4, 1
	s_mov_b32 s10, exec_lo
	v_add3_u32 v5, v6, v5, 0x487ffff
                                        ; implicit-def: $vgpr6
	v_lshrrev_b32_e32 v5, 20, v5
	s_andn2_saveexec_b32 s11, s11
	s_cbranch_execnz .LBB38_2227
.LBB38_1932:
	s_or_b32 exec_lo, exec_lo, s11
	v_mov_b32_e32 v7, 0
	s_and_saveexec_b32 s11, s10
.LBB38_1933:
	v_lshrrev_b32_e32 v4, 8, v4
	v_and_or_b32 v7, 0x80, v4, v5
.LBB38_1934:
	s_or_b32 exec_lo, exec_lo, s11
.LBB38_1935:
	s_or_b32 exec_lo, exec_lo, s6
	global_store_byte v[0:1], v7, off
.LBB38_1936:
	s_mov_b32 s6, -1
.LBB38_1937:
	s_mov_b32 s10, 0
.LBB38_1938:
	s_and_b32 vcc_lo, exec_lo, s10
	s_cbranch_vccz .LBB38_1978
; %bb.1939:
	s_cmp_gt_i32 s3, 22
	s_mov_b32 s4, -1
	s_cbranch_scc0 .LBB38_1971
; %bb.1940:
	s_cmp_lt_i32 s3, 24
	s_cbranch_scc1 .LBB38_1960
; %bb.1941:
	s_cmp_gt_i32 s3, 24
	s_cbranch_scc0 .LBB38_1949
; %bb.1942:
	v_lshlrev_b32_e32 v6, 16, v8
	v_mov_b32_e32 v7, 0x80
	s_mov_b32 s4, exec_lo
	v_and_b32_e32 v5, 0x7fffffff, v6
	v_cmpx_gt_u32_e32 0x47800000, v5
	s_cbranch_execz .LBB38_1948
; %bb.1943:
	v_and_b32_e32 v4, 0xffff, v8
	v_cmp_lt_u32_e32 vcc_lo, 0x37ffffff, v5
	s_mov_b32 s6, 0
                                        ; implicit-def: $vgpr5
	s_and_saveexec_b32 s10, vcc_lo
	s_xor_b32 s10, exec_lo, s10
	s_cbranch_execz .LBB38_2229
; %bb.1944:
	v_bfe_u32 v5, v4, 5, 1
	s_mov_b32 s6, exec_lo
	v_add3_u32 v5, v6, v5, 0x88fffff
                                        ; implicit-def: $vgpr6
	v_lshrrev_b32_e32 v5, 21, v5
	s_andn2_saveexec_b32 s10, s10
	s_cbranch_execnz .LBB38_2230
.LBB38_1945:
	s_or_b32 exec_lo, exec_lo, s10
	v_mov_b32_e32 v7, 0
	s_and_saveexec_b32 s10, s6
.LBB38_1946:
	v_lshrrev_b32_e32 v4, 8, v4
	v_and_or_b32 v7, 0x80, v4, v5
.LBB38_1947:
	s_or_b32 exec_lo, exec_lo, s10
.LBB38_1948:
	s_or_b32 exec_lo, exec_lo, s4
	s_mov_b32 s4, 0
	global_store_byte v[0:1], v7, off
.LBB38_1949:
	s_and_b32 vcc_lo, exec_lo, s4
	s_cbranch_vccz .LBB38_1959
; %bb.1950:
	v_lshlrev_b32_e32 v6, 16, v8
	v_and_b32_e32 v4, 0xffff, v8
	s_mov_b32 s4, exec_lo
                                        ; implicit-def: $vgpr5
	v_and_b32_e32 v7, 0x7fffffff, v6
	v_cmpx_gt_u32_e32 0x43f00000, v7
	s_xor_b32 s4, exec_lo, s4
	s_cbranch_execz .LBB38_1956
; %bb.1951:
	s_mov_b32 s6, exec_lo
                                        ; implicit-def: $vgpr5
	v_cmpx_lt_u32_e32 0x3c7fffff, v7
	s_xor_b32 s6, exec_lo, s6
; %bb.1952:
	v_bfe_u32 v5, v4, 4, 1
	v_add3_u32 v5, v6, v5, 0x407ffff
	v_and_b32_e32 v6, 0xff00000, v5
	v_lshrrev_b32_e32 v5, 20, v5
	v_cmp_ne_u32_e32 vcc_lo, 0x7f00000, v6
                                        ; implicit-def: $vgpr6
	v_cndmask_b32_e32 v5, 0x7e, v5, vcc_lo
; %bb.1953:
	s_andn2_saveexec_b32 s6, s6
; %bb.1954:
	v_add_f32_e64 v5, 0x46800000, |v6|
; %bb.1955:
	s_or_b32 exec_lo, exec_lo, s6
                                        ; implicit-def: $vgpr7
.LBB38_1956:
	s_andn2_saveexec_b32 s4, s4
; %bb.1957:
	v_mov_b32_e32 v5, 0x7f
	v_cmp_lt_u32_e32 vcc_lo, 0x7f800000, v7
	v_cndmask_b32_e32 v5, 0x7e, v5, vcc_lo
; %bb.1958:
	s_or_b32 exec_lo, exec_lo, s4
	v_lshrrev_b32_e32 v4, 8, v4
	v_and_or_b32 v4, 0x80, v4, v5
	global_store_byte v[0:1], v4, off
.LBB38_1959:
	s_mov_b32 s4, 0
.LBB38_1960:
	s_andn2_b32 vcc_lo, exec_lo, s4
	s_cbranch_vccnz .LBB38_1970
; %bb.1961:
	v_lshlrev_b32_e32 v6, 16, v8
	v_and_b32_e32 v4, 0xffff, v8
	s_mov_b32 s4, exec_lo
                                        ; implicit-def: $vgpr5
	v_and_b32_e32 v7, 0x7fffffff, v6
	v_cmpx_gt_u32_e32 0x47800000, v7
	s_xor_b32 s4, exec_lo, s4
	s_cbranch_execz .LBB38_1967
; %bb.1962:
	s_mov_b32 s6, exec_lo
                                        ; implicit-def: $vgpr5
	v_cmpx_lt_u32_e32 0x387fffff, v7
	s_xor_b32 s6, exec_lo, s6
; %bb.1963:
	v_bfe_u32 v5, v4, 5, 1
	v_add3_u32 v5, v6, v5, 0x80fffff
                                        ; implicit-def: $vgpr6
	v_lshrrev_b32_e32 v5, 21, v5
; %bb.1964:
	s_andn2_saveexec_b32 s6, s6
; %bb.1965:
	v_add_f32_e64 v5, 0x43000000, |v6|
; %bb.1966:
	s_or_b32 exec_lo, exec_lo, s6
                                        ; implicit-def: $vgpr7
.LBB38_1967:
	s_andn2_saveexec_b32 s4, s4
; %bb.1968:
	v_mov_b32_e32 v5, 0x7f
	v_cmp_lt_u32_e32 vcc_lo, 0x7f800000, v7
	v_cndmask_b32_e32 v5, 0x7c, v5, vcc_lo
; %bb.1969:
	s_or_b32 exec_lo, exec_lo, s4
	v_lshrrev_b32_e32 v4, 8, v4
	v_and_or_b32 v4, 0x80, v4, v5
	global_store_byte v[0:1], v4, off
.LBB38_1970:
	s_mov_b32 s4, 0
	s_mov_b32 s6, -1
.LBB38_1971:
	s_andn2_b32 vcc_lo, exec_lo, s4
	s_mov_b32 s4, 0
	s_cbranch_vccnz .LBB38_1978
; %bb.1972:
	s_cmp_gt_i32 s3, 14
	s_mov_b32 s4, -1
	s_cbranch_scc0 .LBB38_1976
; %bb.1973:
	s_cmp_eq_u32 s3, 15
	s_mov_b32 s0, -1
	s_cbranch_scc0 .LBB38_1975
; %bb.1974:
	s_mov_b32 s0, 0
	s_mov_b32 s6, -1
	global_store_short v[0:1], v8, off
.LBB38_1975:
	s_mov_b32 s4, 0
.LBB38_1976:
	s_and_b32 vcc_lo, exec_lo, s4
	s_mov_b32 s4, 0
	s_cbranch_vccz .LBB38_1978
; %bb.1977:
	s_cmp_lg_u32 s3, 11
	s_mov_b32 s4, -1
	s_cselect_b32 s0, -1, 0
.LBB38_1978:
	s_and_b32 vcc_lo, exec_lo, s0
	s_cbranch_vccnz .LBB38_2228
; %bb.1979:
	s_andn2_b32 vcc_lo, exec_lo, s4
	s_cbranch_vccnz .LBB38_1981
.LBB38_1980:
	v_and_b32_e32 v4, 0x7fff, v8
	s_mov_b32 s6, -1
	v_cmp_ne_u16_e32 vcc_lo, 0, v4
	v_cndmask_b32_e64 v4, 0, 1, vcc_lo
	global_store_byte v[0:1], v4, off
.LBB38_1981:
	s_mov_b32 s0, 0
	s_branch .LBB38_1983
.LBB38_1982:
	s_mov_b32 s0, -1
	s_mov_b32 s6, 0
.LBB38_1983:
	s_and_b32 vcc_lo, exec_lo, s0
	s_cbranch_vccz .LBB38_2022
; %bb.1984:
	s_and_b32 s0, 0xffff, s1
	s_mov_b32 s3, -1
	s_cmp_lt_i32 s0, 5
	s_cbranch_scc1 .LBB38_2005
; %bb.1985:
	s_cmp_lt_i32 s0, 8
	s_cbranch_scc1 .LBB38_1995
; %bb.1986:
	;; [unrolled: 3-line block ×3, first 2 shown]
	s_cmp_gt_i32 s0, 9
	s_cbranch_scc0 .LBB38_1989
; %bb.1988:
	v_lshlrev_b32_e32 v4, 16, v8
	v_mov_b32_e32 v6, 0
	s_mov_b32 s3, 0
	v_cvt_f64_f32_e32 v[4:5], v4
	v_mov_b32_e32 v7, v6
	global_store_dwordx4 v[0:1], v[4:7], off
.LBB38_1989:
	s_andn2_b32 vcc_lo, exec_lo, s3
	s_cbranch_vccnz .LBB38_1991
; %bb.1990:
	v_lshlrev_b32_e32 v4, 16, v8
	v_mov_b32_e32 v5, 0
	global_store_dwordx2 v[0:1], v[4:5], off
.LBB38_1991:
	s_mov_b32 s3, 0
.LBB38_1992:
	s_andn2_b32 vcc_lo, exec_lo, s3
	s_cbranch_vccnz .LBB38_1994
; %bb.1993:
	v_lshlrev_b32_e32 v4, 16, v8
	v_cvt_f16_f32_e32 v4, v4
	v_and_b32_e32 v4, 0xffff, v4
	global_store_dword v[0:1], v4, off
.LBB38_1994:
	s_mov_b32 s3, 0
.LBB38_1995:
	s_andn2_b32 vcc_lo, exec_lo, s3
	s_cbranch_vccnz .LBB38_2004
; %bb.1996:
	s_cmp_lt_i32 s0, 6
	s_mov_b32 s3, -1
	s_cbranch_scc1 .LBB38_2002
; %bb.1997:
	s_cmp_gt_i32 s0, 6
	s_cbranch_scc0 .LBB38_1999
; %bb.1998:
	v_lshlrev_b32_e32 v4, 16, v8
	s_mov_b32 s3, 0
	v_cvt_f64_f32_e32 v[4:5], v4
	global_store_dwordx2 v[0:1], v[4:5], off
.LBB38_1999:
	s_andn2_b32 vcc_lo, exec_lo, s3
	s_cbranch_vccnz .LBB38_2001
; %bb.2000:
	v_lshlrev_b32_e32 v4, 16, v8
	global_store_dword v[0:1], v4, off
.LBB38_2001:
	s_mov_b32 s3, 0
.LBB38_2002:
	s_andn2_b32 vcc_lo, exec_lo, s3
	s_cbranch_vccnz .LBB38_2004
; %bb.2003:
	v_lshlrev_b32_e32 v4, 16, v8
	v_cvt_f16_f32_e32 v4, v4
	global_store_short v[0:1], v4, off
.LBB38_2004:
	s_mov_b32 s3, 0
.LBB38_2005:
	s_andn2_b32 vcc_lo, exec_lo, s3
	s_cbranch_vccnz .LBB38_2021
; %bb.2006:
	s_cmp_lt_i32 s0, 2
	s_mov_b32 s3, -1
	s_cbranch_scc1 .LBB38_2016
; %bb.2007:
	s_cmp_lt_i32 s0, 3
	s_cbranch_scc1 .LBB38_2013
; %bb.2008:
	s_cmp_gt_i32 s0, 3
	s_cbranch_scc0 .LBB38_2010
; %bb.2009:
	v_lshlrev_b32_e32 v4, 16, v8
	s_mov_b32 s3, 0
	v_trunc_f32_e32 v4, v4
	v_mul_f32_e64 v5, 0x2f800000, |v4|
	v_ashrrev_i32_e32 v7, 31, v4
	v_floor_f32_e32 v5, v5
	v_fma_f32 v6, 0xcf800000, v5, |v4|
	v_cvt_u32_f32_e32 v5, v5
	v_cvt_u32_f32_e32 v4, v6
	v_xor_b32_e32 v5, v5, v7
	v_xor_b32_e32 v4, v4, v7
	v_sub_co_u32 v4, vcc_lo, v4, v7
	v_sub_co_ci_u32_e64 v5, null, v5, v7, vcc_lo
	global_store_dwordx2 v[0:1], v[4:5], off
.LBB38_2010:
	s_andn2_b32 vcc_lo, exec_lo, s3
	s_cbranch_vccnz .LBB38_2012
; %bb.2011:
	v_lshlrev_b32_e32 v4, 16, v8
	v_cvt_i32_f32_e32 v4, v4
	global_store_dword v[0:1], v4, off
.LBB38_2012:
	s_mov_b32 s3, 0
.LBB38_2013:
	s_andn2_b32 vcc_lo, exec_lo, s3
	s_cbranch_vccnz .LBB38_2015
; %bb.2014:
	v_lshlrev_b32_e32 v4, 16, v8
	v_cvt_i32_f32_e32 v4, v4
	global_store_short v[0:1], v4, off
.LBB38_2015:
	s_mov_b32 s3, 0
.LBB38_2016:
	s_andn2_b32 vcc_lo, exec_lo, s3
	s_cbranch_vccnz .LBB38_2021
; %bb.2017:
	v_lshlrev_b32_e32 v4, 16, v8
	s_cmp_gt_i32 s0, 0
	s_mov_b32 s0, -1
	s_cbranch_scc0 .LBB38_2019
; %bb.2018:
	v_cvt_i32_f32_e32 v5, v4
	s_mov_b32 s0, 0
	global_store_byte v[0:1], v5, off
.LBB38_2019:
	s_andn2_b32 vcc_lo, exec_lo, s0
	s_cbranch_vccnz .LBB38_2021
; %bb.2020:
	v_trunc_f32_e32 v4, v4
	v_mul_f32_e64 v5, 0x2f800000, |v4|
	v_floor_f32_e32 v5, v5
	v_fma_f32 v5, 0xcf800000, v5, |v4|
	v_ashrrev_i32_e32 v4, 31, v4
	v_cvt_u32_f32_e32 v5, v5
	v_xor_b32_e32 v5, v5, v4
	v_sub_nc_u32_e32 v4, v5, v4
	global_store_byte v[0:1], v4, off
.LBB38_2021:
	s_mov_b32 s6, -1
.LBB38_2022:
	s_andn2_b32 vcc_lo, exec_lo, s6
	s_cbranch_vccnz .LBB38_2218
; %bb.2023:
	v_add_nc_u32_e32 v3, s2, v3
	s_cmp_lt_i32 s1, 11
	v_ashrrev_i32_e32 v1, 31, v3
	v_add_co_u32 v0, vcc_lo, s8, v3
	v_add_co_ci_u32_e64 v1, null, s9, v1, vcc_lo
	s_cbranch_scc1 .LBB38_2101
; %bb.2024:
	s_and_b32 s3, 0xffff, s1
	s_mov_b32 s10, -1
	s_mov_b32 s4, 0
	s_cmp_gt_i32 s3, 25
	s_mov_b32 s6, 0
	s_mov_b32 s0, 0
	s_cbranch_scc0 .LBB38_2057
; %bb.2025:
	s_cmp_gt_i32 s3, 28
	s_cbranch_scc0 .LBB38_2040
; %bb.2026:
	s_cmp_gt_i32 s3, 43
	s_cbranch_scc0 .LBB38_2036
; %bb.2027:
	s_cmp_gt_i32 s3, 45
	s_cbranch_scc0 .LBB38_2030
; %bb.2028:
	s_mov_b32 s0, -1
	s_mov_b32 s10, 0
	s_cmp_eq_u32 s3, 46
	s_cbranch_scc0 .LBB38_2030
; %bb.2029:
	v_and_b32_e32 v4, 0xffff, v9
	s_mov_b32 s0, 0
	s_mov_b32 s6, -1
	global_store_dword v[0:1], v4, off
.LBB38_2030:
	s_and_b32 vcc_lo, exec_lo, s10
	s_cbranch_vccz .LBB38_2035
; %bb.2031:
	s_cmp_eq_u32 s3, 44
	s_mov_b32 s0, -1
	s_cbranch_scc0 .LBB38_2035
; %bb.2032:
	v_and_b32_e32 v4, 0xffff, v9
	v_mov_b32_e32 v5, 0xff
	s_mov_b32 s6, exec_lo
	v_bfe_u32 v6, v4, 7, 8
	v_cmpx_ne_u32_e32 0xff, v6
	s_cbranch_execz .LBB38_2034
; %bb.2033:
	v_lshlrev_b32_e32 v5, 16, v4
	v_and_b32_e32 v7, 64, v4
	v_lshrrev_b32_e32 v4, 7, v4
	v_and_or_b32 v5, 0x3f0000, v5, v6
	v_cmp_ne_u32_e32 vcc_lo, 0, v7
	v_cmp_ne_u32_e64 s0, 0, v5
	s_and_b32 s0, vcc_lo, s0
	v_cndmask_b32_e64 v5, 0, 1, s0
	v_add_nc_u32_e32 v5, v4, v5
.LBB38_2034:
	s_or_b32 exec_lo, exec_lo, s6
	s_mov_b32 s0, 0
	s_mov_b32 s6, -1
	global_store_byte v[0:1], v5, off
.LBB38_2035:
	s_mov_b32 s10, 0
.LBB38_2036:
	s_and_b32 vcc_lo, exec_lo, s10
	s_cbranch_vccz .LBB38_2039
; %bb.2037:
	s_cmp_eq_u32 s3, 29
	s_mov_b32 s0, -1
	s_cbranch_scc0 .LBB38_2039
; %bb.2038:
	v_lshlrev_b32_e32 v4, 16, v9
	s_mov_b32 s0, 0
	s_mov_b32 s6, -1
	v_trunc_f32_e32 v4, v4
	v_mul_f32_e32 v5, 0x2f800000, v4
	v_floor_f32_e32 v5, v5
	v_fmamk_f32 v4, v5, 0xcf800000, v4
	v_cvt_u32_f32_e32 v5, v5
	v_cvt_u32_f32_e32 v4, v4
	global_store_dwordx2 v[0:1], v[4:5], off
.LBB38_2039:
	s_mov_b32 s10, 0
.LBB38_2040:
	s_and_b32 vcc_lo, exec_lo, s10
	s_cbranch_vccz .LBB38_2056
; %bb.2041:
	s_cmp_lt_i32 s3, 27
	s_mov_b32 s6, -1
	s_cbranch_scc1 .LBB38_2047
; %bb.2042:
	s_cmp_gt_i32 s3, 27
	s_cbranch_scc0 .LBB38_2044
; %bb.2043:
	v_lshlrev_b32_e32 v4, 16, v9
	s_mov_b32 s6, 0
	v_cvt_u32_f32_e32 v4, v4
	global_store_dword v[0:1], v4, off
.LBB38_2044:
	s_andn2_b32 vcc_lo, exec_lo, s6
	s_cbranch_vccnz .LBB38_2046
; %bb.2045:
	v_lshlrev_b32_e32 v4, 16, v9
	v_cvt_u32_f32_e32 v4, v4
	global_store_short v[0:1], v4, off
.LBB38_2046:
	s_mov_b32 s6, 0
.LBB38_2047:
	s_andn2_b32 vcc_lo, exec_lo, s6
	s_cbranch_vccnz .LBB38_2055
; %bb.2048:
	v_lshlrev_b32_e32 v6, 16, v9
	v_mov_b32_e32 v7, 0x80
	s_mov_b32 s6, exec_lo
	v_and_b32_e32 v5, 0x7fffffff, v6
	v_cmpx_gt_u32_e32 0x43800000, v5
	s_cbranch_execz .LBB38_2054
; %bb.2049:
	v_and_b32_e32 v4, 0xffff, v9
	v_cmp_lt_u32_e32 vcc_lo, 0x3bffffff, v5
	s_mov_b32 s10, 0
                                        ; implicit-def: $vgpr5
	s_and_saveexec_b32 s11, vcc_lo
	s_xor_b32 s11, exec_lo, s11
	s_cbranch_execz .LBB38_2231
; %bb.2050:
	v_bfe_u32 v5, v4, 4, 1
	s_mov_b32 s10, exec_lo
	v_add3_u32 v5, v6, v5, 0x487ffff
                                        ; implicit-def: $vgpr6
	v_lshrrev_b32_e32 v5, 20, v5
	s_andn2_saveexec_b32 s11, s11
	s_cbranch_execnz .LBB38_2232
.LBB38_2051:
	s_or_b32 exec_lo, exec_lo, s11
	v_mov_b32_e32 v7, 0
	s_and_saveexec_b32 s11, s10
.LBB38_2052:
	v_lshrrev_b32_e32 v4, 8, v4
	v_and_or_b32 v7, 0x80, v4, v5
.LBB38_2053:
	s_or_b32 exec_lo, exec_lo, s11
.LBB38_2054:
	s_or_b32 exec_lo, exec_lo, s6
	global_store_byte v[0:1], v7, off
.LBB38_2055:
	s_mov_b32 s6, -1
.LBB38_2056:
	s_mov_b32 s10, 0
.LBB38_2057:
	s_and_b32 vcc_lo, exec_lo, s10
	s_cbranch_vccz .LBB38_2097
; %bb.2058:
	s_cmp_gt_i32 s3, 22
	s_mov_b32 s4, -1
	s_cbranch_scc0 .LBB38_2090
; %bb.2059:
	s_cmp_lt_i32 s3, 24
	s_cbranch_scc1 .LBB38_2079
; %bb.2060:
	s_cmp_gt_i32 s3, 24
	s_cbranch_scc0 .LBB38_2068
; %bb.2061:
	v_lshlrev_b32_e32 v6, 16, v9
	v_mov_b32_e32 v7, 0x80
	s_mov_b32 s4, exec_lo
	v_and_b32_e32 v5, 0x7fffffff, v6
	v_cmpx_gt_u32_e32 0x47800000, v5
	s_cbranch_execz .LBB38_2067
; %bb.2062:
	v_and_b32_e32 v4, 0xffff, v9
	v_cmp_lt_u32_e32 vcc_lo, 0x37ffffff, v5
	s_mov_b32 s6, 0
                                        ; implicit-def: $vgpr5
	s_and_saveexec_b32 s10, vcc_lo
	s_xor_b32 s10, exec_lo, s10
	s_cbranch_execz .LBB38_2234
; %bb.2063:
	v_bfe_u32 v5, v4, 5, 1
	s_mov_b32 s6, exec_lo
	v_add3_u32 v5, v6, v5, 0x88fffff
                                        ; implicit-def: $vgpr6
	v_lshrrev_b32_e32 v5, 21, v5
	s_andn2_saveexec_b32 s10, s10
	s_cbranch_execnz .LBB38_2235
.LBB38_2064:
	s_or_b32 exec_lo, exec_lo, s10
	v_mov_b32_e32 v7, 0
	s_and_saveexec_b32 s10, s6
.LBB38_2065:
	v_lshrrev_b32_e32 v4, 8, v4
	v_and_or_b32 v7, 0x80, v4, v5
.LBB38_2066:
	s_or_b32 exec_lo, exec_lo, s10
.LBB38_2067:
	s_or_b32 exec_lo, exec_lo, s4
	s_mov_b32 s4, 0
	global_store_byte v[0:1], v7, off
.LBB38_2068:
	s_and_b32 vcc_lo, exec_lo, s4
	s_cbranch_vccz .LBB38_2078
; %bb.2069:
	v_lshlrev_b32_e32 v6, 16, v9
	v_and_b32_e32 v4, 0xffff, v9
	s_mov_b32 s4, exec_lo
                                        ; implicit-def: $vgpr5
	v_and_b32_e32 v7, 0x7fffffff, v6
	v_cmpx_gt_u32_e32 0x43f00000, v7
	s_xor_b32 s4, exec_lo, s4
	s_cbranch_execz .LBB38_2075
; %bb.2070:
	s_mov_b32 s6, exec_lo
                                        ; implicit-def: $vgpr5
	v_cmpx_lt_u32_e32 0x3c7fffff, v7
	s_xor_b32 s6, exec_lo, s6
; %bb.2071:
	v_bfe_u32 v5, v4, 4, 1
	v_add3_u32 v5, v6, v5, 0x407ffff
	v_and_b32_e32 v6, 0xff00000, v5
	v_lshrrev_b32_e32 v5, 20, v5
	v_cmp_ne_u32_e32 vcc_lo, 0x7f00000, v6
                                        ; implicit-def: $vgpr6
	v_cndmask_b32_e32 v5, 0x7e, v5, vcc_lo
; %bb.2072:
	s_andn2_saveexec_b32 s6, s6
; %bb.2073:
	v_add_f32_e64 v5, 0x46800000, |v6|
; %bb.2074:
	s_or_b32 exec_lo, exec_lo, s6
                                        ; implicit-def: $vgpr7
.LBB38_2075:
	s_andn2_saveexec_b32 s4, s4
; %bb.2076:
	v_mov_b32_e32 v5, 0x7f
	v_cmp_lt_u32_e32 vcc_lo, 0x7f800000, v7
	v_cndmask_b32_e32 v5, 0x7e, v5, vcc_lo
; %bb.2077:
	s_or_b32 exec_lo, exec_lo, s4
	v_lshrrev_b32_e32 v4, 8, v4
	v_and_or_b32 v4, 0x80, v4, v5
	global_store_byte v[0:1], v4, off
.LBB38_2078:
	s_mov_b32 s4, 0
.LBB38_2079:
	s_andn2_b32 vcc_lo, exec_lo, s4
	s_cbranch_vccnz .LBB38_2089
; %bb.2080:
	v_lshlrev_b32_e32 v6, 16, v9
	v_and_b32_e32 v4, 0xffff, v9
	s_mov_b32 s4, exec_lo
                                        ; implicit-def: $vgpr5
	v_and_b32_e32 v7, 0x7fffffff, v6
	v_cmpx_gt_u32_e32 0x47800000, v7
	s_xor_b32 s4, exec_lo, s4
	s_cbranch_execz .LBB38_2086
; %bb.2081:
	s_mov_b32 s6, exec_lo
                                        ; implicit-def: $vgpr5
	v_cmpx_lt_u32_e32 0x387fffff, v7
	s_xor_b32 s6, exec_lo, s6
; %bb.2082:
	v_bfe_u32 v5, v4, 5, 1
	v_add3_u32 v5, v6, v5, 0x80fffff
                                        ; implicit-def: $vgpr6
	v_lshrrev_b32_e32 v5, 21, v5
; %bb.2083:
	s_andn2_saveexec_b32 s6, s6
; %bb.2084:
	v_add_f32_e64 v5, 0x43000000, |v6|
; %bb.2085:
	s_or_b32 exec_lo, exec_lo, s6
                                        ; implicit-def: $vgpr7
.LBB38_2086:
	s_andn2_saveexec_b32 s4, s4
; %bb.2087:
	v_mov_b32_e32 v5, 0x7f
	v_cmp_lt_u32_e32 vcc_lo, 0x7f800000, v7
	v_cndmask_b32_e32 v5, 0x7c, v5, vcc_lo
; %bb.2088:
	s_or_b32 exec_lo, exec_lo, s4
	v_lshrrev_b32_e32 v4, 8, v4
	v_and_or_b32 v4, 0x80, v4, v5
	global_store_byte v[0:1], v4, off
.LBB38_2089:
	s_mov_b32 s4, 0
	s_mov_b32 s6, -1
.LBB38_2090:
	s_andn2_b32 vcc_lo, exec_lo, s4
	s_mov_b32 s4, 0
	s_cbranch_vccnz .LBB38_2097
; %bb.2091:
	s_cmp_gt_i32 s3, 14
	s_mov_b32 s4, -1
	s_cbranch_scc0 .LBB38_2095
; %bb.2092:
	s_cmp_eq_u32 s3, 15
	s_mov_b32 s0, -1
	s_cbranch_scc0 .LBB38_2094
; %bb.2093:
	s_mov_b32 s0, 0
	s_mov_b32 s6, -1
	global_store_short v[0:1], v9, off
.LBB38_2094:
	s_mov_b32 s4, 0
.LBB38_2095:
	s_and_b32 vcc_lo, exec_lo, s4
	s_mov_b32 s4, 0
	s_cbranch_vccz .LBB38_2097
; %bb.2096:
	s_cmp_lg_u32 s3, 11
	s_mov_b32 s4, -1
	s_cselect_b32 s0, -1, 0
.LBB38_2097:
	s_and_b32 vcc_lo, exec_lo, s0
	s_cbranch_vccnz .LBB38_2233
; %bb.2098:
	s_andn2_b32 vcc_lo, exec_lo, s4
	s_cbranch_vccnz .LBB38_2100
.LBB38_2099:
	v_and_b32_e32 v4, 0x7fff, v9
	s_mov_b32 s6, -1
	v_cmp_ne_u16_e32 vcc_lo, 0, v4
	v_cndmask_b32_e64 v4, 0, 1, vcc_lo
	global_store_byte v[0:1], v4, off
.LBB38_2100:
	s_mov_b32 s0, 0
	s_branch .LBB38_2102
.LBB38_2101:
	s_mov_b32 s0, -1
	s_mov_b32 s6, 0
.LBB38_2102:
	s_and_b32 vcc_lo, exec_lo, s0
	s_cbranch_vccz .LBB38_2141
; %bb.2103:
	s_and_b32 s0, 0xffff, s1
	s_mov_b32 s3, -1
	s_cmp_lt_i32 s0, 5
	s_cbranch_scc1 .LBB38_2124
; %bb.2104:
	s_cmp_lt_i32 s0, 8
	s_cbranch_scc1 .LBB38_2114
; %bb.2105:
	;; [unrolled: 3-line block ×3, first 2 shown]
	s_cmp_gt_i32 s0, 9
	s_cbranch_scc0 .LBB38_2108
; %bb.2107:
	v_lshlrev_b32_e32 v4, 16, v9
	v_mov_b32_e32 v6, 0
	s_mov_b32 s3, 0
	v_cvt_f64_f32_e32 v[4:5], v4
	v_mov_b32_e32 v7, v6
	global_store_dwordx4 v[0:1], v[4:7], off
.LBB38_2108:
	s_andn2_b32 vcc_lo, exec_lo, s3
	s_cbranch_vccnz .LBB38_2110
; %bb.2109:
	v_lshlrev_b32_e32 v4, 16, v9
	v_mov_b32_e32 v5, 0
	global_store_dwordx2 v[0:1], v[4:5], off
.LBB38_2110:
	s_mov_b32 s3, 0
.LBB38_2111:
	s_andn2_b32 vcc_lo, exec_lo, s3
	s_cbranch_vccnz .LBB38_2113
; %bb.2112:
	v_lshlrev_b32_e32 v4, 16, v9
	v_cvt_f16_f32_e32 v4, v4
	v_and_b32_e32 v4, 0xffff, v4
	global_store_dword v[0:1], v4, off
.LBB38_2113:
	s_mov_b32 s3, 0
.LBB38_2114:
	s_andn2_b32 vcc_lo, exec_lo, s3
	s_cbranch_vccnz .LBB38_2123
; %bb.2115:
	s_cmp_lt_i32 s0, 6
	s_mov_b32 s3, -1
	s_cbranch_scc1 .LBB38_2121
; %bb.2116:
	s_cmp_gt_i32 s0, 6
	s_cbranch_scc0 .LBB38_2118
; %bb.2117:
	v_lshlrev_b32_e32 v4, 16, v9
	s_mov_b32 s3, 0
	v_cvt_f64_f32_e32 v[4:5], v4
	global_store_dwordx2 v[0:1], v[4:5], off
.LBB38_2118:
	s_andn2_b32 vcc_lo, exec_lo, s3
	s_cbranch_vccnz .LBB38_2120
; %bb.2119:
	v_lshlrev_b32_e32 v4, 16, v9
	global_store_dword v[0:1], v4, off
.LBB38_2120:
	s_mov_b32 s3, 0
.LBB38_2121:
	s_andn2_b32 vcc_lo, exec_lo, s3
	s_cbranch_vccnz .LBB38_2123
; %bb.2122:
	v_lshlrev_b32_e32 v4, 16, v9
	v_cvt_f16_f32_e32 v4, v4
	global_store_short v[0:1], v4, off
.LBB38_2123:
	s_mov_b32 s3, 0
.LBB38_2124:
	s_andn2_b32 vcc_lo, exec_lo, s3
	s_cbranch_vccnz .LBB38_2140
; %bb.2125:
	s_cmp_lt_i32 s0, 2
	s_mov_b32 s3, -1
	s_cbranch_scc1 .LBB38_2135
; %bb.2126:
	s_cmp_lt_i32 s0, 3
	s_cbranch_scc1 .LBB38_2132
; %bb.2127:
	s_cmp_gt_i32 s0, 3
	s_cbranch_scc0 .LBB38_2129
; %bb.2128:
	v_lshlrev_b32_e32 v4, 16, v9
	s_mov_b32 s3, 0
	v_trunc_f32_e32 v4, v4
	v_mul_f32_e64 v5, 0x2f800000, |v4|
	v_ashrrev_i32_e32 v7, 31, v4
	v_floor_f32_e32 v5, v5
	v_fma_f32 v6, 0xcf800000, v5, |v4|
	v_cvt_u32_f32_e32 v5, v5
	v_cvt_u32_f32_e32 v4, v6
	v_xor_b32_e32 v5, v5, v7
	v_xor_b32_e32 v4, v4, v7
	v_sub_co_u32 v4, vcc_lo, v4, v7
	v_sub_co_ci_u32_e64 v5, null, v5, v7, vcc_lo
	global_store_dwordx2 v[0:1], v[4:5], off
.LBB38_2129:
	s_andn2_b32 vcc_lo, exec_lo, s3
	s_cbranch_vccnz .LBB38_2131
; %bb.2130:
	v_lshlrev_b32_e32 v4, 16, v9
	v_cvt_i32_f32_e32 v4, v4
	global_store_dword v[0:1], v4, off
.LBB38_2131:
	s_mov_b32 s3, 0
.LBB38_2132:
	s_andn2_b32 vcc_lo, exec_lo, s3
	s_cbranch_vccnz .LBB38_2134
; %bb.2133:
	v_lshlrev_b32_e32 v4, 16, v9
	v_cvt_i32_f32_e32 v4, v4
	global_store_short v[0:1], v4, off
.LBB38_2134:
	s_mov_b32 s3, 0
.LBB38_2135:
	s_andn2_b32 vcc_lo, exec_lo, s3
	s_cbranch_vccnz .LBB38_2140
; %bb.2136:
	v_lshlrev_b32_e32 v4, 16, v9
	s_cmp_gt_i32 s0, 0
	s_mov_b32 s0, -1
	s_cbranch_scc0 .LBB38_2138
; %bb.2137:
	v_cvt_i32_f32_e32 v5, v4
	s_mov_b32 s0, 0
	global_store_byte v[0:1], v5, off
.LBB38_2138:
	s_andn2_b32 vcc_lo, exec_lo, s0
	s_cbranch_vccnz .LBB38_2140
; %bb.2139:
	v_trunc_f32_e32 v4, v4
	v_mul_f32_e64 v5, 0x2f800000, |v4|
	v_floor_f32_e32 v5, v5
	v_fma_f32 v5, 0xcf800000, v5, |v4|
	v_ashrrev_i32_e32 v4, 31, v4
	v_cvt_u32_f32_e32 v5, v5
	v_xor_b32_e32 v5, v5, v4
	v_sub_nc_u32_e32 v4, v5, v4
	global_store_byte v[0:1], v4, off
.LBB38_2140:
	s_mov_b32 s6, -1
.LBB38_2141:
	s_andn2_b32 vcc_lo, exec_lo, s6
	s_cbranch_vccnz .LBB38_2218
; %bb.2142:
	v_add_nc_u32_e32 v0, s2, v3
	s_cmp_lt_i32 s1, 11
	v_ashrrev_i32_e32 v1, 31, v0
	v_add_co_u32 v0, vcc_lo, s8, v0
	v_add_co_ci_u32_e64 v1, null, s9, v1, vcc_lo
	s_cbranch_scc1 .LBB38_2219
; %bb.2143:
	s_and_b32 s2, 0xffff, s1
	s_mov_b32 s4, -1
	s_mov_b32 s3, 0
	s_cmp_gt_i32 s2, 25
	s_mov_b32 s0, 0
	s_cbranch_scc0 .LBB38_2176
; %bb.2144:
	s_cmp_gt_i32 s2, 28
	s_cbranch_scc0 .LBB38_2160
; %bb.2145:
	s_cmp_gt_i32 s2, 43
	s_cbranch_scc0 .LBB38_2156
; %bb.2146:
	s_cmp_gt_i32 s2, 45
	s_cbranch_scc0 .LBB38_2150
; %bb.2147:
	s_cmp_eq_u32 s2, 46
	s_mov_b32 s0, -1
	s_cbranch_scc0 .LBB38_2149
; %bb.2148:
	v_and_b32_e32 v3, 0xffff, v2
	s_mov_b32 s0, 0
	global_store_dword v[0:1], v3, off
.LBB38_2149:
	s_mov_b32 s4, 0
.LBB38_2150:
	s_and_b32 vcc_lo, exec_lo, s4
	s_cbranch_vccz .LBB38_2155
; %bb.2151:
	s_cmp_eq_u32 s2, 44
	s_mov_b32 s0, -1
	s_cbranch_scc0 .LBB38_2155
; %bb.2152:
	v_and_b32_e32 v3, 0xffff, v2
	v_mov_b32_e32 v4, 0xff
	s_mov_b32 s4, exec_lo
	v_bfe_u32 v5, v3, 7, 8
	v_cmpx_ne_u32_e32 0xff, v5
	s_cbranch_execz .LBB38_2154
; %bb.2153:
	v_lshlrev_b32_e32 v4, 16, v3
	v_and_b32_e32 v6, 64, v3
	v_lshrrev_b32_e32 v3, 7, v3
	v_and_or_b32 v4, 0x3f0000, v4, v5
	v_cmp_ne_u32_e32 vcc_lo, 0, v6
	v_cmp_ne_u32_e64 s0, 0, v4
	s_and_b32 s0, vcc_lo, s0
	v_cndmask_b32_e64 v4, 0, 1, s0
	v_add_nc_u32_e32 v4, v3, v4
.LBB38_2154:
	s_or_b32 exec_lo, exec_lo, s4
	s_mov_b32 s0, 0
	global_store_byte v[0:1], v4, off
.LBB38_2155:
	s_mov_b32 s4, 0
.LBB38_2156:
	s_and_b32 vcc_lo, exec_lo, s4
	s_cbranch_vccz .LBB38_2159
; %bb.2157:
	s_cmp_eq_u32 s2, 29
	s_mov_b32 s0, -1
	s_cbranch_scc0 .LBB38_2159
; %bb.2158:
	v_lshlrev_b32_e32 v3, 16, v2
	s_mov_b32 s0, 0
	v_trunc_f32_e32 v3, v3
	v_mul_f32_e32 v4, 0x2f800000, v3
	v_floor_f32_e32 v4, v4
	v_fmamk_f32 v3, v4, 0xcf800000, v3
	v_cvt_u32_f32_e32 v4, v4
	v_cvt_u32_f32_e32 v3, v3
	global_store_dwordx2 v[0:1], v[3:4], off
.LBB38_2159:
	s_mov_b32 s4, 0
.LBB38_2160:
	s_and_b32 vcc_lo, exec_lo, s4
	s_cbranch_vccz .LBB38_2175
; %bb.2161:
	s_cmp_lt_i32 s2, 27
	s_mov_b32 s4, -1
	s_cbranch_scc1 .LBB38_2167
; %bb.2162:
	s_cmp_gt_i32 s2, 27
	s_cbranch_scc0 .LBB38_2164
; %bb.2163:
	v_lshlrev_b32_e32 v3, 16, v2
	s_mov_b32 s4, 0
	v_cvt_u32_f32_e32 v3, v3
	global_store_dword v[0:1], v3, off
.LBB38_2164:
	s_andn2_b32 vcc_lo, exec_lo, s4
	s_cbranch_vccnz .LBB38_2166
; %bb.2165:
	v_lshlrev_b32_e32 v3, 16, v2
	v_cvt_u32_f32_e32 v3, v3
	global_store_short v[0:1], v3, off
.LBB38_2166:
	s_mov_b32 s4, 0
.LBB38_2167:
	s_andn2_b32 vcc_lo, exec_lo, s4
	s_cbranch_vccnz .LBB38_2175
; %bb.2168:
	v_lshlrev_b32_e32 v5, 16, v2
	v_mov_b32_e32 v6, 0x80
	s_mov_b32 s4, exec_lo
	v_and_b32_e32 v4, 0x7fffffff, v5
	v_cmpx_gt_u32_e32 0x43800000, v4
	s_cbranch_execz .LBB38_2174
; %bb.2169:
	v_and_b32_e32 v3, 0xffff, v2
	v_cmp_lt_u32_e32 vcc_lo, 0x3bffffff, v4
	s_mov_b32 s6, 0
                                        ; implicit-def: $vgpr4
	s_and_saveexec_b32 s8, vcc_lo
	s_xor_b32 s8, exec_lo, s8
	s_cbranch_execz .LBB38_2236
; %bb.2170:
	v_bfe_u32 v4, v3, 4, 1
	s_mov_b32 s6, exec_lo
	v_add3_u32 v4, v5, v4, 0x487ffff
                                        ; implicit-def: $vgpr5
	v_lshrrev_b32_e32 v4, 20, v4
	s_andn2_saveexec_b32 s8, s8
	s_cbranch_execnz .LBB38_2237
.LBB38_2171:
	s_or_b32 exec_lo, exec_lo, s8
	v_mov_b32_e32 v6, 0
	s_and_saveexec_b32 s8, s6
.LBB38_2172:
	v_lshrrev_b32_e32 v3, 8, v3
	v_and_or_b32 v6, 0x80, v3, v4
.LBB38_2173:
	s_or_b32 exec_lo, exec_lo, s8
.LBB38_2174:
	s_or_b32 exec_lo, exec_lo, s4
	global_store_byte v[0:1], v6, off
.LBB38_2175:
	s_mov_b32 s4, 0
.LBB38_2176:
	s_and_b32 vcc_lo, exec_lo, s4
	s_cbranch_vccz .LBB38_2216
; %bb.2177:
	s_cmp_gt_i32 s2, 22
	s_mov_b32 s3, -1
	s_cbranch_scc0 .LBB38_2209
; %bb.2178:
	s_cmp_lt_i32 s2, 24
	s_cbranch_scc1 .LBB38_2198
; %bb.2179:
	s_cmp_gt_i32 s2, 24
	s_cbranch_scc0 .LBB38_2187
; %bb.2180:
	v_lshlrev_b32_e32 v5, 16, v2
	v_mov_b32_e32 v6, 0x80
	s_mov_b32 s3, exec_lo
	v_and_b32_e32 v4, 0x7fffffff, v5
	v_cmpx_gt_u32_e32 0x47800000, v4
	s_cbranch_execz .LBB38_2186
; %bb.2181:
	v_and_b32_e32 v3, 0xffff, v2
	v_cmp_lt_u32_e32 vcc_lo, 0x37ffffff, v4
	s_mov_b32 s4, 0
                                        ; implicit-def: $vgpr4
	s_and_saveexec_b32 s6, vcc_lo
	s_xor_b32 s6, exec_lo, s6
	s_cbranch_execz .LBB38_2239
; %bb.2182:
	v_bfe_u32 v4, v3, 5, 1
	s_mov_b32 s4, exec_lo
	v_add3_u32 v4, v5, v4, 0x88fffff
                                        ; implicit-def: $vgpr5
	v_lshrrev_b32_e32 v4, 21, v4
	s_andn2_saveexec_b32 s6, s6
	s_cbranch_execnz .LBB38_2240
.LBB38_2183:
	s_or_b32 exec_lo, exec_lo, s6
	v_mov_b32_e32 v6, 0
	s_and_saveexec_b32 s6, s4
.LBB38_2184:
	v_lshrrev_b32_e32 v3, 8, v3
	v_and_or_b32 v6, 0x80, v3, v4
.LBB38_2185:
	s_or_b32 exec_lo, exec_lo, s6
.LBB38_2186:
	s_or_b32 exec_lo, exec_lo, s3
	s_mov_b32 s3, 0
	global_store_byte v[0:1], v6, off
.LBB38_2187:
	s_and_b32 vcc_lo, exec_lo, s3
	s_cbranch_vccz .LBB38_2197
; %bb.2188:
	v_lshlrev_b32_e32 v5, 16, v2
	v_and_b32_e32 v3, 0xffff, v2
	s_mov_b32 s3, exec_lo
                                        ; implicit-def: $vgpr4
	v_and_b32_e32 v6, 0x7fffffff, v5
	v_cmpx_gt_u32_e32 0x43f00000, v6
	s_xor_b32 s3, exec_lo, s3
	s_cbranch_execz .LBB38_2194
; %bb.2189:
	s_mov_b32 s4, exec_lo
                                        ; implicit-def: $vgpr4
	v_cmpx_lt_u32_e32 0x3c7fffff, v6
	s_xor_b32 s4, exec_lo, s4
; %bb.2190:
	v_bfe_u32 v4, v3, 4, 1
	v_add3_u32 v4, v5, v4, 0x407ffff
	v_and_b32_e32 v5, 0xff00000, v4
	v_lshrrev_b32_e32 v4, 20, v4
	v_cmp_ne_u32_e32 vcc_lo, 0x7f00000, v5
                                        ; implicit-def: $vgpr5
	v_cndmask_b32_e32 v4, 0x7e, v4, vcc_lo
; %bb.2191:
	s_andn2_saveexec_b32 s4, s4
; %bb.2192:
	v_add_f32_e64 v4, 0x46800000, |v5|
; %bb.2193:
	s_or_b32 exec_lo, exec_lo, s4
                                        ; implicit-def: $vgpr6
.LBB38_2194:
	s_andn2_saveexec_b32 s3, s3
; %bb.2195:
	v_mov_b32_e32 v4, 0x7f
	v_cmp_lt_u32_e32 vcc_lo, 0x7f800000, v6
	v_cndmask_b32_e32 v4, 0x7e, v4, vcc_lo
; %bb.2196:
	s_or_b32 exec_lo, exec_lo, s3
	v_lshrrev_b32_e32 v3, 8, v3
	v_and_or_b32 v3, 0x80, v3, v4
	global_store_byte v[0:1], v3, off
.LBB38_2197:
	s_mov_b32 s3, 0
.LBB38_2198:
	s_andn2_b32 vcc_lo, exec_lo, s3
	s_cbranch_vccnz .LBB38_2208
; %bb.2199:
	v_lshlrev_b32_e32 v5, 16, v2
	v_and_b32_e32 v3, 0xffff, v2
	s_mov_b32 s3, exec_lo
                                        ; implicit-def: $vgpr4
	v_and_b32_e32 v6, 0x7fffffff, v5
	v_cmpx_gt_u32_e32 0x47800000, v6
	s_xor_b32 s3, exec_lo, s3
	s_cbranch_execz .LBB38_2205
; %bb.2200:
	s_mov_b32 s4, exec_lo
                                        ; implicit-def: $vgpr4
	v_cmpx_lt_u32_e32 0x387fffff, v6
	s_xor_b32 s4, exec_lo, s4
; %bb.2201:
	v_bfe_u32 v4, v3, 5, 1
	v_add3_u32 v4, v5, v4, 0x80fffff
                                        ; implicit-def: $vgpr5
	v_lshrrev_b32_e32 v4, 21, v4
; %bb.2202:
	s_andn2_saveexec_b32 s4, s4
; %bb.2203:
	v_add_f32_e64 v4, 0x43000000, |v5|
; %bb.2204:
	s_or_b32 exec_lo, exec_lo, s4
                                        ; implicit-def: $vgpr6
.LBB38_2205:
	s_andn2_saveexec_b32 s3, s3
; %bb.2206:
	v_mov_b32_e32 v4, 0x7f
	v_cmp_lt_u32_e32 vcc_lo, 0x7f800000, v6
	v_cndmask_b32_e32 v4, 0x7c, v4, vcc_lo
; %bb.2207:
	s_or_b32 exec_lo, exec_lo, s3
	v_lshrrev_b32_e32 v3, 8, v3
	v_and_or_b32 v3, 0x80, v3, v4
	global_store_byte v[0:1], v3, off
.LBB38_2208:
	s_mov_b32 s3, 0
.LBB38_2209:
	s_andn2_b32 vcc_lo, exec_lo, s3
	s_mov_b32 s3, 0
	s_cbranch_vccnz .LBB38_2216
; %bb.2210:
	s_cmp_gt_i32 s2, 14
	s_mov_b32 s3, -1
	s_cbranch_scc0 .LBB38_2214
; %bb.2211:
	s_cmp_eq_u32 s2, 15
	s_mov_b32 s0, -1
	s_cbranch_scc0 .LBB38_2213
; %bb.2212:
	s_mov_b32 s0, 0
	global_store_short v[0:1], v2, off
.LBB38_2213:
	s_mov_b32 s3, 0
.LBB38_2214:
	s_and_b32 vcc_lo, exec_lo, s3
	s_mov_b32 s3, 0
	s_cbranch_vccz .LBB38_2216
; %bb.2215:
	s_cmp_lg_u32 s2, 11
	s_mov_b32 s3, -1
	s_cselect_b32 s0, -1, 0
.LBB38_2216:
	s_and_b32 vcc_lo, exec_lo, s0
	s_cbranch_vccnz .LBB38_2238
.LBB38_2217:
	s_mov_b32 s0, 0
	s_branch .LBB38_1819
.LBB38_2218:
	s_mov_b32 s0, 0
	s_mov_b32 s3, 0
                                        ; implicit-def: $sgpr1
                                        ; implicit-def: $vgpr0_vgpr1
	s_branch .LBB38_1819
.LBB38_2219:
	s_mov_b32 s3, 0
	s_mov_b32 s0, -1
	s_branch .LBB38_1819
.LBB38_2220:
	s_or_b32 s5, s5, exec_lo
	s_trap 2
	s_cbranch_execz .LBB38_1664
	s_branch .LBB38_1665
.LBB38_2221:
	s_andn2_saveexec_b32 s11, s11
	s_cbranch_execz .LBB38_1768
.LBB38_2222:
	v_add_f32_e64 v5, 0x46000000, |v6|
	s_andn2_b32 s10, s10, exec_lo
	v_and_b32_e32 v5, 0xff, v5
	v_cmp_ne_u32_e32 vcc_lo, 0, v5
	s_and_b32 s13, vcc_lo, exec_lo
	s_or_b32 s10, s10, s13
	s_or_b32 exec_lo, exec_lo, s11
	v_mov_b32_e32 v10, 0
	s_and_saveexec_b32 s11, s10
	s_cbranch_execnz .LBB38_1769
	s_branch .LBB38_1770
.LBB38_2223:
	s_or_b32 s5, s5, exec_lo
	s_trap 2
	s_cbranch_execz .LBB38_1816
	s_branch .LBB38_1817
.LBB38_2224:
	s_andn2_saveexec_b32 s10, s10
	s_cbranch_execz .LBB38_1781
.LBB38_2225:
	v_add_f32_e64 v5, 0x42800000, |v6|
	s_andn2_b32 s6, s6, exec_lo
	v_and_b32_e32 v5, 0xff, v5
	v_cmp_ne_u32_e32 vcc_lo, 0, v5
	s_and_b32 s11, vcc_lo, exec_lo
	s_or_b32 s6, s6, s11
	s_or_b32 exec_lo, exec_lo, s10
	v_mov_b32_e32 v10, 0
	s_and_saveexec_b32 s10, s6
	s_cbranch_execnz .LBB38_1782
	s_branch .LBB38_1783
.LBB38_2226:
	s_andn2_saveexec_b32 s11, s11
	s_cbranch_execz .LBB38_1932
.LBB38_2227:
	v_add_f32_e64 v5, 0x46000000, |v6|
	s_andn2_b32 s10, s10, exec_lo
	v_and_b32_e32 v5, 0xff, v5
	v_cmp_ne_u32_e32 vcc_lo, 0, v5
	s_and_b32 s13, vcc_lo, exec_lo
	s_or_b32 s10, s10, s13
	s_or_b32 exec_lo, exec_lo, s11
	v_mov_b32_e32 v7, 0
	s_and_saveexec_b32 s11, s10
	s_cbranch_execnz .LBB38_1933
	s_branch .LBB38_1934
.LBB38_2228:
	s_or_b32 s5, s5, exec_lo
	s_trap 2
	s_cbranch_execz .LBB38_1980
	s_branch .LBB38_1981
.LBB38_2229:
	s_andn2_saveexec_b32 s10, s10
	s_cbranch_execz .LBB38_1945
.LBB38_2230:
	v_add_f32_e64 v5, 0x42800000, |v6|
	s_andn2_b32 s6, s6, exec_lo
	v_and_b32_e32 v5, 0xff, v5
	v_cmp_ne_u32_e32 vcc_lo, 0, v5
	s_and_b32 s11, vcc_lo, exec_lo
	s_or_b32 s6, s6, s11
	s_or_b32 exec_lo, exec_lo, s10
	v_mov_b32_e32 v7, 0
	s_and_saveexec_b32 s10, s6
	s_cbranch_execnz .LBB38_1946
	s_branch .LBB38_1947
.LBB38_2231:
	s_andn2_saveexec_b32 s11, s11
	s_cbranch_execz .LBB38_2051
.LBB38_2232:
	v_add_f32_e64 v5, 0x46000000, |v6|
	s_andn2_b32 s10, s10, exec_lo
	v_and_b32_e32 v5, 0xff, v5
	v_cmp_ne_u32_e32 vcc_lo, 0, v5
	s_and_b32 s13, vcc_lo, exec_lo
	s_or_b32 s10, s10, s13
	s_or_b32 exec_lo, exec_lo, s11
	v_mov_b32_e32 v7, 0
	s_and_saveexec_b32 s11, s10
	s_cbranch_execnz .LBB38_2052
	s_branch .LBB38_2053
.LBB38_2233:
	s_or_b32 s5, s5, exec_lo
	s_trap 2
	s_cbranch_execz .LBB38_2099
	s_branch .LBB38_2100
.LBB38_2234:
	s_andn2_saveexec_b32 s10, s10
	s_cbranch_execz .LBB38_2064
.LBB38_2235:
	v_add_f32_e64 v5, 0x42800000, |v6|
	s_andn2_b32 s6, s6, exec_lo
	v_and_b32_e32 v5, 0xff, v5
	v_cmp_ne_u32_e32 vcc_lo, 0, v5
	s_and_b32 s11, vcc_lo, exec_lo
	s_or_b32 s6, s6, s11
	s_or_b32 exec_lo, exec_lo, s10
	v_mov_b32_e32 v7, 0
	s_and_saveexec_b32 s10, s6
	s_cbranch_execnz .LBB38_2065
	s_branch .LBB38_2066
.LBB38_2236:
	s_andn2_saveexec_b32 s8, s8
	s_cbranch_execz .LBB38_2171
.LBB38_2237:
	v_add_f32_e64 v4, 0x46000000, |v5|
	s_andn2_b32 s6, s6, exec_lo
	v_and_b32_e32 v4, 0xff, v4
	v_cmp_ne_u32_e32 vcc_lo, 0, v4
	s_and_b32 s9, vcc_lo, exec_lo
	s_or_b32 s6, s6, s9
	s_or_b32 exec_lo, exec_lo, s8
	v_mov_b32_e32 v6, 0
	s_and_saveexec_b32 s8, s6
	s_cbranch_execnz .LBB38_2172
	s_branch .LBB38_2173
.LBB38_2238:
	s_mov_b32 s3, 0
	s_or_b32 s5, s5, exec_lo
	s_trap 2
	s_branch .LBB38_2217
.LBB38_2239:
	s_andn2_saveexec_b32 s6, s6
	s_cbranch_execz .LBB38_2183
.LBB38_2240:
	v_add_f32_e64 v4, 0x42800000, |v5|
	s_andn2_b32 s4, s4, exec_lo
	v_and_b32_e32 v4, 0xff, v4
	v_cmp_ne_u32_e32 vcc_lo, 0, v4
	s_and_b32 s8, vcc_lo, exec_lo
	s_or_b32 s4, s4, s8
	s_or_b32 exec_lo, exec_lo, s6
	v_mov_b32_e32 v6, 0
	s_and_saveexec_b32 s6, s4
	s_cbranch_execnz .LBB38_2184
	s_branch .LBB38_2185
	.section	.rodata,"a",@progbits
	.p2align	6, 0x0
	.amdhsa_kernel _ZN2at6native32elementwise_kernel_manual_unrollILi128ELi4EZNS0_15gpu_kernel_implIZZZNS0_19digamma_kernel_cudaERNS_18TensorIteratorBaseEENKUlvE_clEvENKUlvE2_clEvEUlN3c108BFloat16EE_EEvS4_RKT_EUlibE_EEviT1_
		.amdhsa_group_segment_fixed_size 0
		.amdhsa_private_segment_fixed_size 0
		.amdhsa_kernarg_size 40
		.amdhsa_user_sgpr_count 6
		.amdhsa_user_sgpr_private_segment_buffer 1
		.amdhsa_user_sgpr_dispatch_ptr 0
		.amdhsa_user_sgpr_queue_ptr 0
		.amdhsa_user_sgpr_kernarg_segment_ptr 1
		.amdhsa_user_sgpr_dispatch_id 0
		.amdhsa_user_sgpr_flat_scratch_init 0
		.amdhsa_user_sgpr_private_segment_size 0
		.amdhsa_wavefront_size32 1
		.amdhsa_uses_dynamic_stack 0
		.amdhsa_system_sgpr_private_segment_wavefront_offset 0
		.amdhsa_system_sgpr_workgroup_id_x 1
		.amdhsa_system_sgpr_workgroup_id_y 0
		.amdhsa_system_sgpr_workgroup_id_z 0
		.amdhsa_system_sgpr_workgroup_info 0
		.amdhsa_system_vgpr_workitem_id 0
		.amdhsa_next_free_vgpr 39
		.amdhsa_next_free_sgpr 28
		.amdhsa_reserve_vcc 1
		.amdhsa_reserve_flat_scratch 0
		.amdhsa_float_round_mode_32 0
		.amdhsa_float_round_mode_16_64 0
		.amdhsa_float_denorm_mode_32 3
		.amdhsa_float_denorm_mode_16_64 3
		.amdhsa_dx10_clamp 1
		.amdhsa_ieee_mode 1
		.amdhsa_fp16_overflow 0
		.amdhsa_workgroup_processor_mode 1
		.amdhsa_memory_ordered 1
		.amdhsa_forward_progress 1
		.amdhsa_shared_vgpr_count 0
		.amdhsa_exception_fp_ieee_invalid_op 0
		.amdhsa_exception_fp_denorm_src 0
		.amdhsa_exception_fp_ieee_div_zero 0
		.amdhsa_exception_fp_ieee_overflow 0
		.amdhsa_exception_fp_ieee_underflow 0
		.amdhsa_exception_fp_ieee_inexact 0
		.amdhsa_exception_int_div_zero 0
	.end_amdhsa_kernel
	.section	.text._ZN2at6native32elementwise_kernel_manual_unrollILi128ELi4EZNS0_15gpu_kernel_implIZZZNS0_19digamma_kernel_cudaERNS_18TensorIteratorBaseEENKUlvE_clEvENKUlvE2_clEvEUlN3c108BFloat16EE_EEvS4_RKT_EUlibE_EEviT1_,"axG",@progbits,_ZN2at6native32elementwise_kernel_manual_unrollILi128ELi4EZNS0_15gpu_kernel_implIZZZNS0_19digamma_kernel_cudaERNS_18TensorIteratorBaseEENKUlvE_clEvENKUlvE2_clEvEUlN3c108BFloat16EE_EEvS4_RKT_EUlibE_EEviT1_,comdat
.Lfunc_end38:
	.size	_ZN2at6native32elementwise_kernel_manual_unrollILi128ELi4EZNS0_15gpu_kernel_implIZZZNS0_19digamma_kernel_cudaERNS_18TensorIteratorBaseEENKUlvE_clEvENKUlvE2_clEvEUlN3c108BFloat16EE_EEvS4_RKT_EUlibE_EEviT1_, .Lfunc_end38-_ZN2at6native32elementwise_kernel_manual_unrollILi128ELi4EZNS0_15gpu_kernel_implIZZZNS0_19digamma_kernel_cudaERNS_18TensorIteratorBaseEENKUlvE_clEvENKUlvE2_clEvEUlN3c108BFloat16EE_EEvS4_RKT_EUlibE_EEviT1_
                                        ; -- End function
	.set _ZN2at6native32elementwise_kernel_manual_unrollILi128ELi4EZNS0_15gpu_kernel_implIZZZNS0_19digamma_kernel_cudaERNS_18TensorIteratorBaseEENKUlvE_clEvENKUlvE2_clEvEUlN3c108BFloat16EE_EEvS4_RKT_EUlibE_EEviT1_.num_vgpr, 39
	.set _ZN2at6native32elementwise_kernel_manual_unrollILi128ELi4EZNS0_15gpu_kernel_implIZZZNS0_19digamma_kernel_cudaERNS_18TensorIteratorBaseEENKUlvE_clEvENKUlvE2_clEvEUlN3c108BFloat16EE_EEvS4_RKT_EUlibE_EEviT1_.num_agpr, 0
	.set _ZN2at6native32elementwise_kernel_manual_unrollILi128ELi4EZNS0_15gpu_kernel_implIZZZNS0_19digamma_kernel_cudaERNS_18TensorIteratorBaseEENKUlvE_clEvENKUlvE2_clEvEUlN3c108BFloat16EE_EEvS4_RKT_EUlibE_EEviT1_.numbered_sgpr, 28
	.set _ZN2at6native32elementwise_kernel_manual_unrollILi128ELi4EZNS0_15gpu_kernel_implIZZZNS0_19digamma_kernel_cudaERNS_18TensorIteratorBaseEENKUlvE_clEvENKUlvE2_clEvEUlN3c108BFloat16EE_EEvS4_RKT_EUlibE_EEviT1_.num_named_barrier, 0
	.set _ZN2at6native32elementwise_kernel_manual_unrollILi128ELi4EZNS0_15gpu_kernel_implIZZZNS0_19digamma_kernel_cudaERNS_18TensorIteratorBaseEENKUlvE_clEvENKUlvE2_clEvEUlN3c108BFloat16EE_EEvS4_RKT_EUlibE_EEviT1_.private_seg_size, 0
	.set _ZN2at6native32elementwise_kernel_manual_unrollILi128ELi4EZNS0_15gpu_kernel_implIZZZNS0_19digamma_kernel_cudaERNS_18TensorIteratorBaseEENKUlvE_clEvENKUlvE2_clEvEUlN3c108BFloat16EE_EEvS4_RKT_EUlibE_EEviT1_.uses_vcc, 1
	.set _ZN2at6native32elementwise_kernel_manual_unrollILi128ELi4EZNS0_15gpu_kernel_implIZZZNS0_19digamma_kernel_cudaERNS_18TensorIteratorBaseEENKUlvE_clEvENKUlvE2_clEvEUlN3c108BFloat16EE_EEvS4_RKT_EUlibE_EEviT1_.uses_flat_scratch, 0
	.set _ZN2at6native32elementwise_kernel_manual_unrollILi128ELi4EZNS0_15gpu_kernel_implIZZZNS0_19digamma_kernel_cudaERNS_18TensorIteratorBaseEENKUlvE_clEvENKUlvE2_clEvEUlN3c108BFloat16EE_EEvS4_RKT_EUlibE_EEviT1_.has_dyn_sized_stack, 0
	.set _ZN2at6native32elementwise_kernel_manual_unrollILi128ELi4EZNS0_15gpu_kernel_implIZZZNS0_19digamma_kernel_cudaERNS_18TensorIteratorBaseEENKUlvE_clEvENKUlvE2_clEvEUlN3c108BFloat16EE_EEvS4_RKT_EUlibE_EEviT1_.has_recursion, 0
	.set _ZN2at6native32elementwise_kernel_manual_unrollILi128ELi4EZNS0_15gpu_kernel_implIZZZNS0_19digamma_kernel_cudaERNS_18TensorIteratorBaseEENKUlvE_clEvENKUlvE2_clEvEUlN3c108BFloat16EE_EEvS4_RKT_EUlibE_EEviT1_.has_indirect_call, 0
	.section	.AMDGPU.csdata,"",@progbits
; Kernel info:
; codeLenInByte = 56236
; TotalNumSgprs: 30
; NumVgprs: 39
; ScratchSize: 0
; MemoryBound: 0
; FloatMode: 240
; IeeeMode: 1
; LDSByteSize: 0 bytes/workgroup (compile time only)
; SGPRBlocks: 0
; VGPRBlocks: 4
; NumSGPRsForWavesPerEU: 30
; NumVGPRsForWavesPerEU: 39
; Occupancy: 16
; WaveLimiterHint : 0
; COMPUTE_PGM_RSRC2:SCRATCH_EN: 0
; COMPUTE_PGM_RSRC2:USER_SGPR: 6
; COMPUTE_PGM_RSRC2:TRAP_HANDLER: 0
; COMPUTE_PGM_RSRC2:TGID_X_EN: 1
; COMPUTE_PGM_RSRC2:TGID_Y_EN: 0
; COMPUTE_PGM_RSRC2:TGID_Z_EN: 0
; COMPUTE_PGM_RSRC2:TIDIG_COMP_CNT: 0
	.section	.text._ZN2at6native32elementwise_kernel_manual_unrollILi128ELi4EZNS0_15gpu_kernel_implIZZZNS0_19digamma_kernel_cudaERNS_18TensorIteratorBaseEENKUlvE_clEvENKUlvE2_clEvEUlN3c108BFloat16EE_EEvS4_RKT_EUlibE0_EEviT1_,"axG",@progbits,_ZN2at6native32elementwise_kernel_manual_unrollILi128ELi4EZNS0_15gpu_kernel_implIZZZNS0_19digamma_kernel_cudaERNS_18TensorIteratorBaseEENKUlvE_clEvENKUlvE2_clEvEUlN3c108BFloat16EE_EEvS4_RKT_EUlibE0_EEviT1_,comdat
	.globl	_ZN2at6native32elementwise_kernel_manual_unrollILi128ELi4EZNS0_15gpu_kernel_implIZZZNS0_19digamma_kernel_cudaERNS_18TensorIteratorBaseEENKUlvE_clEvENKUlvE2_clEvEUlN3c108BFloat16EE_EEvS4_RKT_EUlibE0_EEviT1_ ; -- Begin function _ZN2at6native32elementwise_kernel_manual_unrollILi128ELi4EZNS0_15gpu_kernel_implIZZZNS0_19digamma_kernel_cudaERNS_18TensorIteratorBaseEENKUlvE_clEvENKUlvE2_clEvEUlN3c108BFloat16EE_EEvS4_RKT_EUlibE0_EEviT1_
	.p2align	8
	.type	_ZN2at6native32elementwise_kernel_manual_unrollILi128ELi4EZNS0_15gpu_kernel_implIZZZNS0_19digamma_kernel_cudaERNS_18TensorIteratorBaseEENKUlvE_clEvENKUlvE2_clEvEUlN3c108BFloat16EE_EEvS4_RKT_EUlibE0_EEviT1_,@function
_ZN2at6native32elementwise_kernel_manual_unrollILi128ELi4EZNS0_15gpu_kernel_implIZZZNS0_19digamma_kernel_cudaERNS_18TensorIteratorBaseEENKUlvE_clEvENKUlvE2_clEvEUlN3c108BFloat16EE_EEvS4_RKT_EUlibE0_EEviT1_: ; @_ZN2at6native32elementwise_kernel_manual_unrollILi128ELi4EZNS0_15gpu_kernel_implIZZZNS0_19digamma_kernel_cudaERNS_18TensorIteratorBaseEENKUlvE_clEvENKUlvE2_clEvEUlN3c108BFloat16EE_EEvS4_RKT_EUlibE0_EEviT1_
; %bb.0:
	s_clause 0x1
	s_load_dword s24, s[4:5], 0x8
	s_load_dword s33, s[4:5], 0x0
	v_lshl_or_b32 v8, s6, 9, v0
	s_add_u32 s2, s4, 8
	s_addc_u32 s3, s5, 0
	s_mov_b32 s1, -1
	s_mov_b32 s26, 0
	v_or_b32_e32 v15, 0x180, v8
	s_mov_b32 s12, 0
	s_mov_b32 s0, exec_lo
	s_waitcnt lgkmcnt(0)
	s_add_i32 s25, s24, -1
	s_cmp_gt_u32 s25, 1
	s_cselect_b32 s27, -1, 0
	v_cmpx_le_i32_e64 s33, v15
	s_xor_b32 s28, exec_lo, s0
	s_cbranch_execz .LBB39_1185
; %bb.1:
	v_mov_b32_e32 v0, 0
	s_clause 0x3
	s_load_dwordx4 s[16:19], s[2:3], 0x4
	s_load_dwordx2 s[6:7], s[2:3], 0x14
	s_load_dwordx4 s[12:15], s[2:3], 0xc4
	s_load_dwordx4 s[8:11], s[2:3], 0x148
	s_cmp_lg_u32 s24, 0
	s_mov_b32 s39, 0
	s_cselect_b32 s34, -1, 0
	global_load_ushort v0, v0, s[2:3] offset:345
	s_add_u32 s20, s2, 0xc4
	s_addc_u32 s21, s3, 0
	s_min_u32 s35, s25, 15
	s_cmp_gt_u32 s24, 1
	s_mov_b32 s37, 0
	s_cselect_b32 s31, -1, 0
	s_mov_b32 s36, 0
	s_mov_b32 s38, exec_lo
	s_waitcnt vmcnt(0)
	v_readfirstlane_b32 s29, v0
	s_and_b32 s0, 0xffff, s29
	s_lshr_b32 s30, s0, 8
	v_cmpx_gt_i32_e64 s33, v8
	s_cbranch_execz .LBB39_290
; %bb.2:
	s_andn2_b32 vcc_lo, exec_lo, s27
	s_cbranch_vccnz .LBB39_7
; %bb.3:
	s_andn2_b32 vcc_lo, exec_lo, s34
	s_cbranch_vccnz .LBB39_8
; %bb.4:
	s_add_i32 s37, s35, 1
	s_cmp_eq_u32 s25, 2
	s_cbranch_scc1 .LBB39_9
; %bb.5:
	v_mov_b32_e32 v2, 0
	v_mov_b32_e32 v0, 0
	;; [unrolled: 1-line block ×3, first 2 shown]
	s_and_b32 s36, s37, 28
	s_mov_b32 s40, 0
	s_mov_b64 s[0:1], s[2:3]
	s_mov_b64 s[22:23], s[20:21]
.LBB39_6:                               ; =>This Inner Loop Header: Depth=1
	s_clause 0x1
	s_load_dwordx8 s[44:51], s[0:1], 0x4
	s_load_dwordx4 s[60:63], s[0:1], 0x24
	s_load_dwordx8 s[52:59], s[22:23], 0x0
	s_add_u32 s0, s0, 48
	s_addc_u32 s1, s1, 0
	s_add_i32 s40, s40, 4
	s_add_u32 s22, s22, 32
	s_addc_u32 s23, s23, 0
	s_cmp_lg_u32 s36, s40
	s_waitcnt lgkmcnt(0)
	v_mul_hi_u32 v3, s45, v1
	v_add_nc_u32_e32 v3, v1, v3
	v_lshrrev_b32_e32 v3, s46, v3
	v_mul_hi_u32 v4, s48, v3
	v_mul_lo_u32 v6, v3, s44
	v_add_nc_u32_e32 v4, v3, v4
	v_sub_nc_u32_e32 v1, v1, v6
	v_lshrrev_b32_e32 v4, s49, v4
	v_mul_lo_u32 v6, v1, s52
	v_mul_lo_u32 v9, v1, s53
	v_mul_hi_u32 v5, s51, v4
	v_add_nc_u32_e32 v5, v4, v5
	v_lshrrev_b32_e32 v5, s60, v5
	v_mul_hi_u32 v7, s62, v5
	v_mul_lo_u32 v10, v5, s50
	v_add_nc_u32_e32 v1, v5, v7
	v_mul_lo_u32 v7, v4, s47
	v_sub_nc_u32_e32 v4, v4, v10
	v_lshrrev_b32_e32 v1, s63, v1
	v_mul_lo_u32 v10, v4, s56
	v_mul_lo_u32 v4, v4, s57
	v_sub_nc_u32_e32 v3, v3, v7
	v_mul_lo_u32 v11, v1, s61
	v_mul_lo_u32 v7, v3, s54
	;; [unrolled: 1-line block ×3, first 2 shown]
	v_sub_nc_u32_e32 v5, v5, v11
	v_add3_u32 v0, v6, v0, v7
	v_mul_lo_u32 v11, v5, s58
	v_mul_lo_u32 v5, v5, s59
	v_add3_u32 v2, v9, v2, v3
	v_add3_u32 v0, v10, v0, v11
	;; [unrolled: 1-line block ×3, first 2 shown]
	s_cbranch_scc1 .LBB39_6
	s_branch .LBB39_10
.LBB39_7:
                                        ; implicit-def: $vgpr0
                                        ; implicit-def: $vgpr2
	s_branch .LBB39_14
.LBB39_8:
	v_mov_b32_e32 v0, 0
	v_mov_b32_e32 v2, 0
	s_branch .LBB39_13
.LBB39_9:
	v_mov_b32_e32 v0, 0
	v_mov_b32_e32 v2, 0
	;; [unrolled: 1-line block ×3, first 2 shown]
.LBB39_10:
	s_and_b32 s37, s37, 3
	s_cmp_eq_u32 s37, 0
	s_cbranch_scc1 .LBB39_13
; %bb.11:
	s_lshl_b32 s0, s36, 3
	s_mul_i32 s22, s36, 12
	s_add_u32 s0, s2, s0
	s_addc_u32 s1, s3, 0
	s_add_u32 s0, s0, 0xc4
	s_addc_u32 s1, s1, 0
	;; [unrolled: 2-line block ×3, first 2 shown]
	.p2align	6
.LBB39_12:                              ; =>This Inner Loop Header: Depth=1
	s_clause 0x1
	s_load_dwordx2 s[40:41], s[22:23], 0x4
	s_load_dword s36, s[22:23], 0xc
	s_load_dwordx2 s[42:43], s[0:1], 0x0
	s_add_u32 s22, s22, 12
	s_addc_u32 s23, s23, 0
	s_add_u32 s0, s0, 8
	s_addc_u32 s1, s1, 0
	s_add_i32 s37, s37, -1
	s_cmp_lg_u32 s37, 0
	s_waitcnt lgkmcnt(0)
	v_mul_hi_u32 v3, s41, v1
	v_add_nc_u32_e32 v3, v1, v3
	v_lshrrev_b32_e32 v4, s36, v3
	v_mul_lo_u32 v3, v4, s40
	v_sub_nc_u32_e32 v3, v1, v3
	v_mad_u64_u32 v[0:1], null, v3, s42, v[0:1]
	v_mad_u64_u32 v[2:3], null, v3, s43, v[2:3]
	v_mov_b32_e32 v1, v4
	s_cbranch_scc1 .LBB39_12
.LBB39_13:
	s_cbranch_execnz .LBB39_16
.LBB39_14:
	s_waitcnt lgkmcnt(0)
	v_mul_hi_u32 v0, s17, v8
	s_andn2_b32 vcc_lo, exec_lo, s31
	v_add_nc_u32_e32 v0, v8, v0
	v_lshrrev_b32_e32 v1, s18, v0
	v_mul_lo_u32 v0, v1, s16
	v_sub_nc_u32_e32 v2, v8, v0
	v_mul_lo_u32 v0, v2, s12
	v_mul_lo_u32 v2, v2, s13
	s_cbranch_vccnz .LBB39_16
; %bb.15:
	v_mul_hi_u32 v3, s6, v1
	v_add_nc_u32_e32 v3, v1, v3
	v_lshrrev_b32_e32 v3, s7, v3
	v_mul_lo_u32 v3, v3, s19
	v_sub_nc_u32_e32 v3, v1, v3
	v_mad_u64_u32 v[0:1], null, v3, s14, v[0:1]
	v_mad_u64_u32 v[2:3], null, v3, s15, v[2:3]
.LBB39_16:
	s_waitcnt lgkmcnt(0)
	v_add_co_u32 v1, s0, s10, v2
	v_add_co_ci_u32_e64 v2, null, s11, 0, s0
	s_and_b32 s0, 0xffff, s30
	s_cmp_lt_i32 s0, 11
	s_cbranch_scc1 .LBB39_23
; %bb.17:
	s_cmp_gt_i32 s0, 25
	s_cbranch_scc0 .LBB39_56
; %bb.18:
	s_cmp_gt_i32 s0, 28
	s_cbranch_scc0 .LBB39_59
	;; [unrolled: 3-line block ×4, first 2 shown]
; %bb.21:
	s_cmp_eq_u32 s0, 46
	s_mov_b32 s23, 0
	s_cbranch_scc0 .LBB39_65
; %bb.22:
	global_load_dword v3, v[1:2], off
	s_mov_b32 s1, -1
	s_mov_b32 s22, 0
	s_branch .LBB39_67
.LBB39_23:
	s_mov_b32 s22, 0
	s_mov_b32 s1, 0
                                        ; implicit-def: $vgpr3
	s_cbranch_execnz .LBB39_240
.LBB39_24:
	s_andn2_b32 vcc_lo, exec_lo, s1
	s_cbranch_vccnz .LBB39_287
.LBB39_25:
	s_waitcnt vmcnt(0)
	v_lshlrev_b32_e32 v7, 16, v3
                                        ; implicit-def: $vgpr2
	s_mov_b32 s0, exec_lo
	v_cmpx_neq_f32_e32 0, v7
	s_xor_b32 s23, exec_lo, s0
	s_cbranch_execz .LBB39_47
; %bb.26:
	v_mov_b32_e32 v1, 0
	s_mov_b32 s0, -1
	s_mov_b32 s36, exec_lo
	v_cmpx_gt_f32_e32 0, v7
	s_cbranch_execz .LBB39_34
; %bb.27:
	v_trunc_f32_e32 v1, v7
	s_mov_b32 s1, 0
	v_cmp_neq_f32_e32 vcc_lo, v1, v7
	v_mov_b32_e32 v1, 0
	s_and_saveexec_b32 s37, vcc_lo
	s_cbranch_execz .LBB39_33
; %bb.28:
	v_cvt_f64_f32_e32 v[1:2], v7
	s_mov_b32 s1, 0xc00921fb
	s_mov_b32 s0, 0x54442d18
	s_mov_b32 s40, exec_lo
                                        ; implicit-def: $vgpr9
                                        ; implicit-def: $vgpr5_vgpr6
	v_trunc_f64_e32 v[3:4], v[1:2]
	v_cmp_neq_f64_e64 vcc_lo, 0x7ff00000, |v[1:2]|
	v_add_f64 v[3:4], v[1:2], -v[3:4]
	v_mul_f64 v[3:4], |v[3:4]|, s[0:1]
	v_cndmask_b32_e32 v2, 0x80000000, v4, vcc_lo
	v_cndmask_b32_e32 v1, 0, v3, vcc_lo
                                        ; implicit-def: $vgpr3_vgpr4
	v_cmpx_ngt_f64_e64 0x41d00000, |v[1:2]|
	s_xor_b32 s40, exec_lo, s40
	s_cbranch_execz .LBB39_30
; %bb.29:
	v_ldexp_f64 v[3:4], |v[1:2]|, 0xffffff80
	v_cmp_le_f64_e64 vcc_lo, 0x7b000000, |v[1:2]|
	v_trig_preop_f64 v[5:6], |v[1:2]|, 0
	v_and_b32_e32 v9, 0x7fffffff, v2
	v_trig_preop_f64 v[19:20], |v[1:2]|, 2
	v_mov_b32_e32 v27, 0
	s_mov_b32 s1, 0x3ff921fb
	s_mov_b32 s42, 0x33145c07
	;; [unrolled: 1-line block ×3, first 2 shown]
	v_cndmask_b32_e32 v4, v9, v4, vcc_lo
	v_cndmask_b32_e32 v3, v1, v3, vcc_lo
	v_trig_preop_f64 v[9:10], |v[1:2]|, 1
	v_mul_f64 v[11:12], v[5:6], v[3:4]
	v_mul_f64 v[25:26], v[19:20], v[3:4]
	;; [unrolled: 1-line block ×3, first 2 shown]
	v_fma_f64 v[5:6], v[5:6], v[3:4], -v[11:12]
	v_fma_f64 v[9:10], v[9:10], v[3:4], -v[13:14]
	;; [unrolled: 1-line block ×3, first 2 shown]
	v_add_f64 v[15:16], v[13:14], v[5:6]
	v_add_f64 v[17:18], v[15:16], -v[13:14]
	v_add_f64 v[23:24], v[11:12], v[15:16]
	v_add_f64 v[21:22], v[15:16], -v[17:18]
	v_add_f64 v[5:6], v[5:6], -v[17:18]
	v_ldexp_f64 v[17:18], v[23:24], -2
	v_add_f64 v[11:12], v[23:24], -v[11:12]
	v_add_f64 v[13:14], v[13:14], -v[21:22]
	v_add_f64 v[21:22], v[25:26], v[9:10]
	v_cmp_neq_f64_e64 vcc_lo, 0x7ff00000, |v[17:18]|
	v_add_f64 v[11:12], v[15:16], -v[11:12]
	v_add_f64 v[5:6], v[5:6], v[13:14]
	v_fract_f64_e32 v[13:14], v[17:18]
	v_add_f64 v[15:16], v[21:22], v[5:6]
	v_ldexp_f64 v[13:14], v[13:14], 2
	v_add_f64 v[17:18], v[11:12], v[15:16]
	v_cndmask_b32_e32 v14, 0, v14, vcc_lo
	v_cndmask_b32_e32 v13, 0, v13, vcc_lo
	v_add_f64 v[23:24], v[17:18], v[13:14]
	v_add_f64 v[11:12], v[17:18], -v[11:12]
	v_cmp_gt_f64_e32 vcc_lo, 0, v[23:24]
	v_add_f64 v[23:24], v[21:22], -v[25:26]
	v_cndmask_b32_e64 v28, 0, 0x40100000, vcc_lo
	v_add_f64 v[32:33], v[21:22], -v[23:24]
	v_add_f64 v[9:10], v[9:10], -v[23:24]
	v_add_f64 v[13:14], v[13:14], v[27:28]
	v_add_f64 v[28:29], v[15:16], -v[21:22]
	v_add_f64 v[23:24], v[25:26], -v[32:33]
	v_add_f64 v[30:31], v[17:18], v[13:14]
	;; [unrolled: 3-line block ×3, first 2 shown]
	v_cvt_i32_f64_e32 v30, v[30:31]
	v_add_f64 v[21:22], v[21:22], -v[34:35]
	v_cvt_f64_i32_e32 v[28:29], v30
	v_add_f64 v[5:6], v[5:6], v[21:22]
	v_add_f64 v[13:14], v[13:14], -v[28:29]
	v_add_f64 v[5:6], v[9:10], v[5:6]
	v_add_f64 v[9:10], v[15:16], -v[11:12]
	v_add_f64 v[19:20], v[17:18], v[13:14]
	v_add_f64 v[3:4], v[3:4], v[5:6]
	v_add_f64 v[5:6], v[19:20], -v[13:14]
	v_cmp_le_f64_e32 vcc_lo, 0.5, v[19:20]
	v_add_f64 v[3:4], v[9:10], v[3:4]
	v_add_f64 v[5:6], v[17:18], -v[5:6]
	v_cndmask_b32_e64 v28, 0, 0x3ff00000, vcc_lo
	v_add_co_ci_u32_e64 v9, null, 0, v30, vcc_lo
	v_add_f64 v[3:4], v[3:4], v[5:6]
	v_add_f64 v[5:6], v[19:20], -v[27:28]
	v_add_f64 v[10:11], v[5:6], v[3:4]
	v_mul_f64 v[12:13], v[10:11], s[0:1]
	v_add_f64 v[5:6], v[10:11], -v[5:6]
	v_fma_f64 v[14:15], v[10:11], s[0:1], -v[12:13]
	v_add_f64 v[3:4], v[3:4], -v[5:6]
	v_fma_f64 v[5:6], v[10:11], s[42:43], v[14:15]
	v_fma_f64 v[5:6], v[3:4], s[0:1], v[5:6]
	v_add_f64 v[3:4], v[12:13], v[5:6]
	v_add_f64 v[10:11], v[3:4], -v[12:13]
	v_add_f64 v[5:6], v[5:6], -v[10:11]
.LBB39_30:
	s_andn2_saveexec_b32 s0, s40
	s_cbranch_execz .LBB39_32
; %bb.31:
	s_mov_b32 s40, 0x6dc9c883
	s_mov_b32 s41, 0x3fe45f30
	;; [unrolled: 1-line block ×3, first 2 shown]
	v_mul_f64 v[3:4], |v[1:2]|, s[40:41]
	s_mov_b32 s40, 0x54442d18
	s_mov_b32 s41, 0xbff921fb
	;; [unrolled: 1-line block ×3, first 2 shown]
	v_rndne_f64_e32 v[9:10], v[3:4]
	v_fma_f64 v[3:4], v[9:10], s[40:41], |v[1:2]|
	v_mul_f64 v[5:6], v[9:10], s[42:43]
	s_mov_b32 s40, 0x252049c0
	s_mov_b32 s41, 0xb97b839a
	v_fma_f64 v[13:14], v[9:10], s[42:43], v[3:4]
	v_add_f64 v[11:12], v[3:4], v[5:6]
	s_mov_b32 s43, 0x3c91a626
	v_add_f64 v[3:4], v[3:4], -v[11:12]
	v_add_f64 v[11:12], v[11:12], -v[13:14]
	v_add_f64 v[3:4], v[3:4], v[5:6]
	v_fma_f64 v[5:6], v[9:10], s[42:43], v[5:6]
	v_add_f64 v[3:4], v[11:12], v[3:4]
	v_add_f64 v[3:4], v[3:4], -v[5:6]
	v_fma_f64 v[5:6], v[9:10], s[40:41], v[3:4]
	v_cvt_i32_f64_e32 v9, v[9:10]
	v_add_f64 v[3:4], v[13:14], v[5:6]
	v_add_f64 v[11:12], v[3:4], -v[13:14]
	v_add_f64 v[5:6], v[5:6], -v[11:12]
.LBB39_32:
	s_or_b32 exec_lo, exec_lo, s0
	v_mul_f64 v[10:11], v[3:4], v[3:4]
	v_add_f64 v[12:13], v[5:6], v[5:6]
	s_mov_b32 s40, 0xa9a29f71
	s_mov_b32 s42, 0xc751c08c
	;; [unrolled: 1-line block ×4, first 2 shown]
	v_cmp_class_f64_e64 s0, v[1:2], 0x1f8
	v_and_b32_e32 v9, 1, v9
	v_and_b32_e32 v2, 0x80000000, v2
	v_sub_f32_e32 v7, 1.0, v7
	s_mov_b32 s1, exec_lo
	v_cmp_eq_u32_e32 vcc_lo, 0, v9
	v_fma_f64 v[14:15], v[3:4], v[3:4], -v[10:11]
	v_fma_f64 v[12:13], v[3:4], v[12:13], v[14:15]
	v_add_f64 v[10:11], v[10:11], v[12:13]
	v_fma_f64 v[12:13], v[10:11], s[42:43], s[40:41]
	s_mov_b32 s40, 0x90a8aae0
	s_mov_b32 s41, 0x3f17746f
	v_fma_f64 v[12:13], v[10:11], v[12:13], s[40:41]
	s_mov_b32 s40, 0xa6fbf144
	s_mov_b32 s41, 0xbefbb44d
	v_fma_f64 v[12:13], v[10:11], v[12:13], s[40:41]
	s_mov_b32 s40, 0xa7943acf
	s_mov_b32 s41, 0x3f21e634
	v_fma_f64 v[12:13], v[10:11], v[12:13], s[40:41]
	s_mov_b32 s40, 0xdeb68feb
	s_mov_b32 s41, 0x3f2d250f
	v_fma_f64 v[12:13], v[10:11], v[12:13], s[40:41]
	s_mov_b32 s40, 0xb58c4d95
	s_mov_b32 s41, 0x3f437fd9
	v_fma_f64 v[12:13], v[10:11], v[12:13], s[40:41]
	s_mov_b32 s40, 0x15120e2c
	s_mov_b32 s41, 0x3f57d5af
	v_fma_f64 v[12:13], v[10:11], v[12:13], s[40:41]
	s_mov_b32 s40, 0xe09491df
	s_mov_b32 s41, 0x3f6d6d93
	v_fma_f64 v[12:13], v[10:11], v[12:13], s[40:41]
	s_mov_b32 s40, 0x2033784d
	s_mov_b32 s41, 0x3f8226e1
	v_fma_f64 v[12:13], v[10:11], v[12:13], s[40:41]
	s_mov_b32 s40, 0x9ac36ae2
	s_mov_b32 s41, 0x3f9664f4
	v_fma_f64 v[12:13], v[10:11], v[12:13], s[40:41]
	s_mov_b32 s40, 0x1b451c21
	s_mov_b32 s41, 0x3faba1ba
	v_fma_f64 v[12:13], v[10:11], v[12:13], s[40:41]
	s_mov_b32 s40, 0x111185b7
	s_mov_b32 s41, 0x3fc11111
	v_fma_f64 v[12:13], v[10:11], v[12:13], s[40:41]
	s_mov_b32 s40, 0x555554ee
	s_mov_b32 s41, 0x3fd55555
	v_fma_f64 v[12:13], v[10:11], v[12:13], s[40:41]
	s_mov_b32 s40, 0x54442d18
	s_mov_b32 s41, 0xc00921fb
	v_mul_f64 v[10:11], v[10:11], v[12:13]
	v_mul_f64 v[12:13], v[3:4], v[10:11]
	v_add_f64 v[14:15], v[3:4], v[12:13]
	v_fma_f64 v[10:11], v[3:4], v[10:11], -v[12:13]
	v_add_f64 v[3:4], v[14:15], -v[3:4]
	v_add_f64 v[5:6], v[5:6], v[10:11]
	v_add_f64 v[3:4], v[12:13], -v[3:4]
	v_add_f64 v[3:4], v[5:6], v[3:4]
	v_add_f64 v[5:6], v[14:15], v[3:4]
	v_rcp_f64_e32 v[10:11], v[5:6]
	v_fma_f64 v[12:13], -v[5:6], v[10:11], 1.0
	v_fma_f64 v[10:11], v[12:13], v[10:11], v[10:11]
	v_fma_f64 v[12:13], -v[5:6], v[10:11], 1.0
	v_fma_f64 v[10:11], v[12:13], v[10:11], v[10:11]
	v_add_f64 v[12:13], v[5:6], -v[14:15]
	v_mul_f64 v[14:15], v[5:6], v[10:11]
	v_add_f64 v[3:4], v[3:4], -v[12:13]
	v_fma_f64 v[12:13], v[10:11], v[5:6], -v[14:15]
	v_fma_f64 v[3:4], v[10:11], v[3:4], v[12:13]
	v_add_f64 v[12:13], v[14:15], v[3:4]
	v_add_f64 v[16:17], -v[12:13], 1.0
	v_add_f64 v[14:15], v[12:13], -v[14:15]
	v_add_f64 v[18:19], -v[16:17], 1.0
	v_add_f64 v[3:4], v[14:15], -v[3:4]
	v_add_f64 v[12:13], v[18:19], -v[12:13]
	v_add_f64 v[3:4], v[3:4], v[12:13]
	v_add_f64 v[3:4], v[16:17], v[3:4]
	v_mul_f64 v[3:4], v[10:11], v[3:4]
	v_add_f64 v[3:4], v[10:11], v[3:4]
	v_xor_b32_e32 v1, 0x80000000, v4
	v_cndmask_b32_e32 v3, v3, v5, vcc_lo
	v_cndmask_b32_e32 v1, v1, v6, vcc_lo
	v_xor_b32_e32 v2, v1, v2
	v_cndmask_b32_e64 v1, 0, v3, s0
	v_cndmask_b32_e64 v2, 0x7ff80000, v2, s0
	v_div_scale_f64 v[3:4], null, v[1:2], v[1:2], s[40:41]
	v_rcp_f64_e32 v[5:6], v[3:4]
	v_fma_f64 v[9:10], -v[3:4], v[5:6], 1.0
	v_fma_f64 v[5:6], v[5:6], v[9:10], v[5:6]
	v_fma_f64 v[9:10], -v[3:4], v[5:6], 1.0
	v_fma_f64 v[5:6], v[5:6], v[9:10], v[5:6]
	v_div_scale_f64 v[9:10], vcc_lo, s[40:41], v[1:2], s[40:41]
	v_mul_f64 v[11:12], v[9:10], v[5:6]
	v_fma_f64 v[3:4], -v[3:4], v[11:12], v[9:10]
	v_div_fmas_f64 v[3:4], v[3:4], v[5:6], v[11:12]
	v_div_fixup_f64 v[1:2], v[3:4], v[1:2], s[40:41]
	v_cvt_f32_f64_e32 v1, v[1:2]
.LBB39_33:
	s_or_b32 exec_lo, exec_lo, s37
	s_orn2_b32 s0, s1, exec_lo
.LBB39_34:
	s_or_b32 exec_lo, exec_lo, s36
	v_mov_b32_e32 v2, 0x7fc0
	s_and_saveexec_b32 s1, s0
	s_cbranch_execz .LBB39_46
; %bb.35:
	s_mov_b32 s0, exec_lo
	v_cmpx_gt_f32_e32 0x41200000, v7
	s_cbranch_execz .LBB39_39
; %bb.36:
	s_mov_b32 s36, 0
	.p2align	6
.LBB39_37:                              ; =>This Inner Loop Header: Depth=1
	v_div_scale_f32 v2, null, v7, v7, 1.0
	v_div_scale_f32 v5, vcc_lo, 1.0, v7, 1.0
	v_rcp_f32_e32 v3, v2
	v_fma_f32 v4, -v2, v3, 1.0
	v_fmac_f32_e32 v3, v4, v3
	v_mul_f32_e32 v4, v5, v3
	v_fma_f32 v6, -v2, v4, v5
	v_fmac_f32_e32 v4, v6, v3
	v_fma_f32 v2, -v2, v4, v5
	v_div_fmas_f32 v2, v2, v3, v4
	v_div_fixup_f32 v2, v2, v7, 1.0
	v_add_f32_e32 v7, 1.0, v7
	v_sub_f32_e32 v1, v1, v2
	v_cmp_ngt_f32_e32 vcc_lo, 0x41200000, v7
	s_or_b32 s36, vcc_lo, s36
	s_andn2_b32 exec_lo, exec_lo, s36
	s_cbranch_execnz .LBB39_37
; %bb.38:
	s_or_b32 exec_lo, exec_lo, s36
.LBB39_39:
	s_or_b32 exec_lo, exec_lo, s0
                                        ; implicit-def: $vgpr2
	s_mov_b32 s0, exec_lo
	v_cmpx_neq_f32_e32 0x41200000, v7
	s_xor_b32 s36, exec_lo, s0
	s_cbranch_execz .LBB39_43
; %bb.40:
	v_cvt_f64_f32_e32 v[2:3], v7
	s_mov_b32 s40, 0x85d8a000
	s_mov_b32 s41, 0x43763457
	v_cmp_gt_f64_e32 vcc_lo, s[40:41], v[2:3]
	v_mov_b32_e32 v2, 0
	s_and_saveexec_b32 s0, vcc_lo
	s_cbranch_execz .LBB39_42
; %bb.41:
	v_mul_f32_e32 v2, v7, v7
	v_div_scale_f32 v3, null, v2, v2, 1.0
	v_rcp_f32_e32 v4, v3
	v_fma_f32 v5, -v3, v4, 1.0
	v_fmac_f32_e32 v4, v5, v4
	v_div_scale_f32 v5, vcc_lo, 1.0, v2, 1.0
	v_mul_f32_e32 v6, v5, v4
	v_fma_f32 v9, -v3, v6, v5
	v_fmac_f32_e32 v6, v9, v4
	v_fma_f32 v3, -v3, v6, v5
	v_div_fmas_f32 v3, v3, v4, v6
	v_div_fixup_f32 v2, v3, v2, 1.0
	v_fmaak_f32 v3, 0, v2, 0x3daaaaab
	v_fmaak_f32 v3, v2, v3, 0xbcaccacd
	;; [unrolled: 1-line block ×7, first 2 shown]
	v_mul_f32_e32 v2, v2, v3
.LBB39_42:
	s_or_b32 exec_lo, exec_lo, s0
	v_cmp_gt_f32_e32 vcc_lo, 0x800000, v7
	v_div_scale_f32 v3, null, v7, v7, -0.5
	v_div_scale_f32 v9, s0, -0.5, v7, -0.5
	v_cndmask_b32_e64 v4, 0, 32, vcc_lo
	v_rcp_f32_e32 v5, v3
	v_ldexp_f32 v4, v7, v4
	v_log_f32_e32 v4, v4
	v_fma_f32 v6, -v3, v5, 1.0
	v_fmac_f32_e32 v5, v6, v5
	v_mul_f32_e32 v6, 0x3f317217, v4
	v_mul_f32_e32 v10, v9, v5
	v_fma_f32 v6, 0x3f317217, v4, -v6
	v_fma_f32 v11, -v3, v10, v9
	v_fmamk_f32 v6, v4, 0x3377d1cf, v6
	v_fmac_f32_e32 v10, v11, v5
	v_cndmask_b32_e64 v11, 0, 0x41b17218, vcc_lo
	v_cmp_gt_f32_e64 vcc_lo, 0x7f800000, |v4|
	v_fmac_f32_e32 v6, 0x3f317217, v4
	v_fma_f32 v3, -v3, v10, v9
	v_cndmask_b32_e32 v4, v4, v6, vcc_lo
	s_mov_b32 vcc_lo, s0
	v_div_fmas_f32 v3, v3, v5, v10
	v_sub_f32_e32 v4, v4, v11
	v_div_fixup_f32 v3, v3, v7, -0.5
	v_add_f32_e32 v3, v4, v3
	v_sub_f32_e32 v2, v3, v2
	v_add_f32_e32 v1, v1, v2
	v_bfe_u32 v2, v1, 16, 1
	v_cmp_o_f32_e32 vcc_lo, v1, v1
	v_add3_u32 v1, v1, v2, 0x7fff
	v_mov_b32_e32 v2, 0x7fc0
	v_cndmask_b32_sdwa v2, v2, v1, vcc_lo dst_sel:DWORD dst_unused:UNUSED_PAD src0_sel:DWORD src1_sel:WORD_1
                                        ; implicit-def: $vgpr1
.LBB39_43:
	s_andn2_saveexec_b32 s0, s36
; %bb.44:
	v_add_f32_e32 v1, 0x40101cb7, v1
	v_bfe_u32 v2, v1, 16, 1
	v_cmp_o_f32_e32 vcc_lo, v1, v1
	v_add3_u32 v1, v1, v2, 0x7fff
	v_mov_b32_e32 v2, 0x7fc0
	v_cndmask_b32_sdwa v2, v2, v1, vcc_lo dst_sel:DWORD dst_unused:UNUSED_PAD src0_sel:DWORD src1_sel:WORD_1
; %bb.45:
	s_or_b32 exec_lo, exec_lo, s0
.LBB39_46:
	s_or_b32 exec_lo, exec_lo, s1
                                        ; implicit-def: $vgpr7
.LBB39_47:
	s_andn2_saveexec_b32 s0, s23
; %bb.48:
	v_xor_b32_e32 v1, 0x80000000, v7
	s_mov_b32 s1, 0x7f800000
	v_and_or_b32 v1, 0x80000000, v1, s1
	v_lshrrev_b32_e32 v2, 16, v1
; %bb.49:
	s_or_b32 exec_lo, exec_lo, s0
	v_add_co_u32 v0, s0, s8, v0
	v_add_co_ci_u32_e64 v1, null, s9, 0, s0
	s_and_b32 s1, s29, 0xff
	s_cmp_lt_i32 s1, 11
	s_cbranch_scc1 .LBB39_57
; %bb.50:
	s_and_b32 s23, 0xffff, s1
	s_cmp_gt_i32 s23, 25
	s_cbranch_scc0 .LBB39_60
; %bb.51:
	s_cmp_gt_i32 s23, 28
	s_cbranch_scc0 .LBB39_62
; %bb.52:
	;; [unrolled: 3-line block ×4, first 2 shown]
	s_mov_b32 s37, 0
	s_mov_b32 s0, -1
	s_cmp_eq_u32 s23, 46
	s_mov_b32 s36, 0
	s_cbranch_scc0 .LBB39_71
; %bb.55:
	v_and_b32_e32 v3, 0xffff, v2
	s_mov_b32 s36, -1
	s_mov_b32 s0, 0
	global_store_dword v[0:1], v3, off
	s_branch .LBB39_71
.LBB39_56:
	s_mov_b32 s22, 0
	s_mov_b32 s1, 0
                                        ; implicit-def: $vgpr3
	s_cbranch_execnz .LBB39_205
	s_branch .LBB39_239
.LBB39_57:
	s_mov_b32 s0, 0
	s_mov_b32 s36, 0
	s_cbranch_execnz .LBB39_140
.LBB39_58:
	s_andn2_b32 vcc_lo, exec_lo, s36
	s_cbranch_vccz .LBB39_178
	s_branch .LBB39_288
.LBB39_59:
	s_mov_b32 s23, -1
	s_mov_b32 s22, 0
	s_mov_b32 s1, 0
                                        ; implicit-def: $vgpr3
	s_branch .LBB39_186
.LBB39_60:
	s_mov_b32 s37, -1
	s_mov_b32 s0, 0
	s_mov_b32 s36, 0
	s_branch .LBB39_98
.LBB39_61:
	s_mov_b32 s23, -1
	s_mov_b32 s22, 0
	s_mov_b32 s1, 0
                                        ; implicit-def: $vgpr3
	s_branch .LBB39_181
.LBB39_62:
	s_mov_b32 s37, -1
	s_mov_b32 s0, 0
	s_mov_b32 s36, 0
	s_branch .LBB39_81
.LBB39_63:
	s_mov_b32 s23, -1
	s_mov_b32 s22, 0
	s_branch .LBB39_66
.LBB39_64:
	s_mov_b32 s37, -1
	s_mov_b32 s0, 0
	s_mov_b32 s36, 0
	s_branch .LBB39_77
.LBB39_65:
	s_mov_b32 s22, -1
.LBB39_66:
	s_mov_b32 s1, 0
                                        ; implicit-def: $vgpr3
.LBB39_67:
	s_and_b32 vcc_lo, exec_lo, s23
	s_cbranch_vccz .LBB39_180
; %bb.68:
	s_cmp_eq_u32 s0, 44
	s_cbranch_scc0 .LBB39_179
; %bb.69:
	global_load_ubyte v3, v[1:2], off
	s_mov_b32 s22, 0
	s_mov_b32 s1, -1
	s_waitcnt vmcnt(0)
	v_lshlrev_b32_e32 v4, 23, v3
	v_cmp_ne_u32_e32 vcc_lo, 0xff, v3
	v_cndmask_b32_e32 v4, 0x7f800001, v4, vcc_lo
	v_cmp_ne_u32_e32 vcc_lo, 0, v3
	v_cndmask_b32_e32 v3, 0x400000, v4, vcc_lo
	v_mov_b32_e32 v4, 0x7fc0
	v_cmp_o_f32_e32 vcc_lo, v3, v3
	v_add_nc_u32_e32 v3, 0x7fff, v3
	v_cndmask_b32_sdwa v3, v4, v3, vcc_lo dst_sel:DWORD dst_unused:UNUSED_PAD src0_sel:DWORD src1_sel:WORD_1
	s_branch .LBB39_180
.LBB39_70:
	s_mov_b32 s37, -1
	s_mov_b32 s0, 0
	s_mov_b32 s36, 0
.LBB39_71:
	s_and_b32 vcc_lo, exec_lo, s37
	s_cbranch_vccz .LBB39_76
; %bb.72:
	s_cmp_eq_u32 s23, 44
	s_mov_b32 s0, -1
	s_cbranch_scc0 .LBB39_76
; %bb.73:
	v_and_b32_e32 v3, 0xffff, v2
	v_mov_b32_e32 v4, 0xff
	s_mov_b32 s36, exec_lo
	v_bfe_u32 v5, v3, 7, 8
	v_cmpx_ne_u32_e32 0xff, v5
	s_cbranch_execz .LBB39_75
; %bb.74:
	v_lshlrev_b32_e32 v4, 16, v3
	v_and_b32_e32 v6, 64, v3
	v_lshrrev_b32_e32 v3, 7, v3
	v_and_or_b32 v4, 0x3f0000, v4, v5
	v_cmp_ne_u32_e32 vcc_lo, 0, v6
	v_cmp_ne_u32_e64 s0, 0, v4
	s_and_b32 s0, vcc_lo, s0
	v_cndmask_b32_e64 v4, 0, 1, s0
	v_add_nc_u32_e32 v4, v3, v4
.LBB39_75:
	s_or_b32 exec_lo, exec_lo, s36
	s_mov_b32 s36, -1
	s_mov_b32 s0, 0
	global_store_byte v[0:1], v4, off
.LBB39_76:
	s_mov_b32 s37, 0
.LBB39_77:
	s_and_b32 vcc_lo, exec_lo, s37
	s_cbranch_vccz .LBB39_80
; %bb.78:
	s_cmp_eq_u32 s23, 29
	s_mov_b32 s0, -1
	s_cbranch_scc0 .LBB39_80
; %bb.79:
	v_lshlrev_b32_e32 v3, 16, v2
	s_mov_b32 s36, -1
	s_mov_b32 s0, 0
	s_mov_b32 s37, 0
	v_trunc_f32_e32 v3, v3
	v_mul_f32_e32 v4, 0x2f800000, v3
	v_floor_f32_e32 v4, v4
	v_fmamk_f32 v3, v4, 0xcf800000, v3
	v_cvt_u32_f32_e32 v4, v4
	v_cvt_u32_f32_e32 v3, v3
	global_store_dwordx2 v[0:1], v[3:4], off
	s_branch .LBB39_81
.LBB39_80:
	s_mov_b32 s37, 0
.LBB39_81:
	s_and_b32 vcc_lo, exec_lo, s37
	s_cbranch_vccz .LBB39_97
; %bb.82:
	s_cmp_lt_i32 s23, 27
	s_mov_b32 s36, -1
	s_cbranch_scc1 .LBB39_88
; %bb.83:
	s_cmp_gt_i32 s23, 27
	s_cbranch_scc0 .LBB39_85
; %bb.84:
	v_lshlrev_b32_e32 v3, 16, v2
	s_mov_b32 s36, 0
	v_cvt_u32_f32_e32 v3, v3
	global_store_dword v[0:1], v3, off
.LBB39_85:
	s_andn2_b32 vcc_lo, exec_lo, s36
	s_cbranch_vccnz .LBB39_87
; %bb.86:
	v_lshlrev_b32_e32 v3, 16, v2
	v_cvt_u32_f32_e32 v3, v3
	global_store_short v[0:1], v3, off
.LBB39_87:
	s_mov_b32 s36, 0
.LBB39_88:
	s_andn2_b32 vcc_lo, exec_lo, s36
	s_cbranch_vccnz .LBB39_96
; %bb.89:
	v_lshlrev_b32_e32 v5, 16, v2
	v_mov_b32_e32 v6, 0x80
	s_mov_b32 s36, exec_lo
	v_and_b32_e32 v4, 0x7fffffff, v5
	v_cmpx_gt_u32_e32 0x43800000, v4
	s_cbranch_execz .LBB39_95
; %bb.90:
	v_and_b32_e32 v3, 0xffff, v2
	v_cmp_lt_u32_e32 vcc_lo, 0x3bffffff, v4
	s_mov_b32 s37, 0
                                        ; implicit-def: $vgpr4
	s_and_saveexec_b32 s40, vcc_lo
	s_xor_b32 s40, exec_lo, s40
	s_cbranch_execz .LBB39_355
; %bb.91:
	v_bfe_u32 v4, v3, 4, 1
	s_mov_b32 s37, exec_lo
	v_add3_u32 v4, v5, v4, 0x487ffff
                                        ; implicit-def: $vgpr5
	v_lshrrev_b32_e32 v4, 20, v4
	s_andn2_saveexec_b32 s40, s40
	s_cbranch_execnz .LBB39_356
.LBB39_92:
	s_or_b32 exec_lo, exec_lo, s40
	v_mov_b32_e32 v6, 0
	s_and_saveexec_b32 s40, s37
.LBB39_93:
	v_lshrrev_b32_e32 v3, 8, v3
	v_and_or_b32 v6, 0x80, v3, v4
.LBB39_94:
	s_or_b32 exec_lo, exec_lo, s40
.LBB39_95:
	s_or_b32 exec_lo, exec_lo, s36
	global_store_byte v[0:1], v6, off
.LBB39_96:
	s_mov_b32 s36, -1
.LBB39_97:
	s_mov_b32 s37, 0
.LBB39_98:
	s_and_b32 vcc_lo, exec_lo, s37
	s_cbranch_vccz .LBB39_139
; %bb.99:
	s_cmp_gt_i32 s23, 22
	s_mov_b32 s37, -1
	s_cbranch_scc0 .LBB39_131
; %bb.100:
	s_cmp_lt_i32 s23, 24
	s_mov_b32 s36, -1
	s_cbranch_scc1 .LBB39_120
; %bb.101:
	s_cmp_gt_i32 s23, 24
	s_cbranch_scc0 .LBB39_109
; %bb.102:
	v_lshlrev_b32_e32 v5, 16, v2
	v_mov_b32_e32 v6, 0x80
	s_mov_b32 s36, exec_lo
	v_and_b32_e32 v4, 0x7fffffff, v5
	v_cmpx_gt_u32_e32 0x47800000, v4
	s_cbranch_execz .LBB39_108
; %bb.103:
	v_and_b32_e32 v3, 0xffff, v2
	v_cmp_lt_u32_e32 vcc_lo, 0x37ffffff, v4
	s_mov_b32 s37, 0
                                        ; implicit-def: $vgpr4
	s_and_saveexec_b32 s40, vcc_lo
	s_xor_b32 s40, exec_lo, s40
	s_cbranch_execz .LBB39_359
; %bb.104:
	v_bfe_u32 v4, v3, 5, 1
	s_mov_b32 s37, exec_lo
	v_add3_u32 v4, v5, v4, 0x88fffff
                                        ; implicit-def: $vgpr5
	v_lshrrev_b32_e32 v4, 21, v4
	s_andn2_saveexec_b32 s40, s40
	s_cbranch_execnz .LBB39_360
.LBB39_105:
	s_or_b32 exec_lo, exec_lo, s40
	v_mov_b32_e32 v6, 0
	s_and_saveexec_b32 s40, s37
.LBB39_106:
	v_lshrrev_b32_e32 v3, 8, v3
	v_and_or_b32 v6, 0x80, v3, v4
.LBB39_107:
	s_or_b32 exec_lo, exec_lo, s40
.LBB39_108:
	s_or_b32 exec_lo, exec_lo, s36
	s_mov_b32 s36, 0
	global_store_byte v[0:1], v6, off
.LBB39_109:
	s_and_b32 vcc_lo, exec_lo, s36
	s_cbranch_vccz .LBB39_119
; %bb.110:
	v_lshlrev_b32_e32 v5, 16, v2
	v_and_b32_e32 v3, 0xffff, v2
	s_mov_b32 s36, exec_lo
                                        ; implicit-def: $vgpr4
	v_and_b32_e32 v6, 0x7fffffff, v5
	v_cmpx_gt_u32_e32 0x43f00000, v6
	s_xor_b32 s36, exec_lo, s36
	s_cbranch_execz .LBB39_116
; %bb.111:
	s_mov_b32 s37, exec_lo
                                        ; implicit-def: $vgpr4
	v_cmpx_lt_u32_e32 0x3c7fffff, v6
	s_xor_b32 s37, exec_lo, s37
; %bb.112:
	v_bfe_u32 v4, v3, 4, 1
	v_add3_u32 v4, v5, v4, 0x407ffff
	v_and_b32_e32 v5, 0xff00000, v4
	v_lshrrev_b32_e32 v4, 20, v4
	v_cmp_ne_u32_e32 vcc_lo, 0x7f00000, v5
                                        ; implicit-def: $vgpr5
	v_cndmask_b32_e32 v4, 0x7e, v4, vcc_lo
; %bb.113:
	s_andn2_saveexec_b32 s37, s37
; %bb.114:
	v_add_f32_e64 v4, 0x46800000, |v5|
; %bb.115:
	s_or_b32 exec_lo, exec_lo, s37
                                        ; implicit-def: $vgpr6
.LBB39_116:
	s_andn2_saveexec_b32 s36, s36
; %bb.117:
	v_mov_b32_e32 v4, 0x7f
	v_cmp_lt_u32_e32 vcc_lo, 0x7f800000, v6
	v_cndmask_b32_e32 v4, 0x7e, v4, vcc_lo
; %bb.118:
	s_or_b32 exec_lo, exec_lo, s36
	v_lshrrev_b32_e32 v3, 8, v3
	v_and_or_b32 v3, 0x80, v3, v4
	global_store_byte v[0:1], v3, off
.LBB39_119:
	s_mov_b32 s36, 0
.LBB39_120:
	s_andn2_b32 vcc_lo, exec_lo, s36
	s_cbranch_vccnz .LBB39_130
; %bb.121:
	v_lshlrev_b32_e32 v5, 16, v2
	v_and_b32_e32 v3, 0xffff, v2
	s_mov_b32 s36, exec_lo
                                        ; implicit-def: $vgpr4
	v_and_b32_e32 v6, 0x7fffffff, v5
	v_cmpx_gt_u32_e32 0x47800000, v6
	s_xor_b32 s36, exec_lo, s36
	s_cbranch_execz .LBB39_127
; %bb.122:
	s_mov_b32 s37, exec_lo
                                        ; implicit-def: $vgpr4
	v_cmpx_lt_u32_e32 0x387fffff, v6
	s_xor_b32 s37, exec_lo, s37
; %bb.123:
	v_bfe_u32 v4, v3, 5, 1
	v_add3_u32 v4, v5, v4, 0x80fffff
                                        ; implicit-def: $vgpr5
	v_lshrrev_b32_e32 v4, 21, v4
; %bb.124:
	s_andn2_saveexec_b32 s37, s37
; %bb.125:
	v_add_f32_e64 v4, 0x43000000, |v5|
; %bb.126:
	s_or_b32 exec_lo, exec_lo, s37
                                        ; implicit-def: $vgpr6
.LBB39_127:
	s_andn2_saveexec_b32 s36, s36
; %bb.128:
	v_mov_b32_e32 v4, 0x7f
	v_cmp_lt_u32_e32 vcc_lo, 0x7f800000, v6
	v_cndmask_b32_e32 v4, 0x7c, v4, vcc_lo
; %bb.129:
	s_or_b32 exec_lo, exec_lo, s36
	v_lshrrev_b32_e32 v3, 8, v3
	v_and_or_b32 v3, 0x80, v3, v4
	global_store_byte v[0:1], v3, off
.LBB39_130:
	s_mov_b32 s37, 0
	s_mov_b32 s36, -1
.LBB39_131:
	s_andn2_b32 vcc_lo, exec_lo, s37
	s_cbranch_vccnz .LBB39_139
; %bb.132:
	s_cmp_gt_i32 s23, 14
	s_mov_b32 s37, -1
	s_cbranch_scc0 .LBB39_136
; %bb.133:
	s_cmp_eq_u32 s23, 15
	s_mov_b32 s0, -1
	s_cbranch_scc0 .LBB39_135
; %bb.134:
	s_mov_b32 s36, -1
	s_mov_b32 s0, 0
	global_store_short v[0:1], v2, off
.LBB39_135:
	s_mov_b32 s37, 0
.LBB39_136:
	s_and_b32 vcc_lo, exec_lo, s37
	s_cbranch_vccz .LBB39_139
; %bb.137:
	s_cmp_eq_u32 s23, 11
	s_mov_b32 s0, -1
	s_cbranch_scc0 .LBB39_139
; %bb.138:
	v_and_b32_e32 v3, 0x7fff, v2
	s_mov_b32 s0, 0
	s_mov_b32 s36, -1
	v_cmp_ne_u16_e32 vcc_lo, 0, v3
	v_cndmask_b32_e64 v3, 0, 1, vcc_lo
	global_store_byte v[0:1], v3, off
.LBB39_139:
	s_branch .LBB39_58
.LBB39_140:
	s_and_b32 s1, 0xffff, s1
	s_mov_b32 s23, -1
	s_cmp_lt_i32 s1, 5
	s_cbranch_scc1 .LBB39_161
; %bb.141:
	s_cmp_lt_i32 s1, 8
	s_cbranch_scc1 .LBB39_151
; %bb.142:
	;; [unrolled: 3-line block ×3, first 2 shown]
	s_cmp_gt_i32 s1, 9
	s_cbranch_scc0 .LBB39_145
; %bb.144:
	v_lshlrev_b32_e32 v3, 16, v2
	v_mov_b32_e32 v5, 0
	s_mov_b32 s23, 0
	v_cvt_f64_f32_e32 v[3:4], v3
	v_mov_b32_e32 v6, v5
	global_store_dwordx4 v[0:1], v[3:6], off
.LBB39_145:
	s_andn2_b32 vcc_lo, exec_lo, s23
	s_cbranch_vccnz .LBB39_147
; %bb.146:
	v_lshlrev_b32_e32 v3, 16, v2
	v_mov_b32_e32 v4, 0
	global_store_dwordx2 v[0:1], v[3:4], off
.LBB39_147:
	s_mov_b32 s23, 0
.LBB39_148:
	s_andn2_b32 vcc_lo, exec_lo, s23
	s_cbranch_vccnz .LBB39_150
; %bb.149:
	v_lshlrev_b32_e32 v3, 16, v2
	v_cvt_f16_f32_e32 v3, v3
	v_and_b32_e32 v3, 0xffff, v3
	global_store_dword v[0:1], v3, off
.LBB39_150:
	s_mov_b32 s23, 0
.LBB39_151:
	s_andn2_b32 vcc_lo, exec_lo, s23
	s_cbranch_vccnz .LBB39_160
; %bb.152:
	s_cmp_lt_i32 s1, 6
	s_mov_b32 s23, -1
	s_cbranch_scc1 .LBB39_158
; %bb.153:
	s_cmp_gt_i32 s1, 6
	s_cbranch_scc0 .LBB39_155
; %bb.154:
	v_lshlrev_b32_e32 v3, 16, v2
	s_mov_b32 s23, 0
	v_cvt_f64_f32_e32 v[3:4], v3
	global_store_dwordx2 v[0:1], v[3:4], off
.LBB39_155:
	s_andn2_b32 vcc_lo, exec_lo, s23
	s_cbranch_vccnz .LBB39_157
; %bb.156:
	v_lshlrev_b32_e32 v3, 16, v2
	global_store_dword v[0:1], v3, off
.LBB39_157:
	s_mov_b32 s23, 0
.LBB39_158:
	s_andn2_b32 vcc_lo, exec_lo, s23
	s_cbranch_vccnz .LBB39_160
; %bb.159:
	v_lshlrev_b32_e32 v3, 16, v2
	v_cvt_f16_f32_e32 v3, v3
	global_store_short v[0:1], v3, off
.LBB39_160:
	s_mov_b32 s23, 0
.LBB39_161:
	s_andn2_b32 vcc_lo, exec_lo, s23
	s_cbranch_vccnz .LBB39_177
; %bb.162:
	s_cmp_lt_i32 s1, 2
	s_mov_b32 s23, -1
	s_cbranch_scc1 .LBB39_172
; %bb.163:
	s_cmp_lt_i32 s1, 3
	s_cbranch_scc1 .LBB39_169
; %bb.164:
	s_cmp_gt_i32 s1, 3
	s_cbranch_scc0 .LBB39_166
; %bb.165:
	v_lshlrev_b32_e32 v3, 16, v2
	s_mov_b32 s23, 0
	v_trunc_f32_e32 v3, v3
	v_mul_f32_e64 v4, 0x2f800000, |v3|
	v_ashrrev_i32_e32 v6, 31, v3
	v_floor_f32_e32 v4, v4
	v_fma_f32 v5, 0xcf800000, v4, |v3|
	v_cvt_u32_f32_e32 v4, v4
	v_cvt_u32_f32_e32 v3, v5
	v_xor_b32_e32 v4, v4, v6
	v_xor_b32_e32 v3, v3, v6
	v_sub_co_u32 v3, vcc_lo, v3, v6
	v_sub_co_ci_u32_e64 v4, null, v4, v6, vcc_lo
	global_store_dwordx2 v[0:1], v[3:4], off
.LBB39_166:
	s_andn2_b32 vcc_lo, exec_lo, s23
	s_cbranch_vccnz .LBB39_168
; %bb.167:
	v_lshlrev_b32_e32 v3, 16, v2
	v_cvt_i32_f32_e32 v3, v3
	global_store_dword v[0:1], v3, off
.LBB39_168:
	s_mov_b32 s23, 0
.LBB39_169:
	s_andn2_b32 vcc_lo, exec_lo, s23
	s_cbranch_vccnz .LBB39_171
; %bb.170:
	v_lshlrev_b32_e32 v3, 16, v2
	v_cvt_i32_f32_e32 v3, v3
	global_store_short v[0:1], v3, off
.LBB39_171:
	s_mov_b32 s23, 0
.LBB39_172:
	s_andn2_b32 vcc_lo, exec_lo, s23
	s_cbranch_vccnz .LBB39_177
; %bb.173:
	s_cmp_gt_i32 s1, 0
	s_mov_b32 s1, -1
	s_cbranch_scc0 .LBB39_175
; %bb.174:
	v_lshlrev_b32_e32 v3, 16, v2
	s_mov_b32 s1, 0
	v_cvt_i32_f32_e32 v3, v3
	global_store_byte v[0:1], v3, off
.LBB39_175:
	s_andn2_b32 vcc_lo, exec_lo, s1
	s_cbranch_vccnz .LBB39_177
; %bb.176:
	v_lshlrev_b32_e32 v2, 16, v2
	v_trunc_f32_e32 v2, v2
	v_mul_f32_e64 v3, 0x2f800000, |v2|
	v_floor_f32_e32 v3, v3
	v_fma_f32 v3, 0xcf800000, v3, |v2|
	v_ashrrev_i32_e32 v2, 31, v2
	v_cvt_u32_f32_e32 v3, v3
	v_xor_b32_e32 v3, v3, v2
	v_sub_nc_u32_e32 v2, v3, v2
	global_store_byte v[0:1], v2, off
.LBB39_177:
.LBB39_178:
	v_add_nc_u32_e32 v8, 0x80, v8
	s_mov_b32 s1, -1
	s_branch .LBB39_289
.LBB39_179:
	s_mov_b32 s22, -1
                                        ; implicit-def: $vgpr3
.LBB39_180:
	s_mov_b32 s23, 0
.LBB39_181:
	s_and_b32 vcc_lo, exec_lo, s23
	s_cbranch_vccz .LBB39_185
; %bb.182:
	s_cmp_eq_u32 s0, 29
	s_cbranch_scc0 .LBB39_184
; %bb.183:
	global_load_dwordx2 v[3:4], v[1:2], off
	s_mov_b32 s1, -1
	s_mov_b32 s22, 0
	s_mov_b32 s23, 0
	s_waitcnt vmcnt(0)
	v_ffbh_u32_e32 v5, v4
	v_min_u32_e32 v5, 32, v5
	v_lshlrev_b64 v[3:4], v5, v[3:4]
	v_min_u32_e32 v3, 1, v3
	v_or_b32_e32 v3, v4, v3
	v_sub_nc_u32_e32 v4, 32, v5
	v_cvt_f32_u32_e32 v3, v3
	v_ldexp_f32 v3, v3, v4
	v_bfe_u32 v4, v3, 16, 1
	v_add3_u32 v3, v3, v4, 0x7fff
	v_lshrrev_b32_e32 v3, 16, v3
	s_branch .LBB39_186
.LBB39_184:
	s_mov_b32 s22, -1
                                        ; implicit-def: $vgpr3
.LBB39_185:
	s_mov_b32 s23, 0
.LBB39_186:
	s_and_b32 vcc_lo, exec_lo, s23
	s_cbranch_vccz .LBB39_204
; %bb.187:
	s_cmp_lt_i32 s0, 27
	s_cbranch_scc1 .LBB39_190
; %bb.188:
	s_cmp_gt_i32 s0, 27
	s_cbranch_scc0 .LBB39_191
; %bb.189:
	global_load_dword v3, v[1:2], off
	s_mov_b32 s1, 0
	s_waitcnt vmcnt(0)
	v_cvt_f32_u32_e32 v3, v3
	v_bfe_u32 v4, v3, 16, 1
	v_add3_u32 v3, v3, v4, 0x7fff
	v_lshrrev_b32_e32 v3, 16, v3
	s_branch .LBB39_192
.LBB39_190:
	s_mov_b32 s1, -1
                                        ; implicit-def: $vgpr3
	s_branch .LBB39_195
.LBB39_191:
	s_mov_b32 s1, -1
                                        ; implicit-def: $vgpr3
.LBB39_192:
	s_andn2_b32 vcc_lo, exec_lo, s1
	s_cbranch_vccnz .LBB39_194
; %bb.193:
	global_load_ushort v3, v[1:2], off
	s_waitcnt vmcnt(0)
	v_cvt_f32_u32_e32 v3, v3
	v_bfe_u32 v4, v3, 16, 1
	v_add3_u32 v3, v3, v4, 0x7fff
	v_lshrrev_b32_e32 v3, 16, v3
.LBB39_194:
	s_mov_b32 s1, 0
.LBB39_195:
	s_andn2_b32 vcc_lo, exec_lo, s1
	s_cbranch_vccnz .LBB39_203
; %bb.196:
	global_load_ubyte v3, v[1:2], off
	s_mov_b32 s1, 0
	s_mov_b32 s23, exec_lo
	s_waitcnt vmcnt(0)
	v_cmpx_lt_i16_e32 0x7f, v3
	s_xor_b32 s23, exec_lo, s23
	s_cbranch_execz .LBB39_216
; %bb.197:
	s_mov_b32 s1, -1
	s_mov_b32 s36, exec_lo
	v_cmpx_eq_u16_e32 0x80, v3
; %bb.198:
	s_xor_b32 s1, exec_lo, -1
; %bb.199:
	s_or_b32 exec_lo, exec_lo, s36
	s_and_b32 s1, s1, exec_lo
	s_or_saveexec_b32 s23, s23
	v_mov_b32_e32 v4, 0x7f800001
	s_xor_b32 exec_lo, exec_lo, s23
	s_cbranch_execnz .LBB39_217
.LBB39_200:
	s_or_b32 exec_lo, exec_lo, s23
	s_and_saveexec_b32 s23, s1
	s_cbranch_execz .LBB39_202
.LBB39_201:
	v_and_b32_e32 v4, 0xffff, v3
	v_lshlrev_b32_e32 v3, 24, v3
	v_and_b32_e32 v5, 7, v4
	v_bfe_u32 v9, v4, 3, 4
	v_and_b32_e32 v3, 0x80000000, v3
	v_ffbh_u32_e32 v6, v5
	v_cmp_eq_u32_e32 vcc_lo, 0, v9
	v_min_u32_e32 v6, 32, v6
	v_subrev_nc_u32_e32 v7, 28, v6
	v_sub_nc_u32_e32 v6, 29, v6
	v_lshlrev_b32_e32 v4, v7, v4
	v_cndmask_b32_e32 v6, v9, v6, vcc_lo
	v_and_b32_e32 v4, 7, v4
	v_cndmask_b32_e32 v4, v5, v4, vcc_lo
	v_lshl_add_u32 v5, v6, 23, 0x3b800000
	v_lshlrev_b32_e32 v4, 20, v4
	v_or3_b32 v4, v3, v5, v4
.LBB39_202:
	s_or_b32 exec_lo, exec_lo, s23
	v_bfe_u32 v3, v4, 16, 1
	v_cmp_o_f32_e32 vcc_lo, v4, v4
	v_add3_u32 v3, v4, v3, 0x7fff
	v_mov_b32_e32 v4, 0x7fc0
	v_cndmask_b32_sdwa v3, v4, v3, vcc_lo dst_sel:DWORD dst_unused:UNUSED_PAD src0_sel:DWORD src1_sel:WORD_1
.LBB39_203:
	s_mov_b32 s1, -1
.LBB39_204:
	s_branch .LBB39_239
.LBB39_205:
	s_cmp_gt_i32 s0, 22
	s_cbranch_scc0 .LBB39_215
; %bb.206:
	s_cmp_lt_i32 s0, 24
	s_cbranch_scc1 .LBB39_218
; %bb.207:
	s_cmp_gt_i32 s0, 24
	s_cbranch_scc0 .LBB39_219
; %bb.208:
	global_load_ubyte v3, v[1:2], off
	s_mov_b32 s1, 0
	s_mov_b32 s23, exec_lo
	s_waitcnt vmcnt(0)
	v_cmpx_lt_i16_e32 0x7f, v3
	s_xor_b32 s23, exec_lo, s23
	s_cbranch_execz .LBB39_231
; %bb.209:
	s_mov_b32 s1, -1
	s_mov_b32 s36, exec_lo
	v_cmpx_eq_u16_e32 0x80, v3
; %bb.210:
	s_xor_b32 s1, exec_lo, -1
; %bb.211:
	s_or_b32 exec_lo, exec_lo, s36
	s_and_b32 s1, s1, exec_lo
	s_or_saveexec_b32 s23, s23
	v_mov_b32_e32 v4, 0x7f800001
	s_xor_b32 exec_lo, exec_lo, s23
	s_cbranch_execnz .LBB39_232
.LBB39_212:
	s_or_b32 exec_lo, exec_lo, s23
	s_and_saveexec_b32 s23, s1
	s_cbranch_execz .LBB39_214
.LBB39_213:
	v_and_b32_e32 v4, 0xffff, v3
	v_lshlrev_b32_e32 v3, 24, v3
	v_and_b32_e32 v5, 3, v4
	v_bfe_u32 v9, v4, 2, 5
	v_and_b32_e32 v3, 0x80000000, v3
	v_ffbh_u32_e32 v6, v5
	v_cmp_eq_u32_e32 vcc_lo, 0, v9
	v_min_u32_e32 v6, 32, v6
	v_subrev_nc_u32_e32 v7, 29, v6
	v_sub_nc_u32_e32 v6, 30, v6
	v_lshlrev_b32_e32 v4, v7, v4
	v_cndmask_b32_e32 v6, v9, v6, vcc_lo
	v_and_b32_e32 v4, 3, v4
	v_cndmask_b32_e32 v4, v5, v4, vcc_lo
	v_lshl_add_u32 v5, v6, 23, 0x37800000
	v_lshlrev_b32_e32 v4, 21, v4
	v_or3_b32 v4, v3, v5, v4
.LBB39_214:
	s_or_b32 exec_lo, exec_lo, s23
	v_bfe_u32 v3, v4, 16, 1
	v_cmp_o_f32_e32 vcc_lo, v4, v4
	s_mov_b32 s1, 0
	v_add3_u32 v3, v4, v3, 0x7fff
	v_mov_b32_e32 v4, 0x7fc0
	v_cndmask_b32_sdwa v3, v4, v3, vcc_lo dst_sel:DWORD dst_unused:UNUSED_PAD src0_sel:DWORD src1_sel:WORD_1
	s_branch .LBB39_220
.LBB39_215:
	s_mov_b32 s23, -1
                                        ; implicit-def: $vgpr3
	s_branch .LBB39_226
.LBB39_216:
	s_or_saveexec_b32 s23, s23
	v_mov_b32_e32 v4, 0x7f800001
	s_xor_b32 exec_lo, exec_lo, s23
	s_cbranch_execz .LBB39_200
.LBB39_217:
	v_cmp_ne_u16_e32 vcc_lo, 0, v3
	v_mov_b32_e32 v4, 0
	s_andn2_b32 s1, s1, exec_lo
	s_and_b32 s36, vcc_lo, exec_lo
	s_or_b32 s1, s1, s36
	s_or_b32 exec_lo, exec_lo, s23
	s_and_saveexec_b32 s23, s1
	s_cbranch_execnz .LBB39_201
	s_branch .LBB39_202
.LBB39_218:
	s_mov_b32 s1, -1
                                        ; implicit-def: $vgpr3
	s_branch .LBB39_223
.LBB39_219:
	s_mov_b32 s1, -1
                                        ; implicit-def: $vgpr3
.LBB39_220:
	s_and_b32 vcc_lo, exec_lo, s1
	s_cbranch_vccz .LBB39_222
; %bb.221:
	global_load_ubyte v3, v[1:2], off
	s_waitcnt vmcnt(0)
	v_lshlrev_b32_e32 v3, 24, v3
	v_and_b32_e32 v4, 0x7f000000, v3
	v_ffbh_u32_e32 v5, v4
	v_add_nc_u32_e32 v7, 0x1000000, v4
	v_cmp_ne_u32_e32 vcc_lo, 0, v4
	v_min_u32_e32 v5, 32, v5
	v_sub_nc_u32_e64 v5, v5, 4 clamp
	v_lshlrev_b32_e32 v6, v5, v4
	v_lshlrev_b32_e32 v5, 23, v5
	v_lshrrev_b32_e32 v6, 4, v6
	v_sub_nc_u32_e32 v5, v6, v5
	v_ashrrev_i32_e32 v6, 8, v7
	v_add_nc_u32_e32 v5, 0x3c000000, v5
	v_and_or_b32 v5, 0x7f800000, v6, v5
	v_cndmask_b32_e32 v4, 0, v5, vcc_lo
	v_and_or_b32 v3, 0x80000000, v3, v4
	v_bfe_u32 v4, v4, 16, 1
	v_cmp_o_f32_e32 vcc_lo, v3, v3
	v_add3_u32 v3, v3, v4, 0x7fff
	v_mov_b32_e32 v4, 0x7fc0
	v_cndmask_b32_sdwa v3, v4, v3, vcc_lo dst_sel:DWORD dst_unused:UNUSED_PAD src0_sel:DWORD src1_sel:WORD_1
.LBB39_222:
	s_mov_b32 s1, 0
.LBB39_223:
	s_andn2_b32 vcc_lo, exec_lo, s1
	s_cbranch_vccnz .LBB39_225
; %bb.224:
	global_load_ubyte v3, v[1:2], off
	s_waitcnt vmcnt(0)
	v_lshlrev_b32_e32 v4, 25, v3
	v_lshlrev_b16 v3, 8, v3
	v_lshrrev_b32_e32 v5, 4, v4
	v_and_or_b32 v6, 0x7f00, v3, 0.5
	v_cmp_gt_u32_e32 vcc_lo, 0x8000000, v4
	v_bfe_i32 v3, v3, 0, 16
	v_or_b32_e32 v5, 0x70000000, v5
	v_add_f32_e32 v6, -0.5, v6
	v_mul_f32_e32 v5, 0x7800000, v5
	v_cndmask_b32_e32 v4, v5, v6, vcc_lo
	v_and_or_b32 v3, 0x80000000, v3, v4
	v_bfe_u32 v4, v4, 16, 1
	v_cmp_o_f32_e32 vcc_lo, v3, v3
	v_add3_u32 v3, v3, v4, 0x7fff
	v_mov_b32_e32 v4, 0x7fc0
	v_cndmask_b32_sdwa v3, v4, v3, vcc_lo dst_sel:DWORD dst_unused:UNUSED_PAD src0_sel:DWORD src1_sel:WORD_1
.LBB39_225:
	s_mov_b32 s23, 0
	s_mov_b32 s1, -1
.LBB39_226:
	s_andn2_b32 vcc_lo, exec_lo, s23
	s_cbranch_vccnz .LBB39_239
; %bb.227:
	s_cmp_gt_i32 s0, 14
	s_cbranch_scc0 .LBB39_230
; %bb.228:
	s_cmp_eq_u32 s0, 15
	s_cbranch_scc0 .LBB39_233
; %bb.229:
	global_load_ushort v3, v[1:2], off
	s_mov_b32 s1, -1
	s_mov_b32 s22, 0
	s_branch .LBB39_234
.LBB39_230:
	s_mov_b32 s23, -1
                                        ; implicit-def: $vgpr3
	s_branch .LBB39_235
.LBB39_231:
	s_or_saveexec_b32 s23, s23
	v_mov_b32_e32 v4, 0x7f800001
	s_xor_b32 exec_lo, exec_lo, s23
	s_cbranch_execz .LBB39_212
.LBB39_232:
	v_cmp_ne_u16_e32 vcc_lo, 0, v3
	v_mov_b32_e32 v4, 0
	s_andn2_b32 s1, s1, exec_lo
	s_and_b32 s36, vcc_lo, exec_lo
	s_or_b32 s1, s1, s36
	s_or_b32 exec_lo, exec_lo, s23
	s_and_saveexec_b32 s23, s1
	s_cbranch_execnz .LBB39_213
	s_branch .LBB39_214
.LBB39_233:
	s_mov_b32 s22, -1
                                        ; implicit-def: $vgpr3
.LBB39_234:
	s_mov_b32 s23, 0
.LBB39_235:
	s_and_b32 vcc_lo, exec_lo, s23
	s_cbranch_vccz .LBB39_239
; %bb.236:
	s_cmp_eq_u32 s0, 11
	s_cbranch_scc0 .LBB39_238
; %bb.237:
	global_load_ubyte v3, v[1:2], off
	s_mov_b32 s22, 0
	s_mov_b32 s1, -1
	s_waitcnt vmcnt(0)
	v_cmp_ne_u16_e32 vcc_lo, 0, v3
	v_cndmask_b32_e64 v3, 0, 1.0, vcc_lo
	v_lshrrev_b32_e32 v3, 16, v3
	s_branch .LBB39_239
.LBB39_238:
	s_mov_b32 s22, -1
                                        ; implicit-def: $vgpr3
.LBB39_239:
	s_branch .LBB39_24
.LBB39_240:
	s_cmp_lt_i32 s0, 5
	s_cbranch_scc1 .LBB39_245
; %bb.241:
	s_cmp_lt_i32 s0, 8
	s_cbranch_scc1 .LBB39_246
; %bb.242:
	s_cmp_lt_i32 s0, 9
	s_cbranch_scc1 .LBB39_247
; %bb.243:
	s_cmp_gt_i32 s0, 9
	s_cbranch_scc0 .LBB39_248
; %bb.244:
	global_load_dwordx2 v[3:4], v[1:2], off
	s_mov_b32 s1, 0
	s_waitcnt vmcnt(0)
	v_cvt_f32_f64_e32 v3, v[3:4]
	v_bfe_u32 v4, v3, 16, 1
	v_cmp_o_f32_e32 vcc_lo, v3, v3
	v_add3_u32 v3, v3, v4, 0x7fff
	v_mov_b32_e32 v4, 0x7fc0
	v_cndmask_b32_sdwa v3, v4, v3, vcc_lo dst_sel:DWORD dst_unused:UNUSED_PAD src0_sel:DWORD src1_sel:WORD_1
	s_branch .LBB39_249
.LBB39_245:
                                        ; implicit-def: $vgpr3
	s_branch .LBB39_267
.LBB39_246:
	s_mov_b32 s1, -1
                                        ; implicit-def: $vgpr3
	s_branch .LBB39_255
.LBB39_247:
	s_mov_b32 s1, -1
                                        ; implicit-def: $vgpr3
	s_branch .LBB39_252
.LBB39_248:
	s_mov_b32 s1, -1
                                        ; implicit-def: $vgpr3
.LBB39_249:
	s_andn2_b32 vcc_lo, exec_lo, s1
	s_cbranch_vccnz .LBB39_251
; %bb.250:
	global_load_dword v3, v[1:2], off
	s_waitcnt vmcnt(0)
	v_bfe_u32 v4, v3, 16, 1
	v_cmp_o_f32_e32 vcc_lo, v3, v3
	v_add3_u32 v3, v3, v4, 0x7fff
	v_mov_b32_e32 v4, 0x7fc0
	v_cndmask_b32_sdwa v3, v4, v3, vcc_lo dst_sel:DWORD dst_unused:UNUSED_PAD src0_sel:DWORD src1_sel:WORD_1
.LBB39_251:
	s_mov_b32 s1, 0
.LBB39_252:
	s_andn2_b32 vcc_lo, exec_lo, s1
	s_cbranch_vccnz .LBB39_254
; %bb.253:
	global_load_dword v3, v[1:2], off
	s_waitcnt vmcnt(0)
	v_cvt_f32_f16_e32 v4, v3
	v_cmp_o_f16_e32 vcc_lo, v3, v3
	v_bfe_u32 v5, v4, 16, 1
	v_add3_u32 v3, v4, v5, 0x7fff
	v_mov_b32_e32 v4, 0x7fc0
	v_cndmask_b32_sdwa v3, v4, v3, vcc_lo dst_sel:DWORD dst_unused:UNUSED_PAD src0_sel:DWORD src1_sel:WORD_1
.LBB39_254:
	s_mov_b32 s1, 0
.LBB39_255:
	s_andn2_b32 vcc_lo, exec_lo, s1
	s_cbranch_vccnz .LBB39_266
; %bb.256:
	s_cmp_lt_i32 s0, 6
	s_cbranch_scc1 .LBB39_259
; %bb.257:
	s_cmp_gt_i32 s0, 6
	s_cbranch_scc0 .LBB39_260
; %bb.258:
	global_load_dwordx2 v[3:4], v[1:2], off
	s_mov_b32 s1, 0
	s_waitcnt vmcnt(0)
	v_cvt_f32_f64_e32 v3, v[3:4]
	v_bfe_u32 v4, v3, 16, 1
	v_cmp_o_f32_e32 vcc_lo, v3, v3
	v_add3_u32 v3, v3, v4, 0x7fff
	v_mov_b32_e32 v4, 0x7fc0
	v_cndmask_b32_sdwa v3, v4, v3, vcc_lo dst_sel:DWORD dst_unused:UNUSED_PAD src0_sel:DWORD src1_sel:WORD_1
	s_branch .LBB39_261
.LBB39_259:
	s_mov_b32 s1, -1
                                        ; implicit-def: $vgpr3
	s_branch .LBB39_264
.LBB39_260:
	s_mov_b32 s1, -1
                                        ; implicit-def: $vgpr3
.LBB39_261:
	s_andn2_b32 vcc_lo, exec_lo, s1
	s_cbranch_vccnz .LBB39_263
; %bb.262:
	global_load_dword v3, v[1:2], off
	s_waitcnt vmcnt(0)
	v_bfe_u32 v4, v3, 16, 1
	v_cmp_o_f32_e32 vcc_lo, v3, v3
	v_add3_u32 v3, v3, v4, 0x7fff
	v_mov_b32_e32 v4, 0x7fc0
	v_cndmask_b32_sdwa v3, v4, v3, vcc_lo dst_sel:DWORD dst_unused:UNUSED_PAD src0_sel:DWORD src1_sel:WORD_1
.LBB39_263:
	s_mov_b32 s1, 0
.LBB39_264:
	s_andn2_b32 vcc_lo, exec_lo, s1
	s_cbranch_vccnz .LBB39_266
; %bb.265:
	global_load_ushort v3, v[1:2], off
	s_waitcnt vmcnt(0)
	v_cvt_f32_f16_e32 v4, v3
	v_cmp_o_f16_e32 vcc_lo, v3, v3
	v_bfe_u32 v5, v4, 16, 1
	v_add3_u32 v3, v4, v5, 0x7fff
	v_mov_b32_e32 v4, 0x7fc0
	v_cndmask_b32_sdwa v3, v4, v3, vcc_lo dst_sel:DWORD dst_unused:UNUSED_PAD src0_sel:DWORD src1_sel:WORD_1
.LBB39_266:
	s_cbranch_execnz .LBB39_286
.LBB39_267:
	s_cmp_lt_i32 s0, 2
	s_cbranch_scc1 .LBB39_271
; %bb.268:
	s_cmp_lt_i32 s0, 3
	s_cbranch_scc1 .LBB39_272
; %bb.269:
	s_cmp_gt_i32 s0, 3
	s_cbranch_scc0 .LBB39_273
; %bb.270:
	global_load_dwordx2 v[3:4], v[1:2], off
	s_mov_b32 s1, 0
	s_waitcnt vmcnt(0)
	v_xor_b32_e32 v5, v3, v4
	v_ffbh_i32_e32 v6, v4
	v_ashrrev_i32_e32 v5, 31, v5
	v_add_nc_u32_e32 v6, -1, v6
	v_add_nc_u32_e32 v5, 32, v5
	v_min_u32_e32 v5, v6, v5
	v_lshlrev_b64 v[3:4], v5, v[3:4]
	v_min_u32_e32 v3, 1, v3
	v_or_b32_e32 v3, v4, v3
	v_sub_nc_u32_e32 v4, 32, v5
	v_cvt_f32_i32_e32 v3, v3
	v_ldexp_f32 v3, v3, v4
	v_bfe_u32 v4, v3, 16, 1
	v_add3_u32 v3, v3, v4, 0x7fff
	v_lshrrev_b32_e32 v3, 16, v3
	s_branch .LBB39_274
.LBB39_271:
	s_mov_b32 s1, -1
                                        ; implicit-def: $vgpr3
	s_branch .LBB39_280
.LBB39_272:
	s_mov_b32 s1, -1
                                        ; implicit-def: $vgpr3
	s_branch .LBB39_277
.LBB39_273:
	s_mov_b32 s1, -1
                                        ; implicit-def: $vgpr3
.LBB39_274:
	s_andn2_b32 vcc_lo, exec_lo, s1
	s_cbranch_vccnz .LBB39_276
; %bb.275:
	global_load_dword v3, v[1:2], off
	s_waitcnt vmcnt(0)
	v_cvt_f32_i32_e32 v3, v3
	v_bfe_u32 v4, v3, 16, 1
	v_add3_u32 v3, v3, v4, 0x7fff
	v_lshrrev_b32_e32 v3, 16, v3
.LBB39_276:
	s_mov_b32 s1, 0
.LBB39_277:
	s_andn2_b32 vcc_lo, exec_lo, s1
	s_cbranch_vccnz .LBB39_279
; %bb.278:
	global_load_sshort v3, v[1:2], off
	s_waitcnt vmcnt(0)
	v_cvt_f32_i32_e32 v3, v3
	v_bfe_u32 v4, v3, 16, 1
	v_add3_u32 v3, v3, v4, 0x7fff
	v_lshrrev_b32_e32 v3, 16, v3
.LBB39_279:
	s_mov_b32 s1, 0
.LBB39_280:
	s_andn2_b32 vcc_lo, exec_lo, s1
	s_cbranch_vccnz .LBB39_286
; %bb.281:
	s_cmp_gt_i32 s0, 0
	s_mov_b32 s0, 0
	s_cbranch_scc0 .LBB39_283
; %bb.282:
	global_load_sbyte v3, v[1:2], off
	s_waitcnt vmcnt(0)
	v_cvt_f32_i32_e32 v3, v3
	v_bfe_u32 v4, v3, 16, 1
	v_add3_u32 v3, v3, v4, 0x7fff
	v_lshrrev_b32_e32 v3, 16, v3
	s_branch .LBB39_284
.LBB39_283:
	s_mov_b32 s0, -1
                                        ; implicit-def: $vgpr3
.LBB39_284:
	s_andn2_b32 vcc_lo, exec_lo, s0
	s_cbranch_vccnz .LBB39_286
; %bb.285:
	global_load_ubyte v1, v[1:2], off
	s_waitcnt vmcnt(0)
	v_cvt_f32_ubyte0_e32 v1, v1
	v_bfe_u32 v2, v1, 16, 1
	v_add3_u32 v1, v1, v2, 0x7fff
	v_lshrrev_b32_e32 v3, 16, v1
.LBB39_286:
	s_branch .LBB39_25
.LBB39_287:
	s_mov_b32 s0, 0
.LBB39_288:
	s_mov_b32 s1, 0
                                        ; implicit-def: $vgpr8
.LBB39_289:
	s_and_b32 s36, s0, exec_lo
	s_and_b32 s37, s22, exec_lo
	s_orn2_b32 s1, s1, exec_lo
.LBB39_290:
	s_or_b32 exec_lo, exec_lo, s38
	s_mov_b32 s22, 0
	s_mov_b32 s0, 0
                                        ; implicit-def: $vgpr1_vgpr2
                                        ; implicit-def: $vgpr0
                                        ; implicit-def: $vgpr4
	s_and_saveexec_b32 s38, s1
	s_cbranch_execz .LBB39_297
; %bb.291:
	s_mov_b32 s0, -1
	s_mov_b32 s39, s37
	s_mov_b32 s40, s36
	s_mov_b32 s41, exec_lo
	v_cmpx_gt_i32_e64 s33, v8
	s_cbranch_execz .LBB39_591
; %bb.292:
	s_andn2_b32 vcc_lo, exec_lo, s27
	s_cbranch_vccnz .LBB39_300
; %bb.293:
	s_andn2_b32 vcc_lo, exec_lo, s34
	s_cbranch_vccnz .LBB39_301
; %bb.294:
	s_add_i32 s40, s35, 1
	s_cmp_eq_u32 s25, 2
	s_cbranch_scc1 .LBB39_302
; %bb.295:
	v_mov_b32_e32 v2, 0
	v_mov_b32_e32 v0, 0
	;; [unrolled: 1-line block ×3, first 2 shown]
	s_and_b32 s39, s40, 28
	s_mov_b32 s42, 0
	s_mov_b64 s[0:1], s[2:3]
	s_mov_b64 s[22:23], s[20:21]
.LBB39_296:                             ; =>This Inner Loop Header: Depth=1
	s_clause 0x1
	s_load_dwordx8 s[44:51], s[0:1], 0x4
	s_load_dwordx4 s[60:63], s[0:1], 0x24
	s_load_dwordx8 s[52:59], s[22:23], 0x0
	s_add_u32 s0, s0, 48
	s_addc_u32 s1, s1, 0
	s_add_i32 s42, s42, 4
	s_add_u32 s22, s22, 32
	s_addc_u32 s23, s23, 0
	s_cmp_eq_u32 s39, s42
	s_waitcnt vmcnt(0) lgkmcnt(0)
	v_mul_hi_u32 v3, s45, v1
	v_add_nc_u32_e32 v3, v1, v3
	v_lshrrev_b32_e32 v3, s46, v3
	v_mul_hi_u32 v4, s48, v3
	v_mul_lo_u32 v6, v3, s44
	v_add_nc_u32_e32 v4, v3, v4
	v_sub_nc_u32_e32 v1, v1, v6
	v_lshrrev_b32_e32 v4, s49, v4
	v_mul_lo_u32 v6, v1, s52
	v_mul_lo_u32 v9, v1, s53
	v_mul_hi_u32 v5, s51, v4
	v_add_nc_u32_e32 v5, v4, v5
	v_lshrrev_b32_e32 v5, s60, v5
	v_mul_hi_u32 v7, s62, v5
	v_mul_lo_u32 v10, v5, s50
	v_add_nc_u32_e32 v1, v5, v7
	v_mul_lo_u32 v7, v4, s47
	v_sub_nc_u32_e32 v4, v4, v10
	v_lshrrev_b32_e32 v1, s63, v1
	v_mul_lo_u32 v10, v4, s56
	v_mul_lo_u32 v4, v4, s57
	v_sub_nc_u32_e32 v3, v3, v7
	v_mul_lo_u32 v11, v1, s61
	v_mul_lo_u32 v7, v3, s54
	;; [unrolled: 1-line block ×3, first 2 shown]
	v_sub_nc_u32_e32 v5, v5, v11
	v_add3_u32 v0, v6, v0, v7
	v_mul_lo_u32 v11, v5, s58
	v_mul_lo_u32 v5, v5, s59
	v_add3_u32 v2, v9, v2, v3
	v_add3_u32 v0, v10, v0, v11
	;; [unrolled: 1-line block ×3, first 2 shown]
	s_cbranch_scc0 .LBB39_296
	s_branch .LBB39_303
.LBB39_297:
	s_or_b32 exec_lo, exec_lo, s38
	s_waitcnt lgkmcnt(0)
	s_mov_b32 s6, 0
	s_and_saveexec_b32 s1, s37
	s_cbranch_execnz .LBB39_993
.LBB39_298:
	s_or_b32 exec_lo, exec_lo, s1
	s_and_saveexec_b32 s1, s39
	s_xor_b32 s1, exec_lo, s1
	s_cbranch_execz .LBB39_994
.LBB39_299:
	global_load_ubyte v3, v[1:2], off
	s_or_b32 s0, s0, exec_lo
	s_waitcnt vmcnt(0)
	v_cmp_ne_u16_e32 vcc_lo, 0, v3
	v_cndmask_b32_e64 v3, 0, 1.0, vcc_lo
	v_lshrrev_b32_e32 v4, 16, v3
	s_or_b32 exec_lo, exec_lo, s1
	s_and_saveexec_b32 s1, s22
	s_cbranch_execz .LBB39_1040
	s_branch .LBB39_995
.LBB39_300:
                                        ; implicit-def: $vgpr0
                                        ; implicit-def: $vgpr2
	s_andn2_b32 vcc_lo, exec_lo, s0
	s_cbranch_vccz .LBB39_307
	s_branch .LBB39_309
.LBB39_301:
	v_mov_b32_e32 v0, 0
	v_mov_b32_e32 v2, 0
	s_branch .LBB39_306
.LBB39_302:
	v_mov_b32_e32 v0, 0
	v_mov_b32_e32 v2, 0
	;; [unrolled: 1-line block ×3, first 2 shown]
	s_mov_b32 s39, 0
.LBB39_303:
	s_and_b32 s40, s40, 3
	s_cmp_eq_u32 s40, 0
	s_cbranch_scc1 .LBB39_306
; %bb.304:
	s_lshl_b32 s0, s39, 3
	s_mul_i32 s22, s39, 12
	s_add_u32 s0, s2, s0
	s_addc_u32 s1, s3, 0
	s_add_u32 s0, s0, 0xc4
	s_addc_u32 s1, s1, 0
	;; [unrolled: 2-line block ×3, first 2 shown]
	.p2align	6
.LBB39_305:                             ; =>This Inner Loop Header: Depth=1
	s_clause 0x1
	s_load_dwordx2 s[42:43], s[22:23], 0x4
	s_load_dword s39, s[22:23], 0xc
	s_load_dwordx2 s[44:45], s[0:1], 0x0
	s_add_u32 s22, s22, 12
	s_addc_u32 s23, s23, 0
	s_add_u32 s0, s0, 8
	s_addc_u32 s1, s1, 0
	s_add_i32 s40, s40, -1
	s_cmp_lg_u32 s40, 0
	s_waitcnt vmcnt(0) lgkmcnt(0)
	v_mul_hi_u32 v3, s43, v1
	v_add_nc_u32_e32 v3, v1, v3
	v_lshrrev_b32_e32 v4, s39, v3
	v_mul_lo_u32 v3, v4, s42
	v_sub_nc_u32_e32 v3, v1, v3
	v_mad_u64_u32 v[0:1], null, v3, s44, v[0:1]
	v_mad_u64_u32 v[2:3], null, v3, s45, v[2:3]
	v_mov_b32_e32 v1, v4
	s_cbranch_scc1 .LBB39_305
.LBB39_306:
	s_cbranch_execnz .LBB39_309
.LBB39_307:
	s_waitcnt lgkmcnt(0)
	v_mul_hi_u32 v0, s17, v8
	s_andn2_b32 vcc_lo, exec_lo, s31
	v_add_nc_u32_e32 v0, v8, v0
	v_lshrrev_b32_e32 v1, s18, v0
	v_mul_lo_u32 v0, v1, s16
	v_sub_nc_u32_e32 v2, v8, v0
	v_mul_lo_u32 v0, v2, s12
	v_mul_lo_u32 v2, v2, s13
	s_cbranch_vccnz .LBB39_309
; %bb.308:
	s_waitcnt vmcnt(0)
	v_mul_hi_u32 v3, s6, v1
	v_add_nc_u32_e32 v3, v1, v3
	v_lshrrev_b32_e32 v3, s7, v3
	v_mul_lo_u32 v3, v3, s19
	v_sub_nc_u32_e32 v3, v1, v3
	v_mad_u64_u32 v[0:1], null, v3, s14, v[0:1]
	v_mad_u64_u32 v[2:3], null, v3, s15, v[2:3]
.LBB39_309:
	s_waitcnt lgkmcnt(0)
	v_add_co_u32 v1, s0, s10, v2
	v_add_co_ci_u32_e64 v2, null, s11, 0, s0
	s_and_b32 s0, 0xffff, s30
	s_cmp_lt_i32 s0, 11
	s_cbranch_scc1 .LBB39_316
; %bb.310:
	s_cmp_gt_i32 s0, 25
	s_cbranch_scc0 .LBB39_349
; %bb.311:
	s_cmp_gt_i32 s0, 28
	s_cbranch_scc0 .LBB39_351
; %bb.312:
	s_cmp_gt_i32 s0, 43
	s_cbranch_scc0 .LBB39_353
; %bb.313:
	s_cmp_gt_i32 s0, 45
	s_cbranch_scc0 .LBB39_357
; %bb.314:
	s_cmp_eq_u32 s0, 46
	s_mov_b32 s23, 0
	s_cbranch_scc0 .LBB39_361
; %bb.315:
	global_load_dword v3, v[1:2], off
	s_mov_b32 s1, -1
	s_mov_b32 s22, 0
	s_branch .LBB39_363
.LBB39_316:
	s_mov_b32 s1, 0
	s_mov_b32 s22, s37
                                        ; implicit-def: $vgpr3
	s_cbranch_execnz .LBB39_540
.LBB39_317:
	s_andn2_b32 vcc_lo, exec_lo, s1
	s_cbranch_vccnz .LBB39_588
.LBB39_318:
	s_waitcnt vmcnt(0)
	v_lshlrev_b32_e32 v7, 16, v3
                                        ; implicit-def: $vgpr2
	s_mov_b32 s0, exec_lo
	v_cmpx_neq_f32_e32 0, v7
	s_xor_b32 s23, exec_lo, s0
	s_cbranch_execz .LBB39_340
; %bb.319:
	v_mov_b32_e32 v1, 0
	s_mov_b32 s0, -1
	s_mov_b32 s39, exec_lo
	v_cmpx_gt_f32_e32 0, v7
	s_cbranch_execz .LBB39_327
; %bb.320:
	v_trunc_f32_e32 v1, v7
	s_mov_b32 s1, 0
	v_cmp_neq_f32_e32 vcc_lo, v1, v7
	v_mov_b32_e32 v1, 0
	s_and_saveexec_b32 s40, vcc_lo
	s_cbranch_execz .LBB39_326
; %bb.321:
	v_cvt_f64_f32_e32 v[1:2], v7
	s_mov_b32 s1, 0xc00921fb
	s_mov_b32 s0, 0x54442d18
	s_mov_b32 s42, exec_lo
                                        ; implicit-def: $vgpr9
                                        ; implicit-def: $vgpr5_vgpr6
	v_trunc_f64_e32 v[3:4], v[1:2]
	v_cmp_neq_f64_e64 vcc_lo, 0x7ff00000, |v[1:2]|
	v_add_f64 v[3:4], v[1:2], -v[3:4]
	v_mul_f64 v[3:4], |v[3:4]|, s[0:1]
	v_cndmask_b32_e32 v2, 0x80000000, v4, vcc_lo
	v_cndmask_b32_e32 v1, 0, v3, vcc_lo
                                        ; implicit-def: $vgpr3_vgpr4
	v_cmpx_ngt_f64_e64 0x41d00000, |v[1:2]|
	s_xor_b32 s42, exec_lo, s42
	s_cbranch_execz .LBB39_323
; %bb.322:
	v_ldexp_f64 v[3:4], |v[1:2]|, 0xffffff80
	v_cmp_le_f64_e64 vcc_lo, 0x7b000000, |v[1:2]|
	v_trig_preop_f64 v[5:6], |v[1:2]|, 0
	v_and_b32_e32 v9, 0x7fffffff, v2
	v_trig_preop_f64 v[19:20], |v[1:2]|, 2
	v_mov_b32_e32 v27, 0
	s_mov_b32 s1, 0x3ff921fb
	s_mov_b32 s44, 0x33145c07
	;; [unrolled: 1-line block ×3, first 2 shown]
	v_cndmask_b32_e32 v4, v9, v4, vcc_lo
	v_cndmask_b32_e32 v3, v1, v3, vcc_lo
	v_trig_preop_f64 v[9:10], |v[1:2]|, 1
	v_mul_f64 v[11:12], v[5:6], v[3:4]
	v_mul_f64 v[25:26], v[19:20], v[3:4]
	;; [unrolled: 1-line block ×3, first 2 shown]
	v_fma_f64 v[5:6], v[5:6], v[3:4], -v[11:12]
	v_fma_f64 v[9:10], v[9:10], v[3:4], -v[13:14]
	;; [unrolled: 1-line block ×3, first 2 shown]
	v_add_f64 v[15:16], v[13:14], v[5:6]
	v_add_f64 v[17:18], v[15:16], -v[13:14]
	v_add_f64 v[23:24], v[11:12], v[15:16]
	v_add_f64 v[21:22], v[15:16], -v[17:18]
	v_add_f64 v[5:6], v[5:6], -v[17:18]
	v_ldexp_f64 v[17:18], v[23:24], -2
	v_add_f64 v[11:12], v[23:24], -v[11:12]
	v_add_f64 v[13:14], v[13:14], -v[21:22]
	v_add_f64 v[21:22], v[25:26], v[9:10]
	v_cmp_neq_f64_e64 vcc_lo, 0x7ff00000, |v[17:18]|
	v_add_f64 v[11:12], v[15:16], -v[11:12]
	v_add_f64 v[5:6], v[5:6], v[13:14]
	v_fract_f64_e32 v[13:14], v[17:18]
	v_add_f64 v[15:16], v[21:22], v[5:6]
	v_ldexp_f64 v[13:14], v[13:14], 2
	v_add_f64 v[17:18], v[11:12], v[15:16]
	v_cndmask_b32_e32 v14, 0, v14, vcc_lo
	v_cndmask_b32_e32 v13, 0, v13, vcc_lo
	v_add_f64 v[23:24], v[17:18], v[13:14]
	v_add_f64 v[11:12], v[17:18], -v[11:12]
	v_cmp_gt_f64_e32 vcc_lo, 0, v[23:24]
	v_add_f64 v[23:24], v[21:22], -v[25:26]
	v_cndmask_b32_e64 v28, 0, 0x40100000, vcc_lo
	v_add_f64 v[32:33], v[21:22], -v[23:24]
	v_add_f64 v[9:10], v[9:10], -v[23:24]
	v_add_f64 v[13:14], v[13:14], v[27:28]
	v_add_f64 v[28:29], v[15:16], -v[21:22]
	v_add_f64 v[23:24], v[25:26], -v[32:33]
	v_add_f64 v[30:31], v[17:18], v[13:14]
	;; [unrolled: 3-line block ×3, first 2 shown]
	v_cvt_i32_f64_e32 v30, v[30:31]
	v_add_f64 v[21:22], v[21:22], -v[34:35]
	v_cvt_f64_i32_e32 v[28:29], v30
	v_add_f64 v[5:6], v[5:6], v[21:22]
	v_add_f64 v[13:14], v[13:14], -v[28:29]
	v_add_f64 v[5:6], v[9:10], v[5:6]
	v_add_f64 v[9:10], v[15:16], -v[11:12]
	v_add_f64 v[19:20], v[17:18], v[13:14]
	v_add_f64 v[3:4], v[3:4], v[5:6]
	v_add_f64 v[5:6], v[19:20], -v[13:14]
	v_cmp_le_f64_e32 vcc_lo, 0.5, v[19:20]
	v_add_f64 v[3:4], v[9:10], v[3:4]
	v_add_f64 v[5:6], v[17:18], -v[5:6]
	v_cndmask_b32_e64 v28, 0, 0x3ff00000, vcc_lo
	v_add_co_ci_u32_e64 v9, null, 0, v30, vcc_lo
	v_add_f64 v[3:4], v[3:4], v[5:6]
	v_add_f64 v[5:6], v[19:20], -v[27:28]
	v_add_f64 v[10:11], v[5:6], v[3:4]
	v_mul_f64 v[12:13], v[10:11], s[0:1]
	v_add_f64 v[5:6], v[10:11], -v[5:6]
	v_fma_f64 v[14:15], v[10:11], s[0:1], -v[12:13]
	v_add_f64 v[3:4], v[3:4], -v[5:6]
	v_fma_f64 v[5:6], v[10:11], s[44:45], v[14:15]
	v_fma_f64 v[5:6], v[3:4], s[0:1], v[5:6]
	v_add_f64 v[3:4], v[12:13], v[5:6]
	v_add_f64 v[10:11], v[3:4], -v[12:13]
	v_add_f64 v[5:6], v[5:6], -v[10:11]
.LBB39_323:
	s_andn2_saveexec_b32 s0, s42
	s_cbranch_execz .LBB39_325
; %bb.324:
	s_mov_b32 s42, 0x6dc9c883
	s_mov_b32 s43, 0x3fe45f30
	;; [unrolled: 1-line block ×3, first 2 shown]
	v_mul_f64 v[3:4], |v[1:2]|, s[42:43]
	s_mov_b32 s42, 0x54442d18
	s_mov_b32 s43, 0xbff921fb
	;; [unrolled: 1-line block ×3, first 2 shown]
	v_rndne_f64_e32 v[9:10], v[3:4]
	v_fma_f64 v[3:4], v[9:10], s[42:43], |v[1:2]|
	v_mul_f64 v[5:6], v[9:10], s[44:45]
	s_mov_b32 s42, 0x252049c0
	s_mov_b32 s43, 0xb97b839a
	v_fma_f64 v[13:14], v[9:10], s[44:45], v[3:4]
	v_add_f64 v[11:12], v[3:4], v[5:6]
	s_mov_b32 s45, 0x3c91a626
	v_add_f64 v[3:4], v[3:4], -v[11:12]
	v_add_f64 v[11:12], v[11:12], -v[13:14]
	v_add_f64 v[3:4], v[3:4], v[5:6]
	v_fma_f64 v[5:6], v[9:10], s[44:45], v[5:6]
	v_add_f64 v[3:4], v[11:12], v[3:4]
	v_add_f64 v[3:4], v[3:4], -v[5:6]
	v_fma_f64 v[5:6], v[9:10], s[42:43], v[3:4]
	v_cvt_i32_f64_e32 v9, v[9:10]
	v_add_f64 v[3:4], v[13:14], v[5:6]
	v_add_f64 v[11:12], v[3:4], -v[13:14]
	v_add_f64 v[5:6], v[5:6], -v[11:12]
.LBB39_325:
	s_or_b32 exec_lo, exec_lo, s0
	v_mul_f64 v[10:11], v[3:4], v[3:4]
	v_add_f64 v[12:13], v[5:6], v[5:6]
	s_mov_b32 s42, 0xa9a29f71
	s_mov_b32 s44, 0xc751c08c
	;; [unrolled: 1-line block ×4, first 2 shown]
	v_cmp_class_f64_e64 s0, v[1:2], 0x1f8
	v_and_b32_e32 v9, 1, v9
	v_and_b32_e32 v2, 0x80000000, v2
	v_sub_f32_e32 v7, 1.0, v7
	s_mov_b32 s1, exec_lo
	v_cmp_eq_u32_e32 vcc_lo, 0, v9
	v_fma_f64 v[14:15], v[3:4], v[3:4], -v[10:11]
	v_fma_f64 v[12:13], v[3:4], v[12:13], v[14:15]
	v_add_f64 v[10:11], v[10:11], v[12:13]
	v_fma_f64 v[12:13], v[10:11], s[44:45], s[42:43]
	s_mov_b32 s42, 0x90a8aae0
	s_mov_b32 s43, 0x3f17746f
	v_fma_f64 v[12:13], v[10:11], v[12:13], s[42:43]
	s_mov_b32 s42, 0xa6fbf144
	s_mov_b32 s43, 0xbefbb44d
	;; [unrolled: 3-line block ×13, first 2 shown]
	v_mul_f64 v[10:11], v[10:11], v[12:13]
	v_mul_f64 v[12:13], v[3:4], v[10:11]
	v_add_f64 v[14:15], v[3:4], v[12:13]
	v_fma_f64 v[10:11], v[3:4], v[10:11], -v[12:13]
	v_add_f64 v[3:4], v[14:15], -v[3:4]
	v_add_f64 v[5:6], v[5:6], v[10:11]
	v_add_f64 v[3:4], v[12:13], -v[3:4]
	v_add_f64 v[3:4], v[5:6], v[3:4]
	v_add_f64 v[5:6], v[14:15], v[3:4]
	v_rcp_f64_e32 v[10:11], v[5:6]
	v_fma_f64 v[12:13], -v[5:6], v[10:11], 1.0
	v_fma_f64 v[10:11], v[12:13], v[10:11], v[10:11]
	v_fma_f64 v[12:13], -v[5:6], v[10:11], 1.0
	v_fma_f64 v[10:11], v[12:13], v[10:11], v[10:11]
	v_add_f64 v[12:13], v[5:6], -v[14:15]
	v_mul_f64 v[14:15], v[5:6], v[10:11]
	v_add_f64 v[3:4], v[3:4], -v[12:13]
	v_fma_f64 v[12:13], v[10:11], v[5:6], -v[14:15]
	v_fma_f64 v[3:4], v[10:11], v[3:4], v[12:13]
	v_add_f64 v[12:13], v[14:15], v[3:4]
	v_add_f64 v[16:17], -v[12:13], 1.0
	v_add_f64 v[14:15], v[12:13], -v[14:15]
	v_add_f64 v[18:19], -v[16:17], 1.0
	v_add_f64 v[3:4], v[14:15], -v[3:4]
	v_add_f64 v[12:13], v[18:19], -v[12:13]
	v_add_f64 v[3:4], v[3:4], v[12:13]
	v_add_f64 v[3:4], v[16:17], v[3:4]
	v_mul_f64 v[3:4], v[10:11], v[3:4]
	v_add_f64 v[3:4], v[10:11], v[3:4]
	v_xor_b32_e32 v1, 0x80000000, v4
	v_cndmask_b32_e32 v3, v3, v5, vcc_lo
	v_cndmask_b32_e32 v1, v1, v6, vcc_lo
	v_xor_b32_e32 v2, v1, v2
	v_cndmask_b32_e64 v1, 0, v3, s0
	v_cndmask_b32_e64 v2, 0x7ff80000, v2, s0
	v_div_scale_f64 v[3:4], null, v[1:2], v[1:2], s[42:43]
	v_rcp_f64_e32 v[5:6], v[3:4]
	v_fma_f64 v[9:10], -v[3:4], v[5:6], 1.0
	v_fma_f64 v[5:6], v[5:6], v[9:10], v[5:6]
	v_fma_f64 v[9:10], -v[3:4], v[5:6], 1.0
	v_fma_f64 v[5:6], v[5:6], v[9:10], v[5:6]
	v_div_scale_f64 v[9:10], vcc_lo, s[42:43], v[1:2], s[42:43]
	v_mul_f64 v[11:12], v[9:10], v[5:6]
	v_fma_f64 v[3:4], -v[3:4], v[11:12], v[9:10]
	v_div_fmas_f64 v[3:4], v[3:4], v[5:6], v[11:12]
	v_div_fixup_f64 v[1:2], v[3:4], v[1:2], s[42:43]
	v_cvt_f32_f64_e32 v1, v[1:2]
.LBB39_326:
	s_or_b32 exec_lo, exec_lo, s40
	s_orn2_b32 s0, s1, exec_lo
.LBB39_327:
	s_or_b32 exec_lo, exec_lo, s39
	v_mov_b32_e32 v2, 0x7fc0
	s_and_saveexec_b32 s1, s0
	s_cbranch_execz .LBB39_339
; %bb.328:
	s_mov_b32 s0, exec_lo
	v_cmpx_gt_f32_e32 0x41200000, v7
	s_cbranch_execz .LBB39_332
; %bb.329:
	s_mov_b32 s39, 0
	.p2align	6
.LBB39_330:                             ; =>This Inner Loop Header: Depth=1
	v_div_scale_f32 v2, null, v7, v7, 1.0
	v_div_scale_f32 v5, vcc_lo, 1.0, v7, 1.0
	v_rcp_f32_e32 v3, v2
	v_fma_f32 v4, -v2, v3, 1.0
	v_fmac_f32_e32 v3, v4, v3
	v_mul_f32_e32 v4, v5, v3
	v_fma_f32 v6, -v2, v4, v5
	v_fmac_f32_e32 v4, v6, v3
	v_fma_f32 v2, -v2, v4, v5
	v_div_fmas_f32 v2, v2, v3, v4
	v_div_fixup_f32 v2, v2, v7, 1.0
	v_add_f32_e32 v7, 1.0, v7
	v_sub_f32_e32 v1, v1, v2
	v_cmp_ngt_f32_e32 vcc_lo, 0x41200000, v7
	s_or_b32 s39, vcc_lo, s39
	s_andn2_b32 exec_lo, exec_lo, s39
	s_cbranch_execnz .LBB39_330
; %bb.331:
	s_or_b32 exec_lo, exec_lo, s39
.LBB39_332:
	s_or_b32 exec_lo, exec_lo, s0
                                        ; implicit-def: $vgpr2
	s_mov_b32 s0, exec_lo
	v_cmpx_neq_f32_e32 0x41200000, v7
	s_xor_b32 s39, exec_lo, s0
	s_cbranch_execz .LBB39_336
; %bb.333:
	v_cvt_f64_f32_e32 v[2:3], v7
	s_mov_b32 s42, 0x85d8a000
	s_mov_b32 s43, 0x43763457
	v_cmp_gt_f64_e32 vcc_lo, s[42:43], v[2:3]
	v_mov_b32_e32 v2, 0
	s_and_saveexec_b32 s0, vcc_lo
	s_cbranch_execz .LBB39_335
; %bb.334:
	v_mul_f32_e32 v2, v7, v7
	v_div_scale_f32 v3, null, v2, v2, 1.0
	v_rcp_f32_e32 v4, v3
	v_fma_f32 v5, -v3, v4, 1.0
	v_fmac_f32_e32 v4, v5, v4
	v_div_scale_f32 v5, vcc_lo, 1.0, v2, 1.0
	v_mul_f32_e32 v6, v5, v4
	v_fma_f32 v9, -v3, v6, v5
	v_fmac_f32_e32 v6, v9, v4
	v_fma_f32 v3, -v3, v6, v5
	v_div_fmas_f32 v3, v3, v4, v6
	v_div_fixup_f32 v2, v3, v2, 1.0
	v_fmaak_f32 v3, 0, v2, 0x3daaaaab
	v_fmaak_f32 v3, v2, v3, 0xbcaccacd
	;; [unrolled: 1-line block ×7, first 2 shown]
	v_mul_f32_e32 v2, v2, v3
.LBB39_335:
	s_or_b32 exec_lo, exec_lo, s0
	v_cmp_gt_f32_e32 vcc_lo, 0x800000, v7
	v_div_scale_f32 v3, null, v7, v7, -0.5
	v_div_scale_f32 v9, s0, -0.5, v7, -0.5
	v_cndmask_b32_e64 v4, 0, 32, vcc_lo
	v_rcp_f32_e32 v5, v3
	v_ldexp_f32 v4, v7, v4
	v_log_f32_e32 v4, v4
	v_fma_f32 v6, -v3, v5, 1.0
	v_fmac_f32_e32 v5, v6, v5
	v_mul_f32_e32 v6, 0x3f317217, v4
	v_mul_f32_e32 v10, v9, v5
	v_fma_f32 v6, 0x3f317217, v4, -v6
	v_fma_f32 v11, -v3, v10, v9
	v_fmamk_f32 v6, v4, 0x3377d1cf, v6
	v_fmac_f32_e32 v10, v11, v5
	v_cndmask_b32_e64 v11, 0, 0x41b17218, vcc_lo
	v_cmp_gt_f32_e64 vcc_lo, 0x7f800000, |v4|
	v_fmac_f32_e32 v6, 0x3f317217, v4
	v_fma_f32 v3, -v3, v10, v9
	v_cndmask_b32_e32 v4, v4, v6, vcc_lo
	s_mov_b32 vcc_lo, s0
	v_div_fmas_f32 v3, v3, v5, v10
	v_sub_f32_e32 v4, v4, v11
	v_div_fixup_f32 v3, v3, v7, -0.5
	v_add_f32_e32 v3, v4, v3
	v_sub_f32_e32 v2, v3, v2
	v_add_f32_e32 v1, v1, v2
	v_bfe_u32 v2, v1, 16, 1
	v_cmp_o_f32_e32 vcc_lo, v1, v1
	v_add3_u32 v1, v1, v2, 0x7fff
	v_mov_b32_e32 v2, 0x7fc0
	v_cndmask_b32_sdwa v2, v2, v1, vcc_lo dst_sel:DWORD dst_unused:UNUSED_PAD src0_sel:DWORD src1_sel:WORD_1
                                        ; implicit-def: $vgpr1
.LBB39_336:
	s_andn2_saveexec_b32 s0, s39
; %bb.337:
	v_add_f32_e32 v1, 0x40101cb7, v1
	v_bfe_u32 v2, v1, 16, 1
	v_cmp_o_f32_e32 vcc_lo, v1, v1
	v_add3_u32 v1, v1, v2, 0x7fff
	v_mov_b32_e32 v2, 0x7fc0
	v_cndmask_b32_sdwa v2, v2, v1, vcc_lo dst_sel:DWORD dst_unused:UNUSED_PAD src0_sel:DWORD src1_sel:WORD_1
; %bb.338:
	s_or_b32 exec_lo, exec_lo, s0
.LBB39_339:
	s_or_b32 exec_lo, exec_lo, s1
                                        ; implicit-def: $vgpr7
.LBB39_340:
	s_andn2_saveexec_b32 s0, s23
; %bb.341:
	v_xor_b32_e32 v1, 0x80000000, v7
	s_mov_b32 s1, 0x7f800000
	v_and_or_b32 v1, 0x80000000, v1, s1
	v_lshrrev_b32_e32 v2, 16, v1
; %bb.342:
	s_or_b32 exec_lo, exec_lo, s0
	v_add_co_u32 v0, s0, s8, v0
	v_add_co_ci_u32_e64 v1, null, s9, 0, s0
	s_and_b32 s1, s29, 0xff
	s_cmp_lt_i32 s1, 11
	s_cbranch_scc1 .LBB39_350
; %bb.343:
	s_and_b32 s23, 0xffff, s1
	s_cmp_gt_i32 s23, 25
	s_cbranch_scc0 .LBB39_352
; %bb.344:
	s_cmp_gt_i32 s23, 28
	s_cbranch_scc0 .LBB39_354
; %bb.345:
	;; [unrolled: 3-line block ×4, first 2 shown]
	s_mov_b32 s40, 0
	s_mov_b32 s0, -1
	s_cmp_eq_u32 s23, 46
	s_mov_b32 s39, 0
	s_cbranch_scc0 .LBB39_367
; %bb.348:
	v_and_b32_e32 v3, 0xffff, v2
	s_mov_b32 s39, -1
	s_mov_b32 s0, 0
	global_store_dword v[0:1], v3, off
	s_branch .LBB39_367
.LBB39_349:
	s_mov_b32 s23, -1
	s_mov_b32 s1, 0
	s_mov_b32 s22, s37
                                        ; implicit-def: $vgpr3
	s_branch .LBB39_504
.LBB39_350:
	s_mov_b32 s23, -1
	s_mov_b32 s39, 0
	s_mov_b32 s0, s36
	s_branch .LBB39_436
.LBB39_351:
	s_mov_b32 s23, -1
	s_mov_b32 s1, 0
	s_mov_b32 s22, s37
                                        ; implicit-def: $vgpr3
	s_branch .LBB39_485
.LBB39_352:
	s_mov_b32 s40, -1
	s_mov_b32 s39, 0
	s_mov_b32 s0, s36
	s_branch .LBB39_394
.LBB39_353:
	s_mov_b32 s23, -1
	s_mov_b32 s1, 0
	s_mov_b32 s22, s37
                                        ; implicit-def: $vgpr3
	s_branch .LBB39_480
.LBB39_354:
	s_mov_b32 s40, -1
	s_mov_b32 s39, 0
	s_mov_b32 s0, s36
	s_branch .LBB39_377
.LBB39_355:
	s_andn2_saveexec_b32 s40, s40
	s_cbranch_execz .LBB39_92
.LBB39_356:
	v_add_f32_e64 v4, 0x46000000, |v5|
	s_andn2_b32 s37, s37, exec_lo
	v_and_b32_e32 v4, 0xff, v4
	v_cmp_ne_u32_e32 vcc_lo, 0, v4
	s_and_b32 s41, vcc_lo, exec_lo
	s_or_b32 s37, s37, s41
	s_or_b32 exec_lo, exec_lo, s40
	v_mov_b32_e32 v6, 0
	s_and_saveexec_b32 s40, s37
	s_cbranch_execnz .LBB39_93
	s_branch .LBB39_94
.LBB39_357:
	s_mov_b32 s23, -1
	s_mov_b32 s1, 0
	s_mov_b32 s22, s37
	s_branch .LBB39_362
.LBB39_358:
	s_mov_b32 s40, -1
	s_mov_b32 s39, 0
	s_mov_b32 s0, s36
	s_branch .LBB39_373
.LBB39_359:
	s_andn2_saveexec_b32 s40, s40
	s_cbranch_execz .LBB39_105
.LBB39_360:
	v_add_f32_e64 v4, 0x42800000, |v5|
	s_andn2_b32 s37, s37, exec_lo
	v_and_b32_e32 v4, 0xff, v4
	v_cmp_ne_u32_e32 vcc_lo, 0, v4
	s_and_b32 s41, vcc_lo, exec_lo
	s_or_b32 s37, s37, s41
	s_or_b32 exec_lo, exec_lo, s40
	v_mov_b32_e32 v6, 0
	s_and_saveexec_b32 s40, s37
	s_cbranch_execnz .LBB39_106
	s_branch .LBB39_107
.LBB39_361:
	s_mov_b32 s22, -1
	s_mov_b32 s1, 0
.LBB39_362:
                                        ; implicit-def: $vgpr3
.LBB39_363:
	s_and_b32 vcc_lo, exec_lo, s23
	s_cbranch_vccz .LBB39_479
; %bb.364:
	s_cmp_eq_u32 s0, 44
	s_cbranch_scc0 .LBB39_478
; %bb.365:
	global_load_ubyte v3, v[1:2], off
	s_mov_b32 s22, 0
	s_mov_b32 s1, -1
	s_waitcnt vmcnt(0)
	v_lshlrev_b32_e32 v4, 23, v3
	v_cmp_ne_u32_e32 vcc_lo, 0xff, v3
	v_cndmask_b32_e32 v4, 0x7f800001, v4, vcc_lo
	v_cmp_ne_u32_e32 vcc_lo, 0, v3
	v_cndmask_b32_e32 v3, 0x400000, v4, vcc_lo
	v_mov_b32_e32 v4, 0x7fc0
	v_cmp_o_f32_e32 vcc_lo, v3, v3
	v_add_nc_u32_e32 v3, 0x7fff, v3
	v_cndmask_b32_sdwa v3, v4, v3, vcc_lo dst_sel:DWORD dst_unused:UNUSED_PAD src0_sel:DWORD src1_sel:WORD_1
	s_branch .LBB39_479
.LBB39_366:
	s_mov_b32 s40, -1
	s_mov_b32 s39, 0
	s_mov_b32 s0, s36
.LBB39_367:
	s_and_b32 vcc_lo, exec_lo, s40
	s_cbranch_vccz .LBB39_372
; %bb.368:
	s_cmp_eq_u32 s23, 44
	s_mov_b32 s0, -1
	s_cbranch_scc0 .LBB39_372
; %bb.369:
	v_and_b32_e32 v3, 0xffff, v2
	v_mov_b32_e32 v4, 0xff
	s_mov_b32 s39, exec_lo
	v_bfe_u32 v5, v3, 7, 8
	v_cmpx_ne_u32_e32 0xff, v5
	s_cbranch_execz .LBB39_371
; %bb.370:
	v_lshlrev_b32_e32 v4, 16, v3
	v_and_b32_e32 v6, 64, v3
	v_lshrrev_b32_e32 v3, 7, v3
	v_and_or_b32 v4, 0x3f0000, v4, v5
	v_cmp_ne_u32_e32 vcc_lo, 0, v6
	v_cmp_ne_u32_e64 s0, 0, v4
	s_and_b32 s0, vcc_lo, s0
	v_cndmask_b32_e64 v4, 0, 1, s0
	v_add_nc_u32_e32 v4, v3, v4
.LBB39_371:
	s_or_b32 exec_lo, exec_lo, s39
	s_mov_b32 s39, -1
	s_mov_b32 s0, 0
	global_store_byte v[0:1], v4, off
.LBB39_372:
	s_mov_b32 s40, 0
.LBB39_373:
	s_and_b32 vcc_lo, exec_lo, s40
	s_cbranch_vccz .LBB39_376
; %bb.374:
	s_cmp_eq_u32 s23, 29
	s_mov_b32 s0, -1
	s_cbranch_scc0 .LBB39_376
; %bb.375:
	v_lshlrev_b32_e32 v3, 16, v2
	s_mov_b32 s39, -1
	s_mov_b32 s0, 0
	s_mov_b32 s40, 0
	v_trunc_f32_e32 v3, v3
	v_mul_f32_e32 v4, 0x2f800000, v3
	v_floor_f32_e32 v4, v4
	v_fmamk_f32 v3, v4, 0xcf800000, v3
	v_cvt_u32_f32_e32 v4, v4
	v_cvt_u32_f32_e32 v3, v3
	global_store_dwordx2 v[0:1], v[3:4], off
	s_branch .LBB39_377
.LBB39_376:
	s_mov_b32 s40, 0
.LBB39_377:
	s_and_b32 vcc_lo, exec_lo, s40
	s_cbranch_vccz .LBB39_393
; %bb.378:
	s_cmp_lt_i32 s23, 27
	s_mov_b32 s39, -1
	s_cbranch_scc1 .LBB39_384
; %bb.379:
	s_cmp_gt_i32 s23, 27
	s_cbranch_scc0 .LBB39_381
; %bb.380:
	v_lshlrev_b32_e32 v3, 16, v2
	s_mov_b32 s39, 0
	v_cvt_u32_f32_e32 v3, v3
	global_store_dword v[0:1], v3, off
.LBB39_381:
	s_andn2_b32 vcc_lo, exec_lo, s39
	s_cbranch_vccnz .LBB39_383
; %bb.382:
	v_lshlrev_b32_e32 v3, 16, v2
	v_cvt_u32_f32_e32 v3, v3
	global_store_short v[0:1], v3, off
.LBB39_383:
	s_mov_b32 s39, 0
.LBB39_384:
	s_andn2_b32 vcc_lo, exec_lo, s39
	s_cbranch_vccnz .LBB39_392
; %bb.385:
	v_lshlrev_b32_e32 v5, 16, v2
	v_mov_b32_e32 v6, 0x80
	s_mov_b32 s39, exec_lo
	v_and_b32_e32 v4, 0x7fffffff, v5
	v_cmpx_gt_u32_e32 0x43800000, v4
	s_cbranch_execz .LBB39_391
; %bb.386:
	v_and_b32_e32 v3, 0xffff, v2
	v_cmp_lt_u32_e32 vcc_lo, 0x3bffffff, v4
	s_mov_b32 s40, 0
                                        ; implicit-def: $vgpr4
	s_and_saveexec_b32 s42, vcc_lo
	s_xor_b32 s42, exec_lo, s42
	s_cbranch_execz .LBB39_619
; %bb.387:
	v_bfe_u32 v4, v3, 4, 1
	s_mov_b32 s40, exec_lo
	v_add3_u32 v4, v5, v4, 0x487ffff
                                        ; implicit-def: $vgpr5
	v_lshrrev_b32_e32 v4, 20, v4
	s_andn2_saveexec_b32 s42, s42
	s_cbranch_execnz .LBB39_620
.LBB39_388:
	s_or_b32 exec_lo, exec_lo, s42
	v_mov_b32_e32 v6, 0
	s_and_saveexec_b32 s42, s40
.LBB39_389:
	v_lshrrev_b32_e32 v3, 8, v3
	v_and_or_b32 v6, 0x80, v3, v4
.LBB39_390:
	s_or_b32 exec_lo, exec_lo, s42
.LBB39_391:
	s_or_b32 exec_lo, exec_lo, s39
	global_store_byte v[0:1], v6, off
.LBB39_392:
	s_mov_b32 s39, -1
.LBB39_393:
	s_mov_b32 s40, 0
.LBB39_394:
	s_and_b32 vcc_lo, exec_lo, s40
	s_cbranch_vccz .LBB39_435
; %bb.395:
	s_cmp_gt_i32 s23, 22
	s_mov_b32 s40, -1
	s_cbranch_scc0 .LBB39_427
; %bb.396:
	s_cmp_lt_i32 s23, 24
	s_mov_b32 s39, -1
	s_cbranch_scc1 .LBB39_416
; %bb.397:
	s_cmp_gt_i32 s23, 24
	s_cbranch_scc0 .LBB39_405
; %bb.398:
	v_lshlrev_b32_e32 v5, 16, v2
	v_mov_b32_e32 v6, 0x80
	s_mov_b32 s39, exec_lo
	v_and_b32_e32 v4, 0x7fffffff, v5
	v_cmpx_gt_u32_e32 0x47800000, v4
	s_cbranch_execz .LBB39_404
; %bb.399:
	v_and_b32_e32 v3, 0xffff, v2
	v_cmp_lt_u32_e32 vcc_lo, 0x37ffffff, v4
	s_mov_b32 s40, 0
                                        ; implicit-def: $vgpr4
	s_and_saveexec_b32 s42, vcc_lo
	s_xor_b32 s42, exec_lo, s42
	s_cbranch_execz .LBB39_622
; %bb.400:
	v_bfe_u32 v4, v3, 5, 1
	s_mov_b32 s40, exec_lo
	v_add3_u32 v4, v5, v4, 0x88fffff
                                        ; implicit-def: $vgpr5
	v_lshrrev_b32_e32 v4, 21, v4
	s_andn2_saveexec_b32 s42, s42
	s_cbranch_execnz .LBB39_623
.LBB39_401:
	s_or_b32 exec_lo, exec_lo, s42
	v_mov_b32_e32 v6, 0
	s_and_saveexec_b32 s42, s40
.LBB39_402:
	v_lshrrev_b32_e32 v3, 8, v3
	v_and_or_b32 v6, 0x80, v3, v4
.LBB39_403:
	s_or_b32 exec_lo, exec_lo, s42
.LBB39_404:
	s_or_b32 exec_lo, exec_lo, s39
	s_mov_b32 s39, 0
	global_store_byte v[0:1], v6, off
.LBB39_405:
	s_and_b32 vcc_lo, exec_lo, s39
	s_cbranch_vccz .LBB39_415
; %bb.406:
	v_lshlrev_b32_e32 v5, 16, v2
	v_and_b32_e32 v3, 0xffff, v2
	s_mov_b32 s39, exec_lo
                                        ; implicit-def: $vgpr4
	v_and_b32_e32 v6, 0x7fffffff, v5
	v_cmpx_gt_u32_e32 0x43f00000, v6
	s_xor_b32 s39, exec_lo, s39
	s_cbranch_execz .LBB39_412
; %bb.407:
	s_mov_b32 s40, exec_lo
                                        ; implicit-def: $vgpr4
	v_cmpx_lt_u32_e32 0x3c7fffff, v6
	s_xor_b32 s40, exec_lo, s40
; %bb.408:
	v_bfe_u32 v4, v3, 4, 1
	v_add3_u32 v4, v5, v4, 0x407ffff
	v_and_b32_e32 v5, 0xff00000, v4
	v_lshrrev_b32_e32 v4, 20, v4
	v_cmp_ne_u32_e32 vcc_lo, 0x7f00000, v5
                                        ; implicit-def: $vgpr5
	v_cndmask_b32_e32 v4, 0x7e, v4, vcc_lo
; %bb.409:
	s_andn2_saveexec_b32 s40, s40
; %bb.410:
	v_add_f32_e64 v4, 0x46800000, |v5|
; %bb.411:
	s_or_b32 exec_lo, exec_lo, s40
                                        ; implicit-def: $vgpr6
.LBB39_412:
	s_andn2_saveexec_b32 s39, s39
; %bb.413:
	v_mov_b32_e32 v4, 0x7f
	v_cmp_lt_u32_e32 vcc_lo, 0x7f800000, v6
	v_cndmask_b32_e32 v4, 0x7e, v4, vcc_lo
; %bb.414:
	s_or_b32 exec_lo, exec_lo, s39
	v_lshrrev_b32_e32 v3, 8, v3
	v_and_or_b32 v3, 0x80, v3, v4
	global_store_byte v[0:1], v3, off
.LBB39_415:
	s_mov_b32 s39, 0
.LBB39_416:
	s_andn2_b32 vcc_lo, exec_lo, s39
	s_cbranch_vccnz .LBB39_426
; %bb.417:
	v_lshlrev_b32_e32 v5, 16, v2
	v_and_b32_e32 v3, 0xffff, v2
	s_mov_b32 s39, exec_lo
                                        ; implicit-def: $vgpr4
	v_and_b32_e32 v6, 0x7fffffff, v5
	v_cmpx_gt_u32_e32 0x47800000, v6
	s_xor_b32 s39, exec_lo, s39
	s_cbranch_execz .LBB39_423
; %bb.418:
	s_mov_b32 s40, exec_lo
                                        ; implicit-def: $vgpr4
	v_cmpx_lt_u32_e32 0x387fffff, v6
	s_xor_b32 s40, exec_lo, s40
; %bb.419:
	v_bfe_u32 v4, v3, 5, 1
	v_add3_u32 v4, v5, v4, 0x80fffff
                                        ; implicit-def: $vgpr5
	v_lshrrev_b32_e32 v4, 21, v4
; %bb.420:
	s_andn2_saveexec_b32 s40, s40
; %bb.421:
	v_add_f32_e64 v4, 0x43000000, |v5|
; %bb.422:
	s_or_b32 exec_lo, exec_lo, s40
                                        ; implicit-def: $vgpr6
.LBB39_423:
	s_andn2_saveexec_b32 s39, s39
; %bb.424:
	v_mov_b32_e32 v4, 0x7f
	v_cmp_lt_u32_e32 vcc_lo, 0x7f800000, v6
	v_cndmask_b32_e32 v4, 0x7c, v4, vcc_lo
; %bb.425:
	s_or_b32 exec_lo, exec_lo, s39
	v_lshrrev_b32_e32 v3, 8, v3
	v_and_or_b32 v3, 0x80, v3, v4
	global_store_byte v[0:1], v3, off
.LBB39_426:
	s_mov_b32 s40, 0
	s_mov_b32 s39, -1
.LBB39_427:
	s_andn2_b32 vcc_lo, exec_lo, s40
	s_cbranch_vccnz .LBB39_435
; %bb.428:
	s_cmp_gt_i32 s23, 14
	s_mov_b32 s40, -1
	s_cbranch_scc0 .LBB39_432
; %bb.429:
	s_cmp_eq_u32 s23, 15
	s_mov_b32 s0, -1
	s_cbranch_scc0 .LBB39_431
; %bb.430:
	s_mov_b32 s39, -1
	s_mov_b32 s0, 0
	global_store_short v[0:1], v2, off
.LBB39_431:
	s_mov_b32 s40, 0
.LBB39_432:
	s_and_b32 vcc_lo, exec_lo, s40
	s_cbranch_vccz .LBB39_435
; %bb.433:
	s_cmp_eq_u32 s23, 11
	s_mov_b32 s0, -1
	s_cbranch_scc0 .LBB39_435
; %bb.434:
	v_and_b32_e32 v3, 0x7fff, v2
	s_mov_b32 s0, 0
	s_mov_b32 s39, -1
	v_cmp_ne_u16_e32 vcc_lo, 0, v3
	v_cndmask_b32_e64 v3, 0, 1, vcc_lo
	global_store_byte v[0:1], v3, off
.LBB39_435:
	s_mov_b32 s23, 0
.LBB39_436:
	s_and_b32 vcc_lo, exec_lo, s23
	s_cbranch_vccz .LBB39_475
; %bb.437:
	s_and_b32 s1, 0xffff, s1
	s_mov_b32 s23, -1
	s_cmp_lt_i32 s1, 5
	s_cbranch_scc1 .LBB39_458
; %bb.438:
	s_cmp_lt_i32 s1, 8
	s_cbranch_scc1 .LBB39_448
; %bb.439:
	s_cmp_lt_i32 s1, 9
	s_cbranch_scc1 .LBB39_445
; %bb.440:
	s_cmp_gt_i32 s1, 9
	s_cbranch_scc0 .LBB39_442
; %bb.441:
	v_lshlrev_b32_e32 v3, 16, v2
	v_mov_b32_e32 v5, 0
	s_mov_b32 s23, 0
	v_cvt_f64_f32_e32 v[3:4], v3
	v_mov_b32_e32 v6, v5
	global_store_dwordx4 v[0:1], v[3:6], off
.LBB39_442:
	s_andn2_b32 vcc_lo, exec_lo, s23
	s_cbranch_vccnz .LBB39_444
; %bb.443:
	v_lshlrev_b32_e32 v3, 16, v2
	v_mov_b32_e32 v4, 0
	global_store_dwordx2 v[0:1], v[3:4], off
.LBB39_444:
	s_mov_b32 s23, 0
.LBB39_445:
	s_andn2_b32 vcc_lo, exec_lo, s23
	s_cbranch_vccnz .LBB39_447
; %bb.446:
	v_lshlrev_b32_e32 v3, 16, v2
	v_cvt_f16_f32_e32 v3, v3
	v_and_b32_e32 v3, 0xffff, v3
	global_store_dword v[0:1], v3, off
.LBB39_447:
	s_mov_b32 s23, 0
.LBB39_448:
	s_andn2_b32 vcc_lo, exec_lo, s23
	s_cbranch_vccnz .LBB39_457
; %bb.449:
	s_cmp_lt_i32 s1, 6
	s_mov_b32 s23, -1
	s_cbranch_scc1 .LBB39_455
; %bb.450:
	s_cmp_gt_i32 s1, 6
	s_cbranch_scc0 .LBB39_452
; %bb.451:
	v_lshlrev_b32_e32 v3, 16, v2
	s_mov_b32 s23, 0
	v_cvt_f64_f32_e32 v[3:4], v3
	global_store_dwordx2 v[0:1], v[3:4], off
.LBB39_452:
	s_andn2_b32 vcc_lo, exec_lo, s23
	s_cbranch_vccnz .LBB39_454
; %bb.453:
	v_lshlrev_b32_e32 v3, 16, v2
	global_store_dword v[0:1], v3, off
.LBB39_454:
	s_mov_b32 s23, 0
.LBB39_455:
	s_andn2_b32 vcc_lo, exec_lo, s23
	s_cbranch_vccnz .LBB39_457
; %bb.456:
	v_lshlrev_b32_e32 v3, 16, v2
	v_cvt_f16_f32_e32 v3, v3
	global_store_short v[0:1], v3, off
.LBB39_457:
	s_mov_b32 s23, 0
.LBB39_458:
	s_andn2_b32 vcc_lo, exec_lo, s23
	s_cbranch_vccnz .LBB39_474
; %bb.459:
	s_cmp_lt_i32 s1, 2
	s_mov_b32 s23, -1
	s_cbranch_scc1 .LBB39_469
; %bb.460:
	s_cmp_lt_i32 s1, 3
	s_cbranch_scc1 .LBB39_466
; %bb.461:
	s_cmp_gt_i32 s1, 3
	s_cbranch_scc0 .LBB39_463
; %bb.462:
	v_lshlrev_b32_e32 v3, 16, v2
	s_mov_b32 s23, 0
	v_trunc_f32_e32 v3, v3
	v_mul_f32_e64 v4, 0x2f800000, |v3|
	v_ashrrev_i32_e32 v6, 31, v3
	v_floor_f32_e32 v4, v4
	v_fma_f32 v5, 0xcf800000, v4, |v3|
	v_cvt_u32_f32_e32 v4, v4
	v_cvt_u32_f32_e32 v3, v5
	v_xor_b32_e32 v4, v4, v6
	v_xor_b32_e32 v3, v3, v6
	v_sub_co_u32 v3, vcc_lo, v3, v6
	v_sub_co_ci_u32_e64 v4, null, v4, v6, vcc_lo
	global_store_dwordx2 v[0:1], v[3:4], off
.LBB39_463:
	s_andn2_b32 vcc_lo, exec_lo, s23
	s_cbranch_vccnz .LBB39_465
; %bb.464:
	v_lshlrev_b32_e32 v3, 16, v2
	v_cvt_i32_f32_e32 v3, v3
	global_store_dword v[0:1], v3, off
.LBB39_465:
	s_mov_b32 s23, 0
.LBB39_466:
	s_andn2_b32 vcc_lo, exec_lo, s23
	s_cbranch_vccnz .LBB39_468
; %bb.467:
	v_lshlrev_b32_e32 v3, 16, v2
	v_cvt_i32_f32_e32 v3, v3
	global_store_short v[0:1], v3, off
.LBB39_468:
	s_mov_b32 s23, 0
.LBB39_469:
	s_andn2_b32 vcc_lo, exec_lo, s23
	s_cbranch_vccnz .LBB39_474
; %bb.470:
	v_lshlrev_b32_e32 v2, 16, v2
	s_cmp_gt_i32 s1, 0
	s_mov_b32 s1, -1
	s_cbranch_scc0 .LBB39_472
; %bb.471:
	v_cvt_i32_f32_e32 v3, v2
	s_mov_b32 s1, 0
	global_store_byte v[0:1], v3, off
.LBB39_472:
	s_andn2_b32 vcc_lo, exec_lo, s1
	s_cbranch_vccnz .LBB39_474
; %bb.473:
	v_trunc_f32_e32 v2, v2
	v_mul_f32_e64 v3, 0x2f800000, |v2|
	v_floor_f32_e32 v3, v3
	v_fma_f32 v3, 0xcf800000, v3, |v2|
	v_ashrrev_i32_e32 v2, 31, v2
	v_cvt_u32_f32_e32 v3, v3
	v_xor_b32_e32 v3, v3, v2
	v_sub_nc_u32_e32 v2, v3, v2
	global_store_byte v[0:1], v2, off
.LBB39_474:
	s_mov_b32 s39, -1
.LBB39_475:
	s_andn2_b32 vcc_lo, exec_lo, s39
	s_cbranch_vccnz .LBB39_477
; %bb.476:
	v_add_nc_u32_e32 v8, 0x80, v8
	s_mov_b32 s1, -1
	s_branch .LBB39_590
.LBB39_477:
	s_mov_b32 s1, 0
	s_branch .LBB39_589
.LBB39_478:
	s_mov_b32 s22, -1
                                        ; implicit-def: $vgpr3
.LBB39_479:
	s_mov_b32 s23, 0
.LBB39_480:
	s_and_b32 vcc_lo, exec_lo, s23
	s_cbranch_vccz .LBB39_484
; %bb.481:
	s_cmp_eq_u32 s0, 29
	s_cbranch_scc0 .LBB39_483
; %bb.482:
	global_load_dwordx2 v[3:4], v[1:2], off
	s_mov_b32 s1, -1
	s_mov_b32 s22, 0
	s_mov_b32 s23, 0
	s_waitcnt vmcnt(0)
	v_ffbh_u32_e32 v5, v4
	v_min_u32_e32 v5, 32, v5
	v_lshlrev_b64 v[3:4], v5, v[3:4]
	v_min_u32_e32 v3, 1, v3
	v_or_b32_e32 v3, v4, v3
	v_sub_nc_u32_e32 v4, 32, v5
	v_cvt_f32_u32_e32 v3, v3
	v_ldexp_f32 v3, v3, v4
	v_bfe_u32 v4, v3, 16, 1
	v_add3_u32 v3, v3, v4, 0x7fff
	v_lshrrev_b32_e32 v3, 16, v3
	s_branch .LBB39_485
.LBB39_483:
	s_mov_b32 s22, -1
                                        ; implicit-def: $vgpr3
.LBB39_484:
	s_mov_b32 s23, 0
.LBB39_485:
	s_and_b32 vcc_lo, exec_lo, s23
	s_cbranch_vccz .LBB39_503
; %bb.486:
	s_cmp_lt_i32 s0, 27
	s_cbranch_scc1 .LBB39_489
; %bb.487:
	s_cmp_gt_i32 s0, 27
	s_cbranch_scc0 .LBB39_490
; %bb.488:
	global_load_dword v3, v[1:2], off
	s_mov_b32 s1, 0
	s_waitcnt vmcnt(0)
	v_cvt_f32_u32_e32 v3, v3
	v_bfe_u32 v4, v3, 16, 1
	v_add3_u32 v3, v3, v4, 0x7fff
	v_lshrrev_b32_e32 v3, 16, v3
	s_branch .LBB39_491
.LBB39_489:
	s_mov_b32 s1, -1
                                        ; implicit-def: $vgpr3
	s_branch .LBB39_494
.LBB39_490:
	s_mov_b32 s1, -1
                                        ; implicit-def: $vgpr3
.LBB39_491:
	s_andn2_b32 vcc_lo, exec_lo, s1
	s_cbranch_vccnz .LBB39_493
; %bb.492:
	global_load_ushort v3, v[1:2], off
	s_waitcnt vmcnt(0)
	v_cvt_f32_u32_e32 v3, v3
	v_bfe_u32 v4, v3, 16, 1
	v_add3_u32 v3, v3, v4, 0x7fff
	v_lshrrev_b32_e32 v3, 16, v3
.LBB39_493:
	s_mov_b32 s1, 0
.LBB39_494:
	s_andn2_b32 vcc_lo, exec_lo, s1
	s_cbranch_vccnz .LBB39_502
; %bb.495:
	global_load_ubyte v3, v[1:2], off
	s_mov_b32 s1, 0
	s_mov_b32 s23, exec_lo
	s_waitcnt vmcnt(0)
	v_cmpx_lt_i16_e32 0x7f, v3
	s_xor_b32 s23, exec_lo, s23
	s_cbranch_execz .LBB39_516
; %bb.496:
	s_mov_b32 s1, -1
	s_mov_b32 s39, exec_lo
	v_cmpx_eq_u16_e32 0x80, v3
; %bb.497:
	s_xor_b32 s1, exec_lo, -1
; %bb.498:
	s_or_b32 exec_lo, exec_lo, s39
	s_and_b32 s1, s1, exec_lo
	s_or_saveexec_b32 s23, s23
	v_mov_b32_e32 v4, 0x7f800001
	s_xor_b32 exec_lo, exec_lo, s23
	s_cbranch_execnz .LBB39_517
.LBB39_499:
	s_or_b32 exec_lo, exec_lo, s23
	s_and_saveexec_b32 s23, s1
	s_cbranch_execz .LBB39_501
.LBB39_500:
	v_and_b32_e32 v4, 0xffff, v3
	v_lshlrev_b32_e32 v3, 24, v3
	v_and_b32_e32 v5, 7, v4
	v_bfe_u32 v9, v4, 3, 4
	v_and_b32_e32 v3, 0x80000000, v3
	v_ffbh_u32_e32 v6, v5
	v_cmp_eq_u32_e32 vcc_lo, 0, v9
	v_min_u32_e32 v6, 32, v6
	v_subrev_nc_u32_e32 v7, 28, v6
	v_sub_nc_u32_e32 v6, 29, v6
	v_lshlrev_b32_e32 v4, v7, v4
	v_cndmask_b32_e32 v6, v9, v6, vcc_lo
	v_and_b32_e32 v4, 7, v4
	v_cndmask_b32_e32 v4, v5, v4, vcc_lo
	v_lshl_add_u32 v5, v6, 23, 0x3b800000
	v_lshlrev_b32_e32 v4, 20, v4
	v_or3_b32 v4, v3, v5, v4
.LBB39_501:
	s_or_b32 exec_lo, exec_lo, s23
	v_bfe_u32 v3, v4, 16, 1
	v_cmp_o_f32_e32 vcc_lo, v4, v4
	v_add3_u32 v3, v4, v3, 0x7fff
	v_mov_b32_e32 v4, 0x7fc0
	v_cndmask_b32_sdwa v3, v4, v3, vcc_lo dst_sel:DWORD dst_unused:UNUSED_PAD src0_sel:DWORD src1_sel:WORD_1
.LBB39_502:
	s_mov_b32 s1, -1
.LBB39_503:
	s_mov_b32 s23, 0
.LBB39_504:
	s_and_b32 vcc_lo, exec_lo, s23
	s_cbranch_vccz .LBB39_539
; %bb.505:
	s_cmp_gt_i32 s0, 22
	s_cbranch_scc0 .LBB39_515
; %bb.506:
	s_cmp_lt_i32 s0, 24
	s_cbranch_scc1 .LBB39_518
; %bb.507:
	s_cmp_gt_i32 s0, 24
	s_cbranch_scc0 .LBB39_519
; %bb.508:
	global_load_ubyte v3, v[1:2], off
	s_mov_b32 s1, 0
	s_mov_b32 s23, exec_lo
	s_waitcnt vmcnt(0)
	v_cmpx_lt_i16_e32 0x7f, v3
	s_xor_b32 s23, exec_lo, s23
	s_cbranch_execz .LBB39_531
; %bb.509:
	s_mov_b32 s1, -1
	s_mov_b32 s39, exec_lo
	v_cmpx_eq_u16_e32 0x80, v3
; %bb.510:
	s_xor_b32 s1, exec_lo, -1
; %bb.511:
	s_or_b32 exec_lo, exec_lo, s39
	s_and_b32 s1, s1, exec_lo
	s_or_saveexec_b32 s23, s23
	v_mov_b32_e32 v4, 0x7f800001
	s_xor_b32 exec_lo, exec_lo, s23
	s_cbranch_execnz .LBB39_532
.LBB39_512:
	s_or_b32 exec_lo, exec_lo, s23
	s_and_saveexec_b32 s23, s1
	s_cbranch_execz .LBB39_514
.LBB39_513:
	v_and_b32_e32 v4, 0xffff, v3
	v_lshlrev_b32_e32 v3, 24, v3
	v_and_b32_e32 v5, 3, v4
	v_bfe_u32 v9, v4, 2, 5
	v_and_b32_e32 v3, 0x80000000, v3
	v_ffbh_u32_e32 v6, v5
	v_cmp_eq_u32_e32 vcc_lo, 0, v9
	v_min_u32_e32 v6, 32, v6
	v_subrev_nc_u32_e32 v7, 29, v6
	v_sub_nc_u32_e32 v6, 30, v6
	v_lshlrev_b32_e32 v4, v7, v4
	v_cndmask_b32_e32 v6, v9, v6, vcc_lo
	v_and_b32_e32 v4, 3, v4
	v_cndmask_b32_e32 v4, v5, v4, vcc_lo
	v_lshl_add_u32 v5, v6, 23, 0x37800000
	v_lshlrev_b32_e32 v4, 21, v4
	v_or3_b32 v4, v3, v5, v4
.LBB39_514:
	s_or_b32 exec_lo, exec_lo, s23
	v_bfe_u32 v3, v4, 16, 1
	v_cmp_o_f32_e32 vcc_lo, v4, v4
	s_mov_b32 s1, 0
	v_add3_u32 v3, v4, v3, 0x7fff
	v_mov_b32_e32 v4, 0x7fc0
	v_cndmask_b32_sdwa v3, v4, v3, vcc_lo dst_sel:DWORD dst_unused:UNUSED_PAD src0_sel:DWORD src1_sel:WORD_1
	s_branch .LBB39_520
.LBB39_515:
	s_mov_b32 s23, -1
                                        ; implicit-def: $vgpr3
	s_branch .LBB39_526
.LBB39_516:
	s_or_saveexec_b32 s23, s23
	v_mov_b32_e32 v4, 0x7f800001
	s_xor_b32 exec_lo, exec_lo, s23
	s_cbranch_execz .LBB39_499
.LBB39_517:
	v_cmp_ne_u16_e32 vcc_lo, 0, v3
	v_mov_b32_e32 v4, 0
	s_andn2_b32 s1, s1, exec_lo
	s_and_b32 s39, vcc_lo, exec_lo
	s_or_b32 s1, s1, s39
	s_or_b32 exec_lo, exec_lo, s23
	s_and_saveexec_b32 s23, s1
	s_cbranch_execnz .LBB39_500
	s_branch .LBB39_501
.LBB39_518:
	s_mov_b32 s1, -1
                                        ; implicit-def: $vgpr3
	s_branch .LBB39_523
.LBB39_519:
	s_mov_b32 s1, -1
                                        ; implicit-def: $vgpr3
.LBB39_520:
	s_and_b32 vcc_lo, exec_lo, s1
	s_cbranch_vccz .LBB39_522
; %bb.521:
	global_load_ubyte v3, v[1:2], off
	s_waitcnt vmcnt(0)
	v_lshlrev_b32_e32 v3, 24, v3
	v_and_b32_e32 v4, 0x7f000000, v3
	v_ffbh_u32_e32 v5, v4
	v_add_nc_u32_e32 v7, 0x1000000, v4
	v_cmp_ne_u32_e32 vcc_lo, 0, v4
	v_min_u32_e32 v5, 32, v5
	v_sub_nc_u32_e64 v5, v5, 4 clamp
	v_lshlrev_b32_e32 v6, v5, v4
	v_lshlrev_b32_e32 v5, 23, v5
	v_lshrrev_b32_e32 v6, 4, v6
	v_sub_nc_u32_e32 v5, v6, v5
	v_ashrrev_i32_e32 v6, 8, v7
	v_add_nc_u32_e32 v5, 0x3c000000, v5
	v_and_or_b32 v5, 0x7f800000, v6, v5
	v_cndmask_b32_e32 v4, 0, v5, vcc_lo
	v_and_or_b32 v3, 0x80000000, v3, v4
	v_bfe_u32 v4, v4, 16, 1
	v_cmp_o_f32_e32 vcc_lo, v3, v3
	v_add3_u32 v3, v3, v4, 0x7fff
	v_mov_b32_e32 v4, 0x7fc0
	v_cndmask_b32_sdwa v3, v4, v3, vcc_lo dst_sel:DWORD dst_unused:UNUSED_PAD src0_sel:DWORD src1_sel:WORD_1
.LBB39_522:
	s_mov_b32 s1, 0
.LBB39_523:
	s_andn2_b32 vcc_lo, exec_lo, s1
	s_cbranch_vccnz .LBB39_525
; %bb.524:
	global_load_ubyte v3, v[1:2], off
	s_waitcnt vmcnt(0)
	v_lshlrev_b32_e32 v4, 25, v3
	v_lshlrev_b16 v3, 8, v3
	v_lshrrev_b32_e32 v5, 4, v4
	v_and_or_b32 v6, 0x7f00, v3, 0.5
	v_cmp_gt_u32_e32 vcc_lo, 0x8000000, v4
	v_bfe_i32 v3, v3, 0, 16
	v_or_b32_e32 v5, 0x70000000, v5
	v_add_f32_e32 v6, -0.5, v6
	v_mul_f32_e32 v5, 0x7800000, v5
	v_cndmask_b32_e32 v4, v5, v6, vcc_lo
	v_and_or_b32 v3, 0x80000000, v3, v4
	v_bfe_u32 v4, v4, 16, 1
	v_cmp_o_f32_e32 vcc_lo, v3, v3
	v_add3_u32 v3, v3, v4, 0x7fff
	v_mov_b32_e32 v4, 0x7fc0
	v_cndmask_b32_sdwa v3, v4, v3, vcc_lo dst_sel:DWORD dst_unused:UNUSED_PAD src0_sel:DWORD src1_sel:WORD_1
.LBB39_525:
	s_mov_b32 s23, 0
	s_mov_b32 s1, -1
.LBB39_526:
	s_andn2_b32 vcc_lo, exec_lo, s23
	s_cbranch_vccnz .LBB39_539
; %bb.527:
	s_cmp_gt_i32 s0, 14
	s_cbranch_scc0 .LBB39_530
; %bb.528:
	s_cmp_eq_u32 s0, 15
	s_cbranch_scc0 .LBB39_533
; %bb.529:
	global_load_ushort v3, v[1:2], off
	s_mov_b32 s1, -1
	s_mov_b32 s22, 0
	s_branch .LBB39_534
.LBB39_530:
	s_mov_b32 s23, -1
                                        ; implicit-def: $vgpr3
	s_branch .LBB39_535
.LBB39_531:
	s_or_saveexec_b32 s23, s23
	v_mov_b32_e32 v4, 0x7f800001
	s_xor_b32 exec_lo, exec_lo, s23
	s_cbranch_execz .LBB39_512
.LBB39_532:
	v_cmp_ne_u16_e32 vcc_lo, 0, v3
	v_mov_b32_e32 v4, 0
	s_andn2_b32 s1, s1, exec_lo
	s_and_b32 s39, vcc_lo, exec_lo
	s_or_b32 s1, s1, s39
	s_or_b32 exec_lo, exec_lo, s23
	s_and_saveexec_b32 s23, s1
	s_cbranch_execnz .LBB39_513
	s_branch .LBB39_514
.LBB39_533:
	s_mov_b32 s22, -1
                                        ; implicit-def: $vgpr3
.LBB39_534:
	s_mov_b32 s23, 0
.LBB39_535:
	s_and_b32 vcc_lo, exec_lo, s23
	s_cbranch_vccz .LBB39_539
; %bb.536:
	s_cmp_eq_u32 s0, 11
	s_cbranch_scc0 .LBB39_538
; %bb.537:
	global_load_ubyte v3, v[1:2], off
	s_mov_b32 s22, 0
	s_mov_b32 s1, -1
	s_waitcnt vmcnt(0)
	v_cmp_ne_u16_e32 vcc_lo, 0, v3
	v_cndmask_b32_e64 v3, 0, 1.0, vcc_lo
	v_lshrrev_b32_e32 v3, 16, v3
	s_branch .LBB39_539
.LBB39_538:
	s_mov_b32 s22, -1
                                        ; implicit-def: $vgpr3
.LBB39_539:
	s_branch .LBB39_317
.LBB39_540:
	s_cmp_lt_i32 s0, 5
	s_cbranch_scc1 .LBB39_545
; %bb.541:
	s_cmp_lt_i32 s0, 8
	s_cbranch_scc1 .LBB39_546
; %bb.542:
	;; [unrolled: 3-line block ×3, first 2 shown]
	s_cmp_gt_i32 s0, 9
	s_cbranch_scc0 .LBB39_548
; %bb.544:
	global_load_dwordx2 v[3:4], v[1:2], off
	s_mov_b32 s1, 0
	s_waitcnt vmcnt(0)
	v_cvt_f32_f64_e32 v3, v[3:4]
	v_bfe_u32 v4, v3, 16, 1
	v_cmp_o_f32_e32 vcc_lo, v3, v3
	v_add3_u32 v3, v3, v4, 0x7fff
	v_mov_b32_e32 v4, 0x7fc0
	v_cndmask_b32_sdwa v3, v4, v3, vcc_lo dst_sel:DWORD dst_unused:UNUSED_PAD src0_sel:DWORD src1_sel:WORD_1
	s_branch .LBB39_549
.LBB39_545:
	s_mov_b32 s1, -1
                                        ; implicit-def: $vgpr3
	s_branch .LBB39_567
.LBB39_546:
	s_mov_b32 s1, -1
                                        ; implicit-def: $vgpr3
	s_branch .LBB39_555
.LBB39_547:
	s_mov_b32 s1, -1
                                        ; implicit-def: $vgpr3
	s_branch .LBB39_552
.LBB39_548:
	s_mov_b32 s1, -1
                                        ; implicit-def: $vgpr3
.LBB39_549:
	s_andn2_b32 vcc_lo, exec_lo, s1
	s_cbranch_vccnz .LBB39_551
; %bb.550:
	global_load_dword v3, v[1:2], off
	s_waitcnt vmcnt(0)
	v_bfe_u32 v4, v3, 16, 1
	v_cmp_o_f32_e32 vcc_lo, v3, v3
	v_add3_u32 v3, v3, v4, 0x7fff
	v_mov_b32_e32 v4, 0x7fc0
	v_cndmask_b32_sdwa v3, v4, v3, vcc_lo dst_sel:DWORD dst_unused:UNUSED_PAD src0_sel:DWORD src1_sel:WORD_1
.LBB39_551:
	s_mov_b32 s1, 0
.LBB39_552:
	s_andn2_b32 vcc_lo, exec_lo, s1
	s_cbranch_vccnz .LBB39_554
; %bb.553:
	global_load_dword v3, v[1:2], off
	s_waitcnt vmcnt(0)
	v_cvt_f32_f16_e32 v4, v3
	v_cmp_o_f16_e32 vcc_lo, v3, v3
	v_bfe_u32 v5, v4, 16, 1
	v_add3_u32 v3, v4, v5, 0x7fff
	v_mov_b32_e32 v4, 0x7fc0
	v_cndmask_b32_sdwa v3, v4, v3, vcc_lo dst_sel:DWORD dst_unused:UNUSED_PAD src0_sel:DWORD src1_sel:WORD_1
.LBB39_554:
	s_mov_b32 s1, 0
.LBB39_555:
	s_andn2_b32 vcc_lo, exec_lo, s1
	s_cbranch_vccnz .LBB39_566
; %bb.556:
	s_cmp_lt_i32 s0, 6
	s_cbranch_scc1 .LBB39_559
; %bb.557:
	s_cmp_gt_i32 s0, 6
	s_cbranch_scc0 .LBB39_560
; %bb.558:
	global_load_dwordx2 v[3:4], v[1:2], off
	s_mov_b32 s1, 0
	s_waitcnt vmcnt(0)
	v_cvt_f32_f64_e32 v3, v[3:4]
	v_bfe_u32 v4, v3, 16, 1
	v_cmp_o_f32_e32 vcc_lo, v3, v3
	v_add3_u32 v3, v3, v4, 0x7fff
	v_mov_b32_e32 v4, 0x7fc0
	v_cndmask_b32_sdwa v3, v4, v3, vcc_lo dst_sel:DWORD dst_unused:UNUSED_PAD src0_sel:DWORD src1_sel:WORD_1
	s_branch .LBB39_561
.LBB39_559:
	s_mov_b32 s1, -1
                                        ; implicit-def: $vgpr3
	s_branch .LBB39_564
.LBB39_560:
	s_mov_b32 s1, -1
                                        ; implicit-def: $vgpr3
.LBB39_561:
	s_andn2_b32 vcc_lo, exec_lo, s1
	s_cbranch_vccnz .LBB39_563
; %bb.562:
	global_load_dword v3, v[1:2], off
	s_waitcnt vmcnt(0)
	v_bfe_u32 v4, v3, 16, 1
	v_cmp_o_f32_e32 vcc_lo, v3, v3
	v_add3_u32 v3, v3, v4, 0x7fff
	v_mov_b32_e32 v4, 0x7fc0
	v_cndmask_b32_sdwa v3, v4, v3, vcc_lo dst_sel:DWORD dst_unused:UNUSED_PAD src0_sel:DWORD src1_sel:WORD_1
.LBB39_563:
	s_mov_b32 s1, 0
.LBB39_564:
	s_andn2_b32 vcc_lo, exec_lo, s1
	s_cbranch_vccnz .LBB39_566
; %bb.565:
	global_load_ushort v3, v[1:2], off
	s_waitcnt vmcnt(0)
	v_cvt_f32_f16_e32 v4, v3
	v_cmp_o_f16_e32 vcc_lo, v3, v3
	v_bfe_u32 v5, v4, 16, 1
	v_add3_u32 v3, v4, v5, 0x7fff
	v_mov_b32_e32 v4, 0x7fc0
	v_cndmask_b32_sdwa v3, v4, v3, vcc_lo dst_sel:DWORD dst_unused:UNUSED_PAD src0_sel:DWORD src1_sel:WORD_1
.LBB39_566:
	s_mov_b32 s1, 0
.LBB39_567:
	s_andn2_b32 vcc_lo, exec_lo, s1
	s_cbranch_vccnz .LBB39_587
; %bb.568:
	s_cmp_lt_i32 s0, 2
	s_cbranch_scc1 .LBB39_572
; %bb.569:
	s_cmp_lt_i32 s0, 3
	s_cbranch_scc1 .LBB39_573
; %bb.570:
	s_cmp_gt_i32 s0, 3
	s_cbranch_scc0 .LBB39_574
; %bb.571:
	global_load_dwordx2 v[3:4], v[1:2], off
	s_mov_b32 s1, 0
	s_waitcnt vmcnt(0)
	v_xor_b32_e32 v5, v3, v4
	v_ffbh_i32_e32 v6, v4
	v_ashrrev_i32_e32 v5, 31, v5
	v_add_nc_u32_e32 v6, -1, v6
	v_add_nc_u32_e32 v5, 32, v5
	v_min_u32_e32 v5, v6, v5
	v_lshlrev_b64 v[3:4], v5, v[3:4]
	v_min_u32_e32 v3, 1, v3
	v_or_b32_e32 v3, v4, v3
	v_sub_nc_u32_e32 v4, 32, v5
	v_cvt_f32_i32_e32 v3, v3
	v_ldexp_f32 v3, v3, v4
	v_bfe_u32 v4, v3, 16, 1
	v_add3_u32 v3, v3, v4, 0x7fff
	v_lshrrev_b32_e32 v3, 16, v3
	s_branch .LBB39_575
.LBB39_572:
	s_mov_b32 s1, -1
                                        ; implicit-def: $vgpr3
	s_branch .LBB39_581
.LBB39_573:
	s_mov_b32 s1, -1
                                        ; implicit-def: $vgpr3
	s_branch .LBB39_578
.LBB39_574:
	s_mov_b32 s1, -1
                                        ; implicit-def: $vgpr3
.LBB39_575:
	s_andn2_b32 vcc_lo, exec_lo, s1
	s_cbranch_vccnz .LBB39_577
; %bb.576:
	global_load_dword v3, v[1:2], off
	s_waitcnt vmcnt(0)
	v_cvt_f32_i32_e32 v3, v3
	v_bfe_u32 v4, v3, 16, 1
	v_add3_u32 v3, v3, v4, 0x7fff
	v_lshrrev_b32_e32 v3, 16, v3
.LBB39_577:
	s_mov_b32 s1, 0
.LBB39_578:
	s_andn2_b32 vcc_lo, exec_lo, s1
	s_cbranch_vccnz .LBB39_580
; %bb.579:
	global_load_sshort v3, v[1:2], off
	s_waitcnt vmcnt(0)
	v_cvt_f32_i32_e32 v3, v3
	v_bfe_u32 v4, v3, 16, 1
	v_add3_u32 v3, v3, v4, 0x7fff
	v_lshrrev_b32_e32 v3, 16, v3
.LBB39_580:
	s_mov_b32 s1, 0
.LBB39_581:
	s_andn2_b32 vcc_lo, exec_lo, s1
	s_cbranch_vccnz .LBB39_587
; %bb.582:
	s_cmp_gt_i32 s0, 0
	s_mov_b32 s0, 0
	s_cbranch_scc0 .LBB39_584
; %bb.583:
	global_load_sbyte v3, v[1:2], off
	s_waitcnt vmcnt(0)
	v_cvt_f32_i32_e32 v3, v3
	v_bfe_u32 v4, v3, 16, 1
	v_add3_u32 v3, v3, v4, 0x7fff
	v_lshrrev_b32_e32 v3, 16, v3
	s_branch .LBB39_585
.LBB39_584:
	s_mov_b32 s0, -1
                                        ; implicit-def: $vgpr3
.LBB39_585:
	s_andn2_b32 vcc_lo, exec_lo, s0
	s_cbranch_vccnz .LBB39_587
; %bb.586:
	global_load_ubyte v1, v[1:2], off
	s_waitcnt vmcnt(0)
	v_cvt_f32_ubyte0_e32 v1, v1
	v_bfe_u32 v2, v1, 16, 1
	v_add3_u32 v1, v1, v2, 0x7fff
	v_lshrrev_b32_e32 v3, 16, v1
.LBB39_587:
	s_branch .LBB39_318
.LBB39_588:
	s_mov_b32 s1, 0
	s_mov_b32 s0, s36
.LBB39_589:
                                        ; implicit-def: $vgpr8
.LBB39_590:
	s_andn2_b32 s23, s36, exec_lo
	s_and_b32 s0, s0, exec_lo
	s_andn2_b32 s39, s37, exec_lo
	s_and_b32 s22, s22, exec_lo
	s_or_b32 s40, s23, s0
	s_or_b32 s39, s39, s22
	s_orn2_b32 s0, s1, exec_lo
.LBB39_591:
	s_or_b32 exec_lo, exec_lo, s41
	s_mov_b32 s1, 0
	s_mov_b32 s23, 0
	;; [unrolled: 1-line block ×3, first 2 shown]
                                        ; implicit-def: $vgpr1_vgpr2
                                        ; implicit-def: $vgpr0
                                        ; implicit-def: $vgpr4
	s_and_saveexec_b32 s41, s0
	s_cbranch_execz .LBB39_992
; %bb.592:
	s_mov_b32 s44, -1
	s_mov_b32 s22, s39
	s_mov_b32 s23, s40
	s_mov_b32 s42, exec_lo
	v_cmpx_gt_i32_e64 s33, v8
	s_cbranch_execz .LBB39_891
; %bb.593:
	s_andn2_b32 vcc_lo, exec_lo, s27
	s_cbranch_vccnz .LBB39_598
; %bb.594:
	s_andn2_b32 vcc_lo, exec_lo, s34
	s_cbranch_vccnz .LBB39_599
; %bb.595:
	s_add_i32 s44, s35, 1
	s_cmp_eq_u32 s25, 2
	s_cbranch_scc1 .LBB39_600
; %bb.596:
	v_mov_b32_e32 v2, 0
	v_mov_b32_e32 v0, 0
	;; [unrolled: 1-line block ×3, first 2 shown]
	s_and_b32 s43, s44, 28
	s_mov_b32 s45, 0
	s_mov_b64 s[0:1], s[2:3]
	s_mov_b64 s[22:23], s[20:21]
.LBB39_597:                             ; =>This Inner Loop Header: Depth=1
	s_clause 0x1
	s_load_dwordx8 s[48:55], s[0:1], 0x4
	s_load_dwordx4 s[64:67], s[0:1], 0x24
	s_load_dwordx8 s[56:63], s[22:23], 0x0
	s_add_u32 s0, s0, 48
	s_addc_u32 s1, s1, 0
	s_add_i32 s45, s45, 4
	s_add_u32 s22, s22, 32
	s_addc_u32 s23, s23, 0
	s_cmp_eq_u32 s43, s45
	s_waitcnt vmcnt(0) lgkmcnt(0)
	v_mul_hi_u32 v3, s49, v1
	v_add_nc_u32_e32 v3, v1, v3
	v_lshrrev_b32_e32 v3, s50, v3
	v_mul_hi_u32 v4, s52, v3
	v_mul_lo_u32 v6, v3, s48
	v_add_nc_u32_e32 v4, v3, v4
	v_sub_nc_u32_e32 v1, v1, v6
	v_lshrrev_b32_e32 v4, s53, v4
	v_mul_lo_u32 v6, v1, s56
	v_mul_lo_u32 v9, v1, s57
	v_mul_hi_u32 v5, s55, v4
	v_add_nc_u32_e32 v5, v4, v5
	v_lshrrev_b32_e32 v5, s64, v5
	v_mul_hi_u32 v7, s66, v5
	v_mul_lo_u32 v10, v5, s54
	v_add_nc_u32_e32 v1, v5, v7
	v_mul_lo_u32 v7, v4, s51
	v_sub_nc_u32_e32 v4, v4, v10
	v_lshrrev_b32_e32 v1, s67, v1
	v_mul_lo_u32 v10, v4, s60
	v_mul_lo_u32 v4, v4, s61
	v_sub_nc_u32_e32 v3, v3, v7
	v_mul_lo_u32 v11, v1, s65
	v_mul_lo_u32 v7, v3, s58
	;; [unrolled: 1-line block ×3, first 2 shown]
	v_sub_nc_u32_e32 v5, v5, v11
	v_add3_u32 v0, v6, v0, v7
	v_mul_lo_u32 v11, v5, s62
	v_mul_lo_u32 v5, v5, s63
	v_add3_u32 v2, v9, v2, v3
	v_add3_u32 v0, v10, v0, v11
	;; [unrolled: 1-line block ×3, first 2 shown]
	s_cbranch_scc0 .LBB39_597
	s_branch .LBB39_601
.LBB39_598:
	s_mov_b32 s0, -1
                                        ; implicit-def: $vgpr0
                                        ; implicit-def: $vgpr2
	s_branch .LBB39_605
.LBB39_599:
	v_mov_b32_e32 v0, 0
	v_mov_b32_e32 v2, 0
	s_branch .LBB39_604
.LBB39_600:
	v_mov_b32_e32 v0, 0
	v_mov_b32_e32 v2, 0
	;; [unrolled: 1-line block ×3, first 2 shown]
	s_mov_b32 s43, 0
.LBB39_601:
	s_and_b32 s44, s44, 3
	s_cmp_eq_u32 s44, 0
	s_cbranch_scc1 .LBB39_604
; %bb.602:
	s_lshl_b32 s0, s43, 3
	s_mul_i32 s22, s43, 12
	s_add_u32 s0, s2, s0
	s_addc_u32 s1, s3, 0
	s_add_u32 s0, s0, 0xc4
	s_addc_u32 s1, s1, 0
	;; [unrolled: 2-line block ×3, first 2 shown]
	.p2align	6
.LBB39_603:                             ; =>This Inner Loop Header: Depth=1
	s_clause 0x1
	s_load_dwordx2 s[46:47], s[22:23], 0x4
	s_load_dword s43, s[22:23], 0xc
	s_load_dwordx2 s[48:49], s[0:1], 0x0
	s_add_u32 s22, s22, 12
	s_addc_u32 s23, s23, 0
	s_add_u32 s0, s0, 8
	s_addc_u32 s1, s1, 0
	s_add_i32 s44, s44, -1
	s_cmp_lg_u32 s44, 0
	s_waitcnt vmcnt(0) lgkmcnt(0)
	v_mul_hi_u32 v3, s47, v1
	v_add_nc_u32_e32 v3, v1, v3
	v_lshrrev_b32_e32 v4, s43, v3
	v_mul_lo_u32 v3, v4, s46
	v_sub_nc_u32_e32 v3, v1, v3
	v_mad_u64_u32 v[0:1], null, v3, s48, v[0:1]
	v_mad_u64_u32 v[2:3], null, v3, s49, v[2:3]
	v_mov_b32_e32 v1, v4
	s_cbranch_scc1 .LBB39_603
.LBB39_604:
	s_mov_b32 s0, 0
.LBB39_605:
	s_andn2_b32 vcc_lo, exec_lo, s0
	s_cbranch_vccnz .LBB39_608
; %bb.606:
	s_waitcnt lgkmcnt(0)
	v_mul_hi_u32 v0, s17, v8
	s_andn2_b32 vcc_lo, exec_lo, s31
	v_add_nc_u32_e32 v0, v8, v0
	v_lshrrev_b32_e32 v1, s18, v0
	v_mul_lo_u32 v0, v1, s16
	v_sub_nc_u32_e32 v2, v8, v0
	v_mul_lo_u32 v0, v2, s12
	v_mul_lo_u32 v2, v2, s13
	s_cbranch_vccnz .LBB39_608
; %bb.607:
	s_waitcnt vmcnt(0)
	v_mul_hi_u32 v3, s6, v1
	v_add_nc_u32_e32 v3, v1, v3
	v_lshrrev_b32_e32 v3, s7, v3
	v_mul_lo_u32 v3, v3, s19
	v_sub_nc_u32_e32 v3, v1, v3
	v_mad_u64_u32 v[0:1], null, v3, s14, v[0:1]
	v_mad_u64_u32 v[2:3], null, v3, s15, v[2:3]
.LBB39_608:
	s_waitcnt lgkmcnt(0)
	v_add_co_u32 v1, s0, s10, v2
	v_add_co_ci_u32_e64 v2, null, s11, 0, s0
	s_and_b32 s0, 0xffff, s30
	s_cmp_lt_i32 s0, 11
	s_cbranch_scc1 .LBB39_615
; %bb.609:
	s_cmp_gt_i32 s0, 25
	s_cbranch_scc0 .LBB39_616
; %bb.610:
	s_cmp_gt_i32 s0, 28
	s_cbranch_scc0 .LBB39_617
	;; [unrolled: 3-line block ×4, first 2 shown]
; %bb.613:
	s_cmp_eq_u32 s0, 46
	s_mov_b32 s23, 0
	s_cbranch_scc0 .LBB39_624
; %bb.614:
	global_load_dword v3, v[1:2], off
	s_mov_b32 s1, -1
	s_mov_b32 s22, 0
	s_branch .LBB39_626
.LBB39_615:
	s_mov_b32 s23, -1
	s_mov_b32 s1, 0
	s_mov_b32 s22, s39
                                        ; implicit-def: $vgpr3
	s_branch .LBB39_691
.LBB39_616:
	s_mov_b32 s23, -1
	s_mov_b32 s1, 0
	s_mov_b32 s22, s39
                                        ; implicit-def: $vgpr3
	s_branch .LBB39_655
.LBB39_617:
	s_mov_b32 s23, -1
	s_mov_b32 s1, 0
	s_mov_b32 s22, s39
                                        ; implicit-def: $vgpr3
	s_branch .LBB39_636
.LBB39_618:
	s_mov_b32 s23, -1
	s_mov_b32 s1, 0
	s_mov_b32 s22, s39
                                        ; implicit-def: $vgpr3
	s_branch .LBB39_631
.LBB39_619:
	s_andn2_saveexec_b32 s42, s42
	s_cbranch_execz .LBB39_388
.LBB39_620:
	v_add_f32_e64 v4, 0x46000000, |v5|
	s_andn2_b32 s40, s40, exec_lo
	v_and_b32_e32 v4, 0xff, v4
	v_cmp_ne_u32_e32 vcc_lo, 0, v4
	s_and_b32 s43, vcc_lo, exec_lo
	s_or_b32 s40, s40, s43
	s_or_b32 exec_lo, exec_lo, s42
	v_mov_b32_e32 v6, 0
	s_and_saveexec_b32 s42, s40
	s_cbranch_execnz .LBB39_389
	s_branch .LBB39_390
.LBB39_621:
	s_mov_b32 s23, -1
	s_mov_b32 s1, 0
	s_mov_b32 s22, s39
	s_branch .LBB39_625
.LBB39_622:
	s_andn2_saveexec_b32 s42, s42
	s_cbranch_execz .LBB39_401
.LBB39_623:
	v_add_f32_e64 v4, 0x42800000, |v5|
	s_andn2_b32 s40, s40, exec_lo
	v_and_b32_e32 v4, 0xff, v4
	v_cmp_ne_u32_e32 vcc_lo, 0, v4
	s_and_b32 s43, vcc_lo, exec_lo
	s_or_b32 s40, s40, s43
	s_or_b32 exec_lo, exec_lo, s42
	v_mov_b32_e32 v6, 0
	s_and_saveexec_b32 s42, s40
	s_cbranch_execnz .LBB39_402
	s_branch .LBB39_403
.LBB39_624:
	s_mov_b32 s22, -1
	s_mov_b32 s1, 0
.LBB39_625:
                                        ; implicit-def: $vgpr3
.LBB39_626:
	s_and_b32 vcc_lo, exec_lo, s23
	s_cbranch_vccz .LBB39_630
; %bb.627:
	s_cmp_eq_u32 s0, 44
	s_cbranch_scc0 .LBB39_629
; %bb.628:
	global_load_ubyte v3, v[1:2], off
	s_mov_b32 s22, 0
	s_mov_b32 s1, -1
	s_waitcnt vmcnt(0)
	v_lshlrev_b32_e32 v4, 23, v3
	v_cmp_ne_u32_e32 vcc_lo, 0xff, v3
	v_cndmask_b32_e32 v4, 0x7f800001, v4, vcc_lo
	v_cmp_ne_u32_e32 vcc_lo, 0, v3
	v_cndmask_b32_e32 v3, 0x400000, v4, vcc_lo
	v_mov_b32_e32 v4, 0x7fc0
	v_cmp_o_f32_e32 vcc_lo, v3, v3
	v_add_nc_u32_e32 v3, 0x7fff, v3
	v_cndmask_b32_sdwa v3, v4, v3, vcc_lo dst_sel:DWORD dst_unused:UNUSED_PAD src0_sel:DWORD src1_sel:WORD_1
	s_branch .LBB39_630
.LBB39_629:
	s_mov_b32 s22, -1
                                        ; implicit-def: $vgpr3
.LBB39_630:
	s_mov_b32 s23, 0
.LBB39_631:
	s_and_b32 vcc_lo, exec_lo, s23
	s_cbranch_vccz .LBB39_635
; %bb.632:
	s_cmp_eq_u32 s0, 29
	s_cbranch_scc0 .LBB39_634
; %bb.633:
	global_load_dwordx2 v[3:4], v[1:2], off
	s_mov_b32 s1, -1
	s_mov_b32 s22, 0
	s_mov_b32 s23, 0
	s_waitcnt vmcnt(0)
	v_ffbh_u32_e32 v5, v4
	v_min_u32_e32 v5, 32, v5
	v_lshlrev_b64 v[3:4], v5, v[3:4]
	v_min_u32_e32 v3, 1, v3
	v_or_b32_e32 v3, v4, v3
	v_sub_nc_u32_e32 v4, 32, v5
	v_cvt_f32_u32_e32 v3, v3
	v_ldexp_f32 v3, v3, v4
	v_bfe_u32 v4, v3, 16, 1
	v_add3_u32 v3, v3, v4, 0x7fff
	v_lshrrev_b32_e32 v3, 16, v3
	s_branch .LBB39_636
.LBB39_634:
	s_mov_b32 s22, -1
                                        ; implicit-def: $vgpr3
.LBB39_635:
	s_mov_b32 s23, 0
.LBB39_636:
	s_and_b32 vcc_lo, exec_lo, s23
	s_cbranch_vccz .LBB39_654
; %bb.637:
	s_cmp_lt_i32 s0, 27
	s_cbranch_scc1 .LBB39_640
; %bb.638:
	s_cmp_gt_i32 s0, 27
	s_cbranch_scc0 .LBB39_641
; %bb.639:
	global_load_dword v3, v[1:2], off
	s_mov_b32 s1, 0
	s_waitcnt vmcnt(0)
	v_cvt_f32_u32_e32 v3, v3
	v_bfe_u32 v4, v3, 16, 1
	v_add3_u32 v3, v3, v4, 0x7fff
	v_lshrrev_b32_e32 v3, 16, v3
	s_branch .LBB39_642
.LBB39_640:
	s_mov_b32 s1, -1
                                        ; implicit-def: $vgpr3
	s_branch .LBB39_645
.LBB39_641:
	s_mov_b32 s1, -1
                                        ; implicit-def: $vgpr3
.LBB39_642:
	s_andn2_b32 vcc_lo, exec_lo, s1
	s_cbranch_vccnz .LBB39_644
; %bb.643:
	global_load_ushort v3, v[1:2], off
	s_waitcnt vmcnt(0)
	v_cvt_f32_u32_e32 v3, v3
	v_bfe_u32 v4, v3, 16, 1
	v_add3_u32 v3, v3, v4, 0x7fff
	v_lshrrev_b32_e32 v3, 16, v3
.LBB39_644:
	s_mov_b32 s1, 0
.LBB39_645:
	s_andn2_b32 vcc_lo, exec_lo, s1
	s_cbranch_vccnz .LBB39_653
; %bb.646:
	global_load_ubyte v3, v[1:2], off
	s_mov_b32 s1, 0
	s_mov_b32 s23, exec_lo
	s_waitcnt vmcnt(0)
	v_cmpx_lt_i16_e32 0x7f, v3
	s_xor_b32 s23, exec_lo, s23
	s_cbranch_execz .LBB39_667
; %bb.647:
	s_mov_b32 s1, -1
	s_mov_b32 s43, exec_lo
	v_cmpx_eq_u16_e32 0x80, v3
; %bb.648:
	s_xor_b32 s1, exec_lo, -1
; %bb.649:
	s_or_b32 exec_lo, exec_lo, s43
	s_and_b32 s1, s1, exec_lo
	s_or_saveexec_b32 s23, s23
	v_mov_b32_e32 v4, 0x7f800001
	s_xor_b32 exec_lo, exec_lo, s23
	s_cbranch_execnz .LBB39_668
.LBB39_650:
	s_or_b32 exec_lo, exec_lo, s23
	s_and_saveexec_b32 s23, s1
	s_cbranch_execz .LBB39_652
.LBB39_651:
	v_and_b32_e32 v4, 0xffff, v3
	v_lshlrev_b32_e32 v3, 24, v3
	v_and_b32_e32 v5, 7, v4
	v_bfe_u32 v9, v4, 3, 4
	v_and_b32_e32 v3, 0x80000000, v3
	v_ffbh_u32_e32 v6, v5
	v_cmp_eq_u32_e32 vcc_lo, 0, v9
	v_min_u32_e32 v6, 32, v6
	v_subrev_nc_u32_e32 v7, 28, v6
	v_sub_nc_u32_e32 v6, 29, v6
	v_lshlrev_b32_e32 v4, v7, v4
	v_cndmask_b32_e32 v6, v9, v6, vcc_lo
	v_and_b32_e32 v4, 7, v4
	v_cndmask_b32_e32 v4, v5, v4, vcc_lo
	v_lshl_add_u32 v5, v6, 23, 0x3b800000
	v_lshlrev_b32_e32 v4, 20, v4
	v_or3_b32 v4, v3, v5, v4
.LBB39_652:
	s_or_b32 exec_lo, exec_lo, s23
	v_bfe_u32 v3, v4, 16, 1
	v_cmp_o_f32_e32 vcc_lo, v4, v4
	v_add3_u32 v3, v4, v3, 0x7fff
	v_mov_b32_e32 v4, 0x7fc0
	v_cndmask_b32_sdwa v3, v4, v3, vcc_lo dst_sel:DWORD dst_unused:UNUSED_PAD src0_sel:DWORD src1_sel:WORD_1
.LBB39_653:
	s_mov_b32 s1, -1
.LBB39_654:
	s_mov_b32 s23, 0
.LBB39_655:
	s_and_b32 vcc_lo, exec_lo, s23
	s_cbranch_vccz .LBB39_690
; %bb.656:
	s_cmp_gt_i32 s0, 22
	s_cbranch_scc0 .LBB39_666
; %bb.657:
	s_cmp_lt_i32 s0, 24
	s_cbranch_scc1 .LBB39_669
; %bb.658:
	s_cmp_gt_i32 s0, 24
	s_cbranch_scc0 .LBB39_670
; %bb.659:
	global_load_ubyte v3, v[1:2], off
	s_mov_b32 s1, 0
	s_mov_b32 s23, exec_lo
	s_waitcnt vmcnt(0)
	v_cmpx_lt_i16_e32 0x7f, v3
	s_xor_b32 s23, exec_lo, s23
	s_cbranch_execz .LBB39_682
; %bb.660:
	s_mov_b32 s1, -1
	s_mov_b32 s43, exec_lo
	v_cmpx_eq_u16_e32 0x80, v3
; %bb.661:
	s_xor_b32 s1, exec_lo, -1
; %bb.662:
	s_or_b32 exec_lo, exec_lo, s43
	s_and_b32 s1, s1, exec_lo
	s_or_saveexec_b32 s23, s23
	v_mov_b32_e32 v4, 0x7f800001
	s_xor_b32 exec_lo, exec_lo, s23
	s_cbranch_execnz .LBB39_683
.LBB39_663:
	s_or_b32 exec_lo, exec_lo, s23
	s_and_saveexec_b32 s23, s1
	s_cbranch_execz .LBB39_665
.LBB39_664:
	v_and_b32_e32 v4, 0xffff, v3
	v_lshlrev_b32_e32 v3, 24, v3
	v_and_b32_e32 v5, 3, v4
	v_bfe_u32 v9, v4, 2, 5
	v_and_b32_e32 v3, 0x80000000, v3
	v_ffbh_u32_e32 v6, v5
	v_cmp_eq_u32_e32 vcc_lo, 0, v9
	v_min_u32_e32 v6, 32, v6
	v_subrev_nc_u32_e32 v7, 29, v6
	v_sub_nc_u32_e32 v6, 30, v6
	v_lshlrev_b32_e32 v4, v7, v4
	v_cndmask_b32_e32 v6, v9, v6, vcc_lo
	v_and_b32_e32 v4, 3, v4
	v_cndmask_b32_e32 v4, v5, v4, vcc_lo
	v_lshl_add_u32 v5, v6, 23, 0x37800000
	v_lshlrev_b32_e32 v4, 21, v4
	v_or3_b32 v4, v3, v5, v4
.LBB39_665:
	s_or_b32 exec_lo, exec_lo, s23
	v_bfe_u32 v3, v4, 16, 1
	v_cmp_o_f32_e32 vcc_lo, v4, v4
	s_mov_b32 s1, 0
	v_add3_u32 v3, v4, v3, 0x7fff
	v_mov_b32_e32 v4, 0x7fc0
	v_cndmask_b32_sdwa v3, v4, v3, vcc_lo dst_sel:DWORD dst_unused:UNUSED_PAD src0_sel:DWORD src1_sel:WORD_1
	s_branch .LBB39_671
.LBB39_666:
	s_mov_b32 s23, -1
                                        ; implicit-def: $vgpr3
	s_branch .LBB39_677
.LBB39_667:
	s_or_saveexec_b32 s23, s23
	v_mov_b32_e32 v4, 0x7f800001
	s_xor_b32 exec_lo, exec_lo, s23
	s_cbranch_execz .LBB39_650
.LBB39_668:
	v_cmp_ne_u16_e32 vcc_lo, 0, v3
	v_mov_b32_e32 v4, 0
	s_andn2_b32 s1, s1, exec_lo
	s_and_b32 s43, vcc_lo, exec_lo
	s_or_b32 s1, s1, s43
	s_or_b32 exec_lo, exec_lo, s23
	s_and_saveexec_b32 s23, s1
	s_cbranch_execnz .LBB39_651
	s_branch .LBB39_652
.LBB39_669:
	s_mov_b32 s1, -1
                                        ; implicit-def: $vgpr3
	s_branch .LBB39_674
.LBB39_670:
	s_mov_b32 s1, -1
                                        ; implicit-def: $vgpr3
.LBB39_671:
	s_and_b32 vcc_lo, exec_lo, s1
	s_cbranch_vccz .LBB39_673
; %bb.672:
	global_load_ubyte v3, v[1:2], off
	s_waitcnt vmcnt(0)
	v_lshlrev_b32_e32 v3, 24, v3
	v_and_b32_e32 v4, 0x7f000000, v3
	v_ffbh_u32_e32 v5, v4
	v_add_nc_u32_e32 v7, 0x1000000, v4
	v_cmp_ne_u32_e32 vcc_lo, 0, v4
	v_min_u32_e32 v5, 32, v5
	v_sub_nc_u32_e64 v5, v5, 4 clamp
	v_lshlrev_b32_e32 v6, v5, v4
	v_lshlrev_b32_e32 v5, 23, v5
	v_lshrrev_b32_e32 v6, 4, v6
	v_sub_nc_u32_e32 v5, v6, v5
	v_ashrrev_i32_e32 v6, 8, v7
	v_add_nc_u32_e32 v5, 0x3c000000, v5
	v_and_or_b32 v5, 0x7f800000, v6, v5
	v_cndmask_b32_e32 v4, 0, v5, vcc_lo
	v_and_or_b32 v3, 0x80000000, v3, v4
	v_bfe_u32 v4, v4, 16, 1
	v_cmp_o_f32_e32 vcc_lo, v3, v3
	v_add3_u32 v3, v3, v4, 0x7fff
	v_mov_b32_e32 v4, 0x7fc0
	v_cndmask_b32_sdwa v3, v4, v3, vcc_lo dst_sel:DWORD dst_unused:UNUSED_PAD src0_sel:DWORD src1_sel:WORD_1
.LBB39_673:
	s_mov_b32 s1, 0
.LBB39_674:
	s_andn2_b32 vcc_lo, exec_lo, s1
	s_cbranch_vccnz .LBB39_676
; %bb.675:
	global_load_ubyte v3, v[1:2], off
	s_waitcnt vmcnt(0)
	v_lshlrev_b32_e32 v4, 25, v3
	v_lshlrev_b16 v3, 8, v3
	v_lshrrev_b32_e32 v5, 4, v4
	v_and_or_b32 v6, 0x7f00, v3, 0.5
	v_cmp_gt_u32_e32 vcc_lo, 0x8000000, v4
	v_bfe_i32 v3, v3, 0, 16
	v_or_b32_e32 v5, 0x70000000, v5
	v_add_f32_e32 v6, -0.5, v6
	v_mul_f32_e32 v5, 0x7800000, v5
	v_cndmask_b32_e32 v4, v5, v6, vcc_lo
	v_and_or_b32 v3, 0x80000000, v3, v4
	v_bfe_u32 v4, v4, 16, 1
	v_cmp_o_f32_e32 vcc_lo, v3, v3
	v_add3_u32 v3, v3, v4, 0x7fff
	v_mov_b32_e32 v4, 0x7fc0
	v_cndmask_b32_sdwa v3, v4, v3, vcc_lo dst_sel:DWORD dst_unused:UNUSED_PAD src0_sel:DWORD src1_sel:WORD_1
.LBB39_676:
	s_mov_b32 s23, 0
	s_mov_b32 s1, -1
.LBB39_677:
	s_andn2_b32 vcc_lo, exec_lo, s23
	s_cbranch_vccnz .LBB39_690
; %bb.678:
	s_cmp_gt_i32 s0, 14
	s_cbranch_scc0 .LBB39_681
; %bb.679:
	s_cmp_eq_u32 s0, 15
	s_cbranch_scc0 .LBB39_684
; %bb.680:
	global_load_ushort v3, v[1:2], off
	s_mov_b32 s1, -1
	s_mov_b32 s22, 0
	s_branch .LBB39_685
.LBB39_681:
	s_mov_b32 s23, -1
                                        ; implicit-def: $vgpr3
	s_branch .LBB39_686
.LBB39_682:
	s_or_saveexec_b32 s23, s23
	v_mov_b32_e32 v4, 0x7f800001
	s_xor_b32 exec_lo, exec_lo, s23
	s_cbranch_execz .LBB39_663
.LBB39_683:
	v_cmp_ne_u16_e32 vcc_lo, 0, v3
	v_mov_b32_e32 v4, 0
	s_andn2_b32 s1, s1, exec_lo
	s_and_b32 s43, vcc_lo, exec_lo
	s_or_b32 s1, s1, s43
	s_or_b32 exec_lo, exec_lo, s23
	s_and_saveexec_b32 s23, s1
	s_cbranch_execnz .LBB39_664
	s_branch .LBB39_665
.LBB39_684:
	s_mov_b32 s22, -1
                                        ; implicit-def: $vgpr3
.LBB39_685:
	s_mov_b32 s23, 0
.LBB39_686:
	s_and_b32 vcc_lo, exec_lo, s23
	s_cbranch_vccz .LBB39_690
; %bb.687:
	s_cmp_eq_u32 s0, 11
	s_cbranch_scc0 .LBB39_689
; %bb.688:
	global_load_ubyte v3, v[1:2], off
	s_mov_b32 s22, 0
	s_mov_b32 s1, -1
	s_waitcnt vmcnt(0)
	v_cmp_ne_u16_e32 vcc_lo, 0, v3
	v_cndmask_b32_e64 v3, 0, 1.0, vcc_lo
	v_lshrrev_b32_e32 v3, 16, v3
	s_branch .LBB39_690
.LBB39_689:
	s_mov_b32 s22, -1
                                        ; implicit-def: $vgpr3
.LBB39_690:
	s_mov_b32 s23, 0
.LBB39_691:
	s_and_b32 vcc_lo, exec_lo, s23
	s_cbranch_vccz .LBB39_740
; %bb.692:
	s_cmp_lt_i32 s0, 5
	s_cbranch_scc1 .LBB39_697
; %bb.693:
	s_cmp_lt_i32 s0, 8
	s_cbranch_scc1 .LBB39_698
	;; [unrolled: 3-line block ×3, first 2 shown]
; %bb.695:
	s_cmp_gt_i32 s0, 9
	s_cbranch_scc0 .LBB39_700
; %bb.696:
	global_load_dwordx2 v[3:4], v[1:2], off
	s_mov_b32 s1, 0
	s_waitcnt vmcnt(0)
	v_cvt_f32_f64_e32 v3, v[3:4]
	v_bfe_u32 v4, v3, 16, 1
	v_cmp_o_f32_e32 vcc_lo, v3, v3
	v_add3_u32 v3, v3, v4, 0x7fff
	v_mov_b32_e32 v4, 0x7fc0
	v_cndmask_b32_sdwa v3, v4, v3, vcc_lo dst_sel:DWORD dst_unused:UNUSED_PAD src0_sel:DWORD src1_sel:WORD_1
	s_branch .LBB39_701
.LBB39_697:
	s_mov_b32 s1, -1
                                        ; implicit-def: $vgpr3
	s_branch .LBB39_719
.LBB39_698:
	s_mov_b32 s1, -1
                                        ; implicit-def: $vgpr3
	s_branch .LBB39_707
.LBB39_699:
	s_mov_b32 s1, -1
                                        ; implicit-def: $vgpr3
	s_branch .LBB39_704
.LBB39_700:
	s_mov_b32 s1, -1
                                        ; implicit-def: $vgpr3
.LBB39_701:
	s_andn2_b32 vcc_lo, exec_lo, s1
	s_cbranch_vccnz .LBB39_703
; %bb.702:
	global_load_dword v3, v[1:2], off
	s_waitcnt vmcnt(0)
	v_bfe_u32 v4, v3, 16, 1
	v_cmp_o_f32_e32 vcc_lo, v3, v3
	v_add3_u32 v3, v3, v4, 0x7fff
	v_mov_b32_e32 v4, 0x7fc0
	v_cndmask_b32_sdwa v3, v4, v3, vcc_lo dst_sel:DWORD dst_unused:UNUSED_PAD src0_sel:DWORD src1_sel:WORD_1
.LBB39_703:
	s_mov_b32 s1, 0
.LBB39_704:
	s_andn2_b32 vcc_lo, exec_lo, s1
	s_cbranch_vccnz .LBB39_706
; %bb.705:
	global_load_dword v3, v[1:2], off
	s_waitcnt vmcnt(0)
	v_cvt_f32_f16_e32 v4, v3
	v_cmp_o_f16_e32 vcc_lo, v3, v3
	v_bfe_u32 v5, v4, 16, 1
	v_add3_u32 v3, v4, v5, 0x7fff
	v_mov_b32_e32 v4, 0x7fc0
	v_cndmask_b32_sdwa v3, v4, v3, vcc_lo dst_sel:DWORD dst_unused:UNUSED_PAD src0_sel:DWORD src1_sel:WORD_1
.LBB39_706:
	s_mov_b32 s1, 0
.LBB39_707:
	s_andn2_b32 vcc_lo, exec_lo, s1
	s_cbranch_vccnz .LBB39_718
; %bb.708:
	s_cmp_lt_i32 s0, 6
	s_cbranch_scc1 .LBB39_711
; %bb.709:
	s_cmp_gt_i32 s0, 6
	s_cbranch_scc0 .LBB39_712
; %bb.710:
	global_load_dwordx2 v[3:4], v[1:2], off
	s_mov_b32 s1, 0
	s_waitcnt vmcnt(0)
	v_cvt_f32_f64_e32 v3, v[3:4]
	v_bfe_u32 v4, v3, 16, 1
	v_cmp_o_f32_e32 vcc_lo, v3, v3
	v_add3_u32 v3, v3, v4, 0x7fff
	v_mov_b32_e32 v4, 0x7fc0
	v_cndmask_b32_sdwa v3, v4, v3, vcc_lo dst_sel:DWORD dst_unused:UNUSED_PAD src0_sel:DWORD src1_sel:WORD_1
	s_branch .LBB39_713
.LBB39_711:
	s_mov_b32 s1, -1
                                        ; implicit-def: $vgpr3
	s_branch .LBB39_716
.LBB39_712:
	s_mov_b32 s1, -1
                                        ; implicit-def: $vgpr3
.LBB39_713:
	s_andn2_b32 vcc_lo, exec_lo, s1
	s_cbranch_vccnz .LBB39_715
; %bb.714:
	global_load_dword v3, v[1:2], off
	s_waitcnt vmcnt(0)
	v_bfe_u32 v4, v3, 16, 1
	v_cmp_o_f32_e32 vcc_lo, v3, v3
	v_add3_u32 v3, v3, v4, 0x7fff
	v_mov_b32_e32 v4, 0x7fc0
	v_cndmask_b32_sdwa v3, v4, v3, vcc_lo dst_sel:DWORD dst_unused:UNUSED_PAD src0_sel:DWORD src1_sel:WORD_1
.LBB39_715:
	s_mov_b32 s1, 0
.LBB39_716:
	s_andn2_b32 vcc_lo, exec_lo, s1
	s_cbranch_vccnz .LBB39_718
; %bb.717:
	global_load_ushort v3, v[1:2], off
	s_waitcnt vmcnt(0)
	v_cvt_f32_f16_e32 v4, v3
	v_cmp_o_f16_e32 vcc_lo, v3, v3
	v_bfe_u32 v5, v4, 16, 1
	v_add3_u32 v3, v4, v5, 0x7fff
	v_mov_b32_e32 v4, 0x7fc0
	v_cndmask_b32_sdwa v3, v4, v3, vcc_lo dst_sel:DWORD dst_unused:UNUSED_PAD src0_sel:DWORD src1_sel:WORD_1
.LBB39_718:
	s_mov_b32 s1, 0
.LBB39_719:
	s_andn2_b32 vcc_lo, exec_lo, s1
	s_cbranch_vccnz .LBB39_739
; %bb.720:
	s_cmp_lt_i32 s0, 2
	s_cbranch_scc1 .LBB39_724
; %bb.721:
	s_cmp_lt_i32 s0, 3
	s_cbranch_scc1 .LBB39_725
; %bb.722:
	s_cmp_gt_i32 s0, 3
	s_cbranch_scc0 .LBB39_726
; %bb.723:
	global_load_dwordx2 v[3:4], v[1:2], off
	s_mov_b32 s1, 0
	s_waitcnt vmcnt(0)
	v_xor_b32_e32 v5, v3, v4
	v_ffbh_i32_e32 v6, v4
	v_ashrrev_i32_e32 v5, 31, v5
	v_add_nc_u32_e32 v6, -1, v6
	v_add_nc_u32_e32 v5, 32, v5
	v_min_u32_e32 v5, v6, v5
	v_lshlrev_b64 v[3:4], v5, v[3:4]
	v_min_u32_e32 v3, 1, v3
	v_or_b32_e32 v3, v4, v3
	v_sub_nc_u32_e32 v4, 32, v5
	v_cvt_f32_i32_e32 v3, v3
	v_ldexp_f32 v3, v3, v4
	v_bfe_u32 v4, v3, 16, 1
	v_add3_u32 v3, v3, v4, 0x7fff
	v_lshrrev_b32_e32 v3, 16, v3
	s_branch .LBB39_727
.LBB39_724:
	s_mov_b32 s1, -1
                                        ; implicit-def: $vgpr3
	s_branch .LBB39_733
.LBB39_725:
	s_mov_b32 s1, -1
                                        ; implicit-def: $vgpr3
	s_branch .LBB39_730
.LBB39_726:
	s_mov_b32 s1, -1
                                        ; implicit-def: $vgpr3
.LBB39_727:
	s_andn2_b32 vcc_lo, exec_lo, s1
	s_cbranch_vccnz .LBB39_729
; %bb.728:
	global_load_dword v3, v[1:2], off
	s_waitcnt vmcnt(0)
	v_cvt_f32_i32_e32 v3, v3
	v_bfe_u32 v4, v3, 16, 1
	v_add3_u32 v3, v3, v4, 0x7fff
	v_lshrrev_b32_e32 v3, 16, v3
.LBB39_729:
	s_mov_b32 s1, 0
.LBB39_730:
	s_andn2_b32 vcc_lo, exec_lo, s1
	s_cbranch_vccnz .LBB39_732
; %bb.731:
	global_load_sshort v3, v[1:2], off
	s_waitcnt vmcnt(0)
	v_cvt_f32_i32_e32 v3, v3
	v_bfe_u32 v4, v3, 16, 1
	v_add3_u32 v3, v3, v4, 0x7fff
	v_lshrrev_b32_e32 v3, 16, v3
.LBB39_732:
	s_mov_b32 s1, 0
.LBB39_733:
	s_andn2_b32 vcc_lo, exec_lo, s1
	s_cbranch_vccnz .LBB39_739
; %bb.734:
	s_cmp_gt_i32 s0, 0
	s_mov_b32 s0, 0
	s_cbranch_scc0 .LBB39_736
; %bb.735:
	global_load_sbyte v3, v[1:2], off
	s_waitcnt vmcnt(0)
	v_cvt_f32_i32_e32 v3, v3
	v_bfe_u32 v4, v3, 16, 1
	v_add3_u32 v3, v3, v4, 0x7fff
	v_lshrrev_b32_e32 v3, 16, v3
	s_branch .LBB39_737
.LBB39_736:
	s_mov_b32 s0, -1
                                        ; implicit-def: $vgpr3
.LBB39_737:
	s_andn2_b32 vcc_lo, exec_lo, s0
	s_cbranch_vccnz .LBB39_739
; %bb.738:
	global_load_ubyte v1, v[1:2], off
	s_waitcnt vmcnt(0)
	v_cvt_f32_ubyte0_e32 v1, v1
	v_bfe_u32 v2, v1, 16, 1
	v_add3_u32 v1, v1, v2, 0x7fff
	v_lshrrev_b32_e32 v3, 16, v1
.LBB39_739:
	s_mov_b32 s1, -1
.LBB39_740:
	s_andn2_b32 vcc_lo, exec_lo, s1
	s_cbranch_vccnz .LBB39_772
; %bb.741:
	s_waitcnt vmcnt(0)
	v_lshlrev_b32_e32 v7, 16, v3
                                        ; implicit-def: $vgpr2
	s_mov_b32 s0, exec_lo
	v_cmpx_neq_f32_e32 0, v7
	s_xor_b32 s23, exec_lo, s0
	s_cbranch_execz .LBB39_763
; %bb.742:
	v_mov_b32_e32 v1, 0
	s_mov_b32 s0, -1
	s_mov_b32 s43, exec_lo
	v_cmpx_gt_f32_e32 0, v7
	s_cbranch_execz .LBB39_750
; %bb.743:
	v_trunc_f32_e32 v1, v7
	s_mov_b32 s1, 0
	v_cmp_neq_f32_e32 vcc_lo, v1, v7
	v_mov_b32_e32 v1, 0
	s_and_saveexec_b32 s44, vcc_lo
	s_cbranch_execz .LBB39_749
; %bb.744:
	v_cvt_f64_f32_e32 v[1:2], v7
	s_mov_b32 s1, 0xc00921fb
	s_mov_b32 s0, 0x54442d18
	s_mov_b32 s45, exec_lo
                                        ; implicit-def: $vgpr9
                                        ; implicit-def: $vgpr5_vgpr6
	v_trunc_f64_e32 v[3:4], v[1:2]
	v_cmp_neq_f64_e64 vcc_lo, 0x7ff00000, |v[1:2]|
	v_add_f64 v[3:4], v[1:2], -v[3:4]
	v_mul_f64 v[3:4], |v[3:4]|, s[0:1]
	v_cndmask_b32_e32 v2, 0x80000000, v4, vcc_lo
	v_cndmask_b32_e32 v1, 0, v3, vcc_lo
                                        ; implicit-def: $vgpr3_vgpr4
	v_cmpx_ngt_f64_e64 0x41d00000, |v[1:2]|
	s_xor_b32 s45, exec_lo, s45
	s_cbranch_execz .LBB39_746
; %bb.745:
	v_ldexp_f64 v[3:4], |v[1:2]|, 0xffffff80
	v_cmp_le_f64_e64 vcc_lo, 0x7b000000, |v[1:2]|
	v_trig_preop_f64 v[5:6], |v[1:2]|, 0
	v_and_b32_e32 v9, 0x7fffffff, v2
	v_trig_preop_f64 v[19:20], |v[1:2]|, 2
	v_mov_b32_e32 v27, 0
	s_mov_b32 s1, 0x3ff921fb
	s_mov_b32 s46, 0x33145c07
	s_mov_b32 s47, 0x3c91a626
	v_cndmask_b32_e32 v4, v9, v4, vcc_lo
	v_cndmask_b32_e32 v3, v1, v3, vcc_lo
	v_trig_preop_f64 v[9:10], |v[1:2]|, 1
	v_mul_f64 v[11:12], v[5:6], v[3:4]
	v_mul_f64 v[25:26], v[19:20], v[3:4]
	;; [unrolled: 1-line block ×3, first 2 shown]
	v_fma_f64 v[5:6], v[5:6], v[3:4], -v[11:12]
	v_fma_f64 v[9:10], v[9:10], v[3:4], -v[13:14]
	;; [unrolled: 1-line block ×3, first 2 shown]
	v_add_f64 v[15:16], v[13:14], v[5:6]
	v_add_f64 v[17:18], v[15:16], -v[13:14]
	v_add_f64 v[23:24], v[11:12], v[15:16]
	v_add_f64 v[21:22], v[15:16], -v[17:18]
	v_add_f64 v[5:6], v[5:6], -v[17:18]
	v_ldexp_f64 v[17:18], v[23:24], -2
	v_add_f64 v[11:12], v[23:24], -v[11:12]
	v_add_f64 v[13:14], v[13:14], -v[21:22]
	v_add_f64 v[21:22], v[25:26], v[9:10]
	v_cmp_neq_f64_e64 vcc_lo, 0x7ff00000, |v[17:18]|
	v_add_f64 v[11:12], v[15:16], -v[11:12]
	v_add_f64 v[5:6], v[5:6], v[13:14]
	v_fract_f64_e32 v[13:14], v[17:18]
	v_add_f64 v[15:16], v[21:22], v[5:6]
	v_ldexp_f64 v[13:14], v[13:14], 2
	v_add_f64 v[17:18], v[11:12], v[15:16]
	v_cndmask_b32_e32 v14, 0, v14, vcc_lo
	v_cndmask_b32_e32 v13, 0, v13, vcc_lo
	v_add_f64 v[23:24], v[17:18], v[13:14]
	v_add_f64 v[11:12], v[17:18], -v[11:12]
	v_cmp_gt_f64_e32 vcc_lo, 0, v[23:24]
	v_add_f64 v[23:24], v[21:22], -v[25:26]
	v_cndmask_b32_e64 v28, 0, 0x40100000, vcc_lo
	v_add_f64 v[32:33], v[21:22], -v[23:24]
	v_add_f64 v[9:10], v[9:10], -v[23:24]
	v_add_f64 v[13:14], v[13:14], v[27:28]
	v_add_f64 v[28:29], v[15:16], -v[21:22]
	v_add_f64 v[23:24], v[25:26], -v[32:33]
	v_add_f64 v[30:31], v[17:18], v[13:14]
	;; [unrolled: 3-line block ×3, first 2 shown]
	v_cvt_i32_f64_e32 v30, v[30:31]
	v_add_f64 v[21:22], v[21:22], -v[34:35]
	v_cvt_f64_i32_e32 v[28:29], v30
	v_add_f64 v[5:6], v[5:6], v[21:22]
	v_add_f64 v[13:14], v[13:14], -v[28:29]
	v_add_f64 v[5:6], v[9:10], v[5:6]
	v_add_f64 v[9:10], v[15:16], -v[11:12]
	v_add_f64 v[19:20], v[17:18], v[13:14]
	v_add_f64 v[3:4], v[3:4], v[5:6]
	v_add_f64 v[5:6], v[19:20], -v[13:14]
	v_cmp_le_f64_e32 vcc_lo, 0.5, v[19:20]
	v_add_f64 v[3:4], v[9:10], v[3:4]
	v_add_f64 v[5:6], v[17:18], -v[5:6]
	v_cndmask_b32_e64 v28, 0, 0x3ff00000, vcc_lo
	v_add_co_ci_u32_e64 v9, null, 0, v30, vcc_lo
	v_add_f64 v[3:4], v[3:4], v[5:6]
	v_add_f64 v[5:6], v[19:20], -v[27:28]
	v_add_f64 v[10:11], v[5:6], v[3:4]
	v_mul_f64 v[12:13], v[10:11], s[0:1]
	v_add_f64 v[5:6], v[10:11], -v[5:6]
	v_fma_f64 v[14:15], v[10:11], s[0:1], -v[12:13]
	v_add_f64 v[3:4], v[3:4], -v[5:6]
	v_fma_f64 v[5:6], v[10:11], s[46:47], v[14:15]
	v_fma_f64 v[5:6], v[3:4], s[0:1], v[5:6]
	v_add_f64 v[3:4], v[12:13], v[5:6]
	v_add_f64 v[10:11], v[3:4], -v[12:13]
	v_add_f64 v[5:6], v[5:6], -v[10:11]
.LBB39_746:
	s_andn2_saveexec_b32 s0, s45
	s_cbranch_execz .LBB39_748
; %bb.747:
	s_mov_b32 s46, 0x6dc9c883
	s_mov_b32 s47, 0x3fe45f30
	;; [unrolled: 1-line block ×3, first 2 shown]
	v_mul_f64 v[3:4], |v[1:2]|, s[46:47]
	s_mov_b32 s46, 0x54442d18
	s_mov_b32 s47, 0xbff921fb
	;; [unrolled: 1-line block ×3, first 2 shown]
	v_rndne_f64_e32 v[9:10], v[3:4]
	v_fma_f64 v[3:4], v[9:10], s[46:47], |v[1:2]|
	v_mul_f64 v[5:6], v[9:10], s[48:49]
	s_mov_b32 s46, 0x252049c0
	s_mov_b32 s47, 0xb97b839a
	v_fma_f64 v[13:14], v[9:10], s[48:49], v[3:4]
	v_add_f64 v[11:12], v[3:4], v[5:6]
	s_mov_b32 s49, 0x3c91a626
	v_add_f64 v[3:4], v[3:4], -v[11:12]
	v_add_f64 v[11:12], v[11:12], -v[13:14]
	v_add_f64 v[3:4], v[3:4], v[5:6]
	v_fma_f64 v[5:6], v[9:10], s[48:49], v[5:6]
	v_add_f64 v[3:4], v[11:12], v[3:4]
	v_add_f64 v[3:4], v[3:4], -v[5:6]
	v_fma_f64 v[5:6], v[9:10], s[46:47], v[3:4]
	v_cvt_i32_f64_e32 v9, v[9:10]
	v_add_f64 v[3:4], v[13:14], v[5:6]
	v_add_f64 v[11:12], v[3:4], -v[13:14]
	v_add_f64 v[5:6], v[5:6], -v[11:12]
.LBB39_748:
	s_or_b32 exec_lo, exec_lo, s0
	v_mul_f64 v[10:11], v[3:4], v[3:4]
	v_add_f64 v[12:13], v[5:6], v[5:6]
	s_mov_b32 s46, 0xa9a29f71
	s_mov_b32 s48, 0xc751c08c
	;; [unrolled: 1-line block ×4, first 2 shown]
	v_cmp_class_f64_e64 s0, v[1:2], 0x1f8
	v_and_b32_e32 v9, 1, v9
	v_and_b32_e32 v2, 0x80000000, v2
	v_sub_f32_e32 v7, 1.0, v7
	s_mov_b32 s1, exec_lo
	v_cmp_eq_u32_e32 vcc_lo, 0, v9
	v_fma_f64 v[14:15], v[3:4], v[3:4], -v[10:11]
	v_fma_f64 v[12:13], v[3:4], v[12:13], v[14:15]
	v_add_f64 v[10:11], v[10:11], v[12:13]
	v_fma_f64 v[12:13], v[10:11], s[48:49], s[46:47]
	s_mov_b32 s46, 0x90a8aae0
	s_mov_b32 s47, 0x3f17746f
	v_fma_f64 v[12:13], v[10:11], v[12:13], s[46:47]
	s_mov_b32 s46, 0xa6fbf144
	s_mov_b32 s47, 0xbefbb44d
	;; [unrolled: 3-line block ×13, first 2 shown]
	v_mul_f64 v[10:11], v[10:11], v[12:13]
	v_mul_f64 v[12:13], v[3:4], v[10:11]
	v_add_f64 v[14:15], v[3:4], v[12:13]
	v_fma_f64 v[10:11], v[3:4], v[10:11], -v[12:13]
	v_add_f64 v[3:4], v[14:15], -v[3:4]
	v_add_f64 v[5:6], v[5:6], v[10:11]
	v_add_f64 v[3:4], v[12:13], -v[3:4]
	v_add_f64 v[3:4], v[5:6], v[3:4]
	v_add_f64 v[5:6], v[14:15], v[3:4]
	v_rcp_f64_e32 v[10:11], v[5:6]
	v_fma_f64 v[12:13], -v[5:6], v[10:11], 1.0
	v_fma_f64 v[10:11], v[12:13], v[10:11], v[10:11]
	v_fma_f64 v[12:13], -v[5:6], v[10:11], 1.0
	v_fma_f64 v[10:11], v[12:13], v[10:11], v[10:11]
	v_add_f64 v[12:13], v[5:6], -v[14:15]
	v_mul_f64 v[14:15], v[5:6], v[10:11]
	v_add_f64 v[3:4], v[3:4], -v[12:13]
	v_fma_f64 v[12:13], v[10:11], v[5:6], -v[14:15]
	v_fma_f64 v[3:4], v[10:11], v[3:4], v[12:13]
	v_add_f64 v[12:13], v[14:15], v[3:4]
	v_add_f64 v[16:17], -v[12:13], 1.0
	v_add_f64 v[14:15], v[12:13], -v[14:15]
	v_add_f64 v[18:19], -v[16:17], 1.0
	v_add_f64 v[3:4], v[14:15], -v[3:4]
	v_add_f64 v[12:13], v[18:19], -v[12:13]
	v_add_f64 v[3:4], v[3:4], v[12:13]
	v_add_f64 v[3:4], v[16:17], v[3:4]
	v_mul_f64 v[3:4], v[10:11], v[3:4]
	v_add_f64 v[3:4], v[10:11], v[3:4]
	v_xor_b32_e32 v1, 0x80000000, v4
	v_cndmask_b32_e32 v3, v3, v5, vcc_lo
	v_cndmask_b32_e32 v1, v1, v6, vcc_lo
	v_xor_b32_e32 v2, v1, v2
	v_cndmask_b32_e64 v1, 0, v3, s0
	v_cndmask_b32_e64 v2, 0x7ff80000, v2, s0
	v_div_scale_f64 v[3:4], null, v[1:2], v[1:2], s[46:47]
	v_rcp_f64_e32 v[5:6], v[3:4]
	v_fma_f64 v[9:10], -v[3:4], v[5:6], 1.0
	v_fma_f64 v[5:6], v[5:6], v[9:10], v[5:6]
	v_fma_f64 v[9:10], -v[3:4], v[5:6], 1.0
	v_fma_f64 v[5:6], v[5:6], v[9:10], v[5:6]
	v_div_scale_f64 v[9:10], vcc_lo, s[46:47], v[1:2], s[46:47]
	v_mul_f64 v[11:12], v[9:10], v[5:6]
	v_fma_f64 v[3:4], -v[3:4], v[11:12], v[9:10]
	v_div_fmas_f64 v[3:4], v[3:4], v[5:6], v[11:12]
	v_div_fixup_f64 v[1:2], v[3:4], v[1:2], s[46:47]
	v_cvt_f32_f64_e32 v1, v[1:2]
.LBB39_749:
	s_or_b32 exec_lo, exec_lo, s44
	s_orn2_b32 s0, s1, exec_lo
.LBB39_750:
	s_or_b32 exec_lo, exec_lo, s43
	v_mov_b32_e32 v2, 0x7fc0
	s_and_saveexec_b32 s1, s0
	s_cbranch_execz .LBB39_762
; %bb.751:
	s_mov_b32 s0, exec_lo
	v_cmpx_gt_f32_e32 0x41200000, v7
	s_cbranch_execz .LBB39_755
; %bb.752:
	s_mov_b32 s43, 0
.LBB39_753:                             ; =>This Inner Loop Header: Depth=1
	v_div_scale_f32 v2, null, v7, v7, 1.0
	v_div_scale_f32 v5, vcc_lo, 1.0, v7, 1.0
	v_rcp_f32_e32 v3, v2
	v_fma_f32 v4, -v2, v3, 1.0
	v_fmac_f32_e32 v3, v4, v3
	v_mul_f32_e32 v4, v5, v3
	v_fma_f32 v6, -v2, v4, v5
	v_fmac_f32_e32 v4, v6, v3
	v_fma_f32 v2, -v2, v4, v5
	v_div_fmas_f32 v2, v2, v3, v4
	v_div_fixup_f32 v2, v2, v7, 1.0
	v_add_f32_e32 v7, 1.0, v7
	v_sub_f32_e32 v1, v1, v2
	v_cmp_ngt_f32_e32 vcc_lo, 0x41200000, v7
	s_or_b32 s43, vcc_lo, s43
	s_andn2_b32 exec_lo, exec_lo, s43
	s_cbranch_execnz .LBB39_753
; %bb.754:
	s_or_b32 exec_lo, exec_lo, s43
.LBB39_755:
	s_or_b32 exec_lo, exec_lo, s0
                                        ; implicit-def: $vgpr2
	s_mov_b32 s0, exec_lo
	v_cmpx_neq_f32_e32 0x41200000, v7
	s_xor_b32 s43, exec_lo, s0
	s_cbranch_execz .LBB39_759
; %bb.756:
	v_cvt_f64_f32_e32 v[2:3], v7
	s_mov_b32 s44, 0x85d8a000
	s_mov_b32 s45, 0x43763457
	v_cmp_gt_f64_e32 vcc_lo, s[44:45], v[2:3]
	v_mov_b32_e32 v2, 0
	s_and_saveexec_b32 s0, vcc_lo
	s_cbranch_execz .LBB39_758
; %bb.757:
	v_mul_f32_e32 v2, v7, v7
	v_div_scale_f32 v3, null, v2, v2, 1.0
	v_rcp_f32_e32 v4, v3
	v_fma_f32 v5, -v3, v4, 1.0
	v_fmac_f32_e32 v4, v5, v4
	v_div_scale_f32 v5, vcc_lo, 1.0, v2, 1.0
	v_mul_f32_e32 v6, v5, v4
	v_fma_f32 v9, -v3, v6, v5
	v_fmac_f32_e32 v6, v9, v4
	v_fma_f32 v3, -v3, v6, v5
	v_div_fmas_f32 v3, v3, v4, v6
	v_div_fixup_f32 v2, v3, v2, 1.0
	v_fmaak_f32 v3, 0, v2, 0x3daaaaab
	v_fmaak_f32 v3, v2, v3, 0xbcaccacd
	;; [unrolled: 1-line block ×7, first 2 shown]
	v_mul_f32_e32 v2, v2, v3
.LBB39_758:
	s_or_b32 exec_lo, exec_lo, s0
	v_cmp_gt_f32_e32 vcc_lo, 0x800000, v7
	v_div_scale_f32 v3, null, v7, v7, -0.5
	v_div_scale_f32 v9, s0, -0.5, v7, -0.5
	v_cndmask_b32_e64 v4, 0, 32, vcc_lo
	v_rcp_f32_e32 v5, v3
	v_ldexp_f32 v4, v7, v4
	v_log_f32_e32 v4, v4
	v_fma_f32 v6, -v3, v5, 1.0
	v_fmac_f32_e32 v5, v6, v5
	v_mul_f32_e32 v6, 0x3f317217, v4
	v_mul_f32_e32 v10, v9, v5
	v_fma_f32 v6, 0x3f317217, v4, -v6
	v_fma_f32 v11, -v3, v10, v9
	v_fmamk_f32 v6, v4, 0x3377d1cf, v6
	v_fmac_f32_e32 v10, v11, v5
	v_cndmask_b32_e64 v11, 0, 0x41b17218, vcc_lo
	v_cmp_gt_f32_e64 vcc_lo, 0x7f800000, |v4|
	v_fmac_f32_e32 v6, 0x3f317217, v4
	v_fma_f32 v3, -v3, v10, v9
	v_cndmask_b32_e32 v4, v4, v6, vcc_lo
	s_mov_b32 vcc_lo, s0
	v_div_fmas_f32 v3, v3, v5, v10
	v_sub_f32_e32 v4, v4, v11
	v_div_fixup_f32 v3, v3, v7, -0.5
	v_add_f32_e32 v3, v4, v3
	v_sub_f32_e32 v2, v3, v2
	v_add_f32_e32 v1, v1, v2
	v_bfe_u32 v2, v1, 16, 1
	v_cmp_o_f32_e32 vcc_lo, v1, v1
	v_add3_u32 v1, v1, v2, 0x7fff
	v_mov_b32_e32 v2, 0x7fc0
	v_cndmask_b32_sdwa v2, v2, v1, vcc_lo dst_sel:DWORD dst_unused:UNUSED_PAD src0_sel:DWORD src1_sel:WORD_1
                                        ; implicit-def: $vgpr1
.LBB39_759:
	s_andn2_saveexec_b32 s0, s43
; %bb.760:
	v_add_f32_e32 v1, 0x40101cb7, v1
	v_bfe_u32 v2, v1, 16, 1
	v_cmp_o_f32_e32 vcc_lo, v1, v1
	v_add3_u32 v1, v1, v2, 0x7fff
	v_mov_b32_e32 v2, 0x7fc0
	v_cndmask_b32_sdwa v2, v2, v1, vcc_lo dst_sel:DWORD dst_unused:UNUSED_PAD src0_sel:DWORD src1_sel:WORD_1
; %bb.761:
	s_or_b32 exec_lo, exec_lo, s0
.LBB39_762:
	s_or_b32 exec_lo, exec_lo, s1
                                        ; implicit-def: $vgpr7
.LBB39_763:
	s_andn2_saveexec_b32 s0, s23
; %bb.764:
	v_xor_b32_e32 v1, 0x80000000, v7
	s_mov_b32 s1, 0x7f800000
	v_and_or_b32 v1, 0x80000000, v1, s1
	v_lshrrev_b32_e32 v2, 16, v1
; %bb.765:
	s_or_b32 exec_lo, exec_lo, s0
	v_add_co_u32 v0, s0, s8, v0
	v_add_co_ci_u32_e64 v1, null, s9, 0, s0
	s_and_b32 s1, s29, 0xff
	s_cmp_lt_i32 s1, 11
	s_cbranch_scc1 .LBB39_773
; %bb.766:
	s_and_b32 s23, 0xffff, s1
	s_cmp_gt_i32 s23, 25
	s_cbranch_scc0 .LBB39_774
; %bb.767:
	s_cmp_gt_i32 s23, 28
	s_cbranch_scc0 .LBB39_775
; %bb.768:
	s_cmp_gt_i32 s23, 43
	s_cbranch_scc0 .LBB39_776
; %bb.769:
	s_cmp_gt_i32 s23, 45
	s_cbranch_scc0 .LBB39_777
; %bb.770:
	s_mov_b32 s44, 0
	s_mov_b32 s0, -1
	s_cmp_eq_u32 s23, 46
	s_mov_b32 s43, 0
	s_cbranch_scc0 .LBB39_778
; %bb.771:
	v_and_b32_e32 v3, 0xffff, v2
	s_mov_b32 s43, -1
	s_mov_b32 s0, 0
	global_store_dword v[0:1], v3, off
	s_branch .LBB39_778
.LBB39_772:
	s_mov_b32 s1, 0
	s_mov_b32 s0, s40
	s_branch .LBB39_889
.LBB39_773:
	s_mov_b32 s23, -1
	s_mov_b32 s43, 0
	s_mov_b32 s0, s40
	s_branch .LBB39_847
.LBB39_774:
	s_mov_b32 s44, -1
	s_mov_b32 s43, 0
	s_mov_b32 s0, s40
	s_branch .LBB39_805
.LBB39_775:
	s_mov_b32 s44, -1
	s_mov_b32 s43, 0
	s_mov_b32 s0, s40
	s_branch .LBB39_788
.LBB39_776:
	s_mov_b32 s44, -1
	s_mov_b32 s43, 0
	s_mov_b32 s0, s40
	s_branch .LBB39_784
.LBB39_777:
	s_mov_b32 s44, -1
	s_mov_b32 s43, 0
	s_mov_b32 s0, s40
.LBB39_778:
	s_and_b32 vcc_lo, exec_lo, s44
	s_cbranch_vccz .LBB39_783
; %bb.779:
	s_cmp_eq_u32 s23, 44
	s_mov_b32 s0, -1
	s_cbranch_scc0 .LBB39_783
; %bb.780:
	v_and_b32_e32 v3, 0xffff, v2
	v_mov_b32_e32 v4, 0xff
	s_mov_b32 s43, exec_lo
	v_bfe_u32 v5, v3, 7, 8
	v_cmpx_ne_u32_e32 0xff, v5
	s_cbranch_execz .LBB39_782
; %bb.781:
	v_lshlrev_b32_e32 v4, 16, v3
	v_and_b32_e32 v6, 64, v3
	v_lshrrev_b32_e32 v3, 7, v3
	v_and_or_b32 v4, 0x3f0000, v4, v5
	v_cmp_ne_u32_e32 vcc_lo, 0, v6
	v_cmp_ne_u32_e64 s0, 0, v4
	s_and_b32 s0, vcc_lo, s0
	v_cndmask_b32_e64 v4, 0, 1, s0
	v_add_nc_u32_e32 v4, v3, v4
.LBB39_782:
	s_or_b32 exec_lo, exec_lo, s43
	s_mov_b32 s43, -1
	s_mov_b32 s0, 0
	global_store_byte v[0:1], v4, off
.LBB39_783:
	s_mov_b32 s44, 0
.LBB39_784:
	s_and_b32 vcc_lo, exec_lo, s44
	s_cbranch_vccz .LBB39_787
; %bb.785:
	s_cmp_eq_u32 s23, 29
	s_mov_b32 s0, -1
	s_cbranch_scc0 .LBB39_787
; %bb.786:
	v_lshlrev_b32_e32 v3, 16, v2
	s_mov_b32 s43, -1
	s_mov_b32 s0, 0
	s_mov_b32 s44, 0
	v_trunc_f32_e32 v3, v3
	v_mul_f32_e32 v4, 0x2f800000, v3
	v_floor_f32_e32 v4, v4
	v_fmamk_f32 v3, v4, 0xcf800000, v3
	v_cvt_u32_f32_e32 v4, v4
	v_cvt_u32_f32_e32 v3, v3
	global_store_dwordx2 v[0:1], v[3:4], off
	s_branch .LBB39_788
.LBB39_787:
	s_mov_b32 s44, 0
.LBB39_788:
	s_and_b32 vcc_lo, exec_lo, s44
	s_cbranch_vccz .LBB39_804
; %bb.789:
	s_cmp_lt_i32 s23, 27
	s_mov_b32 s43, -1
	s_cbranch_scc1 .LBB39_795
; %bb.790:
	s_cmp_gt_i32 s23, 27
	s_cbranch_scc0 .LBB39_792
; %bb.791:
	v_lshlrev_b32_e32 v3, 16, v2
	s_mov_b32 s43, 0
	v_cvt_u32_f32_e32 v3, v3
	global_store_dword v[0:1], v3, off
.LBB39_792:
	s_andn2_b32 vcc_lo, exec_lo, s43
	s_cbranch_vccnz .LBB39_794
; %bb.793:
	v_lshlrev_b32_e32 v3, 16, v2
	v_cvt_u32_f32_e32 v3, v3
	global_store_short v[0:1], v3, off
.LBB39_794:
	s_mov_b32 s43, 0
.LBB39_795:
	s_andn2_b32 vcc_lo, exec_lo, s43
	s_cbranch_vccnz .LBB39_803
; %bb.796:
	v_lshlrev_b32_e32 v5, 16, v2
	v_mov_b32_e32 v6, 0x80
	s_mov_b32 s43, exec_lo
	v_and_b32_e32 v4, 0x7fffffff, v5
	v_cmpx_gt_u32_e32 0x43800000, v4
	s_cbranch_execz .LBB39_802
; %bb.797:
	v_and_b32_e32 v3, 0xffff, v2
	v_cmp_lt_u32_e32 vcc_lo, 0x3bffffff, v4
	s_mov_b32 s44, 0
                                        ; implicit-def: $vgpr4
	s_and_saveexec_b32 s45, vcc_lo
	s_xor_b32 s45, exec_lo, s45
	s_cbranch_execz .LBB39_919
; %bb.798:
	v_bfe_u32 v4, v3, 4, 1
	s_mov_b32 s44, exec_lo
	v_add3_u32 v4, v5, v4, 0x487ffff
                                        ; implicit-def: $vgpr5
	v_lshrrev_b32_e32 v4, 20, v4
	s_andn2_saveexec_b32 s45, s45
	s_cbranch_execnz .LBB39_920
.LBB39_799:
	s_or_b32 exec_lo, exec_lo, s45
	v_mov_b32_e32 v6, 0
	s_and_saveexec_b32 s45, s44
.LBB39_800:
	v_lshrrev_b32_e32 v3, 8, v3
	v_and_or_b32 v6, 0x80, v3, v4
.LBB39_801:
	s_or_b32 exec_lo, exec_lo, s45
.LBB39_802:
	s_or_b32 exec_lo, exec_lo, s43
	global_store_byte v[0:1], v6, off
.LBB39_803:
	s_mov_b32 s43, -1
.LBB39_804:
	s_mov_b32 s44, 0
.LBB39_805:
	s_and_b32 vcc_lo, exec_lo, s44
	s_cbranch_vccz .LBB39_846
; %bb.806:
	s_cmp_gt_i32 s23, 22
	s_mov_b32 s44, -1
	s_cbranch_scc0 .LBB39_838
; %bb.807:
	s_cmp_lt_i32 s23, 24
	s_mov_b32 s43, -1
	s_cbranch_scc1 .LBB39_827
; %bb.808:
	s_cmp_gt_i32 s23, 24
	s_cbranch_scc0 .LBB39_816
; %bb.809:
	v_lshlrev_b32_e32 v5, 16, v2
	v_mov_b32_e32 v6, 0x80
	s_mov_b32 s43, exec_lo
	v_and_b32_e32 v4, 0x7fffffff, v5
	v_cmpx_gt_u32_e32 0x47800000, v4
	s_cbranch_execz .LBB39_815
; %bb.810:
	v_and_b32_e32 v3, 0xffff, v2
	v_cmp_lt_u32_e32 vcc_lo, 0x37ffffff, v4
	s_mov_b32 s44, 0
                                        ; implicit-def: $vgpr4
	s_and_saveexec_b32 s45, vcc_lo
	s_xor_b32 s45, exec_lo, s45
	s_cbranch_execz .LBB39_922
; %bb.811:
	v_bfe_u32 v4, v3, 5, 1
	s_mov_b32 s44, exec_lo
	v_add3_u32 v4, v5, v4, 0x88fffff
                                        ; implicit-def: $vgpr5
	v_lshrrev_b32_e32 v4, 21, v4
	s_andn2_saveexec_b32 s45, s45
	s_cbranch_execnz .LBB39_923
.LBB39_812:
	s_or_b32 exec_lo, exec_lo, s45
	v_mov_b32_e32 v6, 0
	s_and_saveexec_b32 s45, s44
.LBB39_813:
	v_lshrrev_b32_e32 v3, 8, v3
	v_and_or_b32 v6, 0x80, v3, v4
.LBB39_814:
	s_or_b32 exec_lo, exec_lo, s45
.LBB39_815:
	s_or_b32 exec_lo, exec_lo, s43
	s_mov_b32 s43, 0
	global_store_byte v[0:1], v6, off
.LBB39_816:
	s_and_b32 vcc_lo, exec_lo, s43
	s_cbranch_vccz .LBB39_826
; %bb.817:
	v_lshlrev_b32_e32 v5, 16, v2
	v_and_b32_e32 v3, 0xffff, v2
	s_mov_b32 s43, exec_lo
                                        ; implicit-def: $vgpr4
	v_and_b32_e32 v6, 0x7fffffff, v5
	v_cmpx_gt_u32_e32 0x43f00000, v6
	s_xor_b32 s43, exec_lo, s43
	s_cbranch_execz .LBB39_823
; %bb.818:
	s_mov_b32 s44, exec_lo
                                        ; implicit-def: $vgpr4
	v_cmpx_lt_u32_e32 0x3c7fffff, v6
	s_xor_b32 s44, exec_lo, s44
; %bb.819:
	v_bfe_u32 v4, v3, 4, 1
	v_add3_u32 v4, v5, v4, 0x407ffff
	v_and_b32_e32 v5, 0xff00000, v4
	v_lshrrev_b32_e32 v4, 20, v4
	v_cmp_ne_u32_e32 vcc_lo, 0x7f00000, v5
                                        ; implicit-def: $vgpr5
	v_cndmask_b32_e32 v4, 0x7e, v4, vcc_lo
; %bb.820:
	s_andn2_saveexec_b32 s44, s44
; %bb.821:
	v_add_f32_e64 v4, 0x46800000, |v5|
; %bb.822:
	s_or_b32 exec_lo, exec_lo, s44
                                        ; implicit-def: $vgpr6
.LBB39_823:
	s_andn2_saveexec_b32 s43, s43
; %bb.824:
	v_mov_b32_e32 v4, 0x7f
	v_cmp_lt_u32_e32 vcc_lo, 0x7f800000, v6
	v_cndmask_b32_e32 v4, 0x7e, v4, vcc_lo
; %bb.825:
	s_or_b32 exec_lo, exec_lo, s43
	v_lshrrev_b32_e32 v3, 8, v3
	v_and_or_b32 v3, 0x80, v3, v4
	global_store_byte v[0:1], v3, off
.LBB39_826:
	s_mov_b32 s43, 0
.LBB39_827:
	s_andn2_b32 vcc_lo, exec_lo, s43
	s_cbranch_vccnz .LBB39_837
; %bb.828:
	v_lshlrev_b32_e32 v5, 16, v2
	v_and_b32_e32 v3, 0xffff, v2
	s_mov_b32 s43, exec_lo
                                        ; implicit-def: $vgpr4
	v_and_b32_e32 v6, 0x7fffffff, v5
	v_cmpx_gt_u32_e32 0x47800000, v6
	s_xor_b32 s43, exec_lo, s43
	s_cbranch_execz .LBB39_834
; %bb.829:
	s_mov_b32 s44, exec_lo
                                        ; implicit-def: $vgpr4
	v_cmpx_lt_u32_e32 0x387fffff, v6
	s_xor_b32 s44, exec_lo, s44
; %bb.830:
	v_bfe_u32 v4, v3, 5, 1
	v_add3_u32 v4, v5, v4, 0x80fffff
                                        ; implicit-def: $vgpr5
	v_lshrrev_b32_e32 v4, 21, v4
; %bb.831:
	s_andn2_saveexec_b32 s44, s44
; %bb.832:
	v_add_f32_e64 v4, 0x43000000, |v5|
; %bb.833:
	s_or_b32 exec_lo, exec_lo, s44
                                        ; implicit-def: $vgpr6
.LBB39_834:
	s_andn2_saveexec_b32 s43, s43
; %bb.835:
	v_mov_b32_e32 v4, 0x7f
	v_cmp_lt_u32_e32 vcc_lo, 0x7f800000, v6
	v_cndmask_b32_e32 v4, 0x7c, v4, vcc_lo
; %bb.836:
	s_or_b32 exec_lo, exec_lo, s43
	v_lshrrev_b32_e32 v3, 8, v3
	v_and_or_b32 v3, 0x80, v3, v4
	global_store_byte v[0:1], v3, off
.LBB39_837:
	s_mov_b32 s44, 0
	s_mov_b32 s43, -1
.LBB39_838:
	s_andn2_b32 vcc_lo, exec_lo, s44
	s_cbranch_vccnz .LBB39_846
; %bb.839:
	s_cmp_gt_i32 s23, 14
	s_mov_b32 s44, -1
	s_cbranch_scc0 .LBB39_843
; %bb.840:
	s_cmp_eq_u32 s23, 15
	s_mov_b32 s0, -1
	s_cbranch_scc0 .LBB39_842
; %bb.841:
	s_mov_b32 s43, -1
	s_mov_b32 s0, 0
	global_store_short v[0:1], v2, off
.LBB39_842:
	s_mov_b32 s44, 0
.LBB39_843:
	s_and_b32 vcc_lo, exec_lo, s44
	s_cbranch_vccz .LBB39_846
; %bb.844:
	s_cmp_eq_u32 s23, 11
	s_mov_b32 s0, -1
	s_cbranch_scc0 .LBB39_846
; %bb.845:
	v_and_b32_e32 v3, 0x7fff, v2
	s_mov_b32 s0, 0
	s_mov_b32 s43, -1
	v_cmp_ne_u16_e32 vcc_lo, 0, v3
	v_cndmask_b32_e64 v3, 0, 1, vcc_lo
	global_store_byte v[0:1], v3, off
.LBB39_846:
	s_mov_b32 s23, 0
.LBB39_847:
	s_and_b32 vcc_lo, exec_lo, s23
	s_cbranch_vccz .LBB39_886
; %bb.848:
	s_and_b32 s1, 0xffff, s1
	s_mov_b32 s23, -1
	s_cmp_lt_i32 s1, 5
	s_cbranch_scc1 .LBB39_869
; %bb.849:
	s_cmp_lt_i32 s1, 8
	s_cbranch_scc1 .LBB39_859
; %bb.850:
	s_cmp_lt_i32 s1, 9
	s_cbranch_scc1 .LBB39_856
; %bb.851:
	s_cmp_gt_i32 s1, 9
	s_cbranch_scc0 .LBB39_853
; %bb.852:
	v_lshlrev_b32_e32 v3, 16, v2
	v_mov_b32_e32 v5, 0
	s_mov_b32 s23, 0
	v_cvt_f64_f32_e32 v[3:4], v3
	v_mov_b32_e32 v6, v5
	global_store_dwordx4 v[0:1], v[3:6], off
.LBB39_853:
	s_andn2_b32 vcc_lo, exec_lo, s23
	s_cbranch_vccnz .LBB39_855
; %bb.854:
	v_lshlrev_b32_e32 v3, 16, v2
	v_mov_b32_e32 v4, 0
	global_store_dwordx2 v[0:1], v[3:4], off
.LBB39_855:
	s_mov_b32 s23, 0
.LBB39_856:
	s_andn2_b32 vcc_lo, exec_lo, s23
	s_cbranch_vccnz .LBB39_858
; %bb.857:
	v_lshlrev_b32_e32 v3, 16, v2
	v_cvt_f16_f32_e32 v3, v3
	v_and_b32_e32 v3, 0xffff, v3
	global_store_dword v[0:1], v3, off
.LBB39_858:
	s_mov_b32 s23, 0
.LBB39_859:
	s_andn2_b32 vcc_lo, exec_lo, s23
	s_cbranch_vccnz .LBB39_868
; %bb.860:
	s_cmp_lt_i32 s1, 6
	s_mov_b32 s23, -1
	s_cbranch_scc1 .LBB39_866
; %bb.861:
	s_cmp_gt_i32 s1, 6
	s_cbranch_scc0 .LBB39_863
; %bb.862:
	v_lshlrev_b32_e32 v3, 16, v2
	s_mov_b32 s23, 0
	v_cvt_f64_f32_e32 v[3:4], v3
	global_store_dwordx2 v[0:1], v[3:4], off
.LBB39_863:
	s_andn2_b32 vcc_lo, exec_lo, s23
	s_cbranch_vccnz .LBB39_865
; %bb.864:
	v_lshlrev_b32_e32 v3, 16, v2
	global_store_dword v[0:1], v3, off
.LBB39_865:
	s_mov_b32 s23, 0
.LBB39_866:
	s_andn2_b32 vcc_lo, exec_lo, s23
	s_cbranch_vccnz .LBB39_868
; %bb.867:
	v_lshlrev_b32_e32 v3, 16, v2
	v_cvt_f16_f32_e32 v3, v3
	global_store_short v[0:1], v3, off
.LBB39_868:
	s_mov_b32 s23, 0
.LBB39_869:
	s_andn2_b32 vcc_lo, exec_lo, s23
	s_cbranch_vccnz .LBB39_885
; %bb.870:
	s_cmp_lt_i32 s1, 2
	s_mov_b32 s23, -1
	s_cbranch_scc1 .LBB39_880
; %bb.871:
	s_cmp_lt_i32 s1, 3
	s_cbranch_scc1 .LBB39_877
; %bb.872:
	s_cmp_gt_i32 s1, 3
	s_cbranch_scc0 .LBB39_874
; %bb.873:
	v_lshlrev_b32_e32 v3, 16, v2
	s_mov_b32 s23, 0
	v_trunc_f32_e32 v3, v3
	v_mul_f32_e64 v4, 0x2f800000, |v3|
	v_ashrrev_i32_e32 v6, 31, v3
	v_floor_f32_e32 v4, v4
	v_fma_f32 v5, 0xcf800000, v4, |v3|
	v_cvt_u32_f32_e32 v4, v4
	v_cvt_u32_f32_e32 v3, v5
	v_xor_b32_e32 v4, v4, v6
	v_xor_b32_e32 v3, v3, v6
	v_sub_co_u32 v3, vcc_lo, v3, v6
	v_sub_co_ci_u32_e64 v4, null, v4, v6, vcc_lo
	global_store_dwordx2 v[0:1], v[3:4], off
.LBB39_874:
	s_andn2_b32 vcc_lo, exec_lo, s23
	s_cbranch_vccnz .LBB39_876
; %bb.875:
	v_lshlrev_b32_e32 v3, 16, v2
	v_cvt_i32_f32_e32 v3, v3
	global_store_dword v[0:1], v3, off
.LBB39_876:
	s_mov_b32 s23, 0
.LBB39_877:
	s_andn2_b32 vcc_lo, exec_lo, s23
	s_cbranch_vccnz .LBB39_879
; %bb.878:
	v_lshlrev_b32_e32 v3, 16, v2
	v_cvt_i32_f32_e32 v3, v3
	global_store_short v[0:1], v3, off
.LBB39_879:
	s_mov_b32 s23, 0
.LBB39_880:
	s_andn2_b32 vcc_lo, exec_lo, s23
	s_cbranch_vccnz .LBB39_885
; %bb.881:
	v_lshlrev_b32_e32 v2, 16, v2
	s_cmp_gt_i32 s1, 0
	s_mov_b32 s1, -1
	s_cbranch_scc0 .LBB39_883
; %bb.882:
	v_cvt_i32_f32_e32 v3, v2
	s_mov_b32 s1, 0
	global_store_byte v[0:1], v3, off
.LBB39_883:
	s_andn2_b32 vcc_lo, exec_lo, s1
	s_cbranch_vccnz .LBB39_885
; %bb.884:
	v_trunc_f32_e32 v2, v2
	v_mul_f32_e64 v3, 0x2f800000, |v2|
	v_floor_f32_e32 v3, v3
	v_fma_f32 v3, 0xcf800000, v3, |v2|
	v_ashrrev_i32_e32 v2, 31, v2
	v_cvt_u32_f32_e32 v3, v3
	v_xor_b32_e32 v3, v3, v2
	v_sub_nc_u32_e32 v2, v3, v2
	global_store_byte v[0:1], v2, off
.LBB39_885:
	s_mov_b32 s43, -1
.LBB39_886:
	s_andn2_b32 vcc_lo, exec_lo, s43
	s_cbranch_vccnz .LBB39_888
; %bb.887:
	v_add_nc_u32_e32 v8, 0x80, v8
	s_mov_b32 s1, -1
	s_branch .LBB39_890
.LBB39_888:
	s_mov_b32 s1, 0
.LBB39_889:
                                        ; implicit-def: $vgpr8
.LBB39_890:
	s_andn2_b32 s23, s40, exec_lo
	s_and_b32 s0, s0, exec_lo
	s_andn2_b32 s43, s39, exec_lo
	s_and_b32 s22, s22, exec_lo
	s_or_b32 s23, s23, s0
	s_or_b32 s22, s43, s22
	s_orn2_b32 s44, s1, exec_lo
.LBB39_891:
	s_or_b32 exec_lo, exec_lo, s42
	s_mov_b32 s0, 0
	s_mov_b32 s1, 0
	;; [unrolled: 1-line block ×3, first 2 shown]
                                        ; implicit-def: $vgpr1_vgpr2
                                        ; implicit-def: $vgpr0
                                        ; implicit-def: $vgpr4
	s_and_saveexec_b32 s42, s44
	s_cbranch_execz .LBB39_991
; %bb.892:
	v_cmp_gt_i32_e32 vcc_lo, s33, v8
	s_mov_b32 s45, s22
	s_mov_b32 s44, 0
                                        ; implicit-def: $vgpr1_vgpr2
                                        ; implicit-def: $vgpr0
                                        ; implicit-def: $vgpr4
	s_and_saveexec_b32 s33, vcc_lo
	s_cbranch_execz .LBB39_990
; %bb.893:
	s_andn2_b32 vcc_lo, exec_lo, s27
	s_cbranch_vccnz .LBB39_898
; %bb.894:
	s_andn2_b32 vcc_lo, exec_lo, s34
	s_cbranch_vccnz .LBB39_899
; %bb.895:
	s_add_i32 s35, s35, 1
	s_cmp_eq_u32 s25, 2
	s_cbranch_scc1 .LBB39_900
; %bb.896:
	v_mov_b32_e32 v2, 0
	v_mov_b32_e32 v0, 0
	;; [unrolled: 1-line block ×3, first 2 shown]
	s_and_b32 s34, s35, 28
	s_mov_b64 s[0:1], s[2:3]
.LBB39_897:                             ; =>This Inner Loop Header: Depth=1
	s_clause 0x1
	s_load_dwordx8 s[44:51], s[0:1], 0x4
	s_load_dwordx4 s[60:63], s[0:1], 0x24
	s_load_dwordx8 s[52:59], s[20:21], 0x0
	s_add_u32 s0, s0, 48
	s_addc_u32 s1, s1, 0
	s_add_i32 s43, s43, 4
	s_add_u32 s20, s20, 32
	s_addc_u32 s21, s21, 0
	s_cmp_eq_u32 s34, s43
	s_waitcnt vmcnt(0) lgkmcnt(0)
	v_mul_hi_u32 v3, s45, v1
	v_add_nc_u32_e32 v3, v1, v3
	v_lshrrev_b32_e32 v3, s46, v3
	v_mul_hi_u32 v4, s48, v3
	v_mul_lo_u32 v6, v3, s44
	v_add_nc_u32_e32 v4, v3, v4
	v_sub_nc_u32_e32 v1, v1, v6
	v_lshrrev_b32_e32 v4, s49, v4
	v_mul_lo_u32 v6, v1, s52
	v_mul_lo_u32 v9, v1, s53
	v_mul_hi_u32 v5, s51, v4
	v_add_nc_u32_e32 v5, v4, v5
	v_lshrrev_b32_e32 v5, s60, v5
	v_mul_hi_u32 v7, s62, v5
	v_mul_lo_u32 v10, v5, s50
	v_add_nc_u32_e32 v1, v5, v7
	v_mul_lo_u32 v7, v4, s47
	v_sub_nc_u32_e32 v4, v4, v10
	v_lshrrev_b32_e32 v1, s63, v1
	v_mul_lo_u32 v10, v4, s56
	v_mul_lo_u32 v4, v4, s57
	v_sub_nc_u32_e32 v3, v3, v7
	v_mul_lo_u32 v11, v1, s61
	v_mul_lo_u32 v7, v3, s54
	;; [unrolled: 1-line block ×3, first 2 shown]
	v_sub_nc_u32_e32 v5, v5, v11
	v_add3_u32 v0, v6, v0, v7
	v_mul_lo_u32 v11, v5, s58
	v_mul_lo_u32 v5, v5, s59
	v_add3_u32 v2, v9, v2, v3
	v_add3_u32 v0, v10, v0, v11
	;; [unrolled: 1-line block ×3, first 2 shown]
	s_cbranch_scc0 .LBB39_897
	s_branch .LBB39_901
.LBB39_898:
	s_mov_b32 s0, -1
                                        ; implicit-def: $vgpr0
                                        ; implicit-def: $vgpr2
	s_branch .LBB39_905
.LBB39_899:
	v_mov_b32_e32 v0, 0
	v_mov_b32_e32 v2, 0
	s_branch .LBB39_904
.LBB39_900:
	v_mov_b32_e32 v0, 0
	v_mov_b32_e32 v2, 0
	;; [unrolled: 1-line block ×3, first 2 shown]
	s_mov_b32 s34, 0
.LBB39_901:
	s_and_b32 s35, s35, 3
	s_cmp_eq_u32 s35, 0
	s_cbranch_scc1 .LBB39_904
; %bb.902:
	s_lshl_b32 s0, s34, 3
	s_mul_i32 s20, s34, 12
	s_add_u32 s0, s2, s0
	s_addc_u32 s1, s3, 0
	s_add_u32 s0, s0, 0xc4
	s_addc_u32 s1, s1, 0
	;; [unrolled: 2-line block ×3, first 2 shown]
.LBB39_903:                             ; =>This Inner Loop Header: Depth=1
	s_clause 0x1
	s_load_dwordx2 s[44:45], s[20:21], 0x4
	s_load_dword s34, s[20:21], 0xc
	s_load_dwordx2 s[46:47], s[0:1], 0x0
	s_add_u32 s20, s20, 12
	s_addc_u32 s21, s21, 0
	s_add_u32 s0, s0, 8
	s_addc_u32 s1, s1, 0
	s_add_i32 s35, s35, -1
	s_cmp_lg_u32 s35, 0
	s_waitcnt vmcnt(0) lgkmcnt(0)
	v_mul_hi_u32 v3, s45, v1
	v_add_nc_u32_e32 v3, v1, v3
	v_lshrrev_b32_e32 v4, s34, v3
	v_mul_lo_u32 v3, v4, s44
	v_sub_nc_u32_e32 v3, v1, v3
	v_mad_u64_u32 v[0:1], null, v3, s46, v[0:1]
	v_mad_u64_u32 v[2:3], null, v3, s47, v[2:3]
	v_mov_b32_e32 v1, v4
	s_cbranch_scc1 .LBB39_903
.LBB39_904:
	s_mov_b32 s0, 0
.LBB39_905:
	s_andn2_b32 vcc_lo, exec_lo, s0
	s_cbranch_vccnz .LBB39_908
; %bb.906:
	s_waitcnt lgkmcnt(0)
	v_mul_hi_u32 v0, s17, v8
	s_andn2_b32 vcc_lo, exec_lo, s31
	v_add_nc_u32_e32 v0, v8, v0
	v_lshrrev_b32_e32 v1, s18, v0
	v_mul_lo_u32 v0, v1, s16
	v_sub_nc_u32_e32 v2, v8, v0
	v_mul_lo_u32 v0, v2, s12
	v_mul_lo_u32 v2, v2, s13
	s_cbranch_vccnz .LBB39_908
; %bb.907:
	s_waitcnt vmcnt(0)
	v_mul_hi_u32 v3, s6, v1
	v_add_nc_u32_e32 v3, v1, v3
	v_lshrrev_b32_e32 v3, s7, v3
	v_mul_lo_u32 v3, v3, s19
	v_sub_nc_u32_e32 v3, v1, v3
	v_mad_u64_u32 v[0:1], null, v3, s14, v[0:1]
	v_mad_u64_u32 v[2:3], null, v3, s15, v[2:3]
.LBB39_908:
	s_waitcnt lgkmcnt(0)
	v_add_co_u32 v1, s0, s10, v2
	v_add_co_ci_u32_e64 v2, null, s11, 0, s0
	s_and_b32 s0, 0xffff, s30
	s_cmp_lt_i32 s0, 11
	s_cbranch_scc1 .LBB39_915
; %bb.909:
	s_cmp_gt_i32 s0, 25
	s_mov_b32 s6, 0
	s_cbranch_scc0 .LBB39_916
; %bb.910:
	s_cmp_gt_i32 s0, 28
	s_cbranch_scc0 .LBB39_917
; %bb.911:
	s_cmp_gt_i32 s0, 43
	;; [unrolled: 3-line block ×3, first 2 shown]
	s_cbranch_scc0 .LBB39_921
; %bb.913:
	s_cmp_eq_u32 s0, 46
	s_mov_b32 s10, 0
	s_cbranch_scc0 .LBB39_924
; %bb.914:
	global_load_dword v4, v[1:2], off
	s_mov_b32 s1, 0
	s_mov_b32 s7, -1
	s_branch .LBB39_926
.LBB39_915:
	s_mov_b32 s0, -1
	s_mov_b32 s7, 0
	s_mov_b32 s6, 0
	;; [unrolled: 1-line block ×3, first 2 shown]
                                        ; implicit-def: $vgpr4
	s_branch .LBB39_989
.LBB39_916:
	s_mov_b32 s10, -1
	s_mov_b32 s7, 0
	s_mov_b32 s1, s22
                                        ; implicit-def: $vgpr4
	s_branch .LBB39_955
.LBB39_917:
	s_mov_b32 s10, -1
	s_mov_b32 s7, 0
	s_mov_b32 s1, s22
                                        ; implicit-def: $vgpr4
	s_branch .LBB39_936
.LBB39_918:
	s_mov_b32 s10, -1
	s_mov_b32 s7, 0
	s_mov_b32 s1, s22
                                        ; implicit-def: $vgpr4
	s_branch .LBB39_931
.LBB39_919:
	s_andn2_saveexec_b32 s45, s45
	s_cbranch_execz .LBB39_799
.LBB39_920:
	v_add_f32_e64 v4, 0x46000000, |v5|
	s_andn2_b32 s44, s44, exec_lo
	v_and_b32_e32 v4, 0xff, v4
	v_cmp_ne_u32_e32 vcc_lo, 0, v4
	s_and_b32 s46, vcc_lo, exec_lo
	s_or_b32 s44, s44, s46
	s_or_b32 exec_lo, exec_lo, s45
	v_mov_b32_e32 v6, 0
	s_and_saveexec_b32 s45, s44
	s_cbranch_execnz .LBB39_800
	s_branch .LBB39_801
.LBB39_921:
	s_mov_b32 s10, -1
	s_mov_b32 s7, 0
	s_mov_b32 s1, s22
	s_branch .LBB39_925
.LBB39_922:
	s_andn2_saveexec_b32 s45, s45
	s_cbranch_execz .LBB39_812
.LBB39_923:
	v_add_f32_e64 v4, 0x42800000, |v5|
	s_andn2_b32 s44, s44, exec_lo
	v_and_b32_e32 v4, 0xff, v4
	v_cmp_ne_u32_e32 vcc_lo, 0, v4
	s_and_b32 s46, vcc_lo, exec_lo
	s_or_b32 s44, s44, s46
	s_or_b32 exec_lo, exec_lo, s45
	v_mov_b32_e32 v6, 0
	s_and_saveexec_b32 s45, s44
	s_cbranch_execnz .LBB39_813
	s_branch .LBB39_814
.LBB39_924:
	s_mov_b32 s1, -1
	s_mov_b32 s7, 0
.LBB39_925:
                                        ; implicit-def: $vgpr4
.LBB39_926:
	s_and_b32 vcc_lo, exec_lo, s10
	s_cbranch_vccz .LBB39_930
; %bb.927:
	s_cmp_eq_u32 s0, 44
	s_cbranch_scc0 .LBB39_929
; %bb.928:
	global_load_ubyte v3, v[1:2], off
	s_mov_b32 s1, 0
	s_mov_b32 s7, -1
	s_waitcnt vmcnt(0)
	v_lshlrev_b32_e32 v4, 23, v3
	v_cmp_ne_u32_e32 vcc_lo, 0xff, v3
	v_cndmask_b32_e32 v4, 0x7f800001, v4, vcc_lo
	v_cmp_ne_u32_e32 vcc_lo, 0, v3
	v_cndmask_b32_e32 v3, 0x400000, v4, vcc_lo
	v_mov_b32_e32 v4, 0x7fc0
	v_cmp_o_f32_e32 vcc_lo, v3, v3
	v_add_nc_u32_e32 v3, 0x7fff, v3
	v_cndmask_b32_sdwa v4, v4, v3, vcc_lo dst_sel:DWORD dst_unused:UNUSED_PAD src0_sel:DWORD src1_sel:WORD_1
	s_branch .LBB39_930
.LBB39_929:
	s_mov_b32 s1, -1
                                        ; implicit-def: $vgpr4
.LBB39_930:
	s_mov_b32 s10, 0
.LBB39_931:
	s_and_b32 vcc_lo, exec_lo, s10
	s_cbranch_vccz .LBB39_935
; %bb.932:
	s_cmp_eq_u32 s0, 29
	s_cbranch_scc0 .LBB39_934
; %bb.933:
	global_load_dwordx2 v[3:4], v[1:2], off
	s_mov_b32 s1, 0
	s_mov_b32 s7, -1
	s_mov_b32 s10, 0
	s_waitcnt vmcnt(0)
	v_ffbh_u32_e32 v5, v4
	v_min_u32_e32 v5, 32, v5
	v_lshlrev_b64 v[3:4], v5, v[3:4]
	v_min_u32_e32 v3, 1, v3
	v_or_b32_e32 v3, v4, v3
	v_sub_nc_u32_e32 v4, 32, v5
	v_cvt_f32_u32_e32 v3, v3
	v_ldexp_f32 v3, v3, v4
	v_bfe_u32 v4, v3, 16, 1
	v_add3_u32 v3, v3, v4, 0x7fff
	v_lshrrev_b32_e32 v4, 16, v3
	s_branch .LBB39_936
.LBB39_934:
	s_mov_b32 s1, -1
                                        ; implicit-def: $vgpr4
.LBB39_935:
	s_mov_b32 s10, 0
.LBB39_936:
	s_and_b32 vcc_lo, exec_lo, s10
	s_cbranch_vccz .LBB39_954
; %bb.937:
	s_cmp_lt_i32 s0, 27
	s_cbranch_scc1 .LBB39_940
; %bb.938:
	s_cmp_gt_i32 s0, 27
	s_cbranch_scc0 .LBB39_941
; %bb.939:
	global_load_dword v3, v[1:2], off
	s_mov_b32 s7, 0
	s_waitcnt vmcnt(0)
	v_cvt_f32_u32_e32 v3, v3
	v_bfe_u32 v4, v3, 16, 1
	v_add3_u32 v3, v3, v4, 0x7fff
	v_lshrrev_b32_e32 v4, 16, v3
	s_branch .LBB39_942
.LBB39_940:
	s_mov_b32 s7, -1
                                        ; implicit-def: $vgpr4
	s_branch .LBB39_945
.LBB39_941:
	s_mov_b32 s7, -1
                                        ; implicit-def: $vgpr4
.LBB39_942:
	s_andn2_b32 vcc_lo, exec_lo, s7
	s_cbranch_vccnz .LBB39_944
; %bb.943:
	global_load_ushort v3, v[1:2], off
	s_waitcnt vmcnt(0)
	v_cvt_f32_u32_e32 v3, v3
	v_bfe_u32 v4, v3, 16, 1
	v_add3_u32 v3, v3, v4, 0x7fff
	v_lshrrev_b32_e32 v4, 16, v3
.LBB39_944:
	s_mov_b32 s7, 0
.LBB39_945:
	s_andn2_b32 vcc_lo, exec_lo, s7
	s_cbranch_vccnz .LBB39_953
; %bb.946:
	global_load_ubyte v3, v[1:2], off
	s_mov_b32 s7, 0
	s_mov_b32 s10, exec_lo
	s_waitcnt vmcnt(0)
	v_cmpx_lt_i16_e32 0x7f, v3
	s_xor_b32 s10, exec_lo, s10
	s_cbranch_execz .LBB39_967
; %bb.947:
	s_mov_b32 s7, -1
	s_mov_b32 s11, exec_lo
	v_cmpx_eq_u16_e32 0x80, v3
; %bb.948:
	s_xor_b32 s7, exec_lo, -1
; %bb.949:
	s_or_b32 exec_lo, exec_lo, s11
	s_and_b32 s7, s7, exec_lo
	s_or_saveexec_b32 s10, s10
	v_mov_b32_e32 v4, 0x7f800001
	s_xor_b32 exec_lo, exec_lo, s10
	s_cbranch_execnz .LBB39_968
.LBB39_950:
	s_or_b32 exec_lo, exec_lo, s10
	s_and_saveexec_b32 s10, s7
	s_cbranch_execz .LBB39_952
.LBB39_951:
	v_and_b32_e32 v4, 0xffff, v3
	v_lshlrev_b32_e32 v3, 24, v3
	v_and_b32_e32 v5, 7, v4
	v_bfe_u32 v8, v4, 3, 4
	v_and_b32_e32 v3, 0x80000000, v3
	v_ffbh_u32_e32 v6, v5
	v_cmp_eq_u32_e32 vcc_lo, 0, v8
	v_min_u32_e32 v6, 32, v6
	v_subrev_nc_u32_e32 v7, 28, v6
	v_sub_nc_u32_e32 v6, 29, v6
	v_lshlrev_b32_e32 v4, v7, v4
	v_cndmask_b32_e32 v6, v8, v6, vcc_lo
	v_and_b32_e32 v4, 7, v4
	v_cndmask_b32_e32 v4, v5, v4, vcc_lo
	v_lshl_add_u32 v5, v6, 23, 0x3b800000
	v_lshlrev_b32_e32 v4, 20, v4
	v_or3_b32 v4, v3, v5, v4
.LBB39_952:
	s_or_b32 exec_lo, exec_lo, s10
	v_bfe_u32 v3, v4, 16, 1
	v_cmp_o_f32_e32 vcc_lo, v4, v4
	v_add3_u32 v3, v4, v3, 0x7fff
	v_mov_b32_e32 v4, 0x7fc0
	v_cndmask_b32_sdwa v4, v4, v3, vcc_lo dst_sel:DWORD dst_unused:UNUSED_PAD src0_sel:DWORD src1_sel:WORD_1
.LBB39_953:
	s_mov_b32 s7, -1
.LBB39_954:
	s_mov_b32 s10, 0
.LBB39_955:
	s_and_b32 vcc_lo, exec_lo, s10
	s_cbranch_vccz .LBB39_988
; %bb.956:
	s_cmp_gt_i32 s0, 22
	s_cbranch_scc0 .LBB39_966
; %bb.957:
	s_cmp_lt_i32 s0, 24
	s_cbranch_scc1 .LBB39_969
; %bb.958:
	s_cmp_gt_i32 s0, 24
	s_cbranch_scc0 .LBB39_970
; %bb.959:
	global_load_ubyte v3, v[1:2], off
	s_mov_b32 s7, exec_lo
	s_waitcnt vmcnt(0)
	v_cmpx_lt_i16_e32 0x7f, v3
	s_xor_b32 s7, exec_lo, s7
	s_cbranch_execz .LBB39_982
; %bb.960:
	s_mov_b32 s6, -1
	s_mov_b32 s10, exec_lo
	v_cmpx_eq_u16_e32 0x80, v3
; %bb.961:
	s_xor_b32 s6, exec_lo, -1
; %bb.962:
	s_or_b32 exec_lo, exec_lo, s10
	s_and_b32 s6, s6, exec_lo
	s_or_saveexec_b32 s7, s7
	v_mov_b32_e32 v4, 0x7f800001
	s_xor_b32 exec_lo, exec_lo, s7
	s_cbranch_execnz .LBB39_983
.LBB39_963:
	s_or_b32 exec_lo, exec_lo, s7
	s_and_saveexec_b32 s7, s6
	s_cbranch_execz .LBB39_965
.LBB39_964:
	v_and_b32_e32 v4, 0xffff, v3
	v_lshlrev_b32_e32 v3, 24, v3
	v_and_b32_e32 v5, 3, v4
	v_bfe_u32 v8, v4, 2, 5
	v_and_b32_e32 v3, 0x80000000, v3
	v_ffbh_u32_e32 v6, v5
	v_cmp_eq_u32_e32 vcc_lo, 0, v8
	v_min_u32_e32 v6, 32, v6
	v_subrev_nc_u32_e32 v7, 29, v6
	v_sub_nc_u32_e32 v6, 30, v6
	v_lshlrev_b32_e32 v4, v7, v4
	v_cndmask_b32_e32 v6, v8, v6, vcc_lo
	v_and_b32_e32 v4, 3, v4
	v_cndmask_b32_e32 v4, v5, v4, vcc_lo
	v_lshl_add_u32 v5, v6, 23, 0x37800000
	v_lshlrev_b32_e32 v4, 21, v4
	v_or3_b32 v4, v3, v5, v4
.LBB39_965:
	s_or_b32 exec_lo, exec_lo, s7
	v_bfe_u32 v3, v4, 16, 1
	v_cmp_o_f32_e32 vcc_lo, v4, v4
	s_mov_b32 s6, 0
	v_add3_u32 v3, v4, v3, 0x7fff
	v_mov_b32_e32 v4, 0x7fc0
	v_cndmask_b32_sdwa v4, v4, v3, vcc_lo dst_sel:DWORD dst_unused:UNUSED_PAD src0_sel:DWORD src1_sel:WORD_1
	s_branch .LBB39_971
.LBB39_966:
	s_mov_b32 s6, -1
                                        ; implicit-def: $vgpr4
	s_branch .LBB39_977
.LBB39_967:
	s_or_saveexec_b32 s10, s10
	v_mov_b32_e32 v4, 0x7f800001
	s_xor_b32 exec_lo, exec_lo, s10
	s_cbranch_execz .LBB39_950
.LBB39_968:
	v_cmp_ne_u16_e32 vcc_lo, 0, v3
	v_mov_b32_e32 v4, 0
	s_andn2_b32 s7, s7, exec_lo
	s_and_b32 s11, vcc_lo, exec_lo
	s_or_b32 s7, s7, s11
	s_or_b32 exec_lo, exec_lo, s10
	s_and_saveexec_b32 s10, s7
	s_cbranch_execnz .LBB39_951
	s_branch .LBB39_952
.LBB39_969:
	s_mov_b32 s6, -1
                                        ; implicit-def: $vgpr4
	s_branch .LBB39_974
.LBB39_970:
	s_mov_b32 s6, -1
                                        ; implicit-def: $vgpr4
.LBB39_971:
	s_and_b32 vcc_lo, exec_lo, s6
	s_cbranch_vccz .LBB39_973
; %bb.972:
	global_load_ubyte v3, v[1:2], off
	s_waitcnt vmcnt(0)
	v_lshlrev_b32_e32 v3, 24, v3
	v_and_b32_e32 v4, 0x7f000000, v3
	v_ffbh_u32_e32 v5, v4
	v_add_nc_u32_e32 v7, 0x1000000, v4
	v_cmp_ne_u32_e32 vcc_lo, 0, v4
	v_min_u32_e32 v5, 32, v5
	v_sub_nc_u32_e64 v5, v5, 4 clamp
	v_lshlrev_b32_e32 v6, v5, v4
	v_lshlrev_b32_e32 v5, 23, v5
	v_lshrrev_b32_e32 v6, 4, v6
	v_sub_nc_u32_e32 v5, v6, v5
	v_ashrrev_i32_e32 v6, 8, v7
	v_add_nc_u32_e32 v5, 0x3c000000, v5
	v_and_or_b32 v5, 0x7f800000, v6, v5
	v_cndmask_b32_e32 v4, 0, v5, vcc_lo
	v_and_or_b32 v3, 0x80000000, v3, v4
	v_bfe_u32 v4, v4, 16, 1
	v_cmp_o_f32_e32 vcc_lo, v3, v3
	v_add3_u32 v3, v3, v4, 0x7fff
	v_mov_b32_e32 v4, 0x7fc0
	v_cndmask_b32_sdwa v4, v4, v3, vcc_lo dst_sel:DWORD dst_unused:UNUSED_PAD src0_sel:DWORD src1_sel:WORD_1
.LBB39_973:
	s_mov_b32 s6, 0
.LBB39_974:
	s_andn2_b32 vcc_lo, exec_lo, s6
	s_cbranch_vccnz .LBB39_976
; %bb.975:
	global_load_ubyte v3, v[1:2], off
	s_waitcnt vmcnt(0)
	v_lshlrev_b32_e32 v4, 25, v3
	v_lshlrev_b16 v3, 8, v3
	v_lshrrev_b32_e32 v5, 4, v4
	v_and_or_b32 v6, 0x7f00, v3, 0.5
	v_cmp_gt_u32_e32 vcc_lo, 0x8000000, v4
	v_bfe_i32 v3, v3, 0, 16
	v_or_b32_e32 v5, 0x70000000, v5
	v_add_f32_e32 v6, -0.5, v6
	v_mul_f32_e32 v5, 0x7800000, v5
	v_cndmask_b32_e32 v4, v5, v6, vcc_lo
	v_and_or_b32 v3, 0x80000000, v3, v4
	v_bfe_u32 v4, v4, 16, 1
	v_cmp_o_f32_e32 vcc_lo, v3, v3
	v_add3_u32 v3, v3, v4, 0x7fff
	v_mov_b32_e32 v4, 0x7fc0
	v_cndmask_b32_sdwa v4, v4, v3, vcc_lo dst_sel:DWORD dst_unused:UNUSED_PAD src0_sel:DWORD src1_sel:WORD_1
.LBB39_976:
	s_mov_b32 s6, 0
	s_mov_b32 s7, -1
.LBB39_977:
	s_andn2_b32 vcc_lo, exec_lo, s6
	s_mov_b32 s6, 0
	s_cbranch_vccnz .LBB39_988
; %bb.978:
	s_cmp_gt_i32 s0, 14
	s_cbranch_scc0 .LBB39_981
; %bb.979:
	s_cmp_eq_u32 s0, 15
	s_cbranch_scc0 .LBB39_984
; %bb.980:
	global_load_ushort v4, v[1:2], off
	s_mov_b32 s1, 0
	s_mov_b32 s7, -1
	s_branch .LBB39_986
.LBB39_981:
	s_mov_b32 s6, -1
	s_branch .LBB39_985
.LBB39_982:
	s_or_saveexec_b32 s7, s7
	v_mov_b32_e32 v4, 0x7f800001
	s_xor_b32 exec_lo, exec_lo, s7
	s_cbranch_execz .LBB39_963
.LBB39_983:
	v_cmp_ne_u16_e32 vcc_lo, 0, v3
	v_mov_b32_e32 v4, 0
	s_andn2_b32 s6, s6, exec_lo
	s_and_b32 s10, vcc_lo, exec_lo
	s_or_b32 s6, s6, s10
	s_or_b32 exec_lo, exec_lo, s7
	s_and_saveexec_b32 s7, s6
	s_cbranch_execnz .LBB39_964
	s_branch .LBB39_965
.LBB39_984:
	s_mov_b32 s1, -1
.LBB39_985:
                                        ; implicit-def: $vgpr4
.LBB39_986:
	s_and_b32 vcc_lo, exec_lo, s6
	s_mov_b32 s6, 0
	s_cbranch_vccz .LBB39_988
; %bb.987:
	s_cmp_lg_u32 s0, 11
	s_mov_b32 s6, -1
	s_cselect_b32 s0, -1, 0
	s_andn2_b32 s1, s1, exec_lo
	s_and_b32 s0, s0, exec_lo
	s_or_b32 s1, s1, s0
.LBB39_988:
	s_mov_b32 s0, 0
.LBB39_989:
	s_and_b32 s43, s7, exec_lo
	s_andn2_b32 s7, s22, exec_lo
	s_and_b32 s1, s1, exec_lo
	s_and_b32 s44, s0, exec_lo
	s_and_b32 s0, s6, exec_lo
	s_or_b32 s45, s7, s1
.LBB39_990:
	s_or_b32 exec_lo, exec_lo, s33
	s_waitcnt lgkmcnt(0)
	s_andn2_b32 s6, s22, exec_lo
	s_and_b32 s7, s45, exec_lo
	s_and_b32 s43, s43, exec_lo
	;; [unrolled: 1-line block ×4, first 2 shown]
	s_or_b32 s22, s6, s7
.LBB39_991:
	s_or_b32 exec_lo, exec_lo, s42
	s_waitcnt lgkmcnt(0)
	s_andn2_b32 s6, s40, exec_lo
	s_and_b32 s7, s23, exec_lo
	s_and_b32 s42, s43, exec_lo
	s_or_b32 s40, s6, s7
	s_andn2_b32 s6, s39, exec_lo
	s_and_b32 s7, s22, exec_lo
	s_and_b32 s23, s1, exec_lo
	;; [unrolled: 1-line block ×3, first 2 shown]
	s_or_b32 s39, s6, s7
.LBB39_992:
	s_or_b32 exec_lo, exec_lo, s41
	s_andn2_b32 s0, s36, exec_lo
	s_waitcnt lgkmcnt(0)
	s_and_b32 s6, s40, exec_lo
	s_and_b32 s7, s39, exec_lo
	s_or_b32 s36, s0, s6
	s_andn2_b32 s6, s37, exec_lo
	s_and_b32 s0, s42, exec_lo
	s_and_b32 s22, s23, exec_lo
	;; [unrolled: 1-line block ×3, first 2 shown]
	s_or_b32 s37, s6, s7
	s_or_b32 exec_lo, exec_lo, s38
	s_mov_b32 s6, 0
	s_and_saveexec_b32 s1, s37
	s_cbranch_execz .LBB39_298
.LBB39_993:
	s_mov_b32 s6, exec_lo
	s_andn2_b32 s39, s39, exec_lo
	s_trap 2
	s_or_b32 exec_lo, exec_lo, s1
	s_and_saveexec_b32 s1, s39
	s_xor_b32 s1, exec_lo, s1
	s_cbranch_execnz .LBB39_299
.LBB39_994:
	s_or_b32 exec_lo, exec_lo, s1
	s_and_saveexec_b32 s1, s22
	s_cbranch_execz .LBB39_1040
.LBB39_995:
	s_sext_i32_i16 s7, s30
	s_cmp_lt_i32 s7, 5
	s_cbranch_scc1 .LBB39_1000
; %bb.996:
	s_cmp_lt_i32 s7, 8
	s_cbranch_scc1 .LBB39_1001
; %bb.997:
	;; [unrolled: 3-line block ×3, first 2 shown]
	s_cmp_gt_i32 s7, 9
	s_cbranch_scc0 .LBB39_1003
; %bb.999:
	global_load_dwordx2 v[3:4], v[1:2], off
	s_mov_b32 s7, 0
	s_waitcnt vmcnt(0)
	v_cvt_f32_f64_e32 v3, v[3:4]
	v_bfe_u32 v4, v3, 16, 1
	v_cmp_o_f32_e32 vcc_lo, v3, v3
	v_add3_u32 v3, v3, v4, 0x7fff
	v_mov_b32_e32 v4, 0x7fc0
	v_cndmask_b32_sdwa v4, v4, v3, vcc_lo dst_sel:DWORD dst_unused:UNUSED_PAD src0_sel:DWORD src1_sel:WORD_1
	s_branch .LBB39_1004
.LBB39_1000:
                                        ; implicit-def: $vgpr4
	s_branch .LBB39_1021
.LBB39_1001:
                                        ; implicit-def: $vgpr4
	s_branch .LBB39_1010
.LBB39_1002:
	s_mov_b32 s7, -1
                                        ; implicit-def: $vgpr4
	s_branch .LBB39_1007
.LBB39_1003:
	s_mov_b32 s7, -1
                                        ; implicit-def: $vgpr4
.LBB39_1004:
	s_andn2_b32 vcc_lo, exec_lo, s7
	s_cbranch_vccnz .LBB39_1006
; %bb.1005:
	global_load_dword v3, v[1:2], off
	s_waitcnt vmcnt(0)
	v_bfe_u32 v4, v3, 16, 1
	v_cmp_o_f32_e32 vcc_lo, v3, v3
	v_add3_u32 v3, v3, v4, 0x7fff
	v_mov_b32_e32 v4, 0x7fc0
	v_cndmask_b32_sdwa v4, v4, v3, vcc_lo dst_sel:DWORD dst_unused:UNUSED_PAD src0_sel:DWORD src1_sel:WORD_1
.LBB39_1006:
	s_mov_b32 s7, 0
.LBB39_1007:
	s_andn2_b32 vcc_lo, exec_lo, s7
	s_cbranch_vccnz .LBB39_1009
; %bb.1008:
	global_load_dword v3, v[1:2], off
	s_waitcnt vmcnt(0)
	v_cvt_f32_f16_e32 v4, v3
	v_cmp_o_f16_e32 vcc_lo, v3, v3
	v_bfe_u32 v5, v4, 16, 1
	v_add3_u32 v3, v4, v5, 0x7fff
	v_mov_b32_e32 v4, 0x7fc0
	v_cndmask_b32_sdwa v4, v4, v3, vcc_lo dst_sel:DWORD dst_unused:UNUSED_PAD src0_sel:DWORD src1_sel:WORD_1
.LBB39_1009:
	s_cbranch_execnz .LBB39_1020
.LBB39_1010:
	s_sext_i32_i16 s7, s30
	s_cmp_lt_i32 s7, 6
	s_cbranch_scc1 .LBB39_1013
; %bb.1011:
	s_cmp_gt_i32 s7, 6
	s_cbranch_scc0 .LBB39_1014
; %bb.1012:
	global_load_dwordx2 v[3:4], v[1:2], off
	s_mov_b32 s7, 0
	s_waitcnt vmcnt(0)
	v_cvt_f32_f64_e32 v3, v[3:4]
	v_bfe_u32 v4, v3, 16, 1
	v_cmp_o_f32_e32 vcc_lo, v3, v3
	v_add3_u32 v3, v3, v4, 0x7fff
	v_mov_b32_e32 v4, 0x7fc0
	v_cndmask_b32_sdwa v4, v4, v3, vcc_lo dst_sel:DWORD dst_unused:UNUSED_PAD src0_sel:DWORD src1_sel:WORD_1
	s_branch .LBB39_1015
.LBB39_1013:
	s_mov_b32 s7, -1
                                        ; implicit-def: $vgpr4
	s_branch .LBB39_1018
.LBB39_1014:
	s_mov_b32 s7, -1
                                        ; implicit-def: $vgpr4
.LBB39_1015:
	s_andn2_b32 vcc_lo, exec_lo, s7
	s_cbranch_vccnz .LBB39_1017
; %bb.1016:
	global_load_dword v3, v[1:2], off
	s_waitcnt vmcnt(0)
	v_bfe_u32 v4, v3, 16, 1
	v_cmp_o_f32_e32 vcc_lo, v3, v3
	v_add3_u32 v3, v3, v4, 0x7fff
	v_mov_b32_e32 v4, 0x7fc0
	v_cndmask_b32_sdwa v4, v4, v3, vcc_lo dst_sel:DWORD dst_unused:UNUSED_PAD src0_sel:DWORD src1_sel:WORD_1
.LBB39_1017:
	s_mov_b32 s7, 0
.LBB39_1018:
	s_andn2_b32 vcc_lo, exec_lo, s7
	s_cbranch_vccnz .LBB39_1020
; %bb.1019:
	global_load_ushort v3, v[1:2], off
	s_waitcnt vmcnt(0)
	v_cvt_f32_f16_e32 v4, v3
	v_cmp_o_f16_e32 vcc_lo, v3, v3
	v_bfe_u32 v5, v4, 16, 1
	v_add3_u32 v3, v4, v5, 0x7fff
	v_mov_b32_e32 v4, 0x7fc0
	v_cndmask_b32_sdwa v4, v4, v3, vcc_lo dst_sel:DWORD dst_unused:UNUSED_PAD src0_sel:DWORD src1_sel:WORD_1
.LBB39_1020:
	s_cbranch_execnz .LBB39_1039
.LBB39_1021:
	s_sext_i32_i16 s7, s30
	s_cmp_lt_i32 s7, 2
	s_cbranch_scc1 .LBB39_1025
; %bb.1022:
	s_cmp_lt_i32 s7, 3
	s_cbranch_scc1 .LBB39_1026
; %bb.1023:
	s_cmp_gt_i32 s7, 3
	s_cbranch_scc0 .LBB39_1027
; %bb.1024:
	global_load_dwordx2 v[3:4], v[1:2], off
	s_mov_b32 s7, 0
	s_waitcnt vmcnt(0)
	v_xor_b32_e32 v5, v3, v4
	v_ffbh_i32_e32 v6, v4
	v_ashrrev_i32_e32 v5, 31, v5
	v_add_nc_u32_e32 v6, -1, v6
	v_add_nc_u32_e32 v5, 32, v5
	v_min_u32_e32 v5, v6, v5
	v_lshlrev_b64 v[3:4], v5, v[3:4]
	v_min_u32_e32 v3, 1, v3
	v_or_b32_e32 v3, v4, v3
	v_sub_nc_u32_e32 v4, 32, v5
	v_cvt_f32_i32_e32 v3, v3
	v_ldexp_f32 v3, v3, v4
	v_bfe_u32 v4, v3, 16, 1
	v_add3_u32 v3, v3, v4, 0x7fff
	v_lshrrev_b32_e32 v4, 16, v3
	s_branch .LBB39_1028
.LBB39_1025:
                                        ; implicit-def: $vgpr4
	s_branch .LBB39_1034
.LBB39_1026:
	s_mov_b32 s7, -1
                                        ; implicit-def: $vgpr4
	s_branch .LBB39_1031
.LBB39_1027:
	s_mov_b32 s7, -1
                                        ; implicit-def: $vgpr4
.LBB39_1028:
	s_andn2_b32 vcc_lo, exec_lo, s7
	s_cbranch_vccnz .LBB39_1030
; %bb.1029:
	global_load_dword v3, v[1:2], off
	s_waitcnt vmcnt(0)
	v_cvt_f32_i32_e32 v3, v3
	v_bfe_u32 v4, v3, 16, 1
	v_add3_u32 v3, v3, v4, 0x7fff
	v_lshrrev_b32_e32 v4, 16, v3
.LBB39_1030:
	s_mov_b32 s7, 0
.LBB39_1031:
	s_andn2_b32 vcc_lo, exec_lo, s7
	s_cbranch_vccnz .LBB39_1033
; %bb.1032:
	global_load_sshort v3, v[1:2], off
	s_waitcnt vmcnt(0)
	v_cvt_f32_i32_e32 v3, v3
	v_bfe_u32 v4, v3, 16, 1
	v_add3_u32 v3, v3, v4, 0x7fff
	v_lshrrev_b32_e32 v4, 16, v3
.LBB39_1033:
	s_cbranch_execnz .LBB39_1039
.LBB39_1034:
	s_sext_i32_i16 s7, s30
	s_cmp_gt_i32 s7, 0
	s_mov_b32 s7, 0
	s_cbranch_scc0 .LBB39_1036
; %bb.1035:
	global_load_sbyte v3, v[1:2], off
	s_waitcnt vmcnt(0)
	v_cvt_f32_i32_e32 v3, v3
	v_bfe_u32 v4, v3, 16, 1
	v_add3_u32 v3, v3, v4, 0x7fff
	v_lshrrev_b32_e32 v4, 16, v3
	s_branch .LBB39_1037
.LBB39_1036:
	s_mov_b32 s7, -1
                                        ; implicit-def: $vgpr4
.LBB39_1037:
	s_andn2_b32 vcc_lo, exec_lo, s7
	s_cbranch_vccnz .LBB39_1039
; %bb.1038:
	global_load_ubyte v1, v[1:2], off
	s_waitcnt vmcnt(0)
	v_cvt_f32_ubyte0_e32 v1, v1
	v_bfe_u32 v2, v1, 16, 1
	v_add3_u32 v1, v1, v2, 0x7fff
	v_lshrrev_b32_e32 v4, 16, v1
.LBB39_1039:
	s_or_b32 s0, s0, exec_lo
.LBB39_1040:
	s_or_b32 exec_lo, exec_lo, s1
	s_mov_b32 s11, 0
	s_mov_b32 s10, 0
                                        ; implicit-def: $sgpr1
                                        ; implicit-def: $vgpr1_vgpr2
                                        ; implicit-def: $vgpr3
	s_and_saveexec_b32 s7, s0
	s_cbranch_execz .LBB39_1072
; %bb.1041:
	s_waitcnt vmcnt(0)
	v_lshlrev_b32_e32 v7, 16, v4
                                        ; implicit-def: $vgpr3
	s_mov_b32 s0, exec_lo
	v_cmpx_neq_f32_e32 0, v7
	s_xor_b32 s10, exec_lo, s0
	s_cbranch_execz .LBB39_1063
; %bb.1042:
	v_mov_b32_e32 v1, 0
	s_mov_b32 s0, -1
	s_mov_b32 s11, exec_lo
	v_cmpx_gt_f32_e32 0, v7
	s_cbranch_execz .LBB39_1050
; %bb.1043:
	v_trunc_f32_e32 v1, v7
	s_mov_b32 s1, 0
	v_cmp_neq_f32_e32 vcc_lo, v1, v7
	v_mov_b32_e32 v1, 0
	s_and_saveexec_b32 s12, vcc_lo
	s_cbranch_execz .LBB39_1049
; %bb.1044:
	v_cvt_f64_f32_e32 v[1:2], v7
	s_mov_b32 s1, 0xc00921fb
	s_mov_b32 s0, 0x54442d18
	s_mov_b32 s13, exec_lo
                                        ; implicit-def: $vgpr8
                                        ; implicit-def: $vgpr5_vgpr6
	v_trunc_f64_e32 v[3:4], v[1:2]
	v_cmp_neq_f64_e64 vcc_lo, 0x7ff00000, |v[1:2]|
	v_add_f64 v[3:4], v[1:2], -v[3:4]
	v_mul_f64 v[3:4], |v[3:4]|, s[0:1]
	v_cndmask_b32_e32 v2, 0x80000000, v4, vcc_lo
	v_cndmask_b32_e32 v1, 0, v3, vcc_lo
                                        ; implicit-def: $vgpr3_vgpr4
	v_cmpx_ngt_f64_e64 0x41d00000, |v[1:2]|
	s_xor_b32 s13, exec_lo, s13
	s_cbranch_execz .LBB39_1046
; %bb.1045:
	v_ldexp_f64 v[3:4], |v[1:2]|, 0xffffff80
	v_cmp_le_f64_e64 vcc_lo, 0x7b000000, |v[1:2]|
	v_trig_preop_f64 v[5:6], |v[1:2]|, 0
	v_and_b32_e32 v8, 0x7fffffff, v2
	v_trig_preop_f64 v[18:19], |v[1:2]|, 2
	v_mov_b32_e32 v26, 0
	s_mov_b32 s1, 0x3ff921fb
	s_mov_b32 s14, 0x33145c07
	s_mov_b32 s15, 0x3c91a626
	v_cndmask_b32_e32 v4, v8, v4, vcc_lo
	v_cndmask_b32_e32 v3, v1, v3, vcc_lo
	v_trig_preop_f64 v[8:9], |v[1:2]|, 1
	v_mul_f64 v[10:11], v[5:6], v[3:4]
	v_mul_f64 v[24:25], v[18:19], v[3:4]
	;; [unrolled: 1-line block ×3, first 2 shown]
	v_fma_f64 v[5:6], v[5:6], v[3:4], -v[10:11]
	v_fma_f64 v[8:9], v[8:9], v[3:4], -v[12:13]
	;; [unrolled: 1-line block ×3, first 2 shown]
	v_add_f64 v[14:15], v[12:13], v[5:6]
	v_add_f64 v[16:17], v[14:15], -v[12:13]
	v_add_f64 v[22:23], v[10:11], v[14:15]
	v_add_f64 v[20:21], v[14:15], -v[16:17]
	v_add_f64 v[5:6], v[5:6], -v[16:17]
	v_ldexp_f64 v[16:17], v[22:23], -2
	v_add_f64 v[10:11], v[22:23], -v[10:11]
	v_add_f64 v[12:13], v[12:13], -v[20:21]
	v_add_f64 v[20:21], v[24:25], v[8:9]
	v_cmp_neq_f64_e64 vcc_lo, 0x7ff00000, |v[16:17]|
	v_add_f64 v[10:11], v[14:15], -v[10:11]
	v_add_f64 v[5:6], v[5:6], v[12:13]
	v_fract_f64_e32 v[12:13], v[16:17]
	v_add_f64 v[14:15], v[20:21], v[5:6]
	v_ldexp_f64 v[12:13], v[12:13], 2
	v_add_f64 v[16:17], v[10:11], v[14:15]
	v_cndmask_b32_e32 v13, 0, v13, vcc_lo
	v_cndmask_b32_e32 v12, 0, v12, vcc_lo
	v_add_f64 v[22:23], v[16:17], v[12:13]
	v_add_f64 v[10:11], v[16:17], -v[10:11]
	v_cmp_gt_f64_e32 vcc_lo, 0, v[22:23]
	v_add_f64 v[22:23], v[20:21], -v[24:25]
	v_cndmask_b32_e64 v27, 0, 0x40100000, vcc_lo
	v_add_f64 v[31:32], v[20:21], -v[22:23]
	v_add_f64 v[8:9], v[8:9], -v[22:23]
	v_add_f64 v[12:13], v[12:13], v[26:27]
	v_add_f64 v[27:28], v[14:15], -v[20:21]
	v_add_f64 v[22:23], v[24:25], -v[31:32]
	v_add_f64 v[29:30], v[16:17], v[12:13]
	;; [unrolled: 3-line block ×3, first 2 shown]
	v_cvt_i32_f64_e32 v29, v[29:30]
	v_add_f64 v[20:21], v[20:21], -v[33:34]
	v_cvt_f64_i32_e32 v[27:28], v29
	v_add_f64 v[5:6], v[5:6], v[20:21]
	v_add_f64 v[12:13], v[12:13], -v[27:28]
	v_add_f64 v[5:6], v[8:9], v[5:6]
	v_add_f64 v[8:9], v[14:15], -v[10:11]
	v_add_f64 v[18:19], v[16:17], v[12:13]
	v_add_f64 v[3:4], v[3:4], v[5:6]
	v_add_f64 v[5:6], v[18:19], -v[12:13]
	v_cmp_le_f64_e32 vcc_lo, 0.5, v[18:19]
	v_add_f64 v[3:4], v[8:9], v[3:4]
	v_add_f64 v[5:6], v[16:17], -v[5:6]
	v_cndmask_b32_e64 v27, 0, 0x3ff00000, vcc_lo
	v_add_co_ci_u32_e64 v8, null, 0, v29, vcc_lo
	v_add_f64 v[3:4], v[3:4], v[5:6]
	v_add_f64 v[5:6], v[18:19], -v[26:27]
	v_add_f64 v[9:10], v[5:6], v[3:4]
	v_mul_f64 v[11:12], v[9:10], s[0:1]
	v_add_f64 v[5:6], v[9:10], -v[5:6]
	v_fma_f64 v[13:14], v[9:10], s[0:1], -v[11:12]
	v_add_f64 v[3:4], v[3:4], -v[5:6]
	v_fma_f64 v[5:6], v[9:10], s[14:15], v[13:14]
	v_fma_f64 v[5:6], v[3:4], s[0:1], v[5:6]
	v_add_f64 v[3:4], v[11:12], v[5:6]
	v_add_f64 v[9:10], v[3:4], -v[11:12]
	v_add_f64 v[5:6], v[5:6], -v[9:10]
.LBB39_1046:
	s_andn2_saveexec_b32 s0, s13
	s_cbranch_execz .LBB39_1048
; %bb.1047:
	s_mov_b32 s14, 0x6dc9c883
	s_mov_b32 s15, 0x3fe45f30
	;; [unrolled: 1-line block ×3, first 2 shown]
	v_mul_f64 v[3:4], |v[1:2]|, s[14:15]
	s_mov_b32 s14, 0x54442d18
	s_mov_b32 s15, 0xbff921fb
	s_mov_b32 s16, 0x33145c00
	v_rndne_f64_e32 v[8:9], v[3:4]
	v_fma_f64 v[3:4], v[8:9], s[14:15], |v[1:2]|
	v_mul_f64 v[5:6], v[8:9], s[16:17]
	s_mov_b32 s14, 0x252049c0
	s_mov_b32 s15, 0xb97b839a
	v_fma_f64 v[12:13], v[8:9], s[16:17], v[3:4]
	v_add_f64 v[10:11], v[3:4], v[5:6]
	s_mov_b32 s17, 0x3c91a626
	v_add_f64 v[3:4], v[3:4], -v[10:11]
	v_add_f64 v[10:11], v[10:11], -v[12:13]
	v_add_f64 v[3:4], v[3:4], v[5:6]
	v_fma_f64 v[5:6], v[8:9], s[16:17], v[5:6]
	v_add_f64 v[3:4], v[10:11], v[3:4]
	v_add_f64 v[3:4], v[3:4], -v[5:6]
	v_fma_f64 v[5:6], v[8:9], s[14:15], v[3:4]
	v_cvt_i32_f64_e32 v8, v[8:9]
	v_add_f64 v[3:4], v[12:13], v[5:6]
	v_add_f64 v[10:11], v[3:4], -v[12:13]
	v_add_f64 v[5:6], v[5:6], -v[10:11]
.LBB39_1048:
	s_or_b32 exec_lo, exec_lo, s0
	v_mul_f64 v[9:10], v[3:4], v[3:4]
	v_add_f64 v[11:12], v[5:6], v[5:6]
	s_mov_b32 s14, 0xa9a29f71
	s_mov_b32 s16, 0xc751c08c
	s_mov_b32 s15, 0xbf078809
	s_mov_b32 s17, 0x3ef5e089
	v_cmp_class_f64_e64 s0, v[1:2], 0x1f8
	v_and_b32_e32 v8, 1, v8
	v_and_b32_e32 v2, 0x80000000, v2
	v_sub_f32_e32 v7, 1.0, v7
	s_mov_b32 s1, exec_lo
	v_cmp_eq_u32_e32 vcc_lo, 0, v8
	v_fma_f64 v[13:14], v[3:4], v[3:4], -v[9:10]
	v_fma_f64 v[11:12], v[3:4], v[11:12], v[13:14]
	v_add_f64 v[9:10], v[9:10], v[11:12]
	v_fma_f64 v[11:12], v[9:10], s[16:17], s[14:15]
	s_mov_b32 s14, 0x90a8aae0
	s_mov_b32 s15, 0x3f17746f
	v_fma_f64 v[11:12], v[9:10], v[11:12], s[14:15]
	s_mov_b32 s14, 0xa6fbf144
	s_mov_b32 s15, 0xbefbb44d
	;; [unrolled: 3-line block ×13, first 2 shown]
	v_mul_f64 v[9:10], v[9:10], v[11:12]
	v_mul_f64 v[11:12], v[3:4], v[9:10]
	v_add_f64 v[13:14], v[3:4], v[11:12]
	v_fma_f64 v[9:10], v[3:4], v[9:10], -v[11:12]
	v_add_f64 v[3:4], v[13:14], -v[3:4]
	v_add_f64 v[5:6], v[5:6], v[9:10]
	v_add_f64 v[3:4], v[11:12], -v[3:4]
	v_add_f64 v[3:4], v[5:6], v[3:4]
	v_add_f64 v[5:6], v[13:14], v[3:4]
	v_rcp_f64_e32 v[9:10], v[5:6]
	v_fma_f64 v[11:12], -v[5:6], v[9:10], 1.0
	v_fma_f64 v[9:10], v[11:12], v[9:10], v[9:10]
	v_fma_f64 v[11:12], -v[5:6], v[9:10], 1.0
	v_fma_f64 v[9:10], v[11:12], v[9:10], v[9:10]
	v_add_f64 v[11:12], v[5:6], -v[13:14]
	v_mul_f64 v[13:14], v[5:6], v[9:10]
	v_add_f64 v[3:4], v[3:4], -v[11:12]
	v_fma_f64 v[11:12], v[9:10], v[5:6], -v[13:14]
	v_fma_f64 v[3:4], v[9:10], v[3:4], v[11:12]
	v_add_f64 v[11:12], v[13:14], v[3:4]
	v_add_f64 v[15:16], -v[11:12], 1.0
	v_add_f64 v[13:14], v[11:12], -v[13:14]
	v_add_f64 v[17:18], -v[15:16], 1.0
	v_add_f64 v[3:4], v[13:14], -v[3:4]
	v_add_f64 v[11:12], v[17:18], -v[11:12]
	v_add_f64 v[3:4], v[3:4], v[11:12]
	v_add_f64 v[3:4], v[15:16], v[3:4]
	v_mul_f64 v[3:4], v[9:10], v[3:4]
	v_add_f64 v[3:4], v[9:10], v[3:4]
	v_xor_b32_e32 v1, 0x80000000, v4
	v_cndmask_b32_e32 v3, v3, v5, vcc_lo
	v_cndmask_b32_e32 v1, v1, v6, vcc_lo
	v_xor_b32_e32 v2, v1, v2
	v_cndmask_b32_e64 v1, 0, v3, s0
	v_cndmask_b32_e64 v2, 0x7ff80000, v2, s0
	v_div_scale_f64 v[3:4], null, v[1:2], v[1:2], s[14:15]
	v_rcp_f64_e32 v[5:6], v[3:4]
	v_fma_f64 v[8:9], -v[3:4], v[5:6], 1.0
	v_fma_f64 v[5:6], v[5:6], v[8:9], v[5:6]
	v_fma_f64 v[8:9], -v[3:4], v[5:6], 1.0
	v_fma_f64 v[5:6], v[5:6], v[8:9], v[5:6]
	v_div_scale_f64 v[8:9], vcc_lo, s[14:15], v[1:2], s[14:15]
	v_mul_f64 v[10:11], v[8:9], v[5:6]
	v_fma_f64 v[3:4], -v[3:4], v[10:11], v[8:9]
	v_div_fmas_f64 v[3:4], v[3:4], v[5:6], v[10:11]
	v_div_fixup_f64 v[1:2], v[3:4], v[1:2], s[14:15]
	v_cvt_f32_f64_e32 v1, v[1:2]
.LBB39_1049:
	s_or_b32 exec_lo, exec_lo, s12
	s_orn2_b32 s0, s1, exec_lo
.LBB39_1050:
	s_or_b32 exec_lo, exec_lo, s11
	v_mov_b32_e32 v3, 0x7fc0
	s_and_saveexec_b32 s1, s0
	s_cbranch_execz .LBB39_1062
; %bb.1051:
	s_mov_b32 s0, exec_lo
	v_cmpx_gt_f32_e32 0x41200000, v7
	s_cbranch_execz .LBB39_1055
; %bb.1052:
	s_mov_b32 s11, 0
	.p2align	6
.LBB39_1053:                            ; =>This Inner Loop Header: Depth=1
	v_div_scale_f32 v2, null, v7, v7, 1.0
	v_div_scale_f32 v5, vcc_lo, 1.0, v7, 1.0
	v_rcp_f32_e32 v3, v2
	v_fma_f32 v4, -v2, v3, 1.0
	v_fmac_f32_e32 v3, v4, v3
	v_mul_f32_e32 v4, v5, v3
	v_fma_f32 v6, -v2, v4, v5
	v_fmac_f32_e32 v4, v6, v3
	v_fma_f32 v2, -v2, v4, v5
	v_div_fmas_f32 v2, v2, v3, v4
	v_div_fixup_f32 v2, v2, v7, 1.0
	v_add_f32_e32 v7, 1.0, v7
	v_sub_f32_e32 v1, v1, v2
	v_cmp_ngt_f32_e32 vcc_lo, 0x41200000, v7
	s_or_b32 s11, vcc_lo, s11
	s_andn2_b32 exec_lo, exec_lo, s11
	s_cbranch_execnz .LBB39_1053
; %bb.1054:
	s_or_b32 exec_lo, exec_lo, s11
.LBB39_1055:
	s_or_b32 exec_lo, exec_lo, s0
                                        ; implicit-def: $vgpr3
	s_mov_b32 s0, exec_lo
	v_cmpx_neq_f32_e32 0x41200000, v7
	s_xor_b32 s11, exec_lo, s0
	s_cbranch_execz .LBB39_1059
; %bb.1056:
	v_cvt_f64_f32_e32 v[2:3], v7
	s_mov_b32 s12, 0x85d8a000
	s_mov_b32 s13, 0x43763457
	v_cmp_gt_f64_e32 vcc_lo, s[12:13], v[2:3]
	v_mov_b32_e32 v2, 0
	s_and_saveexec_b32 s0, vcc_lo
	s_cbranch_execz .LBB39_1058
; %bb.1057:
	v_mul_f32_e32 v2, v7, v7
	v_div_scale_f32 v3, null, v2, v2, 1.0
	v_rcp_f32_e32 v4, v3
	v_fma_f32 v5, -v3, v4, 1.0
	v_fmac_f32_e32 v4, v5, v4
	v_div_scale_f32 v5, vcc_lo, 1.0, v2, 1.0
	v_mul_f32_e32 v6, v5, v4
	v_fma_f32 v8, -v3, v6, v5
	v_fmac_f32_e32 v6, v8, v4
	v_fma_f32 v3, -v3, v6, v5
	v_div_fmas_f32 v3, v3, v4, v6
	v_div_fixup_f32 v2, v3, v2, 1.0
	v_fmaak_f32 v3, 0, v2, 0x3daaaaab
	v_fmaak_f32 v3, v2, v3, 0xbcaccacd
	;; [unrolled: 1-line block ×7, first 2 shown]
	v_mul_f32_e32 v2, v2, v3
.LBB39_1058:
	s_or_b32 exec_lo, exec_lo, s0
	v_cmp_gt_f32_e32 vcc_lo, 0x800000, v7
	v_div_scale_f32 v3, null, v7, v7, -0.5
	v_div_scale_f32 v8, s0, -0.5, v7, -0.5
	v_cndmask_b32_e64 v4, 0, 32, vcc_lo
	v_rcp_f32_e32 v5, v3
	v_ldexp_f32 v4, v7, v4
	v_log_f32_e32 v4, v4
	v_fma_f32 v6, -v3, v5, 1.0
	v_fmac_f32_e32 v5, v6, v5
	v_mul_f32_e32 v6, 0x3f317217, v4
	v_mul_f32_e32 v9, v8, v5
	v_fma_f32 v6, 0x3f317217, v4, -v6
	v_fma_f32 v10, -v3, v9, v8
	v_fmamk_f32 v6, v4, 0x3377d1cf, v6
	v_fmac_f32_e32 v9, v10, v5
	v_cndmask_b32_e64 v10, 0, 0x41b17218, vcc_lo
	v_cmp_gt_f32_e64 vcc_lo, 0x7f800000, |v4|
	v_fmac_f32_e32 v6, 0x3f317217, v4
	v_fma_f32 v3, -v3, v9, v8
	v_cndmask_b32_e32 v4, v4, v6, vcc_lo
	s_mov_b32 vcc_lo, s0
	v_div_fmas_f32 v3, v3, v5, v9
	v_sub_f32_e32 v4, v4, v10
	v_div_fixup_f32 v3, v3, v7, -0.5
	v_add_f32_e32 v3, v4, v3
	v_sub_f32_e32 v2, v3, v2
	v_add_f32_e32 v1, v1, v2
	v_bfe_u32 v2, v1, 16, 1
	v_cmp_o_f32_e32 vcc_lo, v1, v1
	v_add3_u32 v1, v1, v2, 0x7fff
	v_mov_b32_e32 v2, 0x7fc0
	v_cndmask_b32_sdwa v3, v2, v1, vcc_lo dst_sel:DWORD dst_unused:UNUSED_PAD src0_sel:DWORD src1_sel:WORD_1
                                        ; implicit-def: $vgpr1
.LBB39_1059:
	s_andn2_saveexec_b32 s0, s11
; %bb.1060:
	v_add_f32_e32 v1, 0x40101cb7, v1
	v_bfe_u32 v2, v1, 16, 1
	v_cmp_o_f32_e32 vcc_lo, v1, v1
	v_add3_u32 v1, v1, v2, 0x7fff
	v_mov_b32_e32 v2, 0x7fc0
	v_cndmask_b32_sdwa v3, v2, v1, vcc_lo dst_sel:DWORD dst_unused:UNUSED_PAD src0_sel:DWORD src1_sel:WORD_1
; %bb.1061:
	s_or_b32 exec_lo, exec_lo, s0
.LBB39_1062:
	s_or_b32 exec_lo, exec_lo, s1
                                        ; implicit-def: $vgpr7
.LBB39_1063:
	s_andn2_saveexec_b32 s0, s10
; %bb.1064:
	v_xor_b32_e32 v1, 0x80000000, v7
	s_mov_b32 s1, 0x7f800000
	v_and_or_b32 v1, 0x80000000, v1, s1
	v_lshrrev_b32_e32 v3, 16, v1
; %bb.1065:
	s_or_b32 exec_lo, exec_lo, s0
	v_add_co_u32 v1, s0, s8, v0
	v_add_co_ci_u32_e64 v2, null, s9, 0, s0
	s_and_b32 s1, s29, 0xff
	s_cmp_lt_i32 s1, 11
	s_cbranch_scc1 .LBB39_1075
; %bb.1066:
	s_and_b32 s8, 0xffff, s1
	s_mov_b32 s9, -1
	s_cmp_gt_i32 s8, 25
	s_mov_b32 s0, s36
	s_cbranch_scc0 .LBB39_1103
; %bb.1067:
	s_cmp_gt_i32 s8, 28
	s_mov_b32 s0, s36
	s_cbranch_scc0 .LBB39_1087
; %bb.1068:
	;; [unrolled: 4-line block ×4, first 2 shown]
	s_cmp_eq_u32 s8, 46
	s_mov_b32 s0, -1
	s_cbranch_scc0 .LBB39_1076
; %bb.1071:
	v_and_b32_e32 v0, 0xffff, v3
	s_mov_b32 s0, 0
	s_mov_b32 s9, 0
	global_store_dword v[1:2], v0, off
	s_branch .LBB39_1077
.LBB39_1072:
	s_or_b32 exec_lo, exec_lo, s7
	s_and_saveexec_b32 s0, s36
	s_cbranch_execnz .LBB39_1145
.LBB39_1073:
	s_or_b32 exec_lo, exec_lo, s0
	s_and_saveexec_b32 s0, s11
	s_xor_b32 s0, exec_lo, s0
	s_cbranch_execz .LBB39_1146
.LBB39_1074:
	s_waitcnt vmcnt(0)
	v_and_b32_e32 v0, 0x7fff, v3
	v_cmp_ne_u16_e32 vcc_lo, 0, v0
	v_cndmask_b32_e64 v0, 0, 1, vcc_lo
	global_store_byte v[1:2], v0, off
	s_or_b32 exec_lo, exec_lo, s0
	s_and_saveexec_b32 s0, s10
	s_xor_b32 s0, exec_lo, s0
	s_cbranch_execz .LBB39_1184
	s_branch .LBB39_1147
.LBB39_1075:
	s_mov_b32 s11, 0
	s_mov_b32 s9, -1
	s_mov_b32 s0, s36
	s_branch .LBB39_1144
.LBB39_1076:
	s_mov_b32 s9, 0
.LBB39_1077:
	s_and_b32 vcc_lo, exec_lo, s9
	s_cbranch_vccz .LBB39_1082
; %bb.1078:
	s_cmp_eq_u32 s8, 44
	s_mov_b32 s0, -1
	s_cbranch_scc0 .LBB39_1082
; %bb.1079:
	v_and_b32_e32 v0, 0xffff, v3
	v_mov_b32_e32 v4, 0xff
	s_mov_b32 s9, exec_lo
	v_bfe_u32 v5, v0, 7, 8
	v_cmpx_ne_u32_e32 0xff, v5
	s_cbranch_execz .LBB39_1081
; %bb.1080:
	v_lshlrev_b32_e32 v4, 16, v0
	v_and_b32_e32 v6, 64, v0
	v_lshrrev_b32_e32 v0, 7, v0
	v_and_or_b32 v4, 0x3f0000, v4, v5
	v_cmp_ne_u32_e32 vcc_lo, 0, v6
	v_cmp_ne_u32_e64 s0, 0, v4
	s_and_b32 s0, vcc_lo, s0
	v_cndmask_b32_e64 v4, 0, 1, s0
	v_add_nc_u32_e32 v4, v0, v4
.LBB39_1081:
	s_or_b32 exec_lo, exec_lo, s9
	s_mov_b32 s0, 0
	global_store_byte v[1:2], v4, off
.LBB39_1082:
	s_mov_b32 s9, 0
.LBB39_1083:
	s_and_b32 vcc_lo, exec_lo, s9
	s_cbranch_vccz .LBB39_1086
; %bb.1084:
	s_cmp_eq_u32 s8, 29
	s_mov_b32 s0, -1
	s_cbranch_scc0 .LBB39_1086
; %bb.1085:
	v_lshlrev_b32_e32 v0, 16, v3
	s_mov_b32 s0, 0
	s_mov_b32 s9, 0
	v_trunc_f32_e32 v0, v0
	v_mul_f32_e32 v4, 0x2f800000, v0
	v_floor_f32_e32 v4, v4
	v_fmamk_f32 v0, v4, 0xcf800000, v0
	v_cvt_u32_f32_e32 v5, v4
	v_cvt_u32_f32_e32 v4, v0
	global_store_dwordx2 v[1:2], v[4:5], off
	s_branch .LBB39_1087
.LBB39_1086:
	s_mov_b32 s9, 0
.LBB39_1087:
	s_and_b32 vcc_lo, exec_lo, s9
	s_cbranch_vccz .LBB39_1102
; %bb.1088:
	s_cmp_lt_i32 s8, 27
	s_mov_b32 s9, -1
	s_cbranch_scc1 .LBB39_1094
; %bb.1089:
	s_cmp_gt_i32 s8, 27
	s_cbranch_scc0 .LBB39_1091
; %bb.1090:
	v_lshlrev_b32_e32 v0, 16, v3
	s_mov_b32 s9, 0
	v_cvt_u32_f32_e32 v0, v0
	global_store_dword v[1:2], v0, off
.LBB39_1091:
	s_andn2_b32 vcc_lo, exec_lo, s9
	s_cbranch_vccnz .LBB39_1093
; %bb.1092:
	v_lshlrev_b32_e32 v0, 16, v3
	v_cvt_u32_f32_e32 v0, v0
	global_store_short v[1:2], v0, off
.LBB39_1093:
	s_mov_b32 s9, 0
.LBB39_1094:
	s_andn2_b32 vcc_lo, exec_lo, s9
	s_cbranch_vccnz .LBB39_1102
; %bb.1095:
	v_lshlrev_b32_e32 v5, 16, v3
	v_mov_b32_e32 v6, 0x80
	s_mov_b32 s9, exec_lo
	v_and_b32_e32 v4, 0x7fffffff, v5
	v_cmpx_gt_u32_e32 0x43800000, v4
	s_cbranch_execz .LBB39_1101
; %bb.1096:
	v_and_b32_e32 v0, 0xffff, v3
	v_cmp_lt_u32_e32 vcc_lo, 0x3bffffff, v4
	s_mov_b32 s10, 0
                                        ; implicit-def: $vgpr4
	s_and_saveexec_b32 s11, vcc_lo
	s_xor_b32 s11, exec_lo, s11
	s_cbranch_execz .LBB39_1255
; %bb.1097:
	v_bfe_u32 v4, v0, 4, 1
	s_mov_b32 s10, exec_lo
	v_add3_u32 v4, v5, v4, 0x487ffff
                                        ; implicit-def: $vgpr5
	v_lshrrev_b32_e32 v4, 20, v4
	s_andn2_saveexec_b32 s11, s11
	s_cbranch_execnz .LBB39_1256
.LBB39_1098:
	s_or_b32 exec_lo, exec_lo, s11
	v_mov_b32_e32 v6, 0
	s_and_saveexec_b32 s11, s10
.LBB39_1099:
	v_lshrrev_b32_e32 v0, 8, v0
	v_and_or_b32 v6, 0x80, v0, v4
.LBB39_1100:
	s_or_b32 exec_lo, exec_lo, s11
.LBB39_1101:
	s_or_b32 exec_lo, exec_lo, s9
	global_store_byte v[1:2], v6, off
.LBB39_1102:
	s_mov_b32 s9, 0
.LBB39_1103:
	s_and_b32 vcc_lo, exec_lo, s9
	s_mov_b32 s9, 0
	s_cbranch_vccz .LBB39_1143
; %bb.1104:
	s_cmp_gt_i32 s8, 22
	s_mov_b32 s10, -1
	s_cbranch_scc0 .LBB39_1136
; %bb.1105:
	s_cmp_lt_i32 s8, 24
	s_cbranch_scc1 .LBB39_1125
; %bb.1106:
	s_cmp_gt_i32 s8, 24
	s_cbranch_scc0 .LBB39_1114
; %bb.1107:
	v_lshlrev_b32_e32 v5, 16, v3
	v_mov_b32_e32 v6, 0x80
	s_mov_b32 s10, exec_lo
	v_and_b32_e32 v4, 0x7fffffff, v5
	v_cmpx_gt_u32_e32 0x47800000, v4
	s_cbranch_execz .LBB39_1113
; %bb.1108:
	v_and_b32_e32 v0, 0xffff, v3
	v_cmp_lt_u32_e32 vcc_lo, 0x37ffffff, v4
	s_mov_b32 s11, 0
                                        ; implicit-def: $vgpr4
	s_and_saveexec_b32 s12, vcc_lo
	s_xor_b32 s12, exec_lo, s12
	s_cbranch_execz .LBB39_1405
; %bb.1109:
	v_bfe_u32 v4, v0, 5, 1
	s_mov_b32 s11, exec_lo
	v_add3_u32 v4, v5, v4, 0x88fffff
                                        ; implicit-def: $vgpr5
	v_lshrrev_b32_e32 v4, 21, v4
	s_andn2_saveexec_b32 s12, s12
	s_cbranch_execnz .LBB39_1406
.LBB39_1110:
	s_or_b32 exec_lo, exec_lo, s12
	v_mov_b32_e32 v6, 0
	s_and_saveexec_b32 s12, s11
.LBB39_1111:
	v_lshrrev_b32_e32 v0, 8, v0
	v_and_or_b32 v6, 0x80, v0, v4
.LBB39_1112:
	s_or_b32 exec_lo, exec_lo, s12
.LBB39_1113:
	s_or_b32 exec_lo, exec_lo, s10
	s_mov_b32 s10, 0
	global_store_byte v[1:2], v6, off
.LBB39_1114:
	s_and_b32 vcc_lo, exec_lo, s10
	s_cbranch_vccz .LBB39_1124
; %bb.1115:
	v_lshlrev_b32_e32 v5, 16, v3
	v_and_b32_e32 v0, 0xffff, v3
	s_mov_b32 s10, exec_lo
                                        ; implicit-def: $vgpr4
	v_and_b32_e32 v6, 0x7fffffff, v5
	v_cmpx_gt_u32_e32 0x43f00000, v6
	s_xor_b32 s10, exec_lo, s10
	s_cbranch_execz .LBB39_1121
; %bb.1116:
	s_mov_b32 s11, exec_lo
                                        ; implicit-def: $vgpr4
	v_cmpx_lt_u32_e32 0x3c7fffff, v6
	s_xor_b32 s11, exec_lo, s11
; %bb.1117:
	v_bfe_u32 v4, v0, 4, 1
	v_add3_u32 v4, v5, v4, 0x407ffff
	v_and_b32_e32 v5, 0xff00000, v4
	v_lshrrev_b32_e32 v4, 20, v4
	v_cmp_ne_u32_e32 vcc_lo, 0x7f00000, v5
                                        ; implicit-def: $vgpr5
	v_cndmask_b32_e32 v4, 0x7e, v4, vcc_lo
; %bb.1118:
	s_andn2_saveexec_b32 s11, s11
; %bb.1119:
	v_add_f32_e64 v4, 0x46800000, |v5|
; %bb.1120:
	s_or_b32 exec_lo, exec_lo, s11
                                        ; implicit-def: $vgpr6
.LBB39_1121:
	s_andn2_saveexec_b32 s10, s10
; %bb.1122:
	v_mov_b32_e32 v4, 0x7f
	v_cmp_lt_u32_e32 vcc_lo, 0x7f800000, v6
	v_cndmask_b32_e32 v4, 0x7e, v4, vcc_lo
; %bb.1123:
	s_or_b32 exec_lo, exec_lo, s10
	v_lshrrev_b32_e32 v0, 8, v0
	v_and_or_b32 v0, 0x80, v0, v4
	global_store_byte v[1:2], v0, off
.LBB39_1124:
	s_mov_b32 s10, 0
.LBB39_1125:
	s_andn2_b32 vcc_lo, exec_lo, s10
	s_cbranch_vccnz .LBB39_1135
; %bb.1126:
	v_lshlrev_b32_e32 v5, 16, v3
	v_and_b32_e32 v0, 0xffff, v3
	s_mov_b32 s10, exec_lo
                                        ; implicit-def: $vgpr4
	v_and_b32_e32 v6, 0x7fffffff, v5
	v_cmpx_gt_u32_e32 0x47800000, v6
	s_xor_b32 s10, exec_lo, s10
	s_cbranch_execz .LBB39_1132
; %bb.1127:
	s_mov_b32 s11, exec_lo
                                        ; implicit-def: $vgpr4
	v_cmpx_lt_u32_e32 0x387fffff, v6
	s_xor_b32 s11, exec_lo, s11
; %bb.1128:
	v_bfe_u32 v4, v0, 5, 1
	v_add3_u32 v4, v5, v4, 0x80fffff
                                        ; implicit-def: $vgpr5
	v_lshrrev_b32_e32 v4, 21, v4
; %bb.1129:
	s_andn2_saveexec_b32 s11, s11
; %bb.1130:
	v_add_f32_e64 v4, 0x43000000, |v5|
; %bb.1131:
	s_or_b32 exec_lo, exec_lo, s11
                                        ; implicit-def: $vgpr6
.LBB39_1132:
	s_andn2_saveexec_b32 s10, s10
; %bb.1133:
	v_mov_b32_e32 v4, 0x7f
	v_cmp_lt_u32_e32 vcc_lo, 0x7f800000, v6
	v_cndmask_b32_e32 v4, 0x7c, v4, vcc_lo
; %bb.1134:
	s_or_b32 exec_lo, exec_lo, s10
	v_lshrrev_b32_e32 v0, 8, v0
	v_and_or_b32 v0, 0x80, v0, v4
	global_store_byte v[1:2], v0, off
.LBB39_1135:
	s_mov_b32 s10, 0
.LBB39_1136:
	s_andn2_b32 vcc_lo, exec_lo, s10
	s_mov_b32 s11, 0
	s_cbranch_vccnz .LBB39_1144
; %bb.1137:
	s_cmp_gt_i32 s8, 14
	s_mov_b32 s10, -1
	s_cbranch_scc0 .LBB39_1141
; %bb.1138:
	s_cmp_eq_u32 s8, 15
	s_mov_b32 s0, -1
	s_cbranch_scc0 .LBB39_1140
; %bb.1139:
	s_mov_b32 s0, 0
	global_store_short v[1:2], v3, off
.LBB39_1140:
	s_mov_b32 s10, 0
.LBB39_1141:
	s_and_b32 vcc_lo, exec_lo, s10
	s_cbranch_vccz .LBB39_1144
; %bb.1142:
	s_cmp_lg_u32 s8, 11
	s_mov_b32 s11, -1
	s_cselect_b32 s8, -1, 0
	s_andn2_b32 s0, s0, exec_lo
	s_and_b32 s8, s8, exec_lo
	s_or_b32 s0, s0, s8
	s_branch .LBB39_1144
.LBB39_1143:
	s_mov_b32 s11, 0
.LBB39_1144:
	s_andn2_b32 s8, s36, exec_lo
	s_and_b32 s0, s0, exec_lo
	s_and_b32 s10, s9, exec_lo
	s_and_b32 s11, s11, exec_lo
	s_or_b32 s36, s8, s0
	s_or_b32 exec_lo, exec_lo, s7
	s_and_saveexec_b32 s0, s36
	s_cbranch_execz .LBB39_1073
.LBB39_1145:
	s_or_b32 s6, s6, exec_lo
	s_andn2_b32 s11, s11, exec_lo
	s_trap 2
	s_or_b32 exec_lo, exec_lo, s0
	s_and_saveexec_b32 s0, s11
	s_xor_b32 s0, exec_lo, s0
	s_cbranch_execnz .LBB39_1074
.LBB39_1146:
	s_or_b32 exec_lo, exec_lo, s0
	s_and_saveexec_b32 s0, s10
	s_xor_b32 s0, exec_lo, s0
	s_cbranch_execz .LBB39_1184
.LBB39_1147:
	s_sext_i32_i16 s8, s1
	s_mov_b32 s7, -1
	s_cmp_lt_i32 s8, 5
	s_cbranch_scc1 .LBB39_1168
; %bb.1148:
	s_cmp_lt_i32 s8, 8
	s_cbranch_scc1 .LBB39_1158
; %bb.1149:
	;; [unrolled: 3-line block ×3, first 2 shown]
	s_cmp_gt_i32 s8, 9
	s_cbranch_scc0 .LBB39_1152
; %bb.1151:
	s_waitcnt vmcnt(0)
	v_lshlrev_b32_e32 v0, 16, v3
	v_mov_b32_e32 v6, 0
	s_mov_b32 s7, 0
	v_cvt_f64_f32_e32 v[4:5], v0
	v_mov_b32_e32 v7, v6
	global_store_dwordx4 v[1:2], v[4:7], off
.LBB39_1152:
	s_andn2_b32 vcc_lo, exec_lo, s7
	s_cbranch_vccnz .LBB39_1154
; %bb.1153:
	s_waitcnt vmcnt(0)
	v_lshlrev_b32_e32 v4, 16, v3
	v_mov_b32_e32 v5, 0
	global_store_dwordx2 v[1:2], v[4:5], off
.LBB39_1154:
	s_mov_b32 s7, 0
.LBB39_1155:
	s_andn2_b32 vcc_lo, exec_lo, s7
	s_cbranch_vccnz .LBB39_1157
; %bb.1156:
	s_waitcnt vmcnt(0)
	v_lshlrev_b32_e32 v0, 16, v3
	v_cvt_f16_f32_e32 v0, v0
	v_and_b32_e32 v0, 0xffff, v0
	global_store_dword v[1:2], v0, off
.LBB39_1157:
	s_mov_b32 s7, 0
.LBB39_1158:
	s_andn2_b32 vcc_lo, exec_lo, s7
	s_cbranch_vccnz .LBB39_1167
; %bb.1159:
	s_sext_i32_i16 s8, s1
	s_mov_b32 s7, -1
	s_cmp_lt_i32 s8, 6
	s_cbranch_scc1 .LBB39_1165
; %bb.1160:
	s_cmp_gt_i32 s8, 6
	s_cbranch_scc0 .LBB39_1162
; %bb.1161:
	s_waitcnt vmcnt(0)
	v_lshlrev_b32_e32 v0, 16, v3
	s_mov_b32 s7, 0
	v_cvt_f64_f32_e32 v[4:5], v0
	global_store_dwordx2 v[1:2], v[4:5], off
.LBB39_1162:
	s_andn2_b32 vcc_lo, exec_lo, s7
	s_cbranch_vccnz .LBB39_1164
; %bb.1163:
	s_waitcnt vmcnt(0)
	v_lshlrev_b32_e32 v0, 16, v3
	global_store_dword v[1:2], v0, off
.LBB39_1164:
	s_mov_b32 s7, 0
.LBB39_1165:
	s_andn2_b32 vcc_lo, exec_lo, s7
	s_cbranch_vccnz .LBB39_1167
; %bb.1166:
	s_waitcnt vmcnt(0)
	v_lshlrev_b32_e32 v0, 16, v3
	v_cvt_f16_f32_e32 v0, v0
	global_store_short v[1:2], v0, off
.LBB39_1167:
	s_mov_b32 s7, 0
.LBB39_1168:
	s_andn2_b32 vcc_lo, exec_lo, s7
	s_cbranch_vccnz .LBB39_1184
; %bb.1169:
	s_sext_i32_i16 s8, s1
	s_mov_b32 s7, -1
	s_cmp_lt_i32 s8, 2
	s_cbranch_scc1 .LBB39_1179
; %bb.1170:
	s_cmp_lt_i32 s8, 3
	s_cbranch_scc1 .LBB39_1176
; %bb.1171:
	s_cmp_gt_i32 s8, 3
	s_cbranch_scc0 .LBB39_1173
; %bb.1172:
	s_waitcnt vmcnt(0)
	v_lshlrev_b32_e32 v0, 16, v3
	s_mov_b32 s7, 0
	v_trunc_f32_e32 v0, v0
	v_mul_f32_e64 v4, 0x2f800000, |v0|
	v_floor_f32_e32 v4, v4
	v_fma_f32 v5, 0xcf800000, v4, |v0|
	v_ashrrev_i32_e32 v0, 31, v0
	v_cvt_u32_f32_e32 v4, v4
	v_cvt_u32_f32_e32 v5, v5
	v_xor_b32_e32 v6, v4, v0
	v_xor_b32_e32 v5, v5, v0
	v_sub_co_u32 v4, vcc_lo, v5, v0
	v_sub_co_ci_u32_e64 v5, null, v6, v0, vcc_lo
	global_store_dwordx2 v[1:2], v[4:5], off
.LBB39_1173:
	s_andn2_b32 vcc_lo, exec_lo, s7
	s_cbranch_vccnz .LBB39_1175
; %bb.1174:
	s_waitcnt vmcnt(0)
	v_lshlrev_b32_e32 v0, 16, v3
	v_cvt_i32_f32_e32 v0, v0
	global_store_dword v[1:2], v0, off
.LBB39_1175:
	s_mov_b32 s7, 0
.LBB39_1176:
	s_andn2_b32 vcc_lo, exec_lo, s7
	s_cbranch_vccnz .LBB39_1178
; %bb.1177:
	s_waitcnt vmcnt(0)
	v_lshlrev_b32_e32 v0, 16, v3
	v_cvt_i32_f32_e32 v0, v0
	global_store_short v[1:2], v0, off
.LBB39_1178:
	s_mov_b32 s7, 0
.LBB39_1179:
	s_andn2_b32 vcc_lo, exec_lo, s7
	s_cbranch_vccnz .LBB39_1184
; %bb.1180:
	s_sext_i32_i16 s1, s1
	s_cmp_gt_i32 s1, 0
	s_mov_b32 s1, -1
	s_cbranch_scc0 .LBB39_1182
; %bb.1181:
	s_waitcnt vmcnt(0)
	v_lshlrev_b32_e32 v0, 16, v3
	s_mov_b32 s1, 0
	v_cvt_i32_f32_e32 v0, v0
	global_store_byte v[1:2], v0, off
.LBB39_1182:
	s_andn2_b32 vcc_lo, exec_lo, s1
	s_cbranch_vccnz .LBB39_1184
; %bb.1183:
	s_waitcnt vmcnt(0)
	v_lshlrev_b32_e32 v0, 16, v3
	v_trunc_f32_e32 v0, v0
	v_mul_f32_e64 v3, 0x2f800000, |v0|
	v_floor_f32_e32 v3, v3
	v_fma_f32 v3, 0xcf800000, v3, |v0|
	v_ashrrev_i32_e32 v0, 31, v0
	v_cvt_u32_f32_e32 v3, v3
	v_xor_b32_e32 v3, v3, v0
	v_sub_nc_u32_e32 v0, v3, v0
	global_store_byte v[1:2], v0, off
.LBB39_1184:
	s_or_b32 exec_lo, exec_lo, s0
	s_and_b32 s12, s6, exec_lo
                                        ; implicit-def: $vgpr15
                                        ; implicit-def: $vgpr8
.LBB39_1185:
	s_or_saveexec_b32 s13, s28
	s_mov_b32 s0, 0
                                        ; implicit-def: $vgpr0_vgpr1
                                        ; implicit-def: $sgpr1
                                        ; implicit-def: $vgpr7
	s_xor_b32 exec_lo, exec_lo, s13
	s_cbranch_execz .LBB39_1934
; %bb.1186:
	v_cndmask_b32_e64 v0, 0, 1, s27
	s_andn2_b32 vcc_lo, exec_lo, s27
	s_cbranch_vccnz .LBB39_1192
; %bb.1187:
	s_cmp_lg_u32 s24, 0
	s_mov_b32 s8, 0
	s_cbranch_scc0 .LBB39_1193
; %bb.1188:
	s_min_u32 s10, s25, 15
	s_add_i32 s10, s10, 1
	s_cmp_eq_u32 s25, 2
	s_cbranch_scc1 .LBB39_1194
; %bb.1189:
	v_mov_b32_e32 v13, 0
	v_mov_b32_e32 v6, 0
	;; [unrolled: 1-line block ×3, first 2 shown]
	s_and_b32 s9, s10, 28
	s_add_u32 s0, s2, 0xc4
	s_addc_u32 s1, s3, 0
	s_mov_b32 s11, 0
	s_mov_b64 s[6:7], s[2:3]
.LBB39_1190:                            ; =>This Inner Loop Header: Depth=1
	s_clause 0x1
	s_load_dwordx8 s[16:23], s[6:7], 0x4
	s_load_dwordx4 s[28:31], s[6:7], 0x24
	s_load_dwordx8 s[36:43], s[0:1], 0x0
	s_add_u32 s6, s6, 48
	s_addc_u32 s7, s7, 0
	s_add_i32 s11, s11, 4
	s_add_u32 s0, s0, 32
	s_addc_u32 s1, s1, 0
	s_cmp_lg_u32 s9, s11
	s_waitcnt lgkmcnt(0)
	v_mul_hi_u32 v2, s17, v1
	v_add_nc_u32_e32 v2, v1, v2
	v_lshrrev_b32_e32 v2, s18, v2
	s_waitcnt vmcnt(0)
	v_mul_hi_u32 v3, s20, v2
	v_mul_lo_u32 v5, v2, s16
	v_add_nc_u32_e32 v3, v2, v3
	v_sub_nc_u32_e32 v1, v1, v5
	v_lshrrev_b32_e32 v3, s21, v3
	v_mul_lo_u32 v5, v1, s36
	v_mul_lo_u32 v9, v1, s37
	v_mul_hi_u32 v4, s23, v3
	v_add_nc_u32_e32 v4, v3, v4
	v_lshrrev_b32_e32 v4, s28, v4
	v_mul_hi_u32 v7, s30, v4
	v_mul_lo_u32 v10, v4, s22
	v_add_nc_u32_e32 v1, v4, v7
	v_mul_lo_u32 v7, v3, s19
	v_sub_nc_u32_e32 v3, v3, v10
	v_lshrrev_b32_e32 v1, s31, v1
	v_mul_lo_u32 v10, v3, s40
	v_mul_lo_u32 v3, v3, s41
	v_sub_nc_u32_e32 v2, v2, v7
	v_mul_lo_u32 v11, v1, s29
	v_mul_lo_u32 v7, v2, s38
	;; [unrolled: 1-line block ×3, first 2 shown]
	v_sub_nc_u32_e32 v4, v4, v11
	v_add3_u32 v5, v5, v6, v7
	v_mul_lo_u32 v11, v4, s42
	v_mul_lo_u32 v4, v4, s43
	v_add3_u32 v2, v9, v13, v2
	v_add3_u32 v6, v10, v5, v11
	;; [unrolled: 1-line block ×3, first 2 shown]
	s_cbranch_scc1 .LBB39_1190
; %bb.1191:
	s_and_b32 s10, s10, 3
	s_cmp_eq_u32 s10, 0
	s_cbranch_scc0 .LBB39_1195
	s_branch .LBB39_1197
.LBB39_1192:
	s_mov_b32 s8, -1
                                        ; implicit-def: $vgpr6
                                        ; implicit-def: $vgpr13
	s_branch .LBB39_1197
.LBB39_1193:
	v_mov_b32_e32 v6, 0
	v_mov_b32_e32 v13, 0
	s_branch .LBB39_1197
.LBB39_1194:
	v_mov_b32_e32 v6, 0
	v_mov_b32_e32 v13, 0
	;; [unrolled: 1-line block ×3, first 2 shown]
	s_mov_b32 s9, 0
	s_and_b32 s10, s10, 3
	s_cmp_eq_u32 s10, 0
	s_cbranch_scc1 .LBB39_1197
.LBB39_1195:
	s_lshl_b32 s0, s9, 3
	s_mul_i32 s6, s9, 12
	s_add_u32 s0, s2, s0
	s_addc_u32 s1, s3, 0
	s_add_u32 s0, s0, 0xc4
	s_addc_u32 s1, s1, 0
	;; [unrolled: 2-line block ×3, first 2 shown]
	.p2align	6
.LBB39_1196:                            ; =>This Inner Loop Header: Depth=1
	s_clause 0x1
	s_load_dwordx2 s[14:15], s[6:7], 0x4
	s_load_dword s9, s[6:7], 0xc
	s_load_dwordx2 s[16:17], s[0:1], 0x0
	s_add_u32 s6, s6, 12
	s_addc_u32 s7, s7, 0
	s_add_u32 s0, s0, 8
	s_addc_u32 s1, s1, 0
	s_add_i32 s10, s10, -1
	s_cmp_lg_u32 s10, 0
	s_waitcnt lgkmcnt(0)
	v_mul_hi_u32 v2, s15, v1
	v_add_nc_u32_e32 v2, v1, v2
	v_lshrrev_b32_e32 v2, s9, v2
	s_waitcnt vmcnt(0)
	v_mul_lo_u32 v3, v2, s14
	v_sub_nc_u32_e32 v1, v1, v3
	v_mad_u64_u32 v[6:7], null, v1, s16, v[6:7]
	v_mad_u64_u32 v[13:14], null, v1, s17, v[13:14]
	v_mov_b32_e32 v1, v2
	s_cbranch_scc1 .LBB39_1196
.LBB39_1197:
	s_andn2_b32 vcc_lo, exec_lo, s8
	s_cbranch_vccnz .LBB39_1200
; %bb.1198:
	s_clause 0x1
	s_load_dwordx4 s[8:11], s[2:3], 0x4
	s_load_dwordx2 s[0:1], s[2:3], 0xc4
	s_cmp_lt_u32 s24, 2
	s_waitcnt lgkmcnt(0)
	v_mul_hi_u32 v1, s9, v8
	v_add_nc_u32_e32 v1, v8, v1
	v_lshrrev_b32_e32 v1, s10, v1
	v_mul_lo_u32 v2, v1, s8
	v_sub_nc_u32_e32 v2, v8, v2
	v_mul_lo_u32 v6, v2, s0
	v_mul_lo_u32 v13, v2, s1
	s_cbranch_scc1 .LBB39_1200
; %bb.1199:
	s_clause 0x1
	s_load_dwordx4 s[8:11], s[2:3], 0x10
	s_load_dwordx2 s[0:1], s[2:3], 0xcc
	s_waitcnt lgkmcnt(0)
	v_mul_hi_u32 v2, s9, v1
	v_add_nc_u32_e32 v2, v1, v2
	v_lshrrev_b32_e32 v2, s10, v2
	v_mul_lo_u32 v2, v2, s8
	v_sub_nc_u32_e32 v1, v1, v2
	v_mad_u64_u32 v[6:7], null, v1, s0, v[6:7]
	v_mad_u64_u32 v[13:14], null, v1, s1, v[13:14]
.LBB39_1200:
	v_cmp_ne_u32_e32 vcc_lo, 1, v0
	v_add_nc_u32_e32 v1, 0x80, v8
	s_cbranch_vccnz .LBB39_1206
; %bb.1201:
	s_cmp_lg_u32 s24, 0
	s_mov_b32 s8, 0
	s_cbranch_scc0 .LBB39_1207
; %bb.1202:
	s_min_u32 s10, s25, 15
	s_add_i32 s10, s10, 1
	s_cmp_eq_u32 s25, 2
	s_cbranch_scc1 .LBB39_1208
; %bb.1203:
	v_mov_b32_e32 v11, 0
	s_waitcnt vmcnt(0)
	v_mov_b32_e32 v4, 0
	v_mov_b32_e32 v2, v1
	s_and_b32 s9, s10, 28
	s_add_u32 s0, s2, 0xc4
	s_addc_u32 s1, s3, 0
	s_mov_b32 s11, 0
	s_mov_b64 s[6:7], s[2:3]
.LBB39_1204:                            ; =>This Inner Loop Header: Depth=1
	s_clause 0x1
	s_load_dwordx8 s[16:23], s[6:7], 0x4
	s_load_dwordx4 s[28:31], s[6:7], 0x24
	s_load_dwordx8 s[36:43], s[0:1], 0x0
	s_add_u32 s6, s6, 48
	s_addc_u32 s7, s7, 0
	s_add_i32 s11, s11, 4
	s_add_u32 s0, s0, 32
	s_addc_u32 s1, s1, 0
	s_cmp_lg_u32 s9, s11
	s_waitcnt lgkmcnt(0)
	v_mul_hi_u32 v3, s17, v2
	v_add_nc_u32_e32 v3, v2, v3
	v_lshrrev_b32_e32 v3, s18, v3
	v_mul_hi_u32 v5, s20, v3
	v_mul_lo_u32 v9, v3, s16
	v_add_nc_u32_e32 v5, v3, v5
	v_sub_nc_u32_e32 v2, v2, v9
	v_lshrrev_b32_e32 v5, s21, v5
	v_mul_lo_u32 v9, v2, s36
	v_mul_lo_u32 v12, v2, s37
	v_mul_hi_u32 v7, s23, v5
	v_add_nc_u32_e32 v7, v5, v7
	v_lshrrev_b32_e32 v7, s28, v7
	v_mul_hi_u32 v10, s30, v7
	v_mul_lo_u32 v14, v7, s22
	v_add_nc_u32_e32 v2, v7, v10
	v_mul_lo_u32 v10, v5, s19
	v_sub_nc_u32_e32 v5, v5, v14
	v_lshrrev_b32_e32 v2, s31, v2
	v_mul_lo_u32 v14, v5, s40
	v_mul_lo_u32 v5, v5, s41
	v_sub_nc_u32_e32 v3, v3, v10
	v_mul_lo_u32 v16, v2, s29
	v_mul_lo_u32 v10, v3, s38
	v_mul_lo_u32 v3, v3, s39
	v_sub_nc_u32_e32 v7, v7, v16
	v_add3_u32 v4, v9, v4, v10
	v_mul_lo_u32 v16, v7, s42
	v_mul_lo_u32 v7, v7, s43
	v_add3_u32 v3, v12, v11, v3
	v_add3_u32 v4, v14, v4, v16
	;; [unrolled: 1-line block ×3, first 2 shown]
	s_cbranch_scc1 .LBB39_1204
; %bb.1205:
	s_and_b32 s10, s10, 3
	s_cmp_eq_u32 s10, 0
	s_cbranch_scc0 .LBB39_1209
	s_branch .LBB39_1211
.LBB39_1206:
	s_mov_b32 s8, -1
                                        ; implicit-def: $vgpr4
                                        ; implicit-def: $vgpr11
	s_branch .LBB39_1211
.LBB39_1207:
	s_waitcnt vmcnt(0)
	v_mov_b32_e32 v4, 0
	v_mov_b32_e32 v11, 0
	s_branch .LBB39_1211
.LBB39_1208:
	s_waitcnt vmcnt(0)
	v_mov_b32_e32 v4, 0
	v_mov_b32_e32 v11, 0
	;; [unrolled: 1-line block ×3, first 2 shown]
	s_mov_b32 s9, 0
	s_and_b32 s10, s10, 3
	s_cmp_eq_u32 s10, 0
	s_cbranch_scc1 .LBB39_1211
.LBB39_1209:
	s_lshl_b32 s0, s9, 3
	s_mul_i32 s6, s9, 12
	s_add_u32 s0, s2, s0
	s_addc_u32 s1, s3, 0
	s_add_u32 s0, s0, 0xc4
	s_addc_u32 s1, s1, 0
	;; [unrolled: 2-line block ×3, first 2 shown]
	.p2align	6
.LBB39_1210:                            ; =>This Inner Loop Header: Depth=1
	s_clause 0x1
	s_load_dwordx2 s[14:15], s[6:7], 0x4
	s_load_dword s9, s[6:7], 0xc
	s_load_dwordx2 s[16:17], s[0:1], 0x0
	s_add_u32 s6, s6, 12
	s_addc_u32 s7, s7, 0
	s_add_u32 s0, s0, 8
	s_addc_u32 s1, s1, 0
	s_add_i32 s10, s10, -1
	s_cmp_lg_u32 s10, 0
	s_waitcnt lgkmcnt(0)
	v_mul_hi_u32 v3, s15, v2
	v_add_nc_u32_e32 v3, v2, v3
	v_lshrrev_b32_e32 v3, s9, v3
	v_mul_lo_u32 v5, v3, s14
	v_sub_nc_u32_e32 v2, v2, v5
	v_mad_u64_u32 v[4:5], null, v2, s16, v[4:5]
	v_mad_u64_u32 v[11:12], null, v2, s17, v[11:12]
	v_mov_b32_e32 v2, v3
	s_cbranch_scc1 .LBB39_1210
.LBB39_1211:
	s_andn2_b32 vcc_lo, exec_lo, s8
	s_cbranch_vccnz .LBB39_1214
; %bb.1212:
	s_clause 0x1
	s_load_dwordx4 s[8:11], s[2:3], 0x4
	s_load_dwordx2 s[0:1], s[2:3], 0xc4
	s_cmp_lt_u32 s24, 2
	s_waitcnt lgkmcnt(0)
	v_mul_hi_u32 v2, s9, v1
	v_add_nc_u32_e32 v2, v1, v2
	v_lshrrev_b32_e32 v2, s10, v2
	s_waitcnt vmcnt(0)
	v_mul_lo_u32 v3, v2, s8
	v_sub_nc_u32_e32 v1, v1, v3
	v_mul_lo_u32 v4, v1, s0
	v_mul_lo_u32 v11, v1, s1
	s_cbranch_scc1 .LBB39_1214
; %bb.1213:
	s_clause 0x1
	s_load_dwordx4 s[8:11], s[2:3], 0x10
	s_load_dwordx2 s[0:1], s[2:3], 0xcc
	s_waitcnt lgkmcnt(0)
	v_mul_hi_u32 v1, s9, v2
	v_add_nc_u32_e32 v1, v2, v1
	v_lshrrev_b32_e32 v1, s10, v1
	v_mul_lo_u32 v1, v1, s8
	v_sub_nc_u32_e32 v1, v2, v1
	v_mad_u64_u32 v[4:5], null, v1, s0, v[4:5]
	v_mad_u64_u32 v[11:12], null, v1, s1, v[11:12]
.LBB39_1214:
	v_cmp_ne_u32_e32 vcc_lo, 1, v0
	v_add_nc_u32_e32 v1, 0x100, v8
	s_cbranch_vccnz .LBB39_1220
; %bb.1215:
	s_cmp_lg_u32 s24, 0
	s_mov_b32 s8, 0
	s_cbranch_scc0 .LBB39_1221
; %bb.1216:
	s_min_u32 s10, s25, 15
	s_add_i32 s10, s10, 1
	s_cmp_eq_u32 s25, 2
	s_cbranch_scc1 .LBB39_1222
; %bb.1217:
	v_mov_b32_e32 v9, 0
	v_mov_b32_e32 v2, 0
	s_waitcnt vmcnt(0)
	v_mov_b32_e32 v3, v1
	s_and_b32 s9, s10, 28
	s_add_u32 s0, s2, 0xc4
	s_addc_u32 s1, s3, 0
	s_mov_b32 s11, 0
	s_mov_b64 s[6:7], s[2:3]
.LBB39_1218:                            ; =>This Inner Loop Header: Depth=1
	s_clause 0x1
	s_load_dwordx8 s[16:23], s[6:7], 0x4
	s_load_dwordx4 s[28:31], s[6:7], 0x24
	s_load_dwordx8 s[36:43], s[0:1], 0x0
	s_add_u32 s6, s6, 48
	s_addc_u32 s7, s7, 0
	s_add_i32 s11, s11, 4
	s_add_u32 s0, s0, 32
	s_addc_u32 s1, s1, 0
	s_cmp_lg_u32 s9, s11
	s_waitcnt lgkmcnt(0)
	v_mul_hi_u32 v5, s17, v3
	v_add_nc_u32_e32 v5, v3, v5
	v_lshrrev_b32_e32 v5, s18, v5
	v_mul_hi_u32 v7, s20, v5
	v_mul_lo_u32 v10, v5, s16
	v_add_nc_u32_e32 v7, v5, v7
	v_sub_nc_u32_e32 v3, v3, v10
	v_lshrrev_b32_e32 v7, s21, v7
	v_mul_lo_u32 v10, v3, s36
	v_mul_lo_u32 v14, v3, s37
	v_mul_hi_u32 v8, s23, v7
	v_add_nc_u32_e32 v8, v7, v8
	v_lshrrev_b32_e32 v8, s28, v8
	v_mul_hi_u32 v12, s30, v8
	v_mul_lo_u32 v16, v8, s22
	v_add_nc_u32_e32 v3, v8, v12
	v_mul_lo_u32 v12, v7, s19
	v_sub_nc_u32_e32 v7, v7, v16
	v_lshrrev_b32_e32 v3, s31, v3
	v_mul_lo_u32 v16, v7, s40
	v_mul_lo_u32 v7, v7, s41
	v_sub_nc_u32_e32 v5, v5, v12
	v_mul_lo_u32 v17, v3, s29
	v_mul_lo_u32 v12, v5, s38
	;; [unrolled: 1-line block ×3, first 2 shown]
	v_sub_nc_u32_e32 v8, v8, v17
	v_add3_u32 v2, v10, v2, v12
	v_mul_lo_u32 v17, v8, s42
	v_mul_lo_u32 v8, v8, s43
	v_add3_u32 v5, v14, v9, v5
	v_add3_u32 v2, v16, v2, v17
	;; [unrolled: 1-line block ×3, first 2 shown]
	s_cbranch_scc1 .LBB39_1218
; %bb.1219:
	s_and_b32 s10, s10, 3
	s_cmp_eq_u32 s10, 0
	s_cbranch_scc0 .LBB39_1223
	s_branch .LBB39_1225
.LBB39_1220:
	s_mov_b32 s8, -1
                                        ; implicit-def: $vgpr2
                                        ; implicit-def: $vgpr9
	s_branch .LBB39_1225
.LBB39_1221:
	v_mov_b32_e32 v2, 0
	v_mov_b32_e32 v9, 0
	s_branch .LBB39_1225
.LBB39_1222:
	v_mov_b32_e32 v2, 0
	v_mov_b32_e32 v9, 0
	s_waitcnt vmcnt(0)
	v_mov_b32_e32 v3, v1
	s_mov_b32 s9, 0
	s_and_b32 s10, s10, 3
	s_cmp_eq_u32 s10, 0
	s_cbranch_scc1 .LBB39_1225
.LBB39_1223:
	s_lshl_b32 s0, s9, 3
	s_mul_i32 s6, s9, 12
	s_add_u32 s0, s2, s0
	s_addc_u32 s1, s3, 0
	s_add_u32 s0, s0, 0xc4
	s_addc_u32 s1, s1, 0
	;; [unrolled: 2-line block ×3, first 2 shown]
	.p2align	6
.LBB39_1224:                            ; =>This Inner Loop Header: Depth=1
	s_clause 0x1
	s_load_dwordx2 s[14:15], s[6:7], 0x4
	s_load_dword s9, s[6:7], 0xc
	s_load_dwordx2 s[16:17], s[0:1], 0x0
	s_add_u32 s6, s6, 12
	s_addc_u32 s7, s7, 0
	s_add_u32 s0, s0, 8
	s_addc_u32 s1, s1, 0
	s_add_i32 s10, s10, -1
	s_cmp_lg_u32 s10, 0
	s_waitcnt lgkmcnt(0)
	v_mul_hi_u32 v5, s15, v3
	v_add_nc_u32_e32 v5, v3, v5
	v_lshrrev_b32_e32 v5, s9, v5
	v_mul_lo_u32 v7, v5, s14
	v_sub_nc_u32_e32 v7, v3, v7
	v_mad_u64_u32 v[2:3], null, v7, s16, v[2:3]
	v_mad_u64_u32 v[9:10], null, v7, s17, v[9:10]
	v_mov_b32_e32 v3, v5
	s_cbranch_scc1 .LBB39_1224
.LBB39_1225:
	s_andn2_b32 vcc_lo, exec_lo, s8
	s_cbranch_vccnz .LBB39_1228
; %bb.1226:
	s_clause 0x1
	s_load_dwordx4 s[8:11], s[2:3], 0x4
	s_load_dwordx2 s[0:1], s[2:3], 0xc4
	s_cmp_lt_u32 s24, 2
	s_waitcnt lgkmcnt(0)
	v_mul_hi_u32 v2, s9, v1
	v_add_nc_u32_e32 v2, v1, v2
	s_waitcnt vmcnt(0)
	v_lshrrev_b32_e32 v3, s10, v2
	v_mul_lo_u32 v2, v3, s8
	v_sub_nc_u32_e32 v1, v1, v2
	v_mul_lo_u32 v2, v1, s0
	v_mul_lo_u32 v9, v1, s1
	s_cbranch_scc1 .LBB39_1228
; %bb.1227:
	s_clause 0x1
	s_load_dwordx4 s[8:11], s[2:3], 0x10
	s_load_dwordx2 s[0:1], s[2:3], 0xcc
	s_waitcnt lgkmcnt(0)
	v_mul_hi_u32 v1, s9, v3
	v_add_nc_u32_e32 v1, v3, v1
	v_lshrrev_b32_e32 v1, s10, v1
	v_mul_lo_u32 v1, v1, s8
	v_sub_nc_u32_e32 v1, v3, v1
	v_mad_u64_u32 v[2:3], null, v1, s0, v[2:3]
	v_mad_u64_u32 v[9:10], null, v1, s1, v[9:10]
.LBB39_1228:
	v_cmp_ne_u32_e32 vcc_lo, 1, v0
	s_cbranch_vccnz .LBB39_1234
; %bb.1229:
	s_cmp_lg_u32 s24, 0
	s_mov_b32 s8, 0
	s_cbranch_scc0 .LBB39_1235
; %bb.1230:
	s_min_u32 s10, s25, 15
	s_add_i32 s10, s10, 1
	s_cmp_eq_u32 s25, 2
	s_cbranch_scc1 .LBB39_1236
; %bb.1231:
	v_mov_b32_e32 v7, 0
	v_mov_b32_e32 v0, 0
	;; [unrolled: 1-line block ×3, first 2 shown]
	s_and_b32 s9, s10, 28
	s_add_u32 s0, s2, 0xc4
	s_addc_u32 s1, s3, 0
	s_mov_b32 s11, 0
	s_mov_b64 s[6:7], s[2:3]
.LBB39_1232:                            ; =>This Inner Loop Header: Depth=1
	s_clause 0x1
	s_load_dwordx8 s[16:23], s[6:7], 0x4
	s_load_dwordx4 s[28:31], s[6:7], 0x24
	s_load_dwordx8 s[36:43], s[0:1], 0x0
	s_add_u32 s6, s6, 48
	s_addc_u32 s7, s7, 0
	s_add_i32 s11, s11, 4
	s_add_u32 s0, s0, 32
	s_addc_u32 s1, s1, 0
	s_cmp_lg_u32 s9, s11
	s_waitcnt vmcnt(0) lgkmcnt(0)
	v_mul_hi_u32 v3, s17, v1
	v_add_nc_u32_e32 v3, v1, v3
	v_lshrrev_b32_e32 v3, s18, v3
	v_mul_hi_u32 v5, s20, v3
	v_mul_lo_u32 v10, v3, s16
	v_add_nc_u32_e32 v5, v3, v5
	v_sub_nc_u32_e32 v1, v1, v10
	v_lshrrev_b32_e32 v5, s21, v5
	v_mul_lo_u32 v10, v1, s36
	v_mul_lo_u32 v14, v1, s37
	v_mul_hi_u32 v8, s23, v5
	v_add_nc_u32_e32 v8, v5, v8
	v_lshrrev_b32_e32 v8, s28, v8
	v_mul_hi_u32 v12, s30, v8
	v_mul_lo_u32 v16, v8, s22
	v_add_nc_u32_e32 v1, v8, v12
	v_mul_lo_u32 v12, v5, s19
	v_sub_nc_u32_e32 v5, v5, v16
	v_lshrrev_b32_e32 v1, s31, v1
	v_mul_lo_u32 v16, v5, s40
	v_mul_lo_u32 v5, v5, s41
	v_sub_nc_u32_e32 v3, v3, v12
	v_mul_lo_u32 v17, v1, s29
	v_mul_lo_u32 v12, v3, s38
	;; [unrolled: 1-line block ×3, first 2 shown]
	v_sub_nc_u32_e32 v8, v8, v17
	v_add3_u32 v0, v10, v0, v12
	v_mul_lo_u32 v17, v8, s42
	v_mul_lo_u32 v8, v8, s43
	v_add3_u32 v3, v14, v7, v3
	v_add3_u32 v0, v16, v0, v17
	;; [unrolled: 1-line block ×3, first 2 shown]
	s_cbranch_scc1 .LBB39_1232
; %bb.1233:
	s_and_b32 s10, s10, 3
	s_cmp_eq_u32 s10, 0
	s_cbranch_scc0 .LBB39_1237
	s_branch .LBB39_1239
.LBB39_1234:
	s_mov_b32 s8, -1
                                        ; implicit-def: $vgpr0
                                        ; implicit-def: $vgpr7
	s_branch .LBB39_1239
.LBB39_1235:
	v_mov_b32_e32 v0, 0
	v_mov_b32_e32 v7, 0
	s_branch .LBB39_1239
.LBB39_1236:
	v_mov_b32_e32 v0, 0
	v_mov_b32_e32 v7, 0
	;; [unrolled: 1-line block ×3, first 2 shown]
	s_mov_b32 s9, 0
	s_and_b32 s10, s10, 3
	s_cmp_eq_u32 s10, 0
	s_cbranch_scc1 .LBB39_1239
.LBB39_1237:
	s_lshl_b32 s0, s9, 3
	s_mul_i32 s6, s9, 12
	s_add_u32 s0, s2, s0
	s_addc_u32 s1, s3, 0
	s_add_u32 s0, s0, 0xc4
	s_addc_u32 s1, s1, 0
	s_add_u32 s6, s2, s6
	s_addc_u32 s7, s3, 0
	.p2align	6
.LBB39_1238:                            ; =>This Inner Loop Header: Depth=1
	s_clause 0x1
	s_load_dwordx2 s[14:15], s[6:7], 0x4
	s_load_dword s9, s[6:7], 0xc
	s_load_dwordx2 s[16:17], s[0:1], 0x0
	s_add_u32 s6, s6, 12
	s_addc_u32 s7, s7, 0
	s_add_u32 s0, s0, 8
	s_addc_u32 s1, s1, 0
	s_add_i32 s10, s10, -1
	s_cmp_lg_u32 s10, 0
	s_waitcnt vmcnt(0) lgkmcnt(0)
	v_mul_hi_u32 v3, s15, v1
	v_add_nc_u32_e32 v3, v1, v3
	v_lshrrev_b32_e32 v3, s9, v3
	v_mul_lo_u32 v5, v3, s14
	v_sub_nc_u32_e32 v5, v1, v5
	v_mad_u64_u32 v[0:1], null, v5, s16, v[0:1]
	v_mad_u64_u32 v[7:8], null, v5, s17, v[7:8]
	v_mov_b32_e32 v1, v3
	s_cbranch_scc1 .LBB39_1238
.LBB39_1239:
	s_andn2_b32 vcc_lo, exec_lo, s8
	s_cbranch_vccnz .LBB39_1242
; %bb.1240:
	s_clause 0x1
	s_load_dwordx4 s[8:11], s[2:3], 0x4
	s_load_dwordx2 s[0:1], s[2:3], 0xc4
	s_cmp_lt_u32 s24, 2
	s_waitcnt lgkmcnt(0)
	v_mul_hi_u32 v0, s9, v15
	v_add_nc_u32_e32 v0, v15, v0
	v_lshrrev_b32_e32 v1, s10, v0
	v_mul_lo_u32 v0, v1, s8
	s_waitcnt vmcnt(0)
	v_sub_nc_u32_e32 v3, v15, v0
	v_mul_lo_u32 v0, v3, s0
	v_mul_lo_u32 v7, v3, s1
	s_cbranch_scc1 .LBB39_1242
; %bb.1241:
	s_clause 0x1
	s_load_dwordx4 s[8:11], s[2:3], 0x10
	s_load_dwordx2 s[0:1], s[2:3], 0xcc
	s_waitcnt lgkmcnt(0)
	v_mul_hi_u32 v3, s9, v1
	v_add_nc_u32_e32 v3, v1, v3
	v_lshrrev_b32_e32 v3, s10, v3
	v_mul_lo_u32 v3, v3, s8
	v_sub_nc_u32_e32 v3, v1, v3
	v_mad_u64_u32 v[0:1], null, v3, s0, v[0:1]
	v_mad_u64_u32 v[7:8], null, v3, s1, v[7:8]
.LBB39_1242:
	s_clause 0x1
	s_load_dwordx4 s[8:11], s[2:3], 0x148
	s_load_dword s3, s[4:5], 0x160
	s_waitcnt lgkmcnt(0)
	v_add_co_u32 v12, s0, s10, v13
	v_add_co_ci_u32_e64 v13, null, s11, 0, s0
	s_bfe_u32 s0, s3, 0x80010
	s_cmp_lt_i32 s0, 11
	s_cbranch_scc1 .LBB39_1249
; %bb.1243:
	s_and_b32 s1, 0xffff, s0
	s_mov_b32 s4, 0
	s_cmp_gt_i32 s1, 25
	s_cbranch_scc0 .LBB39_1251
; %bb.1244:
	s_cmp_gt_i32 s1, 28
	s_cbranch_scc0 .LBB39_1252
; %bb.1245:
	;; [unrolled: 3-line block ×4, first 2 shown]
	s_cmp_eq_u32 s1, 46
	s_mov_b32 s6, 0
	s_cbranch_scc0 .LBB39_1257
; %bb.1248:
	global_load_dword v1, v[12:13], off
	s_mov_b32 s2, 0
	s_mov_b32 s5, -1
	s_branch .LBB39_1259
.LBB39_1249:
	s_mov_b32 s5, 0
	s_mov_b32 s2, s12
                                        ; implicit-def: $vgpr1
	s_cbranch_execnz .LBB39_1322
.LBB39_1250:
	s_andn2_b32 vcc_lo, exec_lo, s5
	s_cbranch_vccz .LBB39_1367
	s_branch .LBB39_1932
.LBB39_1251:
	s_mov_b32 s5, 0
	s_mov_b32 s2, 0
                                        ; implicit-def: $vgpr1
	s_cbranch_execnz .LBB39_1287
	s_branch .LBB39_1318
.LBB39_1252:
	s_mov_b32 s6, -1
	s_mov_b32 s5, 0
	s_mov_b32 s2, 0
                                        ; implicit-def: $vgpr1
	s_branch .LBB39_1268
.LBB39_1253:
	s_mov_b32 s5, 0
	s_mov_b32 s2, 0
                                        ; implicit-def: $vgpr1
	s_cbranch_execnz .LBB39_1264
	s_branch .LBB39_1267
.LBB39_1254:
	s_mov_b32 s6, -1
	s_mov_b32 s5, 0
	s_mov_b32 s2, 0
	s_branch .LBB39_1258
.LBB39_1255:
	s_andn2_saveexec_b32 s11, s11
	s_cbranch_execz .LBB39_1098
.LBB39_1256:
	v_add_f32_e64 v4, 0x46000000, |v5|
	s_andn2_b32 s10, s10, exec_lo
	v_and_b32_e32 v4, 0xff, v4
	v_cmp_ne_u32_e32 vcc_lo, 0, v4
	s_and_b32 s12, vcc_lo, exec_lo
	s_or_b32 s10, s10, s12
	s_or_b32 exec_lo, exec_lo, s11
	v_mov_b32_e32 v6, 0
	s_and_saveexec_b32 s11, s10
	s_cbranch_execnz .LBB39_1099
	s_branch .LBB39_1100
.LBB39_1257:
	s_mov_b32 s2, -1
	s_mov_b32 s5, 0
.LBB39_1258:
                                        ; implicit-def: $vgpr1
.LBB39_1259:
	s_and_b32 vcc_lo, exec_lo, s6
	s_cbranch_vccz .LBB39_1262
; %bb.1260:
	s_cmp_eq_u32 s1, 44
	s_cbranch_scc0 .LBB39_1263
; %bb.1261:
	global_load_ubyte v1, v[12:13], off
	s_mov_b32 s2, 0
	s_mov_b32 s5, -1
	s_waitcnt vmcnt(0)
	v_lshlrev_b32_e32 v3, 23, v1
	v_cmp_ne_u32_e32 vcc_lo, 0xff, v1
	v_cndmask_b32_e32 v3, 0x7f800001, v3, vcc_lo
	v_cmp_ne_u32_e32 vcc_lo, 0, v1
	v_cndmask_b32_e32 v1, 0x400000, v3, vcc_lo
	v_mov_b32_e32 v3, 0x7fc0
	v_cmp_o_f32_e32 vcc_lo, v1, v1
	v_add_nc_u32_e32 v1, 0x7fff, v1
	v_cndmask_b32_sdwa v1, v3, v1, vcc_lo dst_sel:DWORD dst_unused:UNUSED_PAD src0_sel:DWORD src1_sel:WORD_1
.LBB39_1262:
	s_branch .LBB39_1267
.LBB39_1263:
	s_mov_b32 s2, -1
                                        ; implicit-def: $vgpr1
	s_branch .LBB39_1267
.LBB39_1264:
	s_cmp_eq_u32 s1, 29
	s_cbranch_scc0 .LBB39_1266
; %bb.1265:
	global_load_dwordx2 v[14:15], v[12:13], off
	s_mov_b32 s2, 0
	s_mov_b32 s5, -1
	s_mov_b32 s6, 0
	s_waitcnt vmcnt(0)
	v_ffbh_u32_e32 v1, v15
	v_min_u32_e32 v1, 32, v1
	v_lshlrev_b64 v[14:15], v1, v[14:15]
	v_sub_nc_u32_e32 v1, 32, v1
	v_min_u32_e32 v3, 1, v14
	v_or_b32_e32 v3, v15, v3
	v_cvt_f32_u32_e32 v3, v3
	v_ldexp_f32 v1, v3, v1
	v_bfe_u32 v3, v1, 16, 1
	v_add3_u32 v1, v1, v3, 0x7fff
	v_lshrrev_b32_e32 v1, 16, v1
	s_branch .LBB39_1268
.LBB39_1266:
	s_mov_b32 s2, -1
                                        ; implicit-def: $vgpr1
.LBB39_1267:
	s_mov_b32 s6, 0
.LBB39_1268:
	s_and_b32 vcc_lo, exec_lo, s6
	s_cbranch_vccz .LBB39_1286
; %bb.1269:
	s_cmp_lt_i32 s1, 27
	s_cbranch_scc1 .LBB39_1272
; %bb.1270:
	s_cmp_gt_i32 s1, 27
	s_cbranch_scc0 .LBB39_1273
; %bb.1271:
	global_load_dword v1, v[12:13], off
	s_mov_b32 s5, 0
	s_waitcnt vmcnt(0)
	v_cvt_f32_u32_e32 v1, v1
	v_bfe_u32 v3, v1, 16, 1
	v_add3_u32 v1, v1, v3, 0x7fff
	v_lshrrev_b32_e32 v1, 16, v1
	s_branch .LBB39_1274
.LBB39_1272:
	s_mov_b32 s5, -1
                                        ; implicit-def: $vgpr1
	s_branch .LBB39_1277
.LBB39_1273:
	s_mov_b32 s5, -1
                                        ; implicit-def: $vgpr1
.LBB39_1274:
	s_andn2_b32 vcc_lo, exec_lo, s5
	s_cbranch_vccnz .LBB39_1276
; %bb.1275:
	global_load_ushort v1, v[12:13], off
	s_waitcnt vmcnt(0)
	v_cvt_f32_u32_e32 v1, v1
	v_bfe_u32 v3, v1, 16, 1
	v_add3_u32 v1, v1, v3, 0x7fff
	v_lshrrev_b32_e32 v1, 16, v1
.LBB39_1276:
	s_mov_b32 s5, 0
.LBB39_1277:
	s_andn2_b32 vcc_lo, exec_lo, s5
	s_cbranch_vccnz .LBB39_1285
; %bb.1278:
	global_load_ubyte v1, v[12:13], off
	s_mov_b32 s5, 0
	s_mov_b32 s6, exec_lo
	s_waitcnt vmcnt(0)
	v_cmpx_lt_i16_e32 0x7f, v1
	s_xor_b32 s6, exec_lo, s6
	s_cbranch_execz .LBB39_1298
; %bb.1279:
	s_mov_b32 s5, -1
	s_mov_b32 s7, exec_lo
	v_cmpx_eq_u16_e32 0x80, v1
; %bb.1280:
	s_xor_b32 s5, exec_lo, -1
; %bb.1281:
	s_or_b32 exec_lo, exec_lo, s7
	s_and_b32 s5, s5, exec_lo
	s_or_saveexec_b32 s6, s6
	v_mov_b32_e32 v3, 0x7f800001
	s_xor_b32 exec_lo, exec_lo, s6
	s_cbranch_execnz .LBB39_1299
.LBB39_1282:
	s_or_b32 exec_lo, exec_lo, s6
	s_and_saveexec_b32 s6, s5
	s_cbranch_execz .LBB39_1284
.LBB39_1283:
	v_and_b32_e32 v3, 0xffff, v1
	v_lshlrev_b32_e32 v1, 24, v1
	v_and_b32_e32 v5, 7, v3
	v_bfe_u32 v14, v3, 3, 4
	v_and_b32_e32 v1, 0x80000000, v1
	v_ffbh_u32_e32 v8, v5
	v_cmp_eq_u32_e32 vcc_lo, 0, v14
	v_min_u32_e32 v8, 32, v8
	v_subrev_nc_u32_e32 v10, 28, v8
	v_sub_nc_u32_e32 v8, 29, v8
	v_lshlrev_b32_e32 v3, v10, v3
	v_cndmask_b32_e32 v8, v14, v8, vcc_lo
	v_and_b32_e32 v3, 7, v3
	v_cndmask_b32_e32 v3, v5, v3, vcc_lo
	v_lshl_add_u32 v5, v8, 23, 0x3b800000
	v_lshlrev_b32_e32 v3, 20, v3
	v_or3_b32 v3, v1, v5, v3
.LBB39_1284:
	s_or_b32 exec_lo, exec_lo, s6
	v_bfe_u32 v1, v3, 16, 1
	v_cmp_o_f32_e32 vcc_lo, v3, v3
	v_add3_u32 v1, v3, v1, 0x7fff
	v_mov_b32_e32 v3, 0x7fc0
	v_cndmask_b32_sdwa v1, v3, v1, vcc_lo dst_sel:DWORD dst_unused:UNUSED_PAD src0_sel:DWORD src1_sel:WORD_1
.LBB39_1285:
	s_mov_b32 s5, -1
.LBB39_1286:
	s_branch .LBB39_1318
.LBB39_1287:
	s_cmp_gt_i32 s1, 22
	s_cbranch_scc0 .LBB39_1297
; %bb.1288:
	s_cmp_lt_i32 s1, 24
	s_cbranch_scc1 .LBB39_1300
; %bb.1289:
	s_cmp_gt_i32 s1, 24
	s_cbranch_scc0 .LBB39_1301
; %bb.1290:
	global_load_ubyte v1, v[12:13], off
	s_mov_b32 s5, exec_lo
	s_waitcnt vmcnt(0)
	v_cmpx_lt_i16_e32 0x7f, v1
	s_xor_b32 s5, exec_lo, s5
	s_cbranch_execz .LBB39_1312
; %bb.1291:
	s_mov_b32 s4, -1
	s_mov_b32 s6, exec_lo
	v_cmpx_eq_u16_e32 0x80, v1
; %bb.1292:
	s_xor_b32 s4, exec_lo, -1
; %bb.1293:
	s_or_b32 exec_lo, exec_lo, s6
	s_and_b32 s4, s4, exec_lo
	s_or_saveexec_b32 s5, s5
	v_mov_b32_e32 v3, 0x7f800001
	s_xor_b32 exec_lo, exec_lo, s5
	s_cbranch_execnz .LBB39_1313
.LBB39_1294:
	s_or_b32 exec_lo, exec_lo, s5
	s_and_saveexec_b32 s5, s4
	s_cbranch_execz .LBB39_1296
.LBB39_1295:
	v_and_b32_e32 v3, 0xffff, v1
	v_lshlrev_b32_e32 v1, 24, v1
	v_and_b32_e32 v5, 3, v3
	v_bfe_u32 v14, v3, 2, 5
	v_and_b32_e32 v1, 0x80000000, v1
	v_ffbh_u32_e32 v8, v5
	v_cmp_eq_u32_e32 vcc_lo, 0, v14
	v_min_u32_e32 v8, 32, v8
	v_subrev_nc_u32_e32 v10, 29, v8
	v_sub_nc_u32_e32 v8, 30, v8
	v_lshlrev_b32_e32 v3, v10, v3
	v_cndmask_b32_e32 v8, v14, v8, vcc_lo
	v_and_b32_e32 v3, 3, v3
	v_cndmask_b32_e32 v3, v5, v3, vcc_lo
	v_lshl_add_u32 v5, v8, 23, 0x37800000
	v_lshlrev_b32_e32 v3, 21, v3
	v_or3_b32 v3, v1, v5, v3
.LBB39_1296:
	s_or_b32 exec_lo, exec_lo, s5
	v_bfe_u32 v1, v3, 16, 1
	v_cmp_o_f32_e32 vcc_lo, v3, v3
	s_mov_b32 s4, 0
	v_add3_u32 v1, v3, v1, 0x7fff
	v_mov_b32_e32 v3, 0x7fc0
	v_cndmask_b32_sdwa v1, v3, v1, vcc_lo dst_sel:DWORD dst_unused:UNUSED_PAD src0_sel:DWORD src1_sel:WORD_1
	s_branch .LBB39_1302
.LBB39_1297:
                                        ; implicit-def: $vgpr1
	s_mov_b32 s4, 0
	s_branch .LBB39_1308
.LBB39_1298:
	s_or_saveexec_b32 s6, s6
	v_mov_b32_e32 v3, 0x7f800001
	s_xor_b32 exec_lo, exec_lo, s6
	s_cbranch_execz .LBB39_1282
.LBB39_1299:
	v_cmp_ne_u16_e32 vcc_lo, 0, v1
	v_mov_b32_e32 v3, 0
	s_andn2_b32 s5, s5, exec_lo
	s_and_b32 s7, vcc_lo, exec_lo
	s_or_b32 s5, s5, s7
	s_or_b32 exec_lo, exec_lo, s6
	s_and_saveexec_b32 s6, s5
	s_cbranch_execnz .LBB39_1283
	s_branch .LBB39_1284
.LBB39_1300:
	s_mov_b32 s4, -1
                                        ; implicit-def: $vgpr1
	s_branch .LBB39_1305
.LBB39_1301:
	s_mov_b32 s4, -1
                                        ; implicit-def: $vgpr1
.LBB39_1302:
	s_and_b32 vcc_lo, exec_lo, s4
	s_cbranch_vccz .LBB39_1304
; %bb.1303:
	global_load_ubyte v1, v[12:13], off
	s_waitcnt vmcnt(0)
	v_lshlrev_b32_e32 v1, 24, v1
	v_and_b32_e32 v3, 0x7f000000, v1
	v_ffbh_u32_e32 v5, v3
	v_add_nc_u32_e32 v10, 0x1000000, v3
	v_cmp_ne_u32_e32 vcc_lo, 0, v3
	v_min_u32_e32 v5, 32, v5
	v_sub_nc_u32_e64 v5, v5, 4 clamp
	v_lshlrev_b32_e32 v8, v5, v3
	v_lshlrev_b32_e32 v5, 23, v5
	v_lshrrev_b32_e32 v8, 4, v8
	v_sub_nc_u32_e32 v5, v8, v5
	v_ashrrev_i32_e32 v8, 8, v10
	v_add_nc_u32_e32 v5, 0x3c000000, v5
	v_and_or_b32 v5, 0x7f800000, v8, v5
	v_cndmask_b32_e32 v3, 0, v5, vcc_lo
	v_and_or_b32 v1, 0x80000000, v1, v3
	v_bfe_u32 v3, v3, 16, 1
	v_cmp_o_f32_e32 vcc_lo, v1, v1
	v_add3_u32 v1, v1, v3, 0x7fff
	v_mov_b32_e32 v3, 0x7fc0
	v_cndmask_b32_sdwa v1, v3, v1, vcc_lo dst_sel:DWORD dst_unused:UNUSED_PAD src0_sel:DWORD src1_sel:WORD_1
.LBB39_1304:
	s_mov_b32 s4, 0
.LBB39_1305:
	s_andn2_b32 vcc_lo, exec_lo, s4
	s_cbranch_vccnz .LBB39_1307
; %bb.1306:
	global_load_ubyte v1, v[12:13], off
	s_waitcnt vmcnt(0)
	v_lshlrev_b32_e32 v3, 25, v1
	v_lshlrev_b16 v1, 8, v1
	v_lshrrev_b32_e32 v5, 4, v3
	v_and_or_b32 v8, 0x7f00, v1, 0.5
	v_cmp_gt_u32_e32 vcc_lo, 0x8000000, v3
	v_bfe_i32 v1, v1, 0, 16
	v_or_b32_e32 v5, 0x70000000, v5
	v_add_f32_e32 v8, -0.5, v8
	v_mul_f32_e32 v5, 0x7800000, v5
	v_cndmask_b32_e32 v3, v5, v8, vcc_lo
	v_and_or_b32 v1, 0x80000000, v1, v3
	v_bfe_u32 v3, v3, 16, 1
	v_cmp_o_f32_e32 vcc_lo, v1, v1
	v_add3_u32 v1, v1, v3, 0x7fff
	v_mov_b32_e32 v3, 0x7fc0
	v_cndmask_b32_sdwa v1, v3, v1, vcc_lo dst_sel:DWORD dst_unused:UNUSED_PAD src0_sel:DWORD src1_sel:WORD_1
.LBB39_1307:
	s_mov_b32 s5, -1
	s_mov_b32 s4, 0
	s_cbranch_execnz .LBB39_1318
.LBB39_1308:
	s_cmp_gt_i32 s1, 14
	s_cbranch_scc0 .LBB39_1311
; %bb.1309:
	s_cmp_eq_u32 s1, 15
	s_cbranch_scc0 .LBB39_1314
; %bb.1310:
	global_load_ushort v1, v[12:13], off
	s_mov_b32 s2, 0
	s_mov_b32 s5, -1
	s_branch .LBB39_1316
.LBB39_1311:
	s_mov_b32 s4, -1
	s_branch .LBB39_1315
.LBB39_1312:
	s_or_saveexec_b32 s5, s5
	v_mov_b32_e32 v3, 0x7f800001
	s_xor_b32 exec_lo, exec_lo, s5
	s_cbranch_execz .LBB39_1294
.LBB39_1313:
	v_cmp_ne_u16_e32 vcc_lo, 0, v1
	v_mov_b32_e32 v3, 0
	s_andn2_b32 s4, s4, exec_lo
	s_and_b32 s6, vcc_lo, exec_lo
	s_or_b32 s4, s4, s6
	s_or_b32 exec_lo, exec_lo, s5
	s_and_saveexec_b32 s5, s4
	s_cbranch_execnz .LBB39_1295
	s_branch .LBB39_1296
.LBB39_1314:
	s_mov_b32 s2, -1
.LBB39_1315:
                                        ; implicit-def: $vgpr1
.LBB39_1316:
	s_and_b32 vcc_lo, exec_lo, s4
	s_mov_b32 s4, 0
	s_cbranch_vccz .LBB39_1318
; %bb.1317:
	s_cmp_lg_u32 s1, 11
	s_mov_b32 s4, -1
	s_cselect_b32 s2, -1, 0
.LBB39_1318:
	s_and_b32 vcc_lo, exec_lo, s2
	s_mov_b32 s2, s12
	s_cbranch_vccnz .LBB39_1403
; %bb.1319:
	s_andn2_b32 vcc_lo, exec_lo, s4
	s_cbranch_vccnz .LBB39_1321
.LBB39_1320:
	global_load_ubyte v1, v[12:13], off
	s_mov_b32 s5, -1
	s_waitcnt vmcnt(0)
	v_cmp_ne_u16_e32 vcc_lo, 0, v1
	v_cndmask_b32_e64 v1, 0, 1.0, vcc_lo
	v_lshrrev_b32_e32 v1, 16, v1
.LBB39_1321:
	s_branch .LBB39_1250
.LBB39_1322:
	s_and_b32 s0, 0xffff, s0
	s_cmp_lt_i32 s0, 5
	s_cbranch_scc1 .LBB39_1327
; %bb.1323:
	s_cmp_lt_i32 s0, 8
	s_cbranch_scc1 .LBB39_1328
; %bb.1324:
	;; [unrolled: 3-line block ×3, first 2 shown]
	s_cmp_gt_i32 s0, 9
	s_cbranch_scc0 .LBB39_1330
; %bb.1326:
	global_load_dwordx2 v[14:15], v[12:13], off
	s_mov_b32 s1, 0
	s_waitcnt vmcnt(0)
	v_cvt_f32_f64_e32 v1, v[14:15]
	v_bfe_u32 v3, v1, 16, 1
	v_cmp_o_f32_e32 vcc_lo, v1, v1
	v_add3_u32 v1, v1, v3, 0x7fff
	v_mov_b32_e32 v3, 0x7fc0
	v_cndmask_b32_sdwa v1, v3, v1, vcc_lo dst_sel:DWORD dst_unused:UNUSED_PAD src0_sel:DWORD src1_sel:WORD_1
	s_branch .LBB39_1331
.LBB39_1327:
                                        ; implicit-def: $vgpr1
	s_branch .LBB39_1348
.LBB39_1328:
                                        ; implicit-def: $vgpr1
	s_branch .LBB39_1337
.LBB39_1329:
	s_mov_b32 s1, -1
                                        ; implicit-def: $vgpr1
	s_branch .LBB39_1334
.LBB39_1330:
	s_mov_b32 s1, -1
                                        ; implicit-def: $vgpr1
.LBB39_1331:
	s_andn2_b32 vcc_lo, exec_lo, s1
	s_cbranch_vccnz .LBB39_1333
; %bb.1332:
	global_load_dword v1, v[12:13], off
	s_waitcnt vmcnt(0)
	v_bfe_u32 v3, v1, 16, 1
	v_cmp_o_f32_e32 vcc_lo, v1, v1
	v_add3_u32 v1, v1, v3, 0x7fff
	v_mov_b32_e32 v3, 0x7fc0
	v_cndmask_b32_sdwa v1, v3, v1, vcc_lo dst_sel:DWORD dst_unused:UNUSED_PAD src0_sel:DWORD src1_sel:WORD_1
.LBB39_1333:
	s_mov_b32 s1, 0
.LBB39_1334:
	s_andn2_b32 vcc_lo, exec_lo, s1
	s_cbranch_vccnz .LBB39_1336
; %bb.1335:
	global_load_dword v1, v[12:13], off
	s_waitcnt vmcnt(0)
	v_cvt_f32_f16_e32 v3, v1
	v_cmp_o_f16_e32 vcc_lo, v1, v1
	v_bfe_u32 v5, v3, 16, 1
	v_add3_u32 v1, v3, v5, 0x7fff
	v_mov_b32_e32 v3, 0x7fc0
	v_cndmask_b32_sdwa v1, v3, v1, vcc_lo dst_sel:DWORD dst_unused:UNUSED_PAD src0_sel:DWORD src1_sel:WORD_1
.LBB39_1336:
	s_cbranch_execnz .LBB39_1347
.LBB39_1337:
	s_cmp_lt_i32 s0, 6
	s_cbranch_scc1 .LBB39_1340
; %bb.1338:
	s_cmp_gt_i32 s0, 6
	s_cbranch_scc0 .LBB39_1341
; %bb.1339:
	global_load_dwordx2 v[14:15], v[12:13], off
	s_mov_b32 s1, 0
	s_waitcnt vmcnt(0)
	v_cvt_f32_f64_e32 v1, v[14:15]
	v_bfe_u32 v3, v1, 16, 1
	v_cmp_o_f32_e32 vcc_lo, v1, v1
	v_add3_u32 v1, v1, v3, 0x7fff
	v_mov_b32_e32 v3, 0x7fc0
	v_cndmask_b32_sdwa v1, v3, v1, vcc_lo dst_sel:DWORD dst_unused:UNUSED_PAD src0_sel:DWORD src1_sel:WORD_1
	s_branch .LBB39_1342
.LBB39_1340:
	s_mov_b32 s1, -1
                                        ; implicit-def: $vgpr1
	s_branch .LBB39_1345
.LBB39_1341:
	s_mov_b32 s1, -1
                                        ; implicit-def: $vgpr1
.LBB39_1342:
	s_andn2_b32 vcc_lo, exec_lo, s1
	s_cbranch_vccnz .LBB39_1344
; %bb.1343:
	global_load_dword v1, v[12:13], off
	s_waitcnt vmcnt(0)
	v_bfe_u32 v3, v1, 16, 1
	v_cmp_o_f32_e32 vcc_lo, v1, v1
	v_add3_u32 v1, v1, v3, 0x7fff
	v_mov_b32_e32 v3, 0x7fc0
	v_cndmask_b32_sdwa v1, v3, v1, vcc_lo dst_sel:DWORD dst_unused:UNUSED_PAD src0_sel:DWORD src1_sel:WORD_1
.LBB39_1344:
	s_mov_b32 s1, 0
.LBB39_1345:
	s_andn2_b32 vcc_lo, exec_lo, s1
	s_cbranch_vccnz .LBB39_1347
; %bb.1346:
	global_load_ushort v1, v[12:13], off
	s_waitcnt vmcnt(0)
	v_cvt_f32_f16_e32 v3, v1
	v_cmp_o_f16_e32 vcc_lo, v1, v1
	v_bfe_u32 v5, v3, 16, 1
	v_add3_u32 v1, v3, v5, 0x7fff
	v_mov_b32_e32 v3, 0x7fc0
	v_cndmask_b32_sdwa v1, v3, v1, vcc_lo dst_sel:DWORD dst_unused:UNUSED_PAD src0_sel:DWORD src1_sel:WORD_1
.LBB39_1347:
	s_cbranch_execnz .LBB39_1366
.LBB39_1348:
	s_cmp_lt_i32 s0, 2
	s_cbranch_scc1 .LBB39_1352
; %bb.1349:
	s_cmp_lt_i32 s0, 3
	s_cbranch_scc1 .LBB39_1353
; %bb.1350:
	s_cmp_gt_i32 s0, 3
	s_cbranch_scc0 .LBB39_1354
; %bb.1351:
	global_load_dwordx2 v[14:15], v[12:13], off
	s_mov_b32 s1, 0
	s_waitcnt vmcnt(0)
	v_xor_b32_e32 v1, v14, v15
	v_ffbh_i32_e32 v3, v15
	v_ashrrev_i32_e32 v1, 31, v1
	v_add_nc_u32_e32 v3, -1, v3
	v_add_nc_u32_e32 v1, 32, v1
	v_min_u32_e32 v1, v3, v1
	v_lshlrev_b64 v[14:15], v1, v[14:15]
	v_sub_nc_u32_e32 v1, 32, v1
	v_min_u32_e32 v3, 1, v14
	v_or_b32_e32 v3, v15, v3
	v_cvt_f32_i32_e32 v3, v3
	v_ldexp_f32 v1, v3, v1
	v_bfe_u32 v3, v1, 16, 1
	v_add3_u32 v1, v1, v3, 0x7fff
	v_lshrrev_b32_e32 v1, 16, v1
	s_branch .LBB39_1355
.LBB39_1352:
                                        ; implicit-def: $vgpr1
	s_branch .LBB39_1361
.LBB39_1353:
	s_mov_b32 s1, -1
                                        ; implicit-def: $vgpr1
	s_branch .LBB39_1358
.LBB39_1354:
	s_mov_b32 s1, -1
                                        ; implicit-def: $vgpr1
.LBB39_1355:
	s_andn2_b32 vcc_lo, exec_lo, s1
	s_cbranch_vccnz .LBB39_1357
; %bb.1356:
	global_load_dword v1, v[12:13], off
	s_waitcnt vmcnt(0)
	v_cvt_f32_i32_e32 v1, v1
	v_bfe_u32 v3, v1, 16, 1
	v_add3_u32 v1, v1, v3, 0x7fff
	v_lshrrev_b32_e32 v1, 16, v1
.LBB39_1357:
	s_mov_b32 s1, 0
.LBB39_1358:
	s_andn2_b32 vcc_lo, exec_lo, s1
	s_cbranch_vccnz .LBB39_1360
; %bb.1359:
	global_load_sshort v1, v[12:13], off
	s_waitcnt vmcnt(0)
	v_cvt_f32_i32_e32 v1, v1
	v_bfe_u32 v3, v1, 16, 1
	v_add3_u32 v1, v1, v3, 0x7fff
	v_lshrrev_b32_e32 v1, 16, v1
.LBB39_1360:
	s_cbranch_execnz .LBB39_1366
.LBB39_1361:
	s_cmp_gt_i32 s0, 0
	s_mov_b32 s0, 0
	s_cbranch_scc0 .LBB39_1363
; %bb.1362:
	global_load_sbyte v1, v[12:13], off
	s_waitcnt vmcnt(0)
	v_cvt_f32_i32_e32 v1, v1
	v_bfe_u32 v3, v1, 16, 1
	v_add3_u32 v1, v1, v3, 0x7fff
	v_lshrrev_b32_e32 v1, 16, v1
	s_branch .LBB39_1364
.LBB39_1363:
	s_mov_b32 s0, -1
                                        ; implicit-def: $vgpr1
.LBB39_1364:
	s_andn2_b32 vcc_lo, exec_lo, s0
	s_cbranch_vccnz .LBB39_1366
; %bb.1365:
	global_load_ubyte v1, v[12:13], off
	s_waitcnt vmcnt(0)
	v_cvt_f32_ubyte0_e32 v1, v1
	v_bfe_u32 v3, v1, 16, 1
	v_add3_u32 v1, v1, v3, 0x7fff
	v_lshrrev_b32_e32 v1, 16, v1
.LBB39_1366:
.LBB39_1367:
	s_waitcnt vmcnt(0)
	v_lshlrev_b32_e32 v3, 16, v1
                                        ; implicit-def: $vgpr1
	s_mov_b32 s0, exec_lo
	v_cmpx_neq_f32_e32 0, v3
	s_xor_b32 s4, exec_lo, s0
	s_cbranch_execz .LBB39_1389
; %bb.1368:
	v_mov_b32_e32 v5, 0
	s_mov_b32 s0, -1
	s_mov_b32 s5, exec_lo
	v_cmpx_gt_f32_e32 0, v3
	s_cbranch_execz .LBB39_1376
; %bb.1369:
	v_trunc_f32_e32 v1, v3
	v_mov_b32_e32 v5, 0
	s_mov_b32 s1, 0
	s_mov_b32 s6, exec_lo
	v_cmpx_neq_f32_e32 v1, v3
	s_cbranch_execz .LBB39_1375
; %bb.1370:
	v_cvt_f64_f32_e32 v[12:13], v3
	s_mov_b32 s1, 0xc00921fb
	s_mov_b32 s0, 0x54442d18
	s_mov_b32 s7, exec_lo
                                        ; implicit-def: $vgpr1
                                        ; implicit-def: $vgpr16_vgpr17
	v_trunc_f64_e32 v[14:15], v[12:13]
	v_cmp_neq_f64_e64 vcc_lo, 0x7ff00000, |v[12:13]|
	v_add_f64 v[14:15], v[12:13], -v[14:15]
	v_mul_f64 v[14:15], |v[14:15]|, s[0:1]
	v_cndmask_b32_e32 v13, 0x80000000, v15, vcc_lo
	v_cndmask_b32_e32 v12, 0, v14, vcc_lo
                                        ; implicit-def: $vgpr14_vgpr15
	v_cmpx_ngt_f64_e64 0x41d00000, |v[12:13]|
	s_xor_b32 s7, exec_lo, s7
	s_cbranch_execz .LBB39_1372
; %bb.1371:
	v_ldexp_f64 v[14:15], |v[12:13]|, 0xffffff80
	v_cmp_le_f64_e64 vcc_lo, 0x7b000000, |v[12:13]|
	v_trig_preop_f64 v[16:17], |v[12:13]|, 0
	v_and_b32_e32 v1, 0x7fffffff, v13
	v_trig_preop_f64 v[18:19], |v[12:13]|, 1
	v_trig_preop_f64 v[28:29], |v[12:13]|, 2
	v_mov_b32_e32 v36, 0
	s_mov_b32 s1, 0x3ff921fb
	s_mov_b32 s14, 0x33145c07
	;; [unrolled: 1-line block ×3, first 2 shown]
	v_cndmask_b32_e32 v15, v1, v15, vcc_lo
	v_cndmask_b32_e32 v14, v12, v14, vcc_lo
	v_mul_f64 v[20:21], v[16:17], v[14:15]
	v_mul_f64 v[22:23], v[18:19], v[14:15]
	;; [unrolled: 1-line block ×3, first 2 shown]
	v_fma_f64 v[16:17], v[16:17], v[14:15], -v[20:21]
	v_fma_f64 v[18:19], v[18:19], v[14:15], -v[22:23]
	;; [unrolled: 1-line block ×3, first 2 shown]
	v_add_f64 v[24:25], v[22:23], v[16:17]
	v_add_f64 v[26:27], v[24:25], -v[22:23]
	v_add_f64 v[32:33], v[20:21], v[24:25]
	v_add_f64 v[30:31], v[24:25], -v[26:27]
	v_add_f64 v[16:17], v[16:17], -v[26:27]
	v_ldexp_f64 v[26:27], v[32:33], -2
	v_add_f64 v[20:21], v[32:33], -v[20:21]
	v_add_f64 v[22:23], v[22:23], -v[30:31]
	v_add_f64 v[30:31], v[34:35], v[18:19]
	v_cmp_neq_f64_e64 vcc_lo, 0x7ff00000, |v[26:27]|
	v_add_f64 v[20:21], v[24:25], -v[20:21]
	v_add_f64 v[16:17], v[16:17], v[22:23]
	v_fract_f64_e32 v[22:23], v[26:27]
	v_add_f64 v[24:25], v[30:31], v[16:17]
	v_ldexp_f64 v[22:23], v[22:23], 2
	v_add_f64 v[26:27], v[20:21], v[24:25]
	v_cndmask_b32_e32 v23, 0, v23, vcc_lo
	v_cndmask_b32_e32 v22, 0, v22, vcc_lo
	v_add_f64 v[32:33], v[26:27], v[22:23]
	v_add_f64 v[20:21], v[26:27], -v[20:21]
	v_cmp_gt_f64_e32 vcc_lo, 0, v[32:33]
	v_add_f64 v[32:33], v[30:31], -v[34:35]
	v_add_f64 v[20:21], v[24:25], -v[20:21]
	v_cndmask_b32_e64 v37, 0, 0x40100000, vcc_lo
	v_add_f64 v[41:42], v[30:31], -v[32:33]
	v_add_f64 v[18:19], v[18:19], -v[32:33]
	v_add_f64 v[22:23], v[22:23], v[36:37]
	v_add_f64 v[37:38], v[24:25], -v[30:31]
	v_add_f64 v[32:33], v[34:35], -v[41:42]
	v_add_f64 v[39:40], v[26:27], v[22:23]
	;; [unrolled: 3-line block ×3, first 2 shown]
	v_cvt_i32_f64_e32 v1, v[39:40]
	v_add_f64 v[30:31], v[30:31], -v[43:44]
	v_cvt_f64_i32_e32 v[37:38], v1
	v_add_f64 v[16:17], v[16:17], v[30:31]
	v_add_f64 v[22:23], v[22:23], -v[37:38]
	v_add_f64 v[16:17], v[18:19], v[16:17]
	v_add_f64 v[18:19], v[26:27], v[22:23]
	;; [unrolled: 1-line block ×3, first 2 shown]
	v_add_f64 v[16:17], v[18:19], -v[22:23]
	v_cmp_le_f64_e32 vcc_lo, 0.5, v[18:19]
	v_add_f64 v[14:15], v[20:21], v[14:15]
	v_add_f64 v[16:17], v[26:27], -v[16:17]
	v_cndmask_b32_e64 v37, 0, 0x3ff00000, vcc_lo
	v_add_co_ci_u32_e64 v1, null, 0, v1, vcc_lo
	v_add_f64 v[14:15], v[14:15], v[16:17]
	v_add_f64 v[16:17], v[18:19], -v[36:37]
	v_add_f64 v[18:19], v[16:17], v[14:15]
	v_mul_f64 v[20:21], v[18:19], s[0:1]
	v_add_f64 v[16:17], v[18:19], -v[16:17]
	v_fma_f64 v[22:23], v[18:19], s[0:1], -v[20:21]
	v_add_f64 v[14:15], v[14:15], -v[16:17]
	v_fma_f64 v[16:17], v[18:19], s[14:15], v[22:23]
	v_fma_f64 v[16:17], v[14:15], s[0:1], v[16:17]
	v_add_f64 v[14:15], v[20:21], v[16:17]
	v_add_f64 v[18:19], v[14:15], -v[20:21]
	v_add_f64 v[16:17], v[16:17], -v[18:19]
.LBB39_1372:
	s_andn2_saveexec_b32 s0, s7
	s_cbranch_execz .LBB39_1374
; %bb.1373:
	s_mov_b32 s14, 0x6dc9c883
	s_mov_b32 s15, 0x3fe45f30
	;; [unrolled: 1-line block ×3, first 2 shown]
	v_mul_f64 v[14:15], |v[12:13]|, s[14:15]
	s_mov_b32 s14, 0x54442d18
	s_mov_b32 s15, 0xbff921fb
	;; [unrolled: 1-line block ×3, first 2 shown]
	v_rndne_f64_e32 v[18:19], v[14:15]
	v_fma_f64 v[14:15], v[18:19], s[14:15], |v[12:13]|
	v_mul_f64 v[16:17], v[18:19], s[16:17]
	s_mov_b32 s14, 0x252049c0
	s_mov_b32 s15, 0xb97b839a
	v_cvt_i32_f64_e32 v1, v[18:19]
	v_fma_f64 v[22:23], v[18:19], s[16:17], v[14:15]
	v_add_f64 v[20:21], v[14:15], v[16:17]
	s_mov_b32 s17, 0x3c91a626
	v_add_f64 v[14:15], v[14:15], -v[20:21]
	v_add_f64 v[20:21], v[20:21], -v[22:23]
	v_add_f64 v[14:15], v[14:15], v[16:17]
	v_fma_f64 v[16:17], v[18:19], s[16:17], v[16:17]
	v_add_f64 v[14:15], v[20:21], v[14:15]
	v_add_f64 v[14:15], v[14:15], -v[16:17]
	v_fma_f64 v[16:17], v[18:19], s[14:15], v[14:15]
	v_add_f64 v[14:15], v[22:23], v[16:17]
	v_add_f64 v[20:21], v[14:15], -v[22:23]
	v_add_f64 v[16:17], v[16:17], -v[20:21]
.LBB39_1374:
	s_or_b32 exec_lo, exec_lo, s0
	v_mul_f64 v[18:19], v[14:15], v[14:15]
	v_add_f64 v[20:21], v[16:17], v[16:17]
	s_mov_b32 s14, 0xa9a29f71
	s_mov_b32 s16, 0xc751c08c
	;; [unrolled: 1-line block ×4, first 2 shown]
	v_cmp_class_f64_e64 s0, v[12:13], 0x1f8
	v_and_b32_e32 v1, 1, v1
	v_and_b32_e32 v8, 0x80000000, v13
	v_sub_f32_e32 v3, 1.0, v3
	s_mov_b32 s1, exec_lo
	v_cmp_eq_u32_e32 vcc_lo, 0, v1
	v_fma_f64 v[22:23], v[14:15], v[14:15], -v[18:19]
	v_fma_f64 v[20:21], v[14:15], v[20:21], v[22:23]
	v_add_f64 v[18:19], v[18:19], v[20:21]
	v_fma_f64 v[20:21], v[18:19], s[16:17], s[14:15]
	s_mov_b32 s14, 0x90a8aae0
	s_mov_b32 s15, 0x3f17746f
	v_fma_f64 v[20:21], v[18:19], v[20:21], s[14:15]
	s_mov_b32 s14, 0xa6fbf144
	s_mov_b32 s15, 0xbefbb44d
	;; [unrolled: 3-line block ×13, first 2 shown]
	v_mul_f64 v[18:19], v[18:19], v[20:21]
	v_mul_f64 v[20:21], v[14:15], v[18:19]
	v_add_f64 v[22:23], v[14:15], v[20:21]
	v_fma_f64 v[18:19], v[14:15], v[18:19], -v[20:21]
	v_add_f64 v[14:15], v[22:23], -v[14:15]
	v_add_f64 v[16:17], v[16:17], v[18:19]
	v_add_f64 v[14:15], v[20:21], -v[14:15]
	v_add_f64 v[14:15], v[16:17], v[14:15]
	v_add_f64 v[16:17], v[22:23], v[14:15]
	v_rcp_f64_e32 v[18:19], v[16:17]
	v_fma_f64 v[20:21], -v[16:17], v[18:19], 1.0
	v_fma_f64 v[18:19], v[20:21], v[18:19], v[18:19]
	v_fma_f64 v[20:21], -v[16:17], v[18:19], 1.0
	v_fma_f64 v[18:19], v[20:21], v[18:19], v[18:19]
	v_add_f64 v[20:21], v[16:17], -v[22:23]
	v_mul_f64 v[22:23], v[16:17], v[18:19]
	v_add_f64 v[14:15], v[14:15], -v[20:21]
	v_fma_f64 v[20:21], v[18:19], v[16:17], -v[22:23]
	v_fma_f64 v[14:15], v[18:19], v[14:15], v[20:21]
	v_add_f64 v[20:21], v[22:23], v[14:15]
	v_add_f64 v[24:25], -v[20:21], 1.0
	v_add_f64 v[22:23], v[20:21], -v[22:23]
	v_add_f64 v[26:27], -v[24:25], 1.0
	v_add_f64 v[14:15], v[22:23], -v[14:15]
	v_add_f64 v[20:21], v[26:27], -v[20:21]
	v_add_f64 v[14:15], v[14:15], v[20:21]
	v_add_f64 v[14:15], v[24:25], v[14:15]
	v_mul_f64 v[14:15], v[18:19], v[14:15]
	v_add_f64 v[14:15], v[18:19], v[14:15]
	v_xor_b32_e32 v5, 0x80000000, v15
	v_cndmask_b32_e32 v1, v14, v16, vcc_lo
	v_cndmask_b32_e32 v5, v5, v17, vcc_lo
	v_cndmask_b32_e64 v12, 0, v1, s0
	v_xor_b32_e32 v5, v5, v8
	v_cndmask_b32_e64 v13, 0x7ff80000, v5, s0
	v_div_scale_f64 v[14:15], null, v[12:13], v[12:13], s[14:15]
	v_rcp_f64_e32 v[16:17], v[14:15]
	v_fma_f64 v[18:19], -v[14:15], v[16:17], 1.0
	v_fma_f64 v[16:17], v[16:17], v[18:19], v[16:17]
	v_fma_f64 v[18:19], -v[14:15], v[16:17], 1.0
	v_fma_f64 v[16:17], v[16:17], v[18:19], v[16:17]
	v_div_scale_f64 v[18:19], vcc_lo, s[14:15], v[12:13], s[14:15]
	v_mul_f64 v[20:21], v[18:19], v[16:17]
	v_fma_f64 v[14:15], -v[14:15], v[20:21], v[18:19]
	v_div_fmas_f64 v[14:15], v[14:15], v[16:17], v[20:21]
	v_div_fixup_f64 v[12:13], v[14:15], v[12:13], s[14:15]
	v_cvt_f32_f64_e32 v5, v[12:13]
.LBB39_1375:
	s_or_b32 exec_lo, exec_lo, s6
	s_orn2_b32 s0, s1, exec_lo
.LBB39_1376:
	s_or_b32 exec_lo, exec_lo, s5
	v_mov_b32_e32 v1, 0x7fc0
	s_and_saveexec_b32 s1, s0
	s_cbranch_execz .LBB39_1388
; %bb.1377:
	s_mov_b32 s0, exec_lo
	v_cmpx_gt_f32_e32 0x41200000, v3
	s_cbranch_execz .LBB39_1381
; %bb.1378:
	s_mov_b32 s5, 0
	.p2align	6
.LBB39_1379:                            ; =>This Inner Loop Header: Depth=1
	v_div_scale_f32 v1, null, v3, v3, 1.0
	v_div_scale_f32 v12, vcc_lo, 1.0, v3, 1.0
	v_rcp_f32_e32 v8, v1
	v_fma_f32 v10, -v1, v8, 1.0
	v_fmac_f32_e32 v8, v10, v8
	v_mul_f32_e32 v10, v12, v8
	v_fma_f32 v13, -v1, v10, v12
	v_fmac_f32_e32 v10, v13, v8
	v_fma_f32 v1, -v1, v10, v12
	v_div_fmas_f32 v1, v1, v8, v10
	v_div_fixup_f32 v1, v1, v3, 1.0
	v_add_f32_e32 v3, 1.0, v3
	v_sub_f32_e32 v5, v5, v1
	v_cmp_ngt_f32_e32 vcc_lo, 0x41200000, v3
	s_or_b32 s5, vcc_lo, s5
	s_andn2_b32 exec_lo, exec_lo, s5
	s_cbranch_execnz .LBB39_1379
; %bb.1380:
	s_or_b32 exec_lo, exec_lo, s5
.LBB39_1381:
	s_or_b32 exec_lo, exec_lo, s0
                                        ; implicit-def: $vgpr1
	s_mov_b32 s0, exec_lo
	v_cmpx_neq_f32_e32 0x41200000, v3
	s_xor_b32 s5, exec_lo, s0
	s_cbranch_execz .LBB39_1385
; %bb.1382:
	v_cvt_f64_f32_e32 v[12:13], v3
	v_mov_b32_e32 v1, 0
	s_mov_b32 s6, 0x85d8a000
	s_mov_b32 s7, 0x43763457
	s_mov_b32 s0, exec_lo
	v_cmpx_gt_f64_e32 s[6:7], v[12:13]
	s_cbranch_execz .LBB39_1384
; %bb.1383:
	v_mul_f32_e32 v1, v3, v3
	v_div_scale_f32 v8, null, v1, v1, 1.0
	v_rcp_f32_e32 v10, v8
	v_fma_f32 v12, -v8, v10, 1.0
	v_fmac_f32_e32 v10, v12, v10
	v_div_scale_f32 v12, vcc_lo, 1.0, v1, 1.0
	v_mul_f32_e32 v13, v12, v10
	v_fma_f32 v14, -v8, v13, v12
	v_fmac_f32_e32 v13, v14, v10
	v_fma_f32 v8, -v8, v13, v12
	v_div_fmas_f32 v8, v8, v10, v13
	v_div_fixup_f32 v1, v8, v1, 1.0
	v_fmaak_f32 v8, 0, v1, 0x3daaaaab
	v_fmaak_f32 v8, v1, v8, 0xbcaccacd
	;; [unrolled: 1-line block ×7, first 2 shown]
	v_mul_f32_e32 v1, v1, v8
.LBB39_1384:
	s_or_b32 exec_lo, exec_lo, s0
	v_cmp_gt_f32_e32 vcc_lo, 0x800000, v3
	v_div_scale_f32 v8, null, v3, v3, -0.5
	v_div_scale_f32 v14, s0, -0.5, v3, -0.5
	v_cndmask_b32_e64 v10, 0, 32, vcc_lo
	v_rcp_f32_e32 v12, v8
	v_ldexp_f32 v10, v3, v10
	v_log_f32_e32 v10, v10
	v_fma_f32 v13, -v8, v12, 1.0
	v_fmac_f32_e32 v12, v13, v12
	v_mul_f32_e32 v13, 0x3f317217, v10
	v_mul_f32_e32 v15, v14, v12
	v_fma_f32 v13, 0x3f317217, v10, -v13
	v_fma_f32 v16, -v8, v15, v14
	v_fmamk_f32 v13, v10, 0x3377d1cf, v13
	v_fmac_f32_e32 v15, v16, v12
	v_cndmask_b32_e64 v16, 0, 0x41b17218, vcc_lo
	v_cmp_gt_f32_e64 vcc_lo, 0x7f800000, |v10|
	v_fmac_f32_e32 v13, 0x3f317217, v10
	v_fma_f32 v8, -v8, v15, v14
	v_cndmask_b32_e32 v10, v10, v13, vcc_lo
	s_mov_b32 vcc_lo, s0
	v_div_fmas_f32 v8, v8, v12, v15
	v_sub_f32_e32 v10, v10, v16
	v_div_fixup_f32 v3, v8, v3, -0.5
	v_add_f32_e32 v3, v10, v3
	v_sub_f32_e32 v1, v3, v1
	v_add_f32_e32 v1, v5, v1
                                        ; implicit-def: $vgpr5
	v_bfe_u32 v3, v1, 16, 1
	v_cmp_o_f32_e32 vcc_lo, v1, v1
	v_add3_u32 v1, v1, v3, 0x7fff
	v_mov_b32_e32 v3, 0x7fc0
	v_cndmask_b32_sdwa v1, v3, v1, vcc_lo dst_sel:DWORD dst_unused:UNUSED_PAD src0_sel:DWORD src1_sel:WORD_1
.LBB39_1385:
	s_andn2_saveexec_b32 s0, s5
; %bb.1386:
	v_add_f32_e32 v1, 0x40101cb7, v5
	v_bfe_u32 v3, v1, 16, 1
	v_cmp_o_f32_e32 vcc_lo, v1, v1
	v_add3_u32 v1, v1, v3, 0x7fff
	v_mov_b32_e32 v3, 0x7fc0
	v_cndmask_b32_sdwa v1, v3, v1, vcc_lo dst_sel:DWORD dst_unused:UNUSED_PAD src0_sel:DWORD src1_sel:WORD_1
; %bb.1387:
	s_or_b32 exec_lo, exec_lo, s0
.LBB39_1388:
	s_or_b32 exec_lo, exec_lo, s1
                                        ; implicit-def: $vgpr3
.LBB39_1389:
	s_andn2_saveexec_b32 s0, s4
; %bb.1390:
	v_xor_b32_e32 v1, 0x80000000, v3
	s_mov_b32 s1, 0x7f800000
	v_and_or_b32 v1, 0x80000000, v1, s1
	v_lshrrev_b32_e32 v1, 16, v1
; %bb.1391:
	s_or_b32 exec_lo, exec_lo, s0
	v_add_co_u32 v10, s1, s10, v11
	s_lshr_b32 s0, s3, 16
	v_add_co_ci_u32_e64 v11, null, s11, 0, s1
	s_and_b32 s4, s0, 0xff
	s_cmp_lt_i32 s4, 11
	s_cbranch_scc1 .LBB39_1398
; %bb.1392:
	s_and_b32 s0, 0xffff, s4
	s_mov_b32 s5, 0
	s_cmp_gt_i32 s0, 25
	s_cbranch_scc0 .LBB39_1400
; %bb.1393:
	s_cmp_gt_i32 s0, 28
	s_cbranch_scc0 .LBB39_1401
; %bb.1394:
	;; [unrolled: 3-line block ×4, first 2 shown]
	s_cmp_eq_u32 s0, 46
	s_mov_b32 s7, 0
	s_cbranch_scc0 .LBB39_1407
; %bb.1397:
	global_load_dword v3, v[10:11], off
	s_mov_b32 s1, 0
	s_mov_b32 s6, -1
	s_branch .LBB39_1409
.LBB39_1398:
	s_mov_b32 s6, 0
                                        ; implicit-def: $vgpr3
	s_cbranch_execnz .LBB39_1474
.LBB39_1399:
	s_andn2_b32 vcc_lo, exec_lo, s6
	s_cbranch_vccnz .LBB39_1932
	s_branch .LBB39_1521
.LBB39_1400:
	s_mov_b32 s6, 0
	s_mov_b32 s1, 0
                                        ; implicit-def: $vgpr3
	s_cbranch_execnz .LBB39_1438
	s_branch .LBB39_1470
.LBB39_1401:
	s_mov_b32 s7, -1
	s_mov_b32 s6, 0
	s_mov_b32 s1, 0
                                        ; implicit-def: $vgpr3
	s_branch .LBB39_1419
.LBB39_1402:
	s_mov_b32 s7, -1
	s_mov_b32 s6, 0
	s_mov_b32 s1, 0
                                        ; implicit-def: $vgpr3
	s_branch .LBB39_1414
.LBB39_1403:
	s_or_b32 s2, s12, exec_lo
	s_trap 2
	s_cbranch_execz .LBB39_1320
	s_branch .LBB39_1321
.LBB39_1404:
	s_mov_b32 s7, -1
	s_mov_b32 s6, 0
	s_mov_b32 s1, 0
	s_branch .LBB39_1408
.LBB39_1405:
	s_andn2_saveexec_b32 s12, s12
	s_cbranch_execz .LBB39_1110
.LBB39_1406:
	v_add_f32_e64 v4, 0x42800000, |v5|
	s_andn2_b32 s11, s11, exec_lo
	v_and_b32_e32 v4, 0xff, v4
	v_cmp_ne_u32_e32 vcc_lo, 0, v4
	s_and_b32 s13, vcc_lo, exec_lo
	s_or_b32 s11, s11, s13
	s_or_b32 exec_lo, exec_lo, s12
	v_mov_b32_e32 v6, 0
	s_and_saveexec_b32 s12, s11
	s_cbranch_execnz .LBB39_1111
	s_branch .LBB39_1112
.LBB39_1407:
	s_mov_b32 s1, -1
	s_mov_b32 s6, 0
.LBB39_1408:
                                        ; implicit-def: $vgpr3
.LBB39_1409:
	s_and_b32 vcc_lo, exec_lo, s7
	s_cbranch_vccz .LBB39_1413
; %bb.1410:
	s_cmp_eq_u32 s0, 44
	s_cbranch_scc0 .LBB39_1412
; %bb.1411:
	global_load_ubyte v3, v[10:11], off
	s_mov_b32 s1, 0
	s_mov_b32 s6, -1
	s_waitcnt vmcnt(0)
	v_lshlrev_b32_e32 v5, 23, v3
	v_cmp_ne_u32_e32 vcc_lo, 0xff, v3
	v_cndmask_b32_e32 v5, 0x7f800001, v5, vcc_lo
	v_cmp_ne_u32_e32 vcc_lo, 0, v3
	v_cndmask_b32_e32 v3, 0x400000, v5, vcc_lo
	v_mov_b32_e32 v5, 0x7fc0
	v_cmp_o_f32_e32 vcc_lo, v3, v3
	v_add_nc_u32_e32 v3, 0x7fff, v3
	v_cndmask_b32_sdwa v3, v5, v3, vcc_lo dst_sel:DWORD dst_unused:UNUSED_PAD src0_sel:DWORD src1_sel:WORD_1
	s_branch .LBB39_1413
.LBB39_1412:
	s_mov_b32 s1, -1
                                        ; implicit-def: $vgpr3
.LBB39_1413:
	s_mov_b32 s7, 0
.LBB39_1414:
	s_and_b32 vcc_lo, exec_lo, s7
	s_cbranch_vccz .LBB39_1418
; %bb.1415:
	s_cmp_eq_u32 s0, 29
	s_cbranch_scc0 .LBB39_1417
; %bb.1416:
	global_load_dwordx2 v[12:13], v[10:11], off
	s_mov_b32 s1, 0
	s_mov_b32 s6, -1
	s_mov_b32 s7, 0
	s_waitcnt vmcnt(0)
	v_ffbh_u32_e32 v3, v13
	v_min_u32_e32 v3, 32, v3
	v_lshlrev_b64 v[12:13], v3, v[12:13]
	v_sub_nc_u32_e32 v3, 32, v3
	v_min_u32_e32 v5, 1, v12
	v_or_b32_e32 v5, v13, v5
	v_cvt_f32_u32_e32 v5, v5
	v_ldexp_f32 v3, v5, v3
	v_bfe_u32 v5, v3, 16, 1
	v_add3_u32 v3, v3, v5, 0x7fff
	v_lshrrev_b32_e32 v3, 16, v3
	s_branch .LBB39_1419
.LBB39_1417:
	s_mov_b32 s1, -1
                                        ; implicit-def: $vgpr3
.LBB39_1418:
	s_mov_b32 s7, 0
.LBB39_1419:
	s_and_b32 vcc_lo, exec_lo, s7
	s_cbranch_vccz .LBB39_1437
; %bb.1420:
	s_cmp_lt_i32 s0, 27
	s_cbranch_scc1 .LBB39_1423
; %bb.1421:
	s_cmp_gt_i32 s0, 27
	s_cbranch_scc0 .LBB39_1424
; %bb.1422:
	global_load_dword v3, v[10:11], off
	s_mov_b32 s6, 0
	s_waitcnt vmcnt(0)
	v_cvt_f32_u32_e32 v3, v3
	v_bfe_u32 v5, v3, 16, 1
	v_add3_u32 v3, v3, v5, 0x7fff
	v_lshrrev_b32_e32 v3, 16, v3
	s_branch .LBB39_1425
.LBB39_1423:
	s_mov_b32 s6, -1
                                        ; implicit-def: $vgpr3
	s_branch .LBB39_1428
.LBB39_1424:
	s_mov_b32 s6, -1
                                        ; implicit-def: $vgpr3
.LBB39_1425:
	s_andn2_b32 vcc_lo, exec_lo, s6
	s_cbranch_vccnz .LBB39_1427
; %bb.1426:
	global_load_ushort v3, v[10:11], off
	s_waitcnt vmcnt(0)
	v_cvt_f32_u32_e32 v3, v3
	v_bfe_u32 v5, v3, 16, 1
	v_add3_u32 v3, v3, v5, 0x7fff
	v_lshrrev_b32_e32 v3, 16, v3
.LBB39_1427:
	s_mov_b32 s6, 0
.LBB39_1428:
	s_andn2_b32 vcc_lo, exec_lo, s6
	s_cbranch_vccnz .LBB39_1436
; %bb.1429:
	global_load_ubyte v3, v[10:11], off
	s_mov_b32 s6, 0
	s_mov_b32 s7, exec_lo
	s_waitcnt vmcnt(0)
	v_cmpx_lt_i16_e32 0x7f, v3
	s_xor_b32 s7, exec_lo, s7
	s_cbranch_execz .LBB39_1449
; %bb.1430:
	s_mov_b32 s6, -1
	s_mov_b32 s14, exec_lo
	v_cmpx_eq_u16_e32 0x80, v3
; %bb.1431:
	s_xor_b32 s6, exec_lo, -1
; %bb.1432:
	s_or_b32 exec_lo, exec_lo, s14
	s_and_b32 s6, s6, exec_lo
	s_or_saveexec_b32 s7, s7
	v_mov_b32_e32 v5, 0x7f800001
	s_xor_b32 exec_lo, exec_lo, s7
	s_cbranch_execnz .LBB39_1450
.LBB39_1433:
	s_or_b32 exec_lo, exec_lo, s7
	s_and_saveexec_b32 s7, s6
	s_cbranch_execz .LBB39_1435
.LBB39_1434:
	v_and_b32_e32 v5, 0xffff, v3
	v_lshlrev_b32_e32 v3, 24, v3
	v_and_b32_e32 v8, 7, v5
	v_bfe_u32 v14, v5, 3, 4
	v_and_b32_e32 v3, 0x80000000, v3
	v_ffbh_u32_e32 v12, v8
	v_cmp_eq_u32_e32 vcc_lo, 0, v14
	v_min_u32_e32 v12, 32, v12
	v_subrev_nc_u32_e32 v13, 28, v12
	v_sub_nc_u32_e32 v12, 29, v12
	v_lshlrev_b32_e32 v5, v13, v5
	v_cndmask_b32_e32 v12, v14, v12, vcc_lo
	v_and_b32_e32 v5, 7, v5
	v_cndmask_b32_e32 v5, v8, v5, vcc_lo
	v_lshl_add_u32 v8, v12, 23, 0x3b800000
	v_lshlrev_b32_e32 v5, 20, v5
	v_or3_b32 v5, v3, v8, v5
.LBB39_1435:
	s_or_b32 exec_lo, exec_lo, s7
	v_bfe_u32 v3, v5, 16, 1
	v_cmp_o_f32_e32 vcc_lo, v5, v5
	v_add3_u32 v3, v5, v3, 0x7fff
	v_mov_b32_e32 v5, 0x7fc0
	v_cndmask_b32_sdwa v3, v5, v3, vcc_lo dst_sel:DWORD dst_unused:UNUSED_PAD src0_sel:DWORD src1_sel:WORD_1
.LBB39_1436:
	s_mov_b32 s6, -1
.LBB39_1437:
	s_branch .LBB39_1470
.LBB39_1438:
	s_cmp_gt_i32 s0, 22
	s_cbranch_scc0 .LBB39_1448
; %bb.1439:
	s_cmp_lt_i32 s0, 24
	s_cbranch_scc1 .LBB39_1451
; %bb.1440:
	s_cmp_gt_i32 s0, 24
	s_cbranch_scc0 .LBB39_1452
; %bb.1441:
	global_load_ubyte v3, v[10:11], off
	s_mov_b32 s6, exec_lo
	s_waitcnt vmcnt(0)
	v_cmpx_lt_i16_e32 0x7f, v3
	s_xor_b32 s6, exec_lo, s6
	s_cbranch_execz .LBB39_1464
; %bb.1442:
	s_mov_b32 s5, -1
	s_mov_b32 s7, exec_lo
	v_cmpx_eq_u16_e32 0x80, v3
; %bb.1443:
	s_xor_b32 s5, exec_lo, -1
; %bb.1444:
	s_or_b32 exec_lo, exec_lo, s7
	s_and_b32 s5, s5, exec_lo
	s_or_saveexec_b32 s6, s6
	v_mov_b32_e32 v5, 0x7f800001
	s_xor_b32 exec_lo, exec_lo, s6
	s_cbranch_execnz .LBB39_1465
.LBB39_1445:
	s_or_b32 exec_lo, exec_lo, s6
	s_and_saveexec_b32 s6, s5
	s_cbranch_execz .LBB39_1447
.LBB39_1446:
	v_and_b32_e32 v5, 0xffff, v3
	v_lshlrev_b32_e32 v3, 24, v3
	v_and_b32_e32 v8, 3, v5
	v_bfe_u32 v14, v5, 2, 5
	v_and_b32_e32 v3, 0x80000000, v3
	v_ffbh_u32_e32 v12, v8
	v_cmp_eq_u32_e32 vcc_lo, 0, v14
	v_min_u32_e32 v12, 32, v12
	v_subrev_nc_u32_e32 v13, 29, v12
	v_sub_nc_u32_e32 v12, 30, v12
	v_lshlrev_b32_e32 v5, v13, v5
	v_cndmask_b32_e32 v12, v14, v12, vcc_lo
	v_and_b32_e32 v5, 3, v5
	v_cndmask_b32_e32 v5, v8, v5, vcc_lo
	v_lshl_add_u32 v8, v12, 23, 0x37800000
	v_lshlrev_b32_e32 v5, 21, v5
	v_or3_b32 v5, v3, v8, v5
.LBB39_1447:
	s_or_b32 exec_lo, exec_lo, s6
	v_bfe_u32 v3, v5, 16, 1
	v_cmp_o_f32_e32 vcc_lo, v5, v5
	s_mov_b32 s5, 0
	v_add3_u32 v3, v5, v3, 0x7fff
	v_mov_b32_e32 v5, 0x7fc0
	v_cndmask_b32_sdwa v3, v5, v3, vcc_lo dst_sel:DWORD dst_unused:UNUSED_PAD src0_sel:DWORD src1_sel:WORD_1
	s_branch .LBB39_1453
.LBB39_1448:
	s_mov_b32 s5, -1
                                        ; implicit-def: $vgpr3
	s_branch .LBB39_1459
.LBB39_1449:
	s_or_saveexec_b32 s7, s7
	v_mov_b32_e32 v5, 0x7f800001
	s_xor_b32 exec_lo, exec_lo, s7
	s_cbranch_execz .LBB39_1433
.LBB39_1450:
	v_cmp_ne_u16_e32 vcc_lo, 0, v3
	v_mov_b32_e32 v5, 0
	s_andn2_b32 s6, s6, exec_lo
	s_and_b32 s14, vcc_lo, exec_lo
	s_or_b32 s6, s6, s14
	s_or_b32 exec_lo, exec_lo, s7
	s_and_saveexec_b32 s7, s6
	s_cbranch_execnz .LBB39_1434
	s_branch .LBB39_1435
.LBB39_1451:
	s_mov_b32 s5, -1
                                        ; implicit-def: $vgpr3
	s_branch .LBB39_1456
.LBB39_1452:
	s_mov_b32 s5, -1
                                        ; implicit-def: $vgpr3
.LBB39_1453:
	s_and_b32 vcc_lo, exec_lo, s5
	s_cbranch_vccz .LBB39_1455
; %bb.1454:
	global_load_ubyte v3, v[10:11], off
	s_waitcnt vmcnt(0)
	v_lshlrev_b32_e32 v3, 24, v3
	v_and_b32_e32 v5, 0x7f000000, v3
	v_ffbh_u32_e32 v8, v5
	v_add_nc_u32_e32 v13, 0x1000000, v5
	v_cmp_ne_u32_e32 vcc_lo, 0, v5
	v_min_u32_e32 v8, 32, v8
	v_sub_nc_u32_e64 v8, v8, 4 clamp
	v_lshlrev_b32_e32 v12, v8, v5
	v_lshlrev_b32_e32 v8, 23, v8
	v_lshrrev_b32_e32 v12, 4, v12
	v_sub_nc_u32_e32 v8, v12, v8
	v_ashrrev_i32_e32 v12, 8, v13
	v_add_nc_u32_e32 v8, 0x3c000000, v8
	v_and_or_b32 v8, 0x7f800000, v12, v8
	v_cndmask_b32_e32 v5, 0, v8, vcc_lo
	v_and_or_b32 v3, 0x80000000, v3, v5
	v_bfe_u32 v5, v5, 16, 1
	v_cmp_o_f32_e32 vcc_lo, v3, v3
	v_add3_u32 v3, v3, v5, 0x7fff
	v_mov_b32_e32 v5, 0x7fc0
	v_cndmask_b32_sdwa v3, v5, v3, vcc_lo dst_sel:DWORD dst_unused:UNUSED_PAD src0_sel:DWORD src1_sel:WORD_1
.LBB39_1455:
	s_mov_b32 s5, 0
.LBB39_1456:
	s_andn2_b32 vcc_lo, exec_lo, s5
	s_cbranch_vccnz .LBB39_1458
; %bb.1457:
	global_load_ubyte v3, v[10:11], off
	s_waitcnt vmcnt(0)
	v_lshlrev_b32_e32 v5, 25, v3
	v_lshlrev_b16 v3, 8, v3
	v_lshrrev_b32_e32 v8, 4, v5
	v_and_or_b32 v12, 0x7f00, v3, 0.5
	v_cmp_gt_u32_e32 vcc_lo, 0x8000000, v5
	v_bfe_i32 v3, v3, 0, 16
	v_or_b32_e32 v8, 0x70000000, v8
	v_add_f32_e32 v12, -0.5, v12
	v_mul_f32_e32 v8, 0x7800000, v8
	v_cndmask_b32_e32 v5, v8, v12, vcc_lo
	v_and_or_b32 v3, 0x80000000, v3, v5
	v_bfe_u32 v5, v5, 16, 1
	v_cmp_o_f32_e32 vcc_lo, v3, v3
	v_add3_u32 v3, v3, v5, 0x7fff
	v_mov_b32_e32 v5, 0x7fc0
	v_cndmask_b32_sdwa v3, v5, v3, vcc_lo dst_sel:DWORD dst_unused:UNUSED_PAD src0_sel:DWORD src1_sel:WORD_1
.LBB39_1458:
	s_mov_b32 s5, 0
	s_mov_b32 s6, -1
.LBB39_1459:
	s_andn2_b32 vcc_lo, exec_lo, s5
	s_mov_b32 s5, 0
	s_cbranch_vccnz .LBB39_1470
; %bb.1460:
	s_cmp_gt_i32 s0, 14
	s_cbranch_scc0 .LBB39_1463
; %bb.1461:
	s_cmp_eq_u32 s0, 15
	s_cbranch_scc0 .LBB39_1466
; %bb.1462:
	global_load_ushort v3, v[10:11], off
	s_mov_b32 s1, 0
	s_mov_b32 s6, -1
	s_branch .LBB39_1468
.LBB39_1463:
	s_mov_b32 s5, -1
	s_branch .LBB39_1467
.LBB39_1464:
	s_or_saveexec_b32 s6, s6
	v_mov_b32_e32 v5, 0x7f800001
	s_xor_b32 exec_lo, exec_lo, s6
	s_cbranch_execz .LBB39_1445
.LBB39_1465:
	v_cmp_ne_u16_e32 vcc_lo, 0, v3
	v_mov_b32_e32 v5, 0
	s_andn2_b32 s5, s5, exec_lo
	s_and_b32 s7, vcc_lo, exec_lo
	s_or_b32 s5, s5, s7
	s_or_b32 exec_lo, exec_lo, s6
	s_and_saveexec_b32 s6, s5
	s_cbranch_execnz .LBB39_1446
	s_branch .LBB39_1447
.LBB39_1466:
	s_mov_b32 s1, -1
.LBB39_1467:
                                        ; implicit-def: $vgpr3
.LBB39_1468:
	s_and_b32 vcc_lo, exec_lo, s5
	s_mov_b32 s5, 0
	s_cbranch_vccz .LBB39_1470
; %bb.1469:
	s_cmp_lg_u32 s0, 11
	s_mov_b32 s5, -1
	s_cselect_b32 s1, -1, 0
.LBB39_1470:
	s_and_b32 vcc_lo, exec_lo, s1
	s_cbranch_vccnz .LBB39_1557
; %bb.1471:
	s_andn2_b32 vcc_lo, exec_lo, s5
	s_cbranch_vccnz .LBB39_1473
.LBB39_1472:
	global_load_ubyte v3, v[10:11], off
	s_mov_b32 s6, -1
	s_waitcnt vmcnt(0)
	v_cmp_ne_u16_e32 vcc_lo, 0, v3
	v_cndmask_b32_e64 v3, 0, 1.0, vcc_lo
	v_lshrrev_b32_e32 v3, 16, v3
.LBB39_1473:
	s_branch .LBB39_1399
.LBB39_1474:
	s_and_b32 s0, 0xffff, s4
	s_cmp_lt_i32 s0, 5
	s_cbranch_scc1 .LBB39_1479
; %bb.1475:
	s_cmp_lt_i32 s0, 8
	s_cbranch_scc1 .LBB39_1480
; %bb.1476:
	s_cmp_lt_i32 s0, 9
	s_cbranch_scc1 .LBB39_1481
; %bb.1477:
	s_cmp_gt_i32 s0, 9
	s_cbranch_scc0 .LBB39_1482
; %bb.1478:
	global_load_dwordx2 v[12:13], v[10:11], off
	s_mov_b32 s1, 0
	s_waitcnt vmcnt(0)
	v_cvt_f32_f64_e32 v3, v[12:13]
	v_bfe_u32 v5, v3, 16, 1
	v_cmp_o_f32_e32 vcc_lo, v3, v3
	v_add3_u32 v3, v3, v5, 0x7fff
	v_mov_b32_e32 v5, 0x7fc0
	v_cndmask_b32_sdwa v3, v5, v3, vcc_lo dst_sel:DWORD dst_unused:UNUSED_PAD src0_sel:DWORD src1_sel:WORD_1
	s_branch .LBB39_1483
.LBB39_1479:
                                        ; implicit-def: $vgpr3
	s_branch .LBB39_1501
.LBB39_1480:
	s_mov_b32 s1, -1
                                        ; implicit-def: $vgpr3
	s_branch .LBB39_1489
.LBB39_1481:
	s_mov_b32 s1, -1
                                        ; implicit-def: $vgpr3
	s_branch .LBB39_1486
.LBB39_1482:
	s_mov_b32 s1, -1
                                        ; implicit-def: $vgpr3
.LBB39_1483:
	s_andn2_b32 vcc_lo, exec_lo, s1
	s_cbranch_vccnz .LBB39_1485
; %bb.1484:
	global_load_dword v3, v[10:11], off
	s_waitcnt vmcnt(0)
	v_bfe_u32 v5, v3, 16, 1
	v_cmp_o_f32_e32 vcc_lo, v3, v3
	v_add3_u32 v3, v3, v5, 0x7fff
	v_mov_b32_e32 v5, 0x7fc0
	v_cndmask_b32_sdwa v3, v5, v3, vcc_lo dst_sel:DWORD dst_unused:UNUSED_PAD src0_sel:DWORD src1_sel:WORD_1
.LBB39_1485:
	s_mov_b32 s1, 0
.LBB39_1486:
	s_andn2_b32 vcc_lo, exec_lo, s1
	s_cbranch_vccnz .LBB39_1488
; %bb.1487:
	global_load_dword v3, v[10:11], off
	s_waitcnt vmcnt(0)
	v_cvt_f32_f16_e32 v5, v3
	v_cmp_o_f16_e32 vcc_lo, v3, v3
	v_bfe_u32 v8, v5, 16, 1
	v_add3_u32 v3, v5, v8, 0x7fff
	v_mov_b32_e32 v5, 0x7fc0
	v_cndmask_b32_sdwa v3, v5, v3, vcc_lo dst_sel:DWORD dst_unused:UNUSED_PAD src0_sel:DWORD src1_sel:WORD_1
.LBB39_1488:
	s_mov_b32 s1, 0
.LBB39_1489:
	s_andn2_b32 vcc_lo, exec_lo, s1
	s_cbranch_vccnz .LBB39_1500
; %bb.1490:
	s_cmp_lt_i32 s0, 6
	s_cbranch_scc1 .LBB39_1493
; %bb.1491:
	s_cmp_gt_i32 s0, 6
	s_cbranch_scc0 .LBB39_1494
; %bb.1492:
	global_load_dwordx2 v[12:13], v[10:11], off
	s_mov_b32 s1, 0
	s_waitcnt vmcnt(0)
	v_cvt_f32_f64_e32 v3, v[12:13]
	v_bfe_u32 v5, v3, 16, 1
	v_cmp_o_f32_e32 vcc_lo, v3, v3
	v_add3_u32 v3, v3, v5, 0x7fff
	v_mov_b32_e32 v5, 0x7fc0
	v_cndmask_b32_sdwa v3, v5, v3, vcc_lo dst_sel:DWORD dst_unused:UNUSED_PAD src0_sel:DWORD src1_sel:WORD_1
	s_branch .LBB39_1495
.LBB39_1493:
	s_mov_b32 s1, -1
                                        ; implicit-def: $vgpr3
	s_branch .LBB39_1498
.LBB39_1494:
	s_mov_b32 s1, -1
                                        ; implicit-def: $vgpr3
.LBB39_1495:
	s_andn2_b32 vcc_lo, exec_lo, s1
	s_cbranch_vccnz .LBB39_1497
; %bb.1496:
	global_load_dword v3, v[10:11], off
	s_waitcnt vmcnt(0)
	v_bfe_u32 v5, v3, 16, 1
	v_cmp_o_f32_e32 vcc_lo, v3, v3
	v_add3_u32 v3, v3, v5, 0x7fff
	v_mov_b32_e32 v5, 0x7fc0
	v_cndmask_b32_sdwa v3, v5, v3, vcc_lo dst_sel:DWORD dst_unused:UNUSED_PAD src0_sel:DWORD src1_sel:WORD_1
.LBB39_1497:
	s_mov_b32 s1, 0
.LBB39_1498:
	s_andn2_b32 vcc_lo, exec_lo, s1
	s_cbranch_vccnz .LBB39_1500
; %bb.1499:
	global_load_ushort v3, v[10:11], off
	s_waitcnt vmcnt(0)
	v_cvt_f32_f16_e32 v5, v3
	v_cmp_o_f16_e32 vcc_lo, v3, v3
	v_bfe_u32 v8, v5, 16, 1
	v_add3_u32 v3, v5, v8, 0x7fff
	v_mov_b32_e32 v5, 0x7fc0
	v_cndmask_b32_sdwa v3, v5, v3, vcc_lo dst_sel:DWORD dst_unused:UNUSED_PAD src0_sel:DWORD src1_sel:WORD_1
.LBB39_1500:
	s_cbranch_execnz .LBB39_1520
.LBB39_1501:
	s_cmp_lt_i32 s0, 2
	s_cbranch_scc1 .LBB39_1505
; %bb.1502:
	s_cmp_lt_i32 s0, 3
	s_cbranch_scc1 .LBB39_1506
; %bb.1503:
	s_cmp_gt_i32 s0, 3
	s_cbranch_scc0 .LBB39_1507
; %bb.1504:
	global_load_dwordx2 v[12:13], v[10:11], off
	s_mov_b32 s1, 0
	s_waitcnt vmcnt(0)
	v_xor_b32_e32 v3, v12, v13
	v_ffbh_i32_e32 v5, v13
	v_ashrrev_i32_e32 v3, 31, v3
	v_add_nc_u32_e32 v5, -1, v5
	v_add_nc_u32_e32 v3, 32, v3
	v_min_u32_e32 v3, v5, v3
	v_lshlrev_b64 v[12:13], v3, v[12:13]
	v_sub_nc_u32_e32 v3, 32, v3
	v_min_u32_e32 v5, 1, v12
	v_or_b32_e32 v5, v13, v5
	v_cvt_f32_i32_e32 v5, v5
	v_ldexp_f32 v3, v5, v3
	v_bfe_u32 v5, v3, 16, 1
	v_add3_u32 v3, v3, v5, 0x7fff
	v_lshrrev_b32_e32 v3, 16, v3
	s_branch .LBB39_1508
.LBB39_1505:
	s_mov_b32 s1, -1
                                        ; implicit-def: $vgpr3
	s_branch .LBB39_1514
.LBB39_1506:
	s_mov_b32 s1, -1
                                        ; implicit-def: $vgpr3
	s_branch .LBB39_1511
.LBB39_1507:
	s_mov_b32 s1, -1
                                        ; implicit-def: $vgpr3
.LBB39_1508:
	s_andn2_b32 vcc_lo, exec_lo, s1
	s_cbranch_vccnz .LBB39_1510
; %bb.1509:
	global_load_dword v3, v[10:11], off
	s_waitcnt vmcnt(0)
	v_cvt_f32_i32_e32 v3, v3
	v_bfe_u32 v5, v3, 16, 1
	v_add3_u32 v3, v3, v5, 0x7fff
	v_lshrrev_b32_e32 v3, 16, v3
.LBB39_1510:
	s_mov_b32 s1, 0
.LBB39_1511:
	s_andn2_b32 vcc_lo, exec_lo, s1
	s_cbranch_vccnz .LBB39_1513
; %bb.1512:
	global_load_sshort v3, v[10:11], off
	s_waitcnt vmcnt(0)
	v_cvt_f32_i32_e32 v3, v3
	v_bfe_u32 v5, v3, 16, 1
	v_add3_u32 v3, v3, v5, 0x7fff
	v_lshrrev_b32_e32 v3, 16, v3
.LBB39_1513:
	s_mov_b32 s1, 0
.LBB39_1514:
	s_andn2_b32 vcc_lo, exec_lo, s1
	s_cbranch_vccnz .LBB39_1520
; %bb.1515:
	s_cmp_gt_i32 s0, 0
	s_mov_b32 s0, 0
	s_cbranch_scc0 .LBB39_1517
; %bb.1516:
	global_load_sbyte v3, v[10:11], off
	s_waitcnt vmcnt(0)
	v_cvt_f32_i32_e32 v3, v3
	v_bfe_u32 v5, v3, 16, 1
	v_add3_u32 v3, v3, v5, 0x7fff
	v_lshrrev_b32_e32 v3, 16, v3
	s_branch .LBB39_1518
.LBB39_1517:
	s_mov_b32 s0, -1
                                        ; implicit-def: $vgpr3
.LBB39_1518:
	s_andn2_b32 vcc_lo, exec_lo, s0
	s_cbranch_vccnz .LBB39_1520
; %bb.1519:
	global_load_ubyte v3, v[10:11], off
	s_waitcnt vmcnt(0)
	v_cvt_f32_ubyte0_e32 v3, v3
	v_bfe_u32 v5, v3, 16, 1
	v_add3_u32 v3, v3, v5, 0x7fff
	v_lshrrev_b32_e32 v3, 16, v3
.LBB39_1520:
.LBB39_1521:
	s_waitcnt vmcnt(0)
	v_lshlrev_b32_e32 v3, 16, v3
                                        ; implicit-def: $vgpr14
	s_mov_b32 s0, exec_lo
	v_cmpx_neq_f32_e32 0, v3
	s_xor_b32 s5, exec_lo, s0
	s_cbranch_execz .LBB39_1543
; %bb.1522:
	v_mov_b32_e32 v5, 0
	s_mov_b32 s0, -1
	s_mov_b32 s6, exec_lo
	v_cmpx_gt_f32_e32 0, v3
	s_cbranch_execz .LBB39_1530
; %bb.1523:
	v_trunc_f32_e32 v5, v3
	s_mov_b32 s1, 0
	v_cmp_neq_f32_e32 vcc_lo, v5, v3
	v_mov_b32_e32 v5, 0
	s_and_saveexec_b32 s7, vcc_lo
	s_cbranch_execz .LBB39_1529
; %bb.1524:
	v_cvt_f64_f32_e32 v[10:11], v3
	s_mov_b32 s1, 0xc00921fb
	s_mov_b32 s0, 0x54442d18
	s_mov_b32 s14, exec_lo
                                        ; implicit-def: $vgpr5
                                        ; implicit-def: $vgpr14_vgpr15
	v_trunc_f64_e32 v[12:13], v[10:11]
	v_cmp_neq_f64_e64 vcc_lo, 0x7ff00000, |v[10:11]|
	v_add_f64 v[12:13], v[10:11], -v[12:13]
	v_mul_f64 v[12:13], |v[12:13]|, s[0:1]
	v_cndmask_b32_e32 v11, 0x80000000, v13, vcc_lo
	v_cndmask_b32_e32 v10, 0, v12, vcc_lo
                                        ; implicit-def: $vgpr12_vgpr13
	v_cmpx_ngt_f64_e64 0x41d00000, |v[10:11]|
	s_xor_b32 s14, exec_lo, s14
	s_cbranch_execz .LBB39_1526
; %bb.1525:
	v_ldexp_f64 v[12:13], |v[10:11]|, 0xffffff80
	v_cmp_le_f64_e64 vcc_lo, 0x7b000000, |v[10:11]|
	v_trig_preop_f64 v[14:15], |v[10:11]|, 0
	v_and_b32_e32 v5, 0x7fffffff, v11
	v_trig_preop_f64 v[16:17], |v[10:11]|, 1
	v_trig_preop_f64 v[26:27], |v[10:11]|, 2
	v_mov_b32_e32 v34, 0
	s_mov_b32 s1, 0x3ff921fb
	s_mov_b32 s16, 0x33145c07
	;; [unrolled: 1-line block ×3, first 2 shown]
	v_cndmask_b32_e32 v13, v5, v13, vcc_lo
	v_cndmask_b32_e32 v12, v10, v12, vcc_lo
	v_mul_f64 v[18:19], v[14:15], v[12:13]
	v_mul_f64 v[20:21], v[16:17], v[12:13]
	;; [unrolled: 1-line block ×3, first 2 shown]
	v_fma_f64 v[14:15], v[14:15], v[12:13], -v[18:19]
	v_fma_f64 v[16:17], v[16:17], v[12:13], -v[20:21]
	;; [unrolled: 1-line block ×3, first 2 shown]
	v_add_f64 v[22:23], v[20:21], v[14:15]
	v_add_f64 v[24:25], v[22:23], -v[20:21]
	v_add_f64 v[30:31], v[18:19], v[22:23]
	v_add_f64 v[28:29], v[22:23], -v[24:25]
	v_add_f64 v[14:15], v[14:15], -v[24:25]
	v_ldexp_f64 v[24:25], v[30:31], -2
	v_add_f64 v[18:19], v[30:31], -v[18:19]
	v_add_f64 v[20:21], v[20:21], -v[28:29]
	v_add_f64 v[28:29], v[32:33], v[16:17]
	v_cmp_neq_f64_e64 vcc_lo, 0x7ff00000, |v[24:25]|
	v_add_f64 v[18:19], v[22:23], -v[18:19]
	v_add_f64 v[14:15], v[14:15], v[20:21]
	v_fract_f64_e32 v[20:21], v[24:25]
	v_add_f64 v[22:23], v[28:29], v[14:15]
	v_ldexp_f64 v[20:21], v[20:21], 2
	v_add_f64 v[24:25], v[18:19], v[22:23]
	v_cndmask_b32_e32 v21, 0, v21, vcc_lo
	v_cndmask_b32_e32 v20, 0, v20, vcc_lo
	v_add_f64 v[30:31], v[24:25], v[20:21]
	v_add_f64 v[18:19], v[24:25], -v[18:19]
	v_cmp_gt_f64_e32 vcc_lo, 0, v[30:31]
	v_add_f64 v[30:31], v[28:29], -v[32:33]
	v_add_f64 v[18:19], v[22:23], -v[18:19]
	v_cndmask_b32_e64 v35, 0, 0x40100000, vcc_lo
	v_add_f64 v[39:40], v[28:29], -v[30:31]
	v_add_f64 v[16:17], v[16:17], -v[30:31]
	v_add_f64 v[20:21], v[20:21], v[34:35]
	v_add_f64 v[35:36], v[22:23], -v[28:29]
	v_add_f64 v[30:31], v[32:33], -v[39:40]
	v_add_f64 v[37:38], v[24:25], v[20:21]
	;; [unrolled: 3-line block ×3, first 2 shown]
	v_cvt_i32_f64_e32 v5, v[37:38]
	v_add_f64 v[28:29], v[28:29], -v[41:42]
	v_cvt_f64_i32_e32 v[35:36], v5
	v_add_f64 v[14:15], v[14:15], v[28:29]
	v_add_f64 v[20:21], v[20:21], -v[35:36]
	v_add_f64 v[14:15], v[16:17], v[14:15]
	v_add_f64 v[16:17], v[24:25], v[20:21]
	;; [unrolled: 1-line block ×3, first 2 shown]
	v_add_f64 v[14:15], v[16:17], -v[20:21]
	v_cmp_le_f64_e32 vcc_lo, 0.5, v[16:17]
	v_add_f64 v[12:13], v[18:19], v[12:13]
	v_add_f64 v[14:15], v[24:25], -v[14:15]
	v_cndmask_b32_e64 v35, 0, 0x3ff00000, vcc_lo
	v_add_co_ci_u32_e64 v5, null, 0, v5, vcc_lo
	v_add_f64 v[12:13], v[12:13], v[14:15]
	v_add_f64 v[14:15], v[16:17], -v[34:35]
	v_add_f64 v[16:17], v[14:15], v[12:13]
	v_mul_f64 v[18:19], v[16:17], s[0:1]
	v_add_f64 v[14:15], v[16:17], -v[14:15]
	v_fma_f64 v[20:21], v[16:17], s[0:1], -v[18:19]
	v_add_f64 v[12:13], v[12:13], -v[14:15]
	v_fma_f64 v[14:15], v[16:17], s[16:17], v[20:21]
	v_fma_f64 v[14:15], v[12:13], s[0:1], v[14:15]
	v_add_f64 v[12:13], v[18:19], v[14:15]
	v_add_f64 v[16:17], v[12:13], -v[18:19]
	v_add_f64 v[14:15], v[14:15], -v[16:17]
.LBB39_1526:
	s_andn2_saveexec_b32 s0, s14
	s_cbranch_execz .LBB39_1528
; %bb.1527:
	s_mov_b32 s14, 0x6dc9c883
	s_mov_b32 s15, 0x3fe45f30
	;; [unrolled: 1-line block ×3, first 2 shown]
	v_mul_f64 v[12:13], |v[10:11]|, s[14:15]
	s_mov_b32 s14, 0x54442d18
	s_mov_b32 s15, 0xbff921fb
	;; [unrolled: 1-line block ×3, first 2 shown]
	v_rndne_f64_e32 v[16:17], v[12:13]
	v_fma_f64 v[12:13], v[16:17], s[14:15], |v[10:11]|
	v_mul_f64 v[14:15], v[16:17], s[16:17]
	s_mov_b32 s14, 0x252049c0
	s_mov_b32 s15, 0xb97b839a
	v_cvt_i32_f64_e32 v5, v[16:17]
	v_fma_f64 v[20:21], v[16:17], s[16:17], v[12:13]
	v_add_f64 v[18:19], v[12:13], v[14:15]
	s_mov_b32 s17, 0x3c91a626
	v_add_f64 v[12:13], v[12:13], -v[18:19]
	v_add_f64 v[18:19], v[18:19], -v[20:21]
	v_add_f64 v[12:13], v[12:13], v[14:15]
	v_fma_f64 v[14:15], v[16:17], s[16:17], v[14:15]
	v_add_f64 v[12:13], v[18:19], v[12:13]
	v_add_f64 v[12:13], v[12:13], -v[14:15]
	v_fma_f64 v[14:15], v[16:17], s[14:15], v[12:13]
	v_add_f64 v[12:13], v[20:21], v[14:15]
	v_add_f64 v[18:19], v[12:13], -v[20:21]
	v_add_f64 v[14:15], v[14:15], -v[18:19]
.LBB39_1528:
	s_or_b32 exec_lo, exec_lo, s0
	v_mul_f64 v[16:17], v[12:13], v[12:13]
	v_add_f64 v[18:19], v[14:15], v[14:15]
	s_mov_b32 s14, 0xa9a29f71
	s_mov_b32 s16, 0xc751c08c
	;; [unrolled: 1-line block ×4, first 2 shown]
	v_cmp_class_f64_e64 s0, v[10:11], 0x1f8
	v_and_b32_e32 v5, 1, v5
	v_and_b32_e32 v10, 0x80000000, v11
	v_sub_f32_e32 v3, 1.0, v3
	s_mov_b32 s1, exec_lo
	v_cmp_eq_u32_e32 vcc_lo, 0, v5
	v_fma_f64 v[20:21], v[12:13], v[12:13], -v[16:17]
	v_fma_f64 v[18:19], v[12:13], v[18:19], v[20:21]
	v_add_f64 v[16:17], v[16:17], v[18:19]
	v_fma_f64 v[18:19], v[16:17], s[16:17], s[14:15]
	s_mov_b32 s14, 0x90a8aae0
	s_mov_b32 s15, 0x3f17746f
	v_fma_f64 v[18:19], v[16:17], v[18:19], s[14:15]
	s_mov_b32 s14, 0xa6fbf144
	s_mov_b32 s15, 0xbefbb44d
	;; [unrolled: 3-line block ×13, first 2 shown]
	v_mul_f64 v[16:17], v[16:17], v[18:19]
	v_mul_f64 v[18:19], v[12:13], v[16:17]
	v_add_f64 v[20:21], v[12:13], v[18:19]
	v_fma_f64 v[16:17], v[12:13], v[16:17], -v[18:19]
	v_add_f64 v[12:13], v[20:21], -v[12:13]
	v_add_f64 v[14:15], v[14:15], v[16:17]
	v_add_f64 v[12:13], v[18:19], -v[12:13]
	v_add_f64 v[12:13], v[14:15], v[12:13]
	v_add_f64 v[14:15], v[20:21], v[12:13]
	v_rcp_f64_e32 v[16:17], v[14:15]
	v_fma_f64 v[18:19], -v[14:15], v[16:17], 1.0
	v_fma_f64 v[16:17], v[18:19], v[16:17], v[16:17]
	v_fma_f64 v[18:19], -v[14:15], v[16:17], 1.0
	v_fma_f64 v[16:17], v[18:19], v[16:17], v[16:17]
	v_add_f64 v[18:19], v[14:15], -v[20:21]
	v_mul_f64 v[20:21], v[14:15], v[16:17]
	v_add_f64 v[12:13], v[12:13], -v[18:19]
	v_fma_f64 v[18:19], v[16:17], v[14:15], -v[20:21]
	v_fma_f64 v[12:13], v[16:17], v[12:13], v[18:19]
	v_add_f64 v[18:19], v[20:21], v[12:13]
	v_add_f64 v[22:23], -v[18:19], 1.0
	v_add_f64 v[20:21], v[18:19], -v[20:21]
	v_add_f64 v[24:25], -v[22:23], 1.0
	v_add_f64 v[12:13], v[20:21], -v[12:13]
	v_add_f64 v[18:19], v[24:25], -v[18:19]
	v_add_f64 v[12:13], v[12:13], v[18:19]
	v_add_f64 v[12:13], v[22:23], v[12:13]
	v_mul_f64 v[12:13], v[16:17], v[12:13]
	v_add_f64 v[12:13], v[16:17], v[12:13]
	v_xor_b32_e32 v8, 0x80000000, v13
	v_cndmask_b32_e32 v5, v12, v14, vcc_lo
	v_cndmask_b32_e32 v8, v8, v15, vcc_lo
	v_xor_b32_e32 v8, v8, v10
	v_cndmask_b32_e64 v10, 0, v5, s0
	v_cndmask_b32_e64 v11, 0x7ff80000, v8, s0
	v_div_scale_f64 v[12:13], null, v[10:11], v[10:11], s[14:15]
	v_rcp_f64_e32 v[14:15], v[12:13]
	v_fma_f64 v[16:17], -v[12:13], v[14:15], 1.0
	v_fma_f64 v[14:15], v[14:15], v[16:17], v[14:15]
	v_fma_f64 v[16:17], -v[12:13], v[14:15], 1.0
	v_fma_f64 v[14:15], v[14:15], v[16:17], v[14:15]
	v_div_scale_f64 v[16:17], vcc_lo, s[14:15], v[10:11], s[14:15]
	v_mul_f64 v[18:19], v[16:17], v[14:15]
	v_fma_f64 v[12:13], -v[12:13], v[18:19], v[16:17]
	v_div_fmas_f64 v[12:13], v[12:13], v[14:15], v[18:19]
	v_div_fixup_f64 v[10:11], v[12:13], v[10:11], s[14:15]
	v_cvt_f32_f64_e32 v5, v[10:11]
.LBB39_1529:
	s_or_b32 exec_lo, exec_lo, s7
	s_orn2_b32 s0, s1, exec_lo
.LBB39_1530:
	s_or_b32 exec_lo, exec_lo, s6
	v_mov_b32_e32 v14, 0x7fc0
	s_and_saveexec_b32 s1, s0
	s_cbranch_execz .LBB39_1542
; %bb.1531:
	s_mov_b32 s0, exec_lo
	v_cmpx_gt_f32_e32 0x41200000, v3
	s_cbranch_execz .LBB39_1535
; %bb.1532:
	s_mov_b32 s6, 0
	.p2align	6
.LBB39_1533:                            ; =>This Inner Loop Header: Depth=1
	v_div_scale_f32 v8, null, v3, v3, 1.0
	v_div_scale_f32 v12, vcc_lo, 1.0, v3, 1.0
	v_rcp_f32_e32 v10, v8
	v_fma_f32 v11, -v8, v10, 1.0
	v_fmac_f32_e32 v10, v11, v10
	v_mul_f32_e32 v11, v12, v10
	v_fma_f32 v13, -v8, v11, v12
	v_fmac_f32_e32 v11, v13, v10
	v_fma_f32 v8, -v8, v11, v12
	v_div_fmas_f32 v8, v8, v10, v11
	v_div_fixup_f32 v8, v8, v3, 1.0
	v_add_f32_e32 v3, 1.0, v3
	v_sub_f32_e32 v5, v5, v8
	v_cmp_ngt_f32_e32 vcc_lo, 0x41200000, v3
	s_or_b32 s6, vcc_lo, s6
	s_andn2_b32 exec_lo, exec_lo, s6
	s_cbranch_execnz .LBB39_1533
; %bb.1534:
	s_or_b32 exec_lo, exec_lo, s6
.LBB39_1535:
	s_or_b32 exec_lo, exec_lo, s0
                                        ; implicit-def: $vgpr14
	s_mov_b32 s0, exec_lo
	v_cmpx_neq_f32_e32 0x41200000, v3
	s_xor_b32 s6, exec_lo, s0
	s_cbranch_execz .LBB39_1539
; %bb.1536:
	v_cvt_f64_f32_e32 v[10:11], v3
	v_mov_b32_e32 v8, 0
	s_mov_b32 s14, 0x85d8a000
	s_mov_b32 s15, 0x43763457
	s_mov_b32 s0, exec_lo
	v_cmpx_gt_f64_e32 s[14:15], v[10:11]
	s_cbranch_execz .LBB39_1538
; %bb.1537:
	v_mul_f32_e32 v8, v3, v3
	v_div_scale_f32 v10, null, v8, v8, 1.0
	v_rcp_f32_e32 v11, v10
	v_fma_f32 v12, -v10, v11, 1.0
	v_fmac_f32_e32 v11, v12, v11
	v_div_scale_f32 v12, vcc_lo, 1.0, v8, 1.0
	v_mul_f32_e32 v13, v12, v11
	v_fma_f32 v14, -v10, v13, v12
	v_fmac_f32_e32 v13, v14, v11
	v_fma_f32 v10, -v10, v13, v12
	v_div_fmas_f32 v10, v10, v11, v13
	v_div_fixup_f32 v8, v10, v8, 1.0
	v_fmaak_f32 v10, 0, v8, 0x3daaaaab
	v_fmaak_f32 v10, v8, v10, 0xbcaccacd
	;; [unrolled: 1-line block ×7, first 2 shown]
	v_mul_f32_e32 v8, v8, v10
.LBB39_1538:
	s_or_b32 exec_lo, exec_lo, s0
	v_cmp_gt_f32_e32 vcc_lo, 0x800000, v3
	v_div_scale_f32 v10, null, v3, v3, -0.5
	v_div_scale_f32 v14, s0, -0.5, v3, -0.5
	v_cndmask_b32_e64 v11, 0, 32, vcc_lo
	v_rcp_f32_e32 v12, v10
	v_ldexp_f32 v11, v3, v11
	v_log_f32_e32 v11, v11
	v_fma_f32 v13, -v10, v12, 1.0
	v_fmac_f32_e32 v12, v13, v12
	v_mul_f32_e32 v13, 0x3f317217, v11
	v_mul_f32_e32 v15, v14, v12
	v_fma_f32 v13, 0x3f317217, v11, -v13
	v_fma_f32 v16, -v10, v15, v14
	v_fmamk_f32 v13, v11, 0x3377d1cf, v13
	v_fmac_f32_e32 v15, v16, v12
	v_cndmask_b32_e64 v16, 0, 0x41b17218, vcc_lo
	v_cmp_gt_f32_e64 vcc_lo, 0x7f800000, |v11|
	v_fmac_f32_e32 v13, 0x3f317217, v11
	v_fma_f32 v10, -v10, v15, v14
	v_cndmask_b32_e32 v11, v11, v13, vcc_lo
	s_mov_b32 vcc_lo, s0
	v_div_fmas_f32 v10, v10, v12, v15
	v_sub_f32_e32 v11, v11, v16
	v_div_fixup_f32 v3, v10, v3, -0.5
	v_add_f32_e32 v3, v11, v3
	v_sub_f32_e32 v3, v3, v8
	v_add_f32_e32 v3, v5, v3
	v_bfe_u32 v5, v3, 16, 1
	v_cmp_o_f32_e32 vcc_lo, v3, v3
	v_add3_u32 v3, v3, v5, 0x7fff
	v_mov_b32_e32 v5, 0x7fc0
	v_cndmask_b32_sdwa v14, v5, v3, vcc_lo dst_sel:DWORD dst_unused:UNUSED_PAD src0_sel:DWORD src1_sel:WORD_1
                                        ; implicit-def: $vgpr5
.LBB39_1539:
	s_andn2_saveexec_b32 s0, s6
; %bb.1540:
	v_add_f32_e32 v3, 0x40101cb7, v5
	v_bfe_u32 v5, v3, 16, 1
	v_cmp_o_f32_e32 vcc_lo, v3, v3
	v_add3_u32 v3, v3, v5, 0x7fff
	v_mov_b32_e32 v5, 0x7fc0
	v_cndmask_b32_sdwa v14, v5, v3, vcc_lo dst_sel:DWORD dst_unused:UNUSED_PAD src0_sel:DWORD src1_sel:WORD_1
; %bb.1541:
	s_or_b32 exec_lo, exec_lo, s0
.LBB39_1542:
	s_or_b32 exec_lo, exec_lo, s1
                                        ; implicit-def: $vgpr3
.LBB39_1543:
	s_andn2_saveexec_b32 s0, s5
; %bb.1544:
	v_xor_b32_e32 v3, 0x80000000, v3
	s_mov_b32 s1, 0x7f800000
	v_and_or_b32 v3, 0x80000000, v3, s1
	v_lshrrev_b32_e32 v14, 16, v3
; %bb.1545:
	s_or_b32 exec_lo, exec_lo, s0
	v_add_co_u32 v8, s0, s10, v9
	v_add_co_ci_u32_e64 v9, null, s11, 0, s0
	s_cmp_lt_i32 s4, 11
	s_cbranch_scc1 .LBB39_1552
; %bb.1546:
	s_and_b32 s0, 0xffff, s4
	s_mov_b32 s5, 0
	s_cmp_gt_i32 s0, 25
	s_cbranch_scc0 .LBB39_1554
; %bb.1547:
	s_cmp_gt_i32 s0, 28
	s_cbranch_scc0 .LBB39_1555
; %bb.1548:
	;; [unrolled: 3-line block ×4, first 2 shown]
	s_cmp_eq_u32 s0, 46
	s_mov_b32 s7, 0
	s_cbranch_scc0 .LBB39_1559
; %bb.1551:
	global_load_dword v3, v[8:9], off
	s_mov_b32 s1, 0
	s_mov_b32 s6, -1
	s_branch .LBB39_1561
.LBB39_1552:
	s_mov_b32 s6, 0
                                        ; implicit-def: $vgpr3
	s_cbranch_execnz .LBB39_1627
.LBB39_1553:
	s_andn2_b32 vcc_lo, exec_lo, s6
	s_cbranch_vccnz .LBB39_1932
	s_branch .LBB39_1675
.LBB39_1554:
	s_mov_b32 s7, -1
	s_mov_b32 s6, 0
	s_mov_b32 s1, 0
                                        ; implicit-def: $vgpr3
	s_branch .LBB39_1590
.LBB39_1555:
	s_mov_b32 s7, -1
	s_mov_b32 s6, 0
	s_mov_b32 s1, 0
                                        ; implicit-def: $vgpr3
	s_branch .LBB39_1571
.LBB39_1556:
	s_mov_b32 s7, -1
	s_mov_b32 s6, 0
	s_mov_b32 s1, 0
                                        ; implicit-def: $vgpr3
	s_branch .LBB39_1566
.LBB39_1557:
	s_or_b32 s2, s2, exec_lo
	s_trap 2
	s_cbranch_execz .LBB39_1472
	s_branch .LBB39_1473
.LBB39_1558:
	s_mov_b32 s7, -1
	s_mov_b32 s6, 0
	s_mov_b32 s1, 0
	s_branch .LBB39_1560
.LBB39_1559:
	s_mov_b32 s1, -1
	s_mov_b32 s6, 0
.LBB39_1560:
                                        ; implicit-def: $vgpr3
.LBB39_1561:
	s_and_b32 vcc_lo, exec_lo, s7
	s_cbranch_vccz .LBB39_1565
; %bb.1562:
	s_cmp_eq_u32 s0, 44
	s_cbranch_scc0 .LBB39_1564
; %bb.1563:
	global_load_ubyte v3, v[8:9], off
	s_mov_b32 s1, 0
	s_mov_b32 s6, -1
	s_waitcnt vmcnt(0)
	v_lshlrev_b32_e32 v5, 23, v3
	v_cmp_ne_u32_e32 vcc_lo, 0xff, v3
	v_cndmask_b32_e32 v5, 0x7f800001, v5, vcc_lo
	v_cmp_ne_u32_e32 vcc_lo, 0, v3
	v_cndmask_b32_e32 v3, 0x400000, v5, vcc_lo
	v_mov_b32_e32 v5, 0x7fc0
	v_cmp_o_f32_e32 vcc_lo, v3, v3
	v_add_nc_u32_e32 v3, 0x7fff, v3
	v_cndmask_b32_sdwa v3, v5, v3, vcc_lo dst_sel:DWORD dst_unused:UNUSED_PAD src0_sel:DWORD src1_sel:WORD_1
	s_branch .LBB39_1565
.LBB39_1564:
	s_mov_b32 s1, -1
                                        ; implicit-def: $vgpr3
.LBB39_1565:
	s_mov_b32 s7, 0
.LBB39_1566:
	s_and_b32 vcc_lo, exec_lo, s7
	s_cbranch_vccz .LBB39_1570
; %bb.1567:
	s_cmp_eq_u32 s0, 29
	s_cbranch_scc0 .LBB39_1569
; %bb.1568:
	global_load_dwordx2 v[10:11], v[8:9], off
	s_mov_b32 s1, 0
	s_mov_b32 s6, -1
	s_mov_b32 s7, 0
	s_waitcnt vmcnt(0)
	v_ffbh_u32_e32 v3, v11
	v_min_u32_e32 v3, 32, v3
	v_lshlrev_b64 v[10:11], v3, v[10:11]
	v_sub_nc_u32_e32 v3, 32, v3
	v_min_u32_e32 v5, 1, v10
	v_or_b32_e32 v5, v11, v5
	v_cvt_f32_u32_e32 v5, v5
	v_ldexp_f32 v3, v5, v3
	v_bfe_u32 v5, v3, 16, 1
	v_add3_u32 v3, v3, v5, 0x7fff
	v_lshrrev_b32_e32 v3, 16, v3
	s_branch .LBB39_1571
.LBB39_1569:
	s_mov_b32 s1, -1
                                        ; implicit-def: $vgpr3
.LBB39_1570:
	s_mov_b32 s7, 0
.LBB39_1571:
	s_and_b32 vcc_lo, exec_lo, s7
	s_cbranch_vccz .LBB39_1589
; %bb.1572:
	s_cmp_lt_i32 s0, 27
	s_cbranch_scc1 .LBB39_1575
; %bb.1573:
	s_cmp_gt_i32 s0, 27
	s_cbranch_scc0 .LBB39_1576
; %bb.1574:
	global_load_dword v3, v[8:9], off
	s_mov_b32 s6, 0
	s_waitcnt vmcnt(0)
	v_cvt_f32_u32_e32 v3, v3
	v_bfe_u32 v5, v3, 16, 1
	v_add3_u32 v3, v3, v5, 0x7fff
	v_lshrrev_b32_e32 v3, 16, v3
	s_branch .LBB39_1577
.LBB39_1575:
	s_mov_b32 s6, -1
                                        ; implicit-def: $vgpr3
	s_branch .LBB39_1580
.LBB39_1576:
	s_mov_b32 s6, -1
                                        ; implicit-def: $vgpr3
.LBB39_1577:
	s_andn2_b32 vcc_lo, exec_lo, s6
	s_cbranch_vccnz .LBB39_1579
; %bb.1578:
	global_load_ushort v3, v[8:9], off
	s_waitcnt vmcnt(0)
	v_cvt_f32_u32_e32 v3, v3
	v_bfe_u32 v5, v3, 16, 1
	v_add3_u32 v3, v3, v5, 0x7fff
	v_lshrrev_b32_e32 v3, 16, v3
.LBB39_1579:
	s_mov_b32 s6, 0
.LBB39_1580:
	s_andn2_b32 vcc_lo, exec_lo, s6
	s_cbranch_vccnz .LBB39_1588
; %bb.1581:
	global_load_ubyte v3, v[8:9], off
	s_mov_b32 s6, 0
	s_mov_b32 s7, exec_lo
	s_waitcnt vmcnt(0)
	v_cmpx_lt_i16_e32 0x7f, v3
	s_xor_b32 s7, exec_lo, s7
	s_cbranch_execz .LBB39_1602
; %bb.1582:
	s_mov_b32 s6, -1
	s_mov_b32 s14, exec_lo
	v_cmpx_eq_u16_e32 0x80, v3
; %bb.1583:
	s_xor_b32 s6, exec_lo, -1
; %bb.1584:
	s_or_b32 exec_lo, exec_lo, s14
	s_and_b32 s6, s6, exec_lo
	s_or_saveexec_b32 s7, s7
	v_mov_b32_e32 v5, 0x7f800001
	s_xor_b32 exec_lo, exec_lo, s7
	s_cbranch_execnz .LBB39_1603
.LBB39_1585:
	s_or_b32 exec_lo, exec_lo, s7
	s_and_saveexec_b32 s7, s6
	s_cbranch_execz .LBB39_1587
.LBB39_1586:
	v_and_b32_e32 v5, 0xffff, v3
	v_lshlrev_b32_e32 v3, 24, v3
	v_and_b32_e32 v10, 7, v5
	v_bfe_u32 v13, v5, 3, 4
	v_and_b32_e32 v3, 0x80000000, v3
	v_ffbh_u32_e32 v11, v10
	v_cmp_eq_u32_e32 vcc_lo, 0, v13
	v_min_u32_e32 v11, 32, v11
	v_subrev_nc_u32_e32 v12, 28, v11
	v_sub_nc_u32_e32 v11, 29, v11
	v_lshlrev_b32_e32 v5, v12, v5
	v_cndmask_b32_e32 v11, v13, v11, vcc_lo
	v_and_b32_e32 v5, 7, v5
	v_cndmask_b32_e32 v5, v10, v5, vcc_lo
	v_lshl_add_u32 v10, v11, 23, 0x3b800000
	v_lshlrev_b32_e32 v5, 20, v5
	v_or3_b32 v5, v3, v10, v5
.LBB39_1587:
	s_or_b32 exec_lo, exec_lo, s7
	v_bfe_u32 v3, v5, 16, 1
	v_cmp_o_f32_e32 vcc_lo, v5, v5
	v_add3_u32 v3, v5, v3, 0x7fff
	v_mov_b32_e32 v5, 0x7fc0
	v_cndmask_b32_sdwa v3, v5, v3, vcc_lo dst_sel:DWORD dst_unused:UNUSED_PAD src0_sel:DWORD src1_sel:WORD_1
.LBB39_1588:
	s_mov_b32 s6, -1
.LBB39_1589:
	s_mov_b32 s7, 0
.LBB39_1590:
	s_and_b32 vcc_lo, exec_lo, s7
	s_cbranch_vccz .LBB39_1623
; %bb.1591:
	s_cmp_gt_i32 s0, 22
	s_cbranch_scc0 .LBB39_1601
; %bb.1592:
	s_cmp_lt_i32 s0, 24
	s_cbranch_scc1 .LBB39_1604
; %bb.1593:
	s_cmp_gt_i32 s0, 24
	s_cbranch_scc0 .LBB39_1605
; %bb.1594:
	global_load_ubyte v3, v[8:9], off
	s_mov_b32 s6, exec_lo
	s_waitcnt vmcnt(0)
	v_cmpx_lt_i16_e32 0x7f, v3
	s_xor_b32 s6, exec_lo, s6
	s_cbranch_execz .LBB39_1617
; %bb.1595:
	s_mov_b32 s5, -1
	s_mov_b32 s7, exec_lo
	v_cmpx_eq_u16_e32 0x80, v3
; %bb.1596:
	s_xor_b32 s5, exec_lo, -1
; %bb.1597:
	s_or_b32 exec_lo, exec_lo, s7
	s_and_b32 s5, s5, exec_lo
	s_or_saveexec_b32 s6, s6
	v_mov_b32_e32 v5, 0x7f800001
	s_xor_b32 exec_lo, exec_lo, s6
	s_cbranch_execnz .LBB39_1618
.LBB39_1598:
	s_or_b32 exec_lo, exec_lo, s6
	s_and_saveexec_b32 s6, s5
	s_cbranch_execz .LBB39_1600
.LBB39_1599:
	v_and_b32_e32 v5, 0xffff, v3
	v_lshlrev_b32_e32 v3, 24, v3
	v_and_b32_e32 v10, 3, v5
	v_bfe_u32 v13, v5, 2, 5
	v_and_b32_e32 v3, 0x80000000, v3
	v_ffbh_u32_e32 v11, v10
	v_cmp_eq_u32_e32 vcc_lo, 0, v13
	v_min_u32_e32 v11, 32, v11
	v_subrev_nc_u32_e32 v12, 29, v11
	v_sub_nc_u32_e32 v11, 30, v11
	v_lshlrev_b32_e32 v5, v12, v5
	v_cndmask_b32_e32 v11, v13, v11, vcc_lo
	v_and_b32_e32 v5, 3, v5
	v_cndmask_b32_e32 v5, v10, v5, vcc_lo
	v_lshl_add_u32 v10, v11, 23, 0x37800000
	v_lshlrev_b32_e32 v5, 21, v5
	v_or3_b32 v5, v3, v10, v5
.LBB39_1600:
	s_or_b32 exec_lo, exec_lo, s6
	v_bfe_u32 v3, v5, 16, 1
	v_cmp_o_f32_e32 vcc_lo, v5, v5
	s_mov_b32 s5, 0
	v_add3_u32 v3, v5, v3, 0x7fff
	v_mov_b32_e32 v5, 0x7fc0
	v_cndmask_b32_sdwa v3, v5, v3, vcc_lo dst_sel:DWORD dst_unused:UNUSED_PAD src0_sel:DWORD src1_sel:WORD_1
	s_branch .LBB39_1606
.LBB39_1601:
	s_mov_b32 s5, -1
                                        ; implicit-def: $vgpr3
	s_branch .LBB39_1612
.LBB39_1602:
	s_or_saveexec_b32 s7, s7
	v_mov_b32_e32 v5, 0x7f800001
	s_xor_b32 exec_lo, exec_lo, s7
	s_cbranch_execz .LBB39_1585
.LBB39_1603:
	v_cmp_ne_u16_e32 vcc_lo, 0, v3
	v_mov_b32_e32 v5, 0
	s_andn2_b32 s6, s6, exec_lo
	s_and_b32 s14, vcc_lo, exec_lo
	s_or_b32 s6, s6, s14
	s_or_b32 exec_lo, exec_lo, s7
	s_and_saveexec_b32 s7, s6
	s_cbranch_execnz .LBB39_1586
	s_branch .LBB39_1587
.LBB39_1604:
	s_mov_b32 s5, -1
                                        ; implicit-def: $vgpr3
	s_branch .LBB39_1609
.LBB39_1605:
	s_mov_b32 s5, -1
                                        ; implicit-def: $vgpr3
.LBB39_1606:
	s_and_b32 vcc_lo, exec_lo, s5
	s_cbranch_vccz .LBB39_1608
; %bb.1607:
	global_load_ubyte v3, v[8:9], off
	s_waitcnt vmcnt(0)
	v_lshlrev_b32_e32 v3, 24, v3
	v_and_b32_e32 v5, 0x7f000000, v3
	v_ffbh_u32_e32 v10, v5
	v_add_nc_u32_e32 v12, 0x1000000, v5
	v_cmp_ne_u32_e32 vcc_lo, 0, v5
	v_min_u32_e32 v10, 32, v10
	v_sub_nc_u32_e64 v10, v10, 4 clamp
	v_lshlrev_b32_e32 v11, v10, v5
	v_lshlrev_b32_e32 v10, 23, v10
	v_lshrrev_b32_e32 v11, 4, v11
	v_sub_nc_u32_e32 v10, v11, v10
	v_ashrrev_i32_e32 v11, 8, v12
	v_add_nc_u32_e32 v10, 0x3c000000, v10
	v_and_or_b32 v10, 0x7f800000, v11, v10
	v_cndmask_b32_e32 v5, 0, v10, vcc_lo
	v_and_or_b32 v3, 0x80000000, v3, v5
	v_bfe_u32 v5, v5, 16, 1
	v_cmp_o_f32_e32 vcc_lo, v3, v3
	v_add3_u32 v3, v3, v5, 0x7fff
	v_mov_b32_e32 v5, 0x7fc0
	v_cndmask_b32_sdwa v3, v5, v3, vcc_lo dst_sel:DWORD dst_unused:UNUSED_PAD src0_sel:DWORD src1_sel:WORD_1
.LBB39_1608:
	s_mov_b32 s5, 0
.LBB39_1609:
	s_andn2_b32 vcc_lo, exec_lo, s5
	s_cbranch_vccnz .LBB39_1611
; %bb.1610:
	global_load_ubyte v3, v[8:9], off
	s_waitcnt vmcnt(0)
	v_lshlrev_b32_e32 v5, 25, v3
	v_lshlrev_b16 v3, 8, v3
	v_lshrrev_b32_e32 v10, 4, v5
	v_and_or_b32 v11, 0x7f00, v3, 0.5
	v_cmp_gt_u32_e32 vcc_lo, 0x8000000, v5
	v_bfe_i32 v3, v3, 0, 16
	v_or_b32_e32 v10, 0x70000000, v10
	v_add_f32_e32 v11, -0.5, v11
	v_mul_f32_e32 v10, 0x7800000, v10
	v_cndmask_b32_e32 v5, v10, v11, vcc_lo
	v_and_or_b32 v3, 0x80000000, v3, v5
	v_bfe_u32 v5, v5, 16, 1
	v_cmp_o_f32_e32 vcc_lo, v3, v3
	v_add3_u32 v3, v3, v5, 0x7fff
	v_mov_b32_e32 v5, 0x7fc0
	v_cndmask_b32_sdwa v3, v5, v3, vcc_lo dst_sel:DWORD dst_unused:UNUSED_PAD src0_sel:DWORD src1_sel:WORD_1
.LBB39_1611:
	s_mov_b32 s5, 0
	s_mov_b32 s6, -1
.LBB39_1612:
	s_andn2_b32 vcc_lo, exec_lo, s5
	s_mov_b32 s5, 0
	s_cbranch_vccnz .LBB39_1623
; %bb.1613:
	s_cmp_gt_i32 s0, 14
	s_cbranch_scc0 .LBB39_1616
; %bb.1614:
	s_cmp_eq_u32 s0, 15
	s_cbranch_scc0 .LBB39_1619
; %bb.1615:
	global_load_ushort v3, v[8:9], off
	s_mov_b32 s1, 0
	s_mov_b32 s6, -1
	s_branch .LBB39_1621
.LBB39_1616:
	s_mov_b32 s5, -1
	s_branch .LBB39_1620
.LBB39_1617:
	s_or_saveexec_b32 s6, s6
	v_mov_b32_e32 v5, 0x7f800001
	s_xor_b32 exec_lo, exec_lo, s6
	s_cbranch_execz .LBB39_1598
.LBB39_1618:
	v_cmp_ne_u16_e32 vcc_lo, 0, v3
	v_mov_b32_e32 v5, 0
	s_andn2_b32 s5, s5, exec_lo
	s_and_b32 s7, vcc_lo, exec_lo
	s_or_b32 s5, s5, s7
	s_or_b32 exec_lo, exec_lo, s6
	s_and_saveexec_b32 s6, s5
	s_cbranch_execnz .LBB39_1599
	s_branch .LBB39_1600
.LBB39_1619:
	s_mov_b32 s1, -1
.LBB39_1620:
                                        ; implicit-def: $vgpr3
.LBB39_1621:
	s_and_b32 vcc_lo, exec_lo, s5
	s_mov_b32 s5, 0
	s_cbranch_vccz .LBB39_1623
; %bb.1622:
	s_cmp_lg_u32 s0, 11
	s_mov_b32 s5, -1
	s_cselect_b32 s1, -1, 0
.LBB39_1623:
	s_and_b32 vcc_lo, exec_lo, s1
	s_cbranch_vccnz .LBB39_1710
; %bb.1624:
	s_andn2_b32 vcc_lo, exec_lo, s5
	s_cbranch_vccnz .LBB39_1626
.LBB39_1625:
	global_load_ubyte v3, v[8:9], off
	s_mov_b32 s6, -1
	s_waitcnt vmcnt(0)
	v_cmp_ne_u16_e32 vcc_lo, 0, v3
	v_cndmask_b32_e64 v3, 0, 1.0, vcc_lo
	v_lshrrev_b32_e32 v3, 16, v3
.LBB39_1626:
	s_branch .LBB39_1553
.LBB39_1627:
	s_and_b32 s0, 0xffff, s4
	s_cmp_lt_i32 s0, 5
	s_cbranch_scc1 .LBB39_1632
; %bb.1628:
	s_cmp_lt_i32 s0, 8
	s_cbranch_scc1 .LBB39_1633
; %bb.1629:
	;; [unrolled: 3-line block ×3, first 2 shown]
	s_cmp_gt_i32 s0, 9
	s_cbranch_scc0 .LBB39_1635
; %bb.1631:
	global_load_dwordx2 v[10:11], v[8:9], off
	s_mov_b32 s1, 0
	s_waitcnt vmcnt(0)
	v_cvt_f32_f64_e32 v3, v[10:11]
	v_bfe_u32 v5, v3, 16, 1
	v_cmp_o_f32_e32 vcc_lo, v3, v3
	v_add3_u32 v3, v3, v5, 0x7fff
	v_mov_b32_e32 v5, 0x7fc0
	v_cndmask_b32_sdwa v3, v5, v3, vcc_lo dst_sel:DWORD dst_unused:UNUSED_PAD src0_sel:DWORD src1_sel:WORD_1
	s_branch .LBB39_1636
.LBB39_1632:
	s_mov_b32 s1, -1
                                        ; implicit-def: $vgpr3
	s_branch .LBB39_1654
.LBB39_1633:
	s_mov_b32 s1, -1
                                        ; implicit-def: $vgpr3
	s_branch .LBB39_1642
.LBB39_1634:
	s_mov_b32 s1, -1
                                        ; implicit-def: $vgpr3
	s_branch .LBB39_1639
.LBB39_1635:
	s_mov_b32 s1, -1
                                        ; implicit-def: $vgpr3
.LBB39_1636:
	s_andn2_b32 vcc_lo, exec_lo, s1
	s_cbranch_vccnz .LBB39_1638
; %bb.1637:
	global_load_dword v3, v[8:9], off
	s_waitcnt vmcnt(0)
	v_bfe_u32 v5, v3, 16, 1
	v_cmp_o_f32_e32 vcc_lo, v3, v3
	v_add3_u32 v3, v3, v5, 0x7fff
	v_mov_b32_e32 v5, 0x7fc0
	v_cndmask_b32_sdwa v3, v5, v3, vcc_lo dst_sel:DWORD dst_unused:UNUSED_PAD src0_sel:DWORD src1_sel:WORD_1
.LBB39_1638:
	s_mov_b32 s1, 0
.LBB39_1639:
	s_andn2_b32 vcc_lo, exec_lo, s1
	s_cbranch_vccnz .LBB39_1641
; %bb.1640:
	global_load_dword v3, v[8:9], off
	s_waitcnt vmcnt(0)
	v_cvt_f32_f16_e32 v5, v3
	v_cmp_o_f16_e32 vcc_lo, v3, v3
	v_bfe_u32 v10, v5, 16, 1
	v_add3_u32 v3, v5, v10, 0x7fff
	v_mov_b32_e32 v5, 0x7fc0
	v_cndmask_b32_sdwa v3, v5, v3, vcc_lo dst_sel:DWORD dst_unused:UNUSED_PAD src0_sel:DWORD src1_sel:WORD_1
.LBB39_1641:
	s_mov_b32 s1, 0
.LBB39_1642:
	s_andn2_b32 vcc_lo, exec_lo, s1
	s_cbranch_vccnz .LBB39_1653
; %bb.1643:
	s_cmp_lt_i32 s0, 6
	s_cbranch_scc1 .LBB39_1646
; %bb.1644:
	s_cmp_gt_i32 s0, 6
	s_cbranch_scc0 .LBB39_1647
; %bb.1645:
	global_load_dwordx2 v[10:11], v[8:9], off
	s_mov_b32 s1, 0
	s_waitcnt vmcnt(0)
	v_cvt_f32_f64_e32 v3, v[10:11]
	v_bfe_u32 v5, v3, 16, 1
	v_cmp_o_f32_e32 vcc_lo, v3, v3
	v_add3_u32 v3, v3, v5, 0x7fff
	v_mov_b32_e32 v5, 0x7fc0
	v_cndmask_b32_sdwa v3, v5, v3, vcc_lo dst_sel:DWORD dst_unused:UNUSED_PAD src0_sel:DWORD src1_sel:WORD_1
	s_branch .LBB39_1648
.LBB39_1646:
	s_mov_b32 s1, -1
                                        ; implicit-def: $vgpr3
	s_branch .LBB39_1651
.LBB39_1647:
	s_mov_b32 s1, -1
                                        ; implicit-def: $vgpr3
.LBB39_1648:
	s_andn2_b32 vcc_lo, exec_lo, s1
	s_cbranch_vccnz .LBB39_1650
; %bb.1649:
	global_load_dword v3, v[8:9], off
	s_waitcnt vmcnt(0)
	v_bfe_u32 v5, v3, 16, 1
	v_cmp_o_f32_e32 vcc_lo, v3, v3
	v_add3_u32 v3, v3, v5, 0x7fff
	v_mov_b32_e32 v5, 0x7fc0
	v_cndmask_b32_sdwa v3, v5, v3, vcc_lo dst_sel:DWORD dst_unused:UNUSED_PAD src0_sel:DWORD src1_sel:WORD_1
.LBB39_1650:
	s_mov_b32 s1, 0
.LBB39_1651:
	s_andn2_b32 vcc_lo, exec_lo, s1
	s_cbranch_vccnz .LBB39_1653
; %bb.1652:
	global_load_ushort v3, v[8:9], off
	s_waitcnt vmcnt(0)
	v_cvt_f32_f16_e32 v5, v3
	v_cmp_o_f16_e32 vcc_lo, v3, v3
	v_bfe_u32 v10, v5, 16, 1
	v_add3_u32 v3, v5, v10, 0x7fff
	v_mov_b32_e32 v5, 0x7fc0
	v_cndmask_b32_sdwa v3, v5, v3, vcc_lo dst_sel:DWORD dst_unused:UNUSED_PAD src0_sel:DWORD src1_sel:WORD_1
.LBB39_1653:
	s_mov_b32 s1, 0
.LBB39_1654:
	s_andn2_b32 vcc_lo, exec_lo, s1
	s_cbranch_vccnz .LBB39_1674
; %bb.1655:
	s_cmp_lt_i32 s0, 2
	s_cbranch_scc1 .LBB39_1659
; %bb.1656:
	s_cmp_lt_i32 s0, 3
	s_cbranch_scc1 .LBB39_1660
; %bb.1657:
	s_cmp_gt_i32 s0, 3
	s_cbranch_scc0 .LBB39_1661
; %bb.1658:
	global_load_dwordx2 v[10:11], v[8:9], off
	s_mov_b32 s1, 0
	s_waitcnt vmcnt(0)
	v_xor_b32_e32 v3, v10, v11
	v_ffbh_i32_e32 v5, v11
	v_ashrrev_i32_e32 v3, 31, v3
	v_add_nc_u32_e32 v5, -1, v5
	v_add_nc_u32_e32 v3, 32, v3
	v_min_u32_e32 v3, v5, v3
	v_lshlrev_b64 v[10:11], v3, v[10:11]
	v_sub_nc_u32_e32 v3, 32, v3
	v_min_u32_e32 v5, 1, v10
	v_or_b32_e32 v5, v11, v5
	v_cvt_f32_i32_e32 v5, v5
	v_ldexp_f32 v3, v5, v3
	v_bfe_u32 v5, v3, 16, 1
	v_add3_u32 v3, v3, v5, 0x7fff
	v_lshrrev_b32_e32 v3, 16, v3
	s_branch .LBB39_1662
.LBB39_1659:
	s_mov_b32 s1, -1
                                        ; implicit-def: $vgpr3
	s_branch .LBB39_1668
.LBB39_1660:
	s_mov_b32 s1, -1
                                        ; implicit-def: $vgpr3
	s_branch .LBB39_1665
.LBB39_1661:
	s_mov_b32 s1, -1
                                        ; implicit-def: $vgpr3
.LBB39_1662:
	s_andn2_b32 vcc_lo, exec_lo, s1
	s_cbranch_vccnz .LBB39_1664
; %bb.1663:
	global_load_dword v3, v[8:9], off
	s_waitcnt vmcnt(0)
	v_cvt_f32_i32_e32 v3, v3
	v_bfe_u32 v5, v3, 16, 1
	v_add3_u32 v3, v3, v5, 0x7fff
	v_lshrrev_b32_e32 v3, 16, v3
.LBB39_1664:
	s_mov_b32 s1, 0
.LBB39_1665:
	s_andn2_b32 vcc_lo, exec_lo, s1
	s_cbranch_vccnz .LBB39_1667
; %bb.1666:
	global_load_sshort v3, v[8:9], off
	s_waitcnt vmcnt(0)
	v_cvt_f32_i32_e32 v3, v3
	v_bfe_u32 v5, v3, 16, 1
	v_add3_u32 v3, v3, v5, 0x7fff
	v_lshrrev_b32_e32 v3, 16, v3
.LBB39_1667:
	s_mov_b32 s1, 0
.LBB39_1668:
	s_andn2_b32 vcc_lo, exec_lo, s1
	s_cbranch_vccnz .LBB39_1674
; %bb.1669:
	s_cmp_gt_i32 s0, 0
	s_mov_b32 s0, 0
	s_cbranch_scc0 .LBB39_1671
; %bb.1670:
	global_load_sbyte v3, v[8:9], off
	s_waitcnt vmcnt(0)
	v_cvt_f32_i32_e32 v3, v3
	v_bfe_u32 v5, v3, 16, 1
	v_add3_u32 v3, v3, v5, 0x7fff
	v_lshrrev_b32_e32 v3, 16, v3
	s_branch .LBB39_1672
.LBB39_1671:
	s_mov_b32 s0, -1
                                        ; implicit-def: $vgpr3
.LBB39_1672:
	s_andn2_b32 vcc_lo, exec_lo, s0
	s_cbranch_vccnz .LBB39_1674
; %bb.1673:
	global_load_ubyte v3, v[8:9], off
	s_waitcnt vmcnt(0)
	v_cvt_f32_ubyte0_e32 v3, v3
	v_bfe_u32 v5, v3, 16, 1
	v_add3_u32 v3, v3, v5, 0x7fff
	v_lshrrev_b32_e32 v3, 16, v3
.LBB39_1674:
.LBB39_1675:
	s_waitcnt vmcnt(0)
	v_lshlrev_b32_e32 v3, 16, v3
                                        ; implicit-def: $vgpr13
	s_mov_b32 s0, exec_lo
	v_cmpx_neq_f32_e32 0, v3
	s_xor_b32 s5, exec_lo, s0
	s_cbranch_execz .LBB39_1697
; %bb.1676:
	v_mov_b32_e32 v5, 0
	s_mov_b32 s0, -1
	s_mov_b32 s6, exec_lo
	v_cmpx_gt_f32_e32 0, v3
	s_cbranch_execz .LBB39_1684
; %bb.1677:
	v_trunc_f32_e32 v5, v3
	s_mov_b32 s1, 0
	v_cmp_neq_f32_e32 vcc_lo, v5, v3
	v_mov_b32_e32 v5, 0
	s_and_saveexec_b32 s7, vcc_lo
	s_cbranch_execz .LBB39_1683
; %bb.1678:
	v_cvt_f64_f32_e32 v[8:9], v3
	s_mov_b32 s1, 0xc00921fb
	s_mov_b32 s0, 0x54442d18
	s_mov_b32 s14, exec_lo
                                        ; implicit-def: $vgpr5
                                        ; implicit-def: $vgpr12_vgpr13
	v_trunc_f64_e32 v[10:11], v[8:9]
	v_cmp_neq_f64_e64 vcc_lo, 0x7ff00000, |v[8:9]|
	v_add_f64 v[10:11], v[8:9], -v[10:11]
	v_mul_f64 v[10:11], |v[10:11]|, s[0:1]
	v_cndmask_b32_e32 v9, 0x80000000, v11, vcc_lo
	v_cndmask_b32_e32 v8, 0, v10, vcc_lo
                                        ; implicit-def: $vgpr10_vgpr11
	v_cmpx_ngt_f64_e64 0x41d00000, |v[8:9]|
	s_xor_b32 s14, exec_lo, s14
	s_cbranch_execz .LBB39_1680
; %bb.1679:
	v_ldexp_f64 v[10:11], |v[8:9]|, 0xffffff80
	v_cmp_le_f64_e64 vcc_lo, 0x7b000000, |v[8:9]|
	v_trig_preop_f64 v[12:13], |v[8:9]|, 0
	v_and_b32_e32 v5, 0x7fffffff, v9
	v_trig_preop_f64 v[15:16], |v[8:9]|, 1
	v_trig_preop_f64 v[25:26], |v[8:9]|, 2
	v_mov_b32_e32 v33, 0
	s_mov_b32 s1, 0x3ff921fb
	s_mov_b32 s16, 0x33145c07
	;; [unrolled: 1-line block ×3, first 2 shown]
	v_cndmask_b32_e32 v11, v5, v11, vcc_lo
	v_cndmask_b32_e32 v10, v8, v10, vcc_lo
	v_mul_f64 v[17:18], v[12:13], v[10:11]
	v_mul_f64 v[19:20], v[15:16], v[10:11]
	;; [unrolled: 1-line block ×3, first 2 shown]
	v_fma_f64 v[12:13], v[12:13], v[10:11], -v[17:18]
	v_fma_f64 v[15:16], v[15:16], v[10:11], -v[19:20]
	;; [unrolled: 1-line block ×3, first 2 shown]
	v_add_f64 v[21:22], v[19:20], v[12:13]
	v_add_f64 v[23:24], v[21:22], -v[19:20]
	v_add_f64 v[29:30], v[17:18], v[21:22]
	v_add_f64 v[27:28], v[21:22], -v[23:24]
	v_add_f64 v[12:13], v[12:13], -v[23:24]
	v_ldexp_f64 v[23:24], v[29:30], -2
	v_add_f64 v[17:18], v[29:30], -v[17:18]
	v_add_f64 v[19:20], v[19:20], -v[27:28]
	v_add_f64 v[27:28], v[31:32], v[15:16]
	v_cmp_neq_f64_e64 vcc_lo, 0x7ff00000, |v[23:24]|
	v_add_f64 v[17:18], v[21:22], -v[17:18]
	v_add_f64 v[12:13], v[12:13], v[19:20]
	v_fract_f64_e32 v[19:20], v[23:24]
	v_add_f64 v[21:22], v[27:28], v[12:13]
	v_ldexp_f64 v[19:20], v[19:20], 2
	v_add_f64 v[23:24], v[17:18], v[21:22]
	v_cndmask_b32_e32 v20, 0, v20, vcc_lo
	v_cndmask_b32_e32 v19, 0, v19, vcc_lo
	v_add_f64 v[29:30], v[23:24], v[19:20]
	v_add_f64 v[17:18], v[23:24], -v[17:18]
	v_cmp_gt_f64_e32 vcc_lo, 0, v[29:30]
	v_add_f64 v[29:30], v[27:28], -v[31:32]
	v_add_f64 v[17:18], v[21:22], -v[17:18]
	v_cndmask_b32_e64 v34, 0, 0x40100000, vcc_lo
	v_add_f64 v[38:39], v[27:28], -v[29:30]
	v_add_f64 v[15:16], v[15:16], -v[29:30]
	v_add_f64 v[19:20], v[19:20], v[33:34]
	v_add_f64 v[34:35], v[21:22], -v[27:28]
	v_add_f64 v[29:30], v[31:32], -v[38:39]
	v_add_f64 v[36:37], v[23:24], v[19:20]
	;; [unrolled: 3-line block ×3, first 2 shown]
	v_cvt_i32_f64_e32 v5, v[36:37]
	v_add_f64 v[27:28], v[27:28], -v[40:41]
	v_cvt_f64_i32_e32 v[34:35], v5
	v_add_f64 v[12:13], v[12:13], v[27:28]
	v_add_f64 v[19:20], v[19:20], -v[34:35]
	v_add_f64 v[12:13], v[15:16], v[12:13]
	v_add_f64 v[15:16], v[23:24], v[19:20]
	;; [unrolled: 1-line block ×3, first 2 shown]
	v_add_f64 v[12:13], v[15:16], -v[19:20]
	v_cmp_le_f64_e32 vcc_lo, 0.5, v[15:16]
	v_add_f64 v[10:11], v[17:18], v[10:11]
	v_add_f64 v[12:13], v[23:24], -v[12:13]
	v_cndmask_b32_e64 v34, 0, 0x3ff00000, vcc_lo
	v_add_co_ci_u32_e64 v5, null, 0, v5, vcc_lo
	v_add_f64 v[10:11], v[10:11], v[12:13]
	v_add_f64 v[12:13], v[15:16], -v[33:34]
	v_add_f64 v[15:16], v[12:13], v[10:11]
	v_mul_f64 v[17:18], v[15:16], s[0:1]
	v_add_f64 v[12:13], v[15:16], -v[12:13]
	v_fma_f64 v[19:20], v[15:16], s[0:1], -v[17:18]
	v_add_f64 v[10:11], v[10:11], -v[12:13]
	v_fma_f64 v[12:13], v[15:16], s[16:17], v[19:20]
	v_fma_f64 v[12:13], v[10:11], s[0:1], v[12:13]
	v_add_f64 v[10:11], v[17:18], v[12:13]
	v_add_f64 v[15:16], v[10:11], -v[17:18]
	v_add_f64 v[12:13], v[12:13], -v[15:16]
.LBB39_1680:
	s_andn2_saveexec_b32 s0, s14
	s_cbranch_execz .LBB39_1682
; %bb.1681:
	s_mov_b32 s14, 0x6dc9c883
	s_mov_b32 s15, 0x3fe45f30
	;; [unrolled: 1-line block ×3, first 2 shown]
	v_mul_f64 v[10:11], |v[8:9]|, s[14:15]
	s_mov_b32 s14, 0x54442d18
	s_mov_b32 s15, 0xbff921fb
	;; [unrolled: 1-line block ×3, first 2 shown]
	v_rndne_f64_e32 v[15:16], v[10:11]
	v_fma_f64 v[10:11], v[15:16], s[14:15], |v[8:9]|
	v_mul_f64 v[12:13], v[15:16], s[16:17]
	s_mov_b32 s14, 0x252049c0
	s_mov_b32 s15, 0xb97b839a
	v_cvt_i32_f64_e32 v5, v[15:16]
	v_fma_f64 v[19:20], v[15:16], s[16:17], v[10:11]
	v_add_f64 v[17:18], v[10:11], v[12:13]
	s_mov_b32 s17, 0x3c91a626
	v_add_f64 v[10:11], v[10:11], -v[17:18]
	v_add_f64 v[17:18], v[17:18], -v[19:20]
	v_add_f64 v[10:11], v[10:11], v[12:13]
	v_fma_f64 v[12:13], v[15:16], s[16:17], v[12:13]
	v_add_f64 v[10:11], v[17:18], v[10:11]
	v_add_f64 v[10:11], v[10:11], -v[12:13]
	v_fma_f64 v[12:13], v[15:16], s[14:15], v[10:11]
	v_add_f64 v[10:11], v[19:20], v[12:13]
	v_add_f64 v[17:18], v[10:11], -v[19:20]
	v_add_f64 v[12:13], v[12:13], -v[17:18]
.LBB39_1682:
	s_or_b32 exec_lo, exec_lo, s0
	v_mul_f64 v[15:16], v[10:11], v[10:11]
	v_add_f64 v[17:18], v[12:13], v[12:13]
	s_mov_b32 s14, 0xa9a29f71
	s_mov_b32 s16, 0xc751c08c
	;; [unrolled: 1-line block ×4, first 2 shown]
	v_cmp_class_f64_e64 s0, v[8:9], 0x1f8
	v_and_b32_e32 v5, 1, v5
	v_and_b32_e32 v9, 0x80000000, v9
	v_sub_f32_e32 v3, 1.0, v3
	s_mov_b32 s1, exec_lo
	v_cmp_eq_u32_e32 vcc_lo, 0, v5
	v_fma_f64 v[19:20], v[10:11], v[10:11], -v[15:16]
	v_fma_f64 v[17:18], v[10:11], v[17:18], v[19:20]
	v_add_f64 v[15:16], v[15:16], v[17:18]
	v_fma_f64 v[17:18], v[15:16], s[16:17], s[14:15]
	s_mov_b32 s14, 0x90a8aae0
	s_mov_b32 s15, 0x3f17746f
	v_fma_f64 v[17:18], v[15:16], v[17:18], s[14:15]
	s_mov_b32 s14, 0xa6fbf144
	s_mov_b32 s15, 0xbefbb44d
	;; [unrolled: 3-line block ×13, first 2 shown]
	v_mul_f64 v[15:16], v[15:16], v[17:18]
	v_mul_f64 v[17:18], v[10:11], v[15:16]
	v_add_f64 v[19:20], v[10:11], v[17:18]
	v_fma_f64 v[15:16], v[10:11], v[15:16], -v[17:18]
	v_add_f64 v[10:11], v[19:20], -v[10:11]
	v_add_f64 v[12:13], v[12:13], v[15:16]
	v_add_f64 v[10:11], v[17:18], -v[10:11]
	v_add_f64 v[10:11], v[12:13], v[10:11]
	v_add_f64 v[12:13], v[19:20], v[10:11]
	v_rcp_f64_e32 v[15:16], v[12:13]
	v_fma_f64 v[17:18], -v[12:13], v[15:16], 1.0
	v_fma_f64 v[15:16], v[17:18], v[15:16], v[15:16]
	v_fma_f64 v[17:18], -v[12:13], v[15:16], 1.0
	v_fma_f64 v[15:16], v[17:18], v[15:16], v[15:16]
	v_add_f64 v[17:18], v[12:13], -v[19:20]
	v_mul_f64 v[19:20], v[12:13], v[15:16]
	v_add_f64 v[10:11], v[10:11], -v[17:18]
	v_fma_f64 v[17:18], v[15:16], v[12:13], -v[19:20]
	v_fma_f64 v[10:11], v[15:16], v[10:11], v[17:18]
	v_add_f64 v[17:18], v[19:20], v[10:11]
	v_add_f64 v[21:22], -v[17:18], 1.0
	v_add_f64 v[19:20], v[17:18], -v[19:20]
	v_add_f64 v[23:24], -v[21:22], 1.0
	v_add_f64 v[10:11], v[19:20], -v[10:11]
	v_add_f64 v[17:18], v[23:24], -v[17:18]
	v_add_f64 v[10:11], v[10:11], v[17:18]
	v_add_f64 v[10:11], v[21:22], v[10:11]
	v_mul_f64 v[10:11], v[15:16], v[10:11]
	v_add_f64 v[10:11], v[15:16], v[10:11]
	v_xor_b32_e32 v8, 0x80000000, v11
	v_cndmask_b32_e32 v5, v10, v12, vcc_lo
	v_cndmask_b32_e32 v8, v8, v13, vcc_lo
	v_xor_b32_e32 v9, v8, v9
	v_cndmask_b32_e64 v8, 0, v5, s0
	v_cndmask_b32_e64 v9, 0x7ff80000, v9, s0
	v_div_scale_f64 v[10:11], null, v[8:9], v[8:9], s[14:15]
	v_rcp_f64_e32 v[12:13], v[10:11]
	v_fma_f64 v[15:16], -v[10:11], v[12:13], 1.0
	v_fma_f64 v[12:13], v[12:13], v[15:16], v[12:13]
	v_fma_f64 v[15:16], -v[10:11], v[12:13], 1.0
	v_fma_f64 v[12:13], v[12:13], v[15:16], v[12:13]
	v_div_scale_f64 v[15:16], vcc_lo, s[14:15], v[8:9], s[14:15]
	v_mul_f64 v[17:18], v[15:16], v[12:13]
	v_fma_f64 v[10:11], -v[10:11], v[17:18], v[15:16]
	v_div_fmas_f64 v[10:11], v[10:11], v[12:13], v[17:18]
	v_div_fixup_f64 v[8:9], v[10:11], v[8:9], s[14:15]
	v_cvt_f32_f64_e32 v5, v[8:9]
.LBB39_1683:
	s_or_b32 exec_lo, exec_lo, s7
	s_orn2_b32 s0, s1, exec_lo
.LBB39_1684:
	s_or_b32 exec_lo, exec_lo, s6
	v_mov_b32_e32 v13, 0x7fc0
	s_and_saveexec_b32 s1, s0
	s_cbranch_execz .LBB39_1696
; %bb.1685:
	s_mov_b32 s0, exec_lo
	v_cmpx_gt_f32_e32 0x41200000, v3
	s_cbranch_execz .LBB39_1689
; %bb.1686:
	s_mov_b32 s6, 0
	.p2align	6
.LBB39_1687:                            ; =>This Inner Loop Header: Depth=1
	v_div_scale_f32 v8, null, v3, v3, 1.0
	v_div_scale_f32 v11, vcc_lo, 1.0, v3, 1.0
	v_rcp_f32_e32 v9, v8
	v_fma_f32 v10, -v8, v9, 1.0
	v_fmac_f32_e32 v9, v10, v9
	v_mul_f32_e32 v10, v11, v9
	v_fma_f32 v12, -v8, v10, v11
	v_fmac_f32_e32 v10, v12, v9
	v_fma_f32 v8, -v8, v10, v11
	v_div_fmas_f32 v8, v8, v9, v10
	v_div_fixup_f32 v8, v8, v3, 1.0
	v_add_f32_e32 v3, 1.0, v3
	v_sub_f32_e32 v5, v5, v8
	v_cmp_ngt_f32_e32 vcc_lo, 0x41200000, v3
	s_or_b32 s6, vcc_lo, s6
	s_andn2_b32 exec_lo, exec_lo, s6
	s_cbranch_execnz .LBB39_1687
; %bb.1688:
	s_or_b32 exec_lo, exec_lo, s6
.LBB39_1689:
	s_or_b32 exec_lo, exec_lo, s0
                                        ; implicit-def: $vgpr13
	s_mov_b32 s0, exec_lo
	v_cmpx_neq_f32_e32 0x41200000, v3
	s_xor_b32 s6, exec_lo, s0
	s_cbranch_execz .LBB39_1693
; %bb.1690:
	v_cvt_f64_f32_e32 v[8:9], v3
	s_mov_b32 s14, 0x85d8a000
	s_mov_b32 s15, 0x43763457
	v_cmp_gt_f64_e32 vcc_lo, s[14:15], v[8:9]
	v_mov_b32_e32 v8, 0
	s_and_saveexec_b32 s0, vcc_lo
	s_cbranch_execz .LBB39_1692
; %bb.1691:
	v_mul_f32_e32 v8, v3, v3
	v_div_scale_f32 v9, null, v8, v8, 1.0
	v_rcp_f32_e32 v10, v9
	v_fma_f32 v11, -v9, v10, 1.0
	v_fmac_f32_e32 v10, v11, v10
	v_div_scale_f32 v11, vcc_lo, 1.0, v8, 1.0
	v_mul_f32_e32 v12, v11, v10
	v_fma_f32 v13, -v9, v12, v11
	v_fmac_f32_e32 v12, v13, v10
	v_fma_f32 v9, -v9, v12, v11
	v_div_fmas_f32 v9, v9, v10, v12
	v_div_fixup_f32 v8, v9, v8, 1.0
	v_fmaak_f32 v9, 0, v8, 0x3daaaaab
	v_fmaak_f32 v9, v8, v9, 0xbcaccacd
	v_fmaak_f32 v9, v8, v9, 0x3bf83e10
	v_fmaak_f32 v9, v8, v9, 0xbb888889
	v_fmaak_f32 v9, v8, v9, 0x3b820821
	v_fmaak_f32 v9, v8, v9, 0xbc088889
	v_fmaak_f32 v9, v8, v9, 0x3daaaaab
	v_mul_f32_e32 v8, v8, v9
.LBB39_1692:
	s_or_b32 exec_lo, exec_lo, s0
	v_cmp_gt_f32_e32 vcc_lo, 0x800000, v3
	v_div_scale_f32 v9, null, v3, v3, -0.5
	v_div_scale_f32 v13, s0, -0.5, v3, -0.5
	v_cndmask_b32_e64 v10, 0, 32, vcc_lo
	v_rcp_f32_e32 v11, v9
	v_ldexp_f32 v10, v3, v10
	v_log_f32_e32 v10, v10
	v_fma_f32 v12, -v9, v11, 1.0
	v_fmac_f32_e32 v11, v12, v11
	v_mul_f32_e32 v12, 0x3f317217, v10
	v_mul_f32_e32 v15, v13, v11
	v_fma_f32 v12, 0x3f317217, v10, -v12
	v_fma_f32 v16, -v9, v15, v13
	v_fmamk_f32 v12, v10, 0x3377d1cf, v12
	v_fmac_f32_e32 v15, v16, v11
	v_cndmask_b32_e64 v16, 0, 0x41b17218, vcc_lo
	v_cmp_gt_f32_e64 vcc_lo, 0x7f800000, |v10|
	v_fmac_f32_e32 v12, 0x3f317217, v10
	v_fma_f32 v9, -v9, v15, v13
	v_cndmask_b32_e32 v10, v10, v12, vcc_lo
	s_mov_b32 vcc_lo, s0
	v_div_fmas_f32 v9, v9, v11, v15
	v_sub_f32_e32 v10, v10, v16
	v_div_fixup_f32 v3, v9, v3, -0.5
	v_add_f32_e32 v3, v10, v3
	v_sub_f32_e32 v3, v3, v8
	v_add_f32_e32 v3, v5, v3
	v_bfe_u32 v5, v3, 16, 1
	v_cmp_o_f32_e32 vcc_lo, v3, v3
	v_add3_u32 v3, v3, v5, 0x7fff
	v_mov_b32_e32 v5, 0x7fc0
	v_cndmask_b32_sdwa v13, v5, v3, vcc_lo dst_sel:DWORD dst_unused:UNUSED_PAD src0_sel:DWORD src1_sel:WORD_1
                                        ; implicit-def: $vgpr5
.LBB39_1693:
	s_andn2_saveexec_b32 s0, s6
; %bb.1694:
	v_add_f32_e32 v3, 0x40101cb7, v5
	v_bfe_u32 v5, v3, 16, 1
	v_cmp_o_f32_e32 vcc_lo, v3, v3
	v_add3_u32 v3, v3, v5, 0x7fff
	v_mov_b32_e32 v5, 0x7fc0
	v_cndmask_b32_sdwa v13, v5, v3, vcc_lo dst_sel:DWORD dst_unused:UNUSED_PAD src0_sel:DWORD src1_sel:WORD_1
; %bb.1695:
	s_or_b32 exec_lo, exec_lo, s0
.LBB39_1696:
	s_or_b32 exec_lo, exec_lo, s1
                                        ; implicit-def: $vgpr3
.LBB39_1697:
	s_andn2_saveexec_b32 s0, s5
; %bb.1698:
	v_xor_b32_e32 v3, 0x80000000, v3
	s_mov_b32 s1, 0x7f800000
	v_and_or_b32 v3, 0x80000000, v3, s1
	v_lshrrev_b32_e32 v13, 16, v3
; %bb.1699:
	s_or_b32 exec_lo, exec_lo, s0
	v_add_co_u32 v7, s0, s10, v7
	v_add_co_ci_u32_e64 v8, null, s11, 0, s0
	s_cmp_lt_i32 s4, 11
	s_cbranch_scc1 .LBB39_1706
; %bb.1700:
	s_and_b32 s0, 0xffff, s4
	s_mov_b32 s5, 0
	s_cmp_gt_i32 s0, 25
	s_cbranch_scc0 .LBB39_1707
; %bb.1701:
	s_cmp_gt_i32 s0, 28
	s_cbranch_scc0 .LBB39_1708
; %bb.1702:
	;; [unrolled: 3-line block ×4, first 2 shown]
	s_cmp_eq_u32 s0, 46
	s_mov_b32 s7, 0
	s_cbranch_scc0 .LBB39_1712
; %bb.1705:
	global_load_dword v3, v[7:8], off
	s_mov_b32 s1, 0
	s_mov_b32 s6, -1
	s_branch .LBB39_1714
.LBB39_1706:
	s_mov_b32 s0, -1
	s_mov_b32 s6, 0
                                        ; implicit-def: $vgpr3
	s_branch .LBB39_1780
.LBB39_1707:
	s_mov_b32 s7, -1
	s_mov_b32 s6, 0
	s_mov_b32 s1, 0
                                        ; implicit-def: $vgpr3
	s_branch .LBB39_1743
.LBB39_1708:
	s_mov_b32 s7, -1
	s_mov_b32 s6, 0
	s_mov_b32 s1, 0
                                        ; implicit-def: $vgpr3
	s_branch .LBB39_1724
.LBB39_1709:
	s_mov_b32 s7, -1
	s_mov_b32 s6, 0
	s_mov_b32 s1, 0
                                        ; implicit-def: $vgpr3
	s_branch .LBB39_1719
.LBB39_1710:
	s_or_b32 s2, s2, exec_lo
	s_trap 2
	s_cbranch_execz .LBB39_1625
	s_branch .LBB39_1626
.LBB39_1711:
	s_mov_b32 s7, -1
	s_mov_b32 s6, 0
	s_mov_b32 s1, 0
	s_branch .LBB39_1713
.LBB39_1712:
	s_mov_b32 s1, -1
	s_mov_b32 s6, 0
.LBB39_1713:
                                        ; implicit-def: $vgpr3
.LBB39_1714:
	s_and_b32 vcc_lo, exec_lo, s7
	s_cbranch_vccz .LBB39_1718
; %bb.1715:
	s_cmp_eq_u32 s0, 44
	s_cbranch_scc0 .LBB39_1717
; %bb.1716:
	global_load_ubyte v3, v[7:8], off
	s_mov_b32 s1, 0
	s_mov_b32 s6, -1
	s_waitcnt vmcnt(0)
	v_lshlrev_b32_e32 v5, 23, v3
	v_cmp_ne_u32_e32 vcc_lo, 0xff, v3
	v_cndmask_b32_e32 v5, 0x7f800001, v5, vcc_lo
	v_cmp_ne_u32_e32 vcc_lo, 0, v3
	v_cndmask_b32_e32 v3, 0x400000, v5, vcc_lo
	v_mov_b32_e32 v5, 0x7fc0
	v_cmp_o_f32_e32 vcc_lo, v3, v3
	v_add_nc_u32_e32 v3, 0x7fff, v3
	v_cndmask_b32_sdwa v3, v5, v3, vcc_lo dst_sel:DWORD dst_unused:UNUSED_PAD src0_sel:DWORD src1_sel:WORD_1
	s_branch .LBB39_1718
.LBB39_1717:
	s_mov_b32 s1, -1
                                        ; implicit-def: $vgpr3
.LBB39_1718:
	s_mov_b32 s7, 0
.LBB39_1719:
	s_and_b32 vcc_lo, exec_lo, s7
	s_cbranch_vccz .LBB39_1723
; %bb.1720:
	s_cmp_eq_u32 s0, 29
	s_cbranch_scc0 .LBB39_1722
; %bb.1721:
	global_load_dwordx2 v[9:10], v[7:8], off
	s_mov_b32 s1, 0
	s_mov_b32 s6, -1
	s_mov_b32 s7, 0
	s_waitcnt vmcnt(0)
	v_ffbh_u32_e32 v3, v10
	v_min_u32_e32 v3, 32, v3
	v_lshlrev_b64 v[9:10], v3, v[9:10]
	v_sub_nc_u32_e32 v3, 32, v3
	v_min_u32_e32 v5, 1, v9
	v_or_b32_e32 v5, v10, v5
	v_cvt_f32_u32_e32 v5, v5
	v_ldexp_f32 v3, v5, v3
	v_bfe_u32 v5, v3, 16, 1
	v_add3_u32 v3, v3, v5, 0x7fff
	v_lshrrev_b32_e32 v3, 16, v3
	s_branch .LBB39_1724
.LBB39_1722:
	s_mov_b32 s1, -1
                                        ; implicit-def: $vgpr3
.LBB39_1723:
	s_mov_b32 s7, 0
.LBB39_1724:
	s_and_b32 vcc_lo, exec_lo, s7
	s_cbranch_vccz .LBB39_1742
; %bb.1725:
	s_cmp_lt_i32 s0, 27
	s_cbranch_scc1 .LBB39_1728
; %bb.1726:
	s_cmp_gt_i32 s0, 27
	s_cbranch_scc0 .LBB39_1729
; %bb.1727:
	global_load_dword v3, v[7:8], off
	s_mov_b32 s6, 0
	s_waitcnt vmcnt(0)
	v_cvt_f32_u32_e32 v3, v3
	v_bfe_u32 v5, v3, 16, 1
	v_add3_u32 v3, v3, v5, 0x7fff
	v_lshrrev_b32_e32 v3, 16, v3
	s_branch .LBB39_1730
.LBB39_1728:
	s_mov_b32 s6, -1
                                        ; implicit-def: $vgpr3
	s_branch .LBB39_1733
.LBB39_1729:
	s_mov_b32 s6, -1
                                        ; implicit-def: $vgpr3
.LBB39_1730:
	s_andn2_b32 vcc_lo, exec_lo, s6
	s_cbranch_vccnz .LBB39_1732
; %bb.1731:
	global_load_ushort v3, v[7:8], off
	s_waitcnt vmcnt(0)
	v_cvt_f32_u32_e32 v3, v3
	v_bfe_u32 v5, v3, 16, 1
	v_add3_u32 v3, v3, v5, 0x7fff
	v_lshrrev_b32_e32 v3, 16, v3
.LBB39_1732:
	s_mov_b32 s6, 0
.LBB39_1733:
	s_andn2_b32 vcc_lo, exec_lo, s6
	s_cbranch_vccnz .LBB39_1741
; %bb.1734:
	global_load_ubyte v3, v[7:8], off
	s_mov_b32 s6, 0
	s_mov_b32 s7, exec_lo
	s_waitcnt vmcnt(0)
	v_cmpx_lt_i16_e32 0x7f, v3
	s_xor_b32 s7, exec_lo, s7
	s_cbranch_execz .LBB39_1755
; %bb.1735:
	s_mov_b32 s6, -1
	s_mov_b32 s10, exec_lo
	v_cmpx_eq_u16_e32 0x80, v3
; %bb.1736:
	s_xor_b32 s6, exec_lo, -1
; %bb.1737:
	s_or_b32 exec_lo, exec_lo, s10
	s_and_b32 s6, s6, exec_lo
	s_or_saveexec_b32 s7, s7
	v_mov_b32_e32 v5, 0x7f800001
	s_xor_b32 exec_lo, exec_lo, s7
	s_cbranch_execnz .LBB39_1756
.LBB39_1738:
	s_or_b32 exec_lo, exec_lo, s7
	s_and_saveexec_b32 s7, s6
	s_cbranch_execz .LBB39_1740
.LBB39_1739:
	v_and_b32_e32 v5, 0xffff, v3
	v_lshlrev_b32_e32 v3, 24, v3
	v_and_b32_e32 v9, 7, v5
	v_bfe_u32 v12, v5, 3, 4
	v_and_b32_e32 v3, 0x80000000, v3
	v_ffbh_u32_e32 v10, v9
	v_cmp_eq_u32_e32 vcc_lo, 0, v12
	v_min_u32_e32 v10, 32, v10
	v_subrev_nc_u32_e32 v11, 28, v10
	v_sub_nc_u32_e32 v10, 29, v10
	v_lshlrev_b32_e32 v5, v11, v5
	v_cndmask_b32_e32 v10, v12, v10, vcc_lo
	v_and_b32_e32 v5, 7, v5
	v_cndmask_b32_e32 v5, v9, v5, vcc_lo
	v_lshl_add_u32 v9, v10, 23, 0x3b800000
	v_lshlrev_b32_e32 v5, 20, v5
	v_or3_b32 v5, v3, v9, v5
.LBB39_1740:
	s_or_b32 exec_lo, exec_lo, s7
	v_bfe_u32 v3, v5, 16, 1
	v_cmp_o_f32_e32 vcc_lo, v5, v5
	v_add3_u32 v3, v5, v3, 0x7fff
	v_mov_b32_e32 v5, 0x7fc0
	v_cndmask_b32_sdwa v3, v5, v3, vcc_lo dst_sel:DWORD dst_unused:UNUSED_PAD src0_sel:DWORD src1_sel:WORD_1
.LBB39_1741:
	s_mov_b32 s6, -1
.LBB39_1742:
	s_mov_b32 s7, 0
.LBB39_1743:
	s_and_b32 vcc_lo, exec_lo, s7
	s_cbranch_vccz .LBB39_1776
; %bb.1744:
	s_cmp_gt_i32 s0, 22
	s_cbranch_scc0 .LBB39_1754
; %bb.1745:
	s_cmp_lt_i32 s0, 24
	s_cbranch_scc1 .LBB39_1757
; %bb.1746:
	s_cmp_gt_i32 s0, 24
	s_cbranch_scc0 .LBB39_1758
; %bb.1747:
	global_load_ubyte v3, v[7:8], off
	s_mov_b32 s6, exec_lo
	s_waitcnt vmcnt(0)
	v_cmpx_lt_i16_e32 0x7f, v3
	s_xor_b32 s6, exec_lo, s6
	s_cbranch_execz .LBB39_1770
; %bb.1748:
	s_mov_b32 s5, -1
	s_mov_b32 s7, exec_lo
	v_cmpx_eq_u16_e32 0x80, v3
; %bb.1749:
	s_xor_b32 s5, exec_lo, -1
; %bb.1750:
	s_or_b32 exec_lo, exec_lo, s7
	s_and_b32 s5, s5, exec_lo
	s_or_saveexec_b32 s6, s6
	v_mov_b32_e32 v5, 0x7f800001
	s_xor_b32 exec_lo, exec_lo, s6
	s_cbranch_execnz .LBB39_1771
.LBB39_1751:
	s_or_b32 exec_lo, exec_lo, s6
	s_and_saveexec_b32 s6, s5
	s_cbranch_execz .LBB39_1753
.LBB39_1752:
	v_and_b32_e32 v5, 0xffff, v3
	v_lshlrev_b32_e32 v3, 24, v3
	v_and_b32_e32 v9, 3, v5
	v_bfe_u32 v12, v5, 2, 5
	v_and_b32_e32 v3, 0x80000000, v3
	v_ffbh_u32_e32 v10, v9
	v_cmp_eq_u32_e32 vcc_lo, 0, v12
	v_min_u32_e32 v10, 32, v10
	v_subrev_nc_u32_e32 v11, 29, v10
	v_sub_nc_u32_e32 v10, 30, v10
	v_lshlrev_b32_e32 v5, v11, v5
	v_cndmask_b32_e32 v10, v12, v10, vcc_lo
	v_and_b32_e32 v5, 3, v5
	v_cndmask_b32_e32 v5, v9, v5, vcc_lo
	v_lshl_add_u32 v9, v10, 23, 0x37800000
	v_lshlrev_b32_e32 v5, 21, v5
	v_or3_b32 v5, v3, v9, v5
.LBB39_1753:
	s_or_b32 exec_lo, exec_lo, s6
	v_bfe_u32 v3, v5, 16, 1
	v_cmp_o_f32_e32 vcc_lo, v5, v5
	s_mov_b32 s5, 0
	v_add3_u32 v3, v5, v3, 0x7fff
	v_mov_b32_e32 v5, 0x7fc0
	v_cndmask_b32_sdwa v3, v5, v3, vcc_lo dst_sel:DWORD dst_unused:UNUSED_PAD src0_sel:DWORD src1_sel:WORD_1
	s_branch .LBB39_1759
.LBB39_1754:
	s_mov_b32 s5, -1
                                        ; implicit-def: $vgpr3
	s_branch .LBB39_1765
.LBB39_1755:
	s_or_saveexec_b32 s7, s7
	v_mov_b32_e32 v5, 0x7f800001
	s_xor_b32 exec_lo, exec_lo, s7
	s_cbranch_execz .LBB39_1738
.LBB39_1756:
	v_cmp_ne_u16_e32 vcc_lo, 0, v3
	v_mov_b32_e32 v5, 0
	s_andn2_b32 s6, s6, exec_lo
	s_and_b32 s10, vcc_lo, exec_lo
	s_or_b32 s6, s6, s10
	s_or_b32 exec_lo, exec_lo, s7
	s_and_saveexec_b32 s7, s6
	s_cbranch_execnz .LBB39_1739
	s_branch .LBB39_1740
.LBB39_1757:
	s_mov_b32 s5, -1
                                        ; implicit-def: $vgpr3
	s_branch .LBB39_1762
.LBB39_1758:
	s_mov_b32 s5, -1
                                        ; implicit-def: $vgpr3
.LBB39_1759:
	s_and_b32 vcc_lo, exec_lo, s5
	s_cbranch_vccz .LBB39_1761
; %bb.1760:
	global_load_ubyte v3, v[7:8], off
	s_waitcnt vmcnt(0)
	v_lshlrev_b32_e32 v3, 24, v3
	v_and_b32_e32 v5, 0x7f000000, v3
	v_ffbh_u32_e32 v9, v5
	v_add_nc_u32_e32 v11, 0x1000000, v5
	v_cmp_ne_u32_e32 vcc_lo, 0, v5
	v_min_u32_e32 v9, 32, v9
	v_sub_nc_u32_e64 v9, v9, 4 clamp
	v_lshlrev_b32_e32 v10, v9, v5
	v_lshlrev_b32_e32 v9, 23, v9
	v_lshrrev_b32_e32 v10, 4, v10
	v_sub_nc_u32_e32 v9, v10, v9
	v_ashrrev_i32_e32 v10, 8, v11
	v_add_nc_u32_e32 v9, 0x3c000000, v9
	v_and_or_b32 v9, 0x7f800000, v10, v9
	v_cndmask_b32_e32 v5, 0, v9, vcc_lo
	v_and_or_b32 v3, 0x80000000, v3, v5
	v_bfe_u32 v5, v5, 16, 1
	v_cmp_o_f32_e32 vcc_lo, v3, v3
	v_add3_u32 v3, v3, v5, 0x7fff
	v_mov_b32_e32 v5, 0x7fc0
	v_cndmask_b32_sdwa v3, v5, v3, vcc_lo dst_sel:DWORD dst_unused:UNUSED_PAD src0_sel:DWORD src1_sel:WORD_1
.LBB39_1761:
	s_mov_b32 s5, 0
.LBB39_1762:
	s_andn2_b32 vcc_lo, exec_lo, s5
	s_cbranch_vccnz .LBB39_1764
; %bb.1763:
	global_load_ubyte v3, v[7:8], off
	s_waitcnt vmcnt(0)
	v_lshlrev_b32_e32 v5, 25, v3
	v_lshlrev_b16 v3, 8, v3
	v_lshrrev_b32_e32 v9, 4, v5
	v_and_or_b32 v10, 0x7f00, v3, 0.5
	v_cmp_gt_u32_e32 vcc_lo, 0x8000000, v5
	v_bfe_i32 v3, v3, 0, 16
	v_or_b32_e32 v9, 0x70000000, v9
	v_add_f32_e32 v10, -0.5, v10
	v_mul_f32_e32 v9, 0x7800000, v9
	v_cndmask_b32_e32 v5, v9, v10, vcc_lo
	v_and_or_b32 v3, 0x80000000, v3, v5
	v_bfe_u32 v5, v5, 16, 1
	v_cmp_o_f32_e32 vcc_lo, v3, v3
	v_add3_u32 v3, v3, v5, 0x7fff
	v_mov_b32_e32 v5, 0x7fc0
	v_cndmask_b32_sdwa v3, v5, v3, vcc_lo dst_sel:DWORD dst_unused:UNUSED_PAD src0_sel:DWORD src1_sel:WORD_1
.LBB39_1764:
	s_mov_b32 s5, 0
	s_mov_b32 s6, -1
.LBB39_1765:
	s_andn2_b32 vcc_lo, exec_lo, s5
	s_mov_b32 s5, 0
	s_cbranch_vccnz .LBB39_1776
; %bb.1766:
	s_cmp_gt_i32 s0, 14
	s_cbranch_scc0 .LBB39_1769
; %bb.1767:
	s_cmp_eq_u32 s0, 15
	s_cbranch_scc0 .LBB39_1772
; %bb.1768:
	global_load_ushort v3, v[7:8], off
	s_mov_b32 s1, 0
	s_mov_b32 s6, -1
	s_branch .LBB39_1774
.LBB39_1769:
	s_mov_b32 s5, -1
	s_branch .LBB39_1773
.LBB39_1770:
	s_or_saveexec_b32 s6, s6
	v_mov_b32_e32 v5, 0x7f800001
	s_xor_b32 exec_lo, exec_lo, s6
	s_cbranch_execz .LBB39_1751
.LBB39_1771:
	v_cmp_ne_u16_e32 vcc_lo, 0, v3
	v_mov_b32_e32 v5, 0
	s_andn2_b32 s5, s5, exec_lo
	s_and_b32 s7, vcc_lo, exec_lo
	s_or_b32 s5, s5, s7
	s_or_b32 exec_lo, exec_lo, s6
	s_and_saveexec_b32 s6, s5
	s_cbranch_execnz .LBB39_1752
	s_branch .LBB39_1753
.LBB39_1772:
	s_mov_b32 s1, -1
.LBB39_1773:
                                        ; implicit-def: $vgpr3
.LBB39_1774:
	s_and_b32 vcc_lo, exec_lo, s5
	s_mov_b32 s5, 0
	s_cbranch_vccz .LBB39_1776
; %bb.1775:
	s_cmp_lg_u32 s0, 11
	s_mov_b32 s5, -1
	s_cselect_b32 s1, -1, 0
.LBB39_1776:
	s_and_b32 vcc_lo, exec_lo, s1
	s_cbranch_vccnz .LBB39_2334
; %bb.1777:
	s_andn2_b32 vcc_lo, exec_lo, s5
	s_cbranch_vccnz .LBB39_1779
.LBB39_1778:
	global_load_ubyte v3, v[7:8], off
	s_mov_b32 s6, -1
	s_waitcnt vmcnt(0)
	v_cmp_ne_u16_e32 vcc_lo, 0, v3
	v_cndmask_b32_e64 v3, 0, 1.0, vcc_lo
	v_lshrrev_b32_e32 v3, 16, v3
.LBB39_1779:
	s_mov_b32 s0, 0
.LBB39_1780:
	s_and_b32 vcc_lo, exec_lo, s0
	s_cbranch_vccz .LBB39_1829
; %bb.1781:
	s_and_b32 s0, 0xffff, s4
	s_cmp_lt_i32 s0, 5
	s_cbranch_scc1 .LBB39_1786
; %bb.1782:
	s_cmp_lt_i32 s0, 8
	s_cbranch_scc1 .LBB39_1787
; %bb.1783:
	;; [unrolled: 3-line block ×3, first 2 shown]
	s_cmp_gt_i32 s0, 9
	s_cbranch_scc0 .LBB39_1789
; %bb.1785:
	global_load_dwordx2 v[9:10], v[7:8], off
	s_mov_b32 s1, 0
	s_waitcnt vmcnt(0)
	v_cvt_f32_f64_e32 v3, v[9:10]
	v_bfe_u32 v5, v3, 16, 1
	v_cmp_o_f32_e32 vcc_lo, v3, v3
	v_add3_u32 v3, v3, v5, 0x7fff
	v_mov_b32_e32 v5, 0x7fc0
	v_cndmask_b32_sdwa v3, v5, v3, vcc_lo dst_sel:DWORD dst_unused:UNUSED_PAD src0_sel:DWORD src1_sel:WORD_1
	s_branch .LBB39_1790
.LBB39_1786:
	s_mov_b32 s1, -1
                                        ; implicit-def: $vgpr3
	s_branch .LBB39_1808
.LBB39_1787:
	s_mov_b32 s1, -1
                                        ; implicit-def: $vgpr3
	s_branch .LBB39_1796
.LBB39_1788:
	s_mov_b32 s1, -1
                                        ; implicit-def: $vgpr3
	s_branch .LBB39_1793
.LBB39_1789:
	s_mov_b32 s1, -1
                                        ; implicit-def: $vgpr3
.LBB39_1790:
	s_andn2_b32 vcc_lo, exec_lo, s1
	s_cbranch_vccnz .LBB39_1792
; %bb.1791:
	global_load_dword v3, v[7:8], off
	s_waitcnt vmcnt(0)
	v_bfe_u32 v5, v3, 16, 1
	v_cmp_o_f32_e32 vcc_lo, v3, v3
	v_add3_u32 v3, v3, v5, 0x7fff
	v_mov_b32_e32 v5, 0x7fc0
	v_cndmask_b32_sdwa v3, v5, v3, vcc_lo dst_sel:DWORD dst_unused:UNUSED_PAD src0_sel:DWORD src1_sel:WORD_1
.LBB39_1792:
	s_mov_b32 s1, 0
.LBB39_1793:
	s_andn2_b32 vcc_lo, exec_lo, s1
	s_cbranch_vccnz .LBB39_1795
; %bb.1794:
	global_load_dword v3, v[7:8], off
	s_waitcnt vmcnt(0)
	v_cvt_f32_f16_e32 v5, v3
	v_cmp_o_f16_e32 vcc_lo, v3, v3
	v_bfe_u32 v9, v5, 16, 1
	v_add3_u32 v3, v5, v9, 0x7fff
	v_mov_b32_e32 v5, 0x7fc0
	v_cndmask_b32_sdwa v3, v5, v3, vcc_lo dst_sel:DWORD dst_unused:UNUSED_PAD src0_sel:DWORD src1_sel:WORD_1
.LBB39_1795:
	s_mov_b32 s1, 0
.LBB39_1796:
	s_andn2_b32 vcc_lo, exec_lo, s1
	s_cbranch_vccnz .LBB39_1807
; %bb.1797:
	s_cmp_lt_i32 s0, 6
	s_cbranch_scc1 .LBB39_1800
; %bb.1798:
	s_cmp_gt_i32 s0, 6
	s_cbranch_scc0 .LBB39_1801
; %bb.1799:
	global_load_dwordx2 v[9:10], v[7:8], off
	s_mov_b32 s1, 0
	s_waitcnt vmcnt(0)
	v_cvt_f32_f64_e32 v3, v[9:10]
	v_bfe_u32 v5, v3, 16, 1
	v_cmp_o_f32_e32 vcc_lo, v3, v3
	v_add3_u32 v3, v3, v5, 0x7fff
	v_mov_b32_e32 v5, 0x7fc0
	v_cndmask_b32_sdwa v3, v5, v3, vcc_lo dst_sel:DWORD dst_unused:UNUSED_PAD src0_sel:DWORD src1_sel:WORD_1
	s_branch .LBB39_1802
.LBB39_1800:
	s_mov_b32 s1, -1
                                        ; implicit-def: $vgpr3
	s_branch .LBB39_1805
.LBB39_1801:
	s_mov_b32 s1, -1
                                        ; implicit-def: $vgpr3
.LBB39_1802:
	s_andn2_b32 vcc_lo, exec_lo, s1
	s_cbranch_vccnz .LBB39_1804
; %bb.1803:
	global_load_dword v3, v[7:8], off
	s_waitcnt vmcnt(0)
	v_bfe_u32 v5, v3, 16, 1
	v_cmp_o_f32_e32 vcc_lo, v3, v3
	v_add3_u32 v3, v3, v5, 0x7fff
	v_mov_b32_e32 v5, 0x7fc0
	v_cndmask_b32_sdwa v3, v5, v3, vcc_lo dst_sel:DWORD dst_unused:UNUSED_PAD src0_sel:DWORD src1_sel:WORD_1
.LBB39_1804:
	s_mov_b32 s1, 0
.LBB39_1805:
	s_andn2_b32 vcc_lo, exec_lo, s1
	s_cbranch_vccnz .LBB39_1807
; %bb.1806:
	global_load_ushort v3, v[7:8], off
	s_waitcnt vmcnt(0)
	v_cvt_f32_f16_e32 v5, v3
	v_cmp_o_f16_e32 vcc_lo, v3, v3
	v_bfe_u32 v9, v5, 16, 1
	v_add3_u32 v3, v5, v9, 0x7fff
	v_mov_b32_e32 v5, 0x7fc0
	v_cndmask_b32_sdwa v3, v5, v3, vcc_lo dst_sel:DWORD dst_unused:UNUSED_PAD src0_sel:DWORD src1_sel:WORD_1
.LBB39_1807:
	s_mov_b32 s1, 0
.LBB39_1808:
	s_andn2_b32 vcc_lo, exec_lo, s1
	s_cbranch_vccnz .LBB39_1828
; %bb.1809:
	s_cmp_lt_i32 s0, 2
	s_cbranch_scc1 .LBB39_1813
; %bb.1810:
	s_cmp_lt_i32 s0, 3
	s_cbranch_scc1 .LBB39_1814
; %bb.1811:
	s_cmp_gt_i32 s0, 3
	s_cbranch_scc0 .LBB39_1815
; %bb.1812:
	global_load_dwordx2 v[9:10], v[7:8], off
	s_mov_b32 s1, 0
	s_waitcnt vmcnt(0)
	v_xor_b32_e32 v3, v9, v10
	v_ffbh_i32_e32 v5, v10
	v_ashrrev_i32_e32 v3, 31, v3
	v_add_nc_u32_e32 v5, -1, v5
	v_add_nc_u32_e32 v3, 32, v3
	v_min_u32_e32 v3, v5, v3
	v_lshlrev_b64 v[9:10], v3, v[9:10]
	v_sub_nc_u32_e32 v3, 32, v3
	v_min_u32_e32 v5, 1, v9
	v_or_b32_e32 v5, v10, v5
	v_cvt_f32_i32_e32 v5, v5
	v_ldexp_f32 v3, v5, v3
	v_bfe_u32 v5, v3, 16, 1
	v_add3_u32 v3, v3, v5, 0x7fff
	v_lshrrev_b32_e32 v3, 16, v3
	s_branch .LBB39_1816
.LBB39_1813:
	s_mov_b32 s1, -1
                                        ; implicit-def: $vgpr3
	s_branch .LBB39_1822
.LBB39_1814:
	s_mov_b32 s1, -1
                                        ; implicit-def: $vgpr3
	s_branch .LBB39_1819
.LBB39_1815:
	s_mov_b32 s1, -1
                                        ; implicit-def: $vgpr3
.LBB39_1816:
	s_andn2_b32 vcc_lo, exec_lo, s1
	s_cbranch_vccnz .LBB39_1818
; %bb.1817:
	global_load_dword v3, v[7:8], off
	s_waitcnt vmcnt(0)
	v_cvt_f32_i32_e32 v3, v3
	v_bfe_u32 v5, v3, 16, 1
	v_add3_u32 v3, v3, v5, 0x7fff
	v_lshrrev_b32_e32 v3, 16, v3
.LBB39_1818:
	s_mov_b32 s1, 0
.LBB39_1819:
	s_andn2_b32 vcc_lo, exec_lo, s1
	s_cbranch_vccnz .LBB39_1821
; %bb.1820:
	global_load_sshort v3, v[7:8], off
	s_waitcnt vmcnt(0)
	v_cvt_f32_i32_e32 v3, v3
	v_bfe_u32 v5, v3, 16, 1
	v_add3_u32 v3, v3, v5, 0x7fff
	v_lshrrev_b32_e32 v3, 16, v3
.LBB39_1821:
	s_mov_b32 s1, 0
.LBB39_1822:
	s_andn2_b32 vcc_lo, exec_lo, s1
	s_cbranch_vccnz .LBB39_1828
; %bb.1823:
	s_cmp_gt_i32 s0, 0
	s_mov_b32 s0, 0
	s_cbranch_scc0 .LBB39_1825
; %bb.1824:
	global_load_sbyte v3, v[7:8], off
	s_waitcnt vmcnt(0)
	v_cvt_f32_i32_e32 v3, v3
	v_bfe_u32 v5, v3, 16, 1
	v_add3_u32 v3, v3, v5, 0x7fff
	v_lshrrev_b32_e32 v3, 16, v3
	s_branch .LBB39_1826
.LBB39_1825:
	s_mov_b32 s0, -1
                                        ; implicit-def: $vgpr3
.LBB39_1826:
	s_andn2_b32 vcc_lo, exec_lo, s0
	s_cbranch_vccnz .LBB39_1828
; %bb.1827:
	global_load_ubyte v3, v[7:8], off
	s_waitcnt vmcnt(0)
	v_cvt_f32_ubyte0_e32 v3, v3
	v_bfe_u32 v5, v3, 16, 1
	v_add3_u32 v3, v3, v5, 0x7fff
	v_lshrrev_b32_e32 v3, 16, v3
.LBB39_1828:
	s_mov_b32 s6, -1
.LBB39_1829:
	s_andn2_b32 vcc_lo, exec_lo, s6
	s_cbranch_vccnz .LBB39_1932
; %bb.1830:
	s_waitcnt vmcnt(0)
	v_lshlrev_b32_e32 v3, 16, v3
                                        ; implicit-def: $vgpr7
	s_mov_b32 s0, exec_lo
	v_cmpx_neq_f32_e32 0, v3
	s_xor_b32 s4, exec_lo, s0
	s_cbranch_execz .LBB39_1852
; %bb.1831:
	v_mov_b32_e32 v5, 0
	s_mov_b32 s0, -1
	s_mov_b32 s5, exec_lo
	v_cmpx_gt_f32_e32 0, v3
	s_cbranch_execz .LBB39_1839
; %bb.1832:
	v_trunc_f32_e32 v5, v3
	s_mov_b32 s1, 0
	v_cmp_neq_f32_e32 vcc_lo, v5, v3
	v_mov_b32_e32 v5, 0
	s_and_saveexec_b32 s6, vcc_lo
	s_cbranch_execz .LBB39_1838
; %bb.1833:
	v_cvt_f64_f32_e32 v[7:8], v3
	s_mov_b32 s1, 0xc00921fb
	s_mov_b32 s0, 0x54442d18
	s_mov_b32 s7, exec_lo
                                        ; implicit-def: $vgpr5
                                        ; implicit-def: $vgpr11_vgpr12
	v_trunc_f64_e32 v[9:10], v[7:8]
	v_cmp_neq_f64_e64 vcc_lo, 0x7ff00000, |v[7:8]|
	v_add_f64 v[9:10], v[7:8], -v[9:10]
	v_mul_f64 v[9:10], |v[9:10]|, s[0:1]
	v_cndmask_b32_e32 v8, 0x80000000, v10, vcc_lo
	v_cndmask_b32_e32 v7, 0, v9, vcc_lo
                                        ; implicit-def: $vgpr9_vgpr10
	v_cmpx_ngt_f64_e64 0x41d00000, |v[7:8]|
	s_xor_b32 s7, exec_lo, s7
	s_cbranch_execz .LBB39_1835
; %bb.1834:
	v_ldexp_f64 v[9:10], |v[7:8]|, 0xffffff80
	v_cmp_le_f64_e64 vcc_lo, 0x7b000000, |v[7:8]|
	v_trig_preop_f64 v[11:12], |v[7:8]|, 0
	v_and_b32_e32 v5, 0x7fffffff, v8
	v_trig_preop_f64 v[15:16], |v[7:8]|, 1
	v_trig_preop_f64 v[25:26], |v[7:8]|, 2
	v_mov_b32_e32 v33, 0
	s_mov_b32 s1, 0x3ff921fb
	s_mov_b32 s10, 0x33145c07
	;; [unrolled: 1-line block ×3, first 2 shown]
	v_cndmask_b32_e32 v10, v5, v10, vcc_lo
	v_cndmask_b32_e32 v9, v7, v9, vcc_lo
	v_mul_f64 v[17:18], v[11:12], v[9:10]
	v_mul_f64 v[19:20], v[15:16], v[9:10]
	;; [unrolled: 1-line block ×3, first 2 shown]
	v_fma_f64 v[11:12], v[11:12], v[9:10], -v[17:18]
	v_fma_f64 v[15:16], v[15:16], v[9:10], -v[19:20]
	;; [unrolled: 1-line block ×3, first 2 shown]
	v_add_f64 v[21:22], v[19:20], v[11:12]
	v_add_f64 v[23:24], v[21:22], -v[19:20]
	v_add_f64 v[29:30], v[17:18], v[21:22]
	v_add_f64 v[27:28], v[21:22], -v[23:24]
	v_add_f64 v[11:12], v[11:12], -v[23:24]
	v_ldexp_f64 v[23:24], v[29:30], -2
	v_add_f64 v[17:18], v[29:30], -v[17:18]
	v_add_f64 v[19:20], v[19:20], -v[27:28]
	v_add_f64 v[27:28], v[31:32], v[15:16]
	v_cmp_neq_f64_e64 vcc_lo, 0x7ff00000, |v[23:24]|
	v_add_f64 v[17:18], v[21:22], -v[17:18]
	v_add_f64 v[11:12], v[11:12], v[19:20]
	v_fract_f64_e32 v[19:20], v[23:24]
	v_add_f64 v[21:22], v[27:28], v[11:12]
	v_ldexp_f64 v[19:20], v[19:20], 2
	v_add_f64 v[23:24], v[17:18], v[21:22]
	v_cndmask_b32_e32 v20, 0, v20, vcc_lo
	v_cndmask_b32_e32 v19, 0, v19, vcc_lo
	v_add_f64 v[29:30], v[23:24], v[19:20]
	v_add_f64 v[17:18], v[23:24], -v[17:18]
	v_cmp_gt_f64_e32 vcc_lo, 0, v[29:30]
	v_add_f64 v[29:30], v[27:28], -v[31:32]
	v_add_f64 v[17:18], v[21:22], -v[17:18]
	v_cndmask_b32_e64 v34, 0, 0x40100000, vcc_lo
	v_add_f64 v[38:39], v[27:28], -v[29:30]
	v_add_f64 v[15:16], v[15:16], -v[29:30]
	v_add_f64 v[19:20], v[19:20], v[33:34]
	v_add_f64 v[34:35], v[21:22], -v[27:28]
	v_add_f64 v[29:30], v[31:32], -v[38:39]
	v_add_f64 v[36:37], v[23:24], v[19:20]
	;; [unrolled: 3-line block ×3, first 2 shown]
	v_cvt_i32_f64_e32 v5, v[36:37]
	v_add_f64 v[27:28], v[27:28], -v[40:41]
	v_cvt_f64_i32_e32 v[34:35], v5
	v_add_f64 v[11:12], v[11:12], v[27:28]
	v_add_f64 v[19:20], v[19:20], -v[34:35]
	v_add_f64 v[11:12], v[15:16], v[11:12]
	v_add_f64 v[15:16], v[23:24], v[19:20]
	v_add_f64 v[9:10], v[9:10], v[11:12]
	v_add_f64 v[11:12], v[15:16], -v[19:20]
	v_cmp_le_f64_e32 vcc_lo, 0.5, v[15:16]
	v_add_f64 v[9:10], v[17:18], v[9:10]
	v_add_f64 v[11:12], v[23:24], -v[11:12]
	v_cndmask_b32_e64 v34, 0, 0x3ff00000, vcc_lo
	v_add_co_ci_u32_e64 v5, null, 0, v5, vcc_lo
	v_add_f64 v[9:10], v[9:10], v[11:12]
	v_add_f64 v[11:12], v[15:16], -v[33:34]
	v_add_f64 v[15:16], v[11:12], v[9:10]
	v_mul_f64 v[17:18], v[15:16], s[0:1]
	v_add_f64 v[11:12], v[15:16], -v[11:12]
	v_fma_f64 v[19:20], v[15:16], s[0:1], -v[17:18]
	v_add_f64 v[9:10], v[9:10], -v[11:12]
	v_fma_f64 v[11:12], v[15:16], s[10:11], v[19:20]
	v_fma_f64 v[11:12], v[9:10], s[0:1], v[11:12]
	v_add_f64 v[9:10], v[17:18], v[11:12]
	v_add_f64 v[15:16], v[9:10], -v[17:18]
	v_add_f64 v[11:12], v[11:12], -v[15:16]
.LBB39_1835:
	s_andn2_saveexec_b32 s0, s7
	s_cbranch_execz .LBB39_1837
; %bb.1836:
	s_mov_b32 s10, 0x6dc9c883
	s_mov_b32 s11, 0x3fe45f30
	;; [unrolled: 1-line block ×3, first 2 shown]
	v_mul_f64 v[9:10], |v[7:8]|, s[10:11]
	s_mov_b32 s10, 0x54442d18
	s_mov_b32 s11, 0xbff921fb
	;; [unrolled: 1-line block ×3, first 2 shown]
	v_rndne_f64_e32 v[15:16], v[9:10]
	v_fma_f64 v[9:10], v[15:16], s[10:11], |v[7:8]|
	v_mul_f64 v[11:12], v[15:16], s[14:15]
	s_mov_b32 s10, 0x252049c0
	s_mov_b32 s11, 0xb97b839a
	v_cvt_i32_f64_e32 v5, v[15:16]
	v_fma_f64 v[19:20], v[15:16], s[14:15], v[9:10]
	v_add_f64 v[17:18], v[9:10], v[11:12]
	s_mov_b32 s15, 0x3c91a626
	v_add_f64 v[9:10], v[9:10], -v[17:18]
	v_add_f64 v[17:18], v[17:18], -v[19:20]
	v_add_f64 v[9:10], v[9:10], v[11:12]
	v_fma_f64 v[11:12], v[15:16], s[14:15], v[11:12]
	v_add_f64 v[9:10], v[17:18], v[9:10]
	v_add_f64 v[9:10], v[9:10], -v[11:12]
	v_fma_f64 v[11:12], v[15:16], s[10:11], v[9:10]
	v_add_f64 v[9:10], v[19:20], v[11:12]
	v_add_f64 v[17:18], v[9:10], -v[19:20]
	v_add_f64 v[11:12], v[11:12], -v[17:18]
.LBB39_1837:
	s_or_b32 exec_lo, exec_lo, s0
	v_mul_f64 v[15:16], v[9:10], v[9:10]
	v_add_f64 v[17:18], v[11:12], v[11:12]
	s_mov_b32 s10, 0xa9a29f71
	s_mov_b32 s14, 0xc751c08c
	;; [unrolled: 1-line block ×4, first 2 shown]
	v_cmp_class_f64_e64 s0, v[7:8], 0x1f8
	v_and_b32_e32 v5, 1, v5
	v_and_b32_e32 v8, 0x80000000, v8
	v_sub_f32_e32 v3, 1.0, v3
	s_mov_b32 s1, exec_lo
	v_cmp_eq_u32_e32 vcc_lo, 0, v5
	v_fma_f64 v[19:20], v[9:10], v[9:10], -v[15:16]
	v_fma_f64 v[17:18], v[9:10], v[17:18], v[19:20]
	v_add_f64 v[15:16], v[15:16], v[17:18]
	v_fma_f64 v[17:18], v[15:16], s[14:15], s[10:11]
	s_mov_b32 s10, 0x90a8aae0
	s_mov_b32 s11, 0x3f17746f
	v_fma_f64 v[17:18], v[15:16], v[17:18], s[10:11]
	s_mov_b32 s10, 0xa6fbf144
	s_mov_b32 s11, 0xbefbb44d
	;; [unrolled: 3-line block ×13, first 2 shown]
	v_mul_f64 v[15:16], v[15:16], v[17:18]
	v_mul_f64 v[17:18], v[9:10], v[15:16]
	v_add_f64 v[19:20], v[9:10], v[17:18]
	v_fma_f64 v[15:16], v[9:10], v[15:16], -v[17:18]
	v_add_f64 v[9:10], v[19:20], -v[9:10]
	v_add_f64 v[11:12], v[11:12], v[15:16]
	v_add_f64 v[9:10], v[17:18], -v[9:10]
	v_add_f64 v[9:10], v[11:12], v[9:10]
	v_add_f64 v[11:12], v[19:20], v[9:10]
	v_rcp_f64_e32 v[15:16], v[11:12]
	v_fma_f64 v[17:18], -v[11:12], v[15:16], 1.0
	v_fma_f64 v[15:16], v[17:18], v[15:16], v[15:16]
	v_fma_f64 v[17:18], -v[11:12], v[15:16], 1.0
	v_fma_f64 v[15:16], v[17:18], v[15:16], v[15:16]
	v_add_f64 v[17:18], v[11:12], -v[19:20]
	v_mul_f64 v[19:20], v[11:12], v[15:16]
	v_add_f64 v[9:10], v[9:10], -v[17:18]
	v_fma_f64 v[17:18], v[15:16], v[11:12], -v[19:20]
	v_fma_f64 v[9:10], v[15:16], v[9:10], v[17:18]
	v_add_f64 v[17:18], v[19:20], v[9:10]
	v_add_f64 v[21:22], -v[17:18], 1.0
	v_add_f64 v[19:20], v[17:18], -v[19:20]
	v_add_f64 v[23:24], -v[21:22], 1.0
	v_add_f64 v[9:10], v[19:20], -v[9:10]
	v_add_f64 v[17:18], v[23:24], -v[17:18]
	v_add_f64 v[9:10], v[9:10], v[17:18]
	v_add_f64 v[9:10], v[21:22], v[9:10]
	v_mul_f64 v[9:10], v[15:16], v[9:10]
	v_add_f64 v[9:10], v[15:16], v[9:10]
	v_xor_b32_e32 v7, 0x80000000, v10
	v_cndmask_b32_e32 v5, v9, v11, vcc_lo
	v_cndmask_b32_e32 v7, v7, v12, vcc_lo
	v_xor_b32_e32 v8, v7, v8
	v_cndmask_b32_e64 v7, 0, v5, s0
	v_cndmask_b32_e64 v8, 0x7ff80000, v8, s0
	v_div_scale_f64 v[9:10], null, v[7:8], v[7:8], s[10:11]
	v_rcp_f64_e32 v[11:12], v[9:10]
	v_fma_f64 v[15:16], -v[9:10], v[11:12], 1.0
	v_fma_f64 v[11:12], v[11:12], v[15:16], v[11:12]
	v_fma_f64 v[15:16], -v[9:10], v[11:12], 1.0
	v_fma_f64 v[11:12], v[11:12], v[15:16], v[11:12]
	v_div_scale_f64 v[15:16], vcc_lo, s[10:11], v[7:8], s[10:11]
	v_mul_f64 v[17:18], v[15:16], v[11:12]
	v_fma_f64 v[9:10], -v[9:10], v[17:18], v[15:16]
	v_div_fmas_f64 v[9:10], v[9:10], v[11:12], v[17:18]
	v_div_fixup_f64 v[7:8], v[9:10], v[7:8], s[10:11]
	v_cvt_f32_f64_e32 v5, v[7:8]
.LBB39_1838:
	s_or_b32 exec_lo, exec_lo, s6
	s_orn2_b32 s0, s1, exec_lo
.LBB39_1839:
	s_or_b32 exec_lo, exec_lo, s5
	v_mov_b32_e32 v7, 0x7fc0
	s_and_saveexec_b32 s1, s0
	s_cbranch_execz .LBB39_1851
; %bb.1840:
	s_mov_b32 s0, exec_lo
	v_cmpx_gt_f32_e32 0x41200000, v3
	s_cbranch_execz .LBB39_1844
; %bb.1841:
	s_mov_b32 s5, 0
.LBB39_1842:                            ; =>This Inner Loop Header: Depth=1
	v_div_scale_f32 v7, null, v3, v3, 1.0
	v_div_scale_f32 v10, vcc_lo, 1.0, v3, 1.0
	v_rcp_f32_e32 v8, v7
	v_fma_f32 v9, -v7, v8, 1.0
	v_fmac_f32_e32 v8, v9, v8
	v_mul_f32_e32 v9, v10, v8
	v_fma_f32 v11, -v7, v9, v10
	v_fmac_f32_e32 v9, v11, v8
	v_fma_f32 v7, -v7, v9, v10
	v_div_fmas_f32 v7, v7, v8, v9
	v_div_fixup_f32 v7, v7, v3, 1.0
	v_add_f32_e32 v3, 1.0, v3
	v_sub_f32_e32 v5, v5, v7
	v_cmp_ngt_f32_e32 vcc_lo, 0x41200000, v3
	s_or_b32 s5, vcc_lo, s5
	s_andn2_b32 exec_lo, exec_lo, s5
	s_cbranch_execnz .LBB39_1842
; %bb.1843:
	s_or_b32 exec_lo, exec_lo, s5
.LBB39_1844:
	s_or_b32 exec_lo, exec_lo, s0
                                        ; implicit-def: $vgpr7
	s_mov_b32 s0, exec_lo
	v_cmpx_neq_f32_e32 0x41200000, v3
	s_xor_b32 s5, exec_lo, s0
	s_cbranch_execz .LBB39_1848
; %bb.1845:
	v_cvt_f64_f32_e32 v[7:8], v3
	s_mov_b32 s6, 0x85d8a000
	s_mov_b32 s7, 0x43763457
	v_cmp_gt_f64_e32 vcc_lo, s[6:7], v[7:8]
	v_mov_b32_e32 v7, 0
	s_and_saveexec_b32 s0, vcc_lo
	s_cbranch_execz .LBB39_1847
; %bb.1846:
	v_mul_f32_e32 v7, v3, v3
	v_div_scale_f32 v8, null, v7, v7, 1.0
	v_rcp_f32_e32 v9, v8
	v_fma_f32 v10, -v8, v9, 1.0
	v_fmac_f32_e32 v9, v10, v9
	v_div_scale_f32 v10, vcc_lo, 1.0, v7, 1.0
	v_mul_f32_e32 v11, v10, v9
	v_fma_f32 v12, -v8, v11, v10
	v_fmac_f32_e32 v11, v12, v9
	v_fma_f32 v8, -v8, v11, v10
	v_div_fmas_f32 v8, v8, v9, v11
	v_div_fixup_f32 v7, v8, v7, 1.0
	v_fmaak_f32 v8, 0, v7, 0x3daaaaab
	v_fmaak_f32 v8, v7, v8, 0xbcaccacd
	;; [unrolled: 1-line block ×7, first 2 shown]
	v_mul_f32_e32 v7, v7, v8
.LBB39_1847:
	s_or_b32 exec_lo, exec_lo, s0
	v_cmp_gt_f32_e32 vcc_lo, 0x800000, v3
	v_div_scale_f32 v8, null, v3, v3, -0.5
	v_div_scale_f32 v12, s0, -0.5, v3, -0.5
	v_cndmask_b32_e64 v9, 0, 32, vcc_lo
	v_rcp_f32_e32 v10, v8
	v_ldexp_f32 v9, v3, v9
	v_log_f32_e32 v9, v9
	v_fma_f32 v11, -v8, v10, 1.0
	v_fmac_f32_e32 v10, v11, v10
	v_mul_f32_e32 v11, 0x3f317217, v9
	v_mul_f32_e32 v15, v12, v10
	v_fma_f32 v11, 0x3f317217, v9, -v11
	v_fma_f32 v16, -v8, v15, v12
	v_fmamk_f32 v11, v9, 0x3377d1cf, v11
	v_fmac_f32_e32 v15, v16, v10
	v_cndmask_b32_e64 v16, 0, 0x41b17218, vcc_lo
	v_cmp_gt_f32_e64 vcc_lo, 0x7f800000, |v9|
	v_fmac_f32_e32 v11, 0x3f317217, v9
	v_fma_f32 v8, -v8, v15, v12
	v_cndmask_b32_e32 v9, v9, v11, vcc_lo
	s_mov_b32 vcc_lo, s0
	v_div_fmas_f32 v8, v8, v10, v15
	v_sub_f32_e32 v9, v9, v16
	v_div_fixup_f32 v3, v8, v3, -0.5
	v_add_f32_e32 v3, v9, v3
	v_sub_f32_e32 v3, v3, v7
	v_add_f32_e32 v3, v5, v3
	v_bfe_u32 v5, v3, 16, 1
	v_cmp_o_f32_e32 vcc_lo, v3, v3
	v_add3_u32 v3, v3, v5, 0x7fff
	v_mov_b32_e32 v5, 0x7fc0
	v_cndmask_b32_sdwa v7, v5, v3, vcc_lo dst_sel:DWORD dst_unused:UNUSED_PAD src0_sel:DWORD src1_sel:WORD_1
                                        ; implicit-def: $vgpr5
.LBB39_1848:
	s_andn2_saveexec_b32 s0, s5
; %bb.1849:
	v_add_f32_e32 v3, 0x40101cb7, v5
	v_bfe_u32 v5, v3, 16, 1
	v_cmp_o_f32_e32 vcc_lo, v3, v3
	v_add3_u32 v3, v3, v5, 0x7fff
	v_mov_b32_e32 v5, 0x7fc0
	v_cndmask_b32_sdwa v7, v5, v3, vcc_lo dst_sel:DWORD dst_unused:UNUSED_PAD src0_sel:DWORD src1_sel:WORD_1
; %bb.1850:
	s_or_b32 exec_lo, exec_lo, s0
.LBB39_1851:
	s_or_b32 exec_lo, exec_lo, s1
                                        ; implicit-def: $vgpr3
.LBB39_1852:
	s_andn2_saveexec_b32 s0, s4
; %bb.1853:
	v_xor_b32_e32 v3, 0x80000000, v3
	s_mov_b32 s1, 0x7f800000
	v_and_or_b32 v3, 0x80000000, v3, s1
	v_lshrrev_b32_e32 v7, 16, v3
; %bb.1854:
	s_or_b32 exec_lo, exec_lo, s0
	v_add_co_u32 v5, s0, s8, v6
	v_add_co_ci_u32_e64 v6, null, s9, 0, s0
	s_bfe_u32 s1, s3, 0x80008
	s_cmp_lt_i32 s1, 11
	s_cbranch_scc1 .LBB39_1977
; %bb.1855:
	s_and_b32 s4, 0xffff, s1
	s_mov_b32 s7, -1
	s_mov_b32 s5, 0
	s_cmp_gt_i32 s4, 25
	s_mov_b32 s6, 0
	s_mov_b32 s0, 0
	s_cbranch_scc0 .LBB39_1888
; %bb.1856:
	s_cmp_gt_i32 s4, 28
	s_cbranch_scc0 .LBB39_1871
; %bb.1857:
	s_cmp_gt_i32 s4, 43
	;; [unrolled: 3-line block ×3, first 2 shown]
	s_cbranch_scc0 .LBB39_1861
; %bb.1859:
	s_mov_b32 s0, -1
	s_mov_b32 s7, 0
	s_cmp_eq_u32 s4, 46
	s_cbranch_scc0 .LBB39_1861
; %bb.1860:
	v_and_b32_e32 v3, 0xffff, v1
	s_mov_b32 s0, 0
	s_mov_b32 s6, -1
	global_store_dword v[5:6], v3, off
.LBB39_1861:
	s_and_b32 vcc_lo, exec_lo, s7
	s_cbranch_vccz .LBB39_1866
; %bb.1862:
	s_cmp_eq_u32 s4, 44
	s_mov_b32 s0, -1
	s_cbranch_scc0 .LBB39_1866
; %bb.1863:
	v_and_b32_e32 v3, 0xffff, v1
	v_mov_b32_e32 v8, 0xff
	s_mov_b32 s6, exec_lo
	v_bfe_u32 v9, v3, 7, 8
	v_cmpx_ne_u32_e32 0xff, v9
	s_cbranch_execz .LBB39_1865
; %bb.1864:
	v_lshlrev_b32_e32 v8, 16, v3
	v_and_b32_e32 v10, 64, v3
	v_lshrrev_b32_e32 v3, 7, v3
	v_and_or_b32 v8, 0x3f0000, v8, v9
	v_cmp_ne_u32_e32 vcc_lo, 0, v10
	v_cmp_ne_u32_e64 s0, 0, v8
	s_and_b32 s0, vcc_lo, s0
	v_cndmask_b32_e64 v8, 0, 1, s0
	v_add_nc_u32_e32 v8, v3, v8
.LBB39_1865:
	s_or_b32 exec_lo, exec_lo, s6
	s_mov_b32 s0, 0
	s_mov_b32 s6, -1
	global_store_byte v[5:6], v8, off
.LBB39_1866:
	s_mov_b32 s7, 0
.LBB39_1867:
	s_and_b32 vcc_lo, exec_lo, s7
	s_cbranch_vccz .LBB39_1870
; %bb.1868:
	s_cmp_eq_u32 s4, 29
	s_mov_b32 s0, -1
	s_cbranch_scc0 .LBB39_1870
; %bb.1869:
	v_lshlrev_b32_e32 v3, 16, v1
	s_mov_b32 s0, 0
	s_mov_b32 s6, -1
	v_trunc_f32_e32 v3, v3
	v_mul_f32_e32 v8, 0x2f800000, v3
	v_floor_f32_e32 v8, v8
	v_fmamk_f32 v3, v8, 0xcf800000, v3
	v_cvt_u32_f32_e32 v9, v8
	v_cvt_u32_f32_e32 v8, v3
	global_store_dwordx2 v[5:6], v[8:9], off
.LBB39_1870:
	s_mov_b32 s7, 0
.LBB39_1871:
	s_and_b32 vcc_lo, exec_lo, s7
	s_cbranch_vccz .LBB39_1887
; %bb.1872:
	s_cmp_lt_i32 s4, 27
	s_mov_b32 s6, -1
	s_cbranch_scc1 .LBB39_1878
; %bb.1873:
	s_cmp_gt_i32 s4, 27
	s_cbranch_scc0 .LBB39_1875
; %bb.1874:
	v_lshlrev_b32_e32 v3, 16, v1
	s_mov_b32 s6, 0
	v_cvt_u32_f32_e32 v3, v3
	global_store_dword v[5:6], v3, off
.LBB39_1875:
	s_andn2_b32 vcc_lo, exec_lo, s6
	s_cbranch_vccnz .LBB39_1877
; %bb.1876:
	v_lshlrev_b32_e32 v3, 16, v1
	v_cvt_u32_f32_e32 v3, v3
	global_store_short v[5:6], v3, off
.LBB39_1877:
	s_mov_b32 s6, 0
.LBB39_1878:
	s_andn2_b32 vcc_lo, exec_lo, s6
	s_cbranch_vccnz .LBB39_1886
; %bb.1879:
	v_lshlrev_b32_e32 v9, 16, v1
	v_mov_b32_e32 v10, 0x80
	s_mov_b32 s6, exec_lo
	v_and_b32_e32 v8, 0x7fffffff, v9
	v_cmpx_gt_u32_e32 0x43800000, v8
	s_cbranch_execz .LBB39_1885
; %bb.1880:
	v_and_b32_e32 v3, 0xffff, v1
	v_cmp_lt_u32_e32 vcc_lo, 0x3bffffff, v8
	s_mov_b32 s7, 0
                                        ; implicit-def: $vgpr8
	s_and_saveexec_b32 s10, vcc_lo
	s_xor_b32 s10, exec_lo, s10
	s_cbranch_execz .LBB39_2335
; %bb.1881:
	v_bfe_u32 v8, v3, 4, 1
	s_mov_b32 s7, exec_lo
	v_add3_u32 v8, v9, v8, 0x487ffff
                                        ; implicit-def: $vgpr9
	v_lshrrev_b32_e32 v8, 20, v8
	s_andn2_saveexec_b32 s10, s10
	s_cbranch_execnz .LBB39_2336
.LBB39_1882:
	s_or_b32 exec_lo, exec_lo, s10
	v_mov_b32_e32 v10, 0
	s_and_saveexec_b32 s10, s7
.LBB39_1883:
	v_lshrrev_b32_e32 v3, 8, v3
	v_and_or_b32 v10, 0x80, v3, v8
.LBB39_1884:
	s_or_b32 exec_lo, exec_lo, s10
.LBB39_1885:
	s_or_b32 exec_lo, exec_lo, s6
	global_store_byte v[5:6], v10, off
.LBB39_1886:
	s_mov_b32 s6, -1
.LBB39_1887:
	s_mov_b32 s7, 0
.LBB39_1888:
	s_and_b32 vcc_lo, exec_lo, s7
	s_cbranch_vccz .LBB39_1928
; %bb.1889:
	s_cmp_gt_i32 s4, 22
	s_mov_b32 s5, -1
	s_cbranch_scc0 .LBB39_1921
; %bb.1890:
	s_cmp_lt_i32 s4, 24
	s_cbranch_scc1 .LBB39_1910
; %bb.1891:
	s_cmp_gt_i32 s4, 24
	s_cbranch_scc0 .LBB39_1899
; %bb.1892:
	v_lshlrev_b32_e32 v9, 16, v1
	v_mov_b32_e32 v10, 0x80
	s_mov_b32 s5, exec_lo
	v_and_b32_e32 v8, 0x7fffffff, v9
	v_cmpx_gt_u32_e32 0x47800000, v8
	s_cbranch_execz .LBB39_1898
; %bb.1893:
	v_and_b32_e32 v3, 0xffff, v1
	v_cmp_lt_u32_e32 vcc_lo, 0x37ffffff, v8
	s_mov_b32 s6, 0
                                        ; implicit-def: $vgpr8
	s_and_saveexec_b32 s7, vcc_lo
	s_xor_b32 s7, exec_lo, s7
	s_cbranch_execz .LBB39_2338
; %bb.1894:
	v_bfe_u32 v8, v3, 5, 1
	s_mov_b32 s6, exec_lo
	v_add3_u32 v8, v9, v8, 0x88fffff
                                        ; implicit-def: $vgpr9
	v_lshrrev_b32_e32 v8, 21, v8
	s_andn2_saveexec_b32 s7, s7
	s_cbranch_execnz .LBB39_2339
.LBB39_1895:
	s_or_b32 exec_lo, exec_lo, s7
	v_mov_b32_e32 v10, 0
	s_and_saveexec_b32 s7, s6
.LBB39_1896:
	v_lshrrev_b32_e32 v3, 8, v3
	v_and_or_b32 v10, 0x80, v3, v8
.LBB39_1897:
	s_or_b32 exec_lo, exec_lo, s7
.LBB39_1898:
	s_or_b32 exec_lo, exec_lo, s5
	s_mov_b32 s5, 0
	global_store_byte v[5:6], v10, off
.LBB39_1899:
	s_and_b32 vcc_lo, exec_lo, s5
	s_cbranch_vccz .LBB39_1909
; %bb.1900:
	v_lshlrev_b32_e32 v9, 16, v1
	v_and_b32_e32 v3, 0xffff, v1
	s_mov_b32 s5, exec_lo
                                        ; implicit-def: $vgpr8
	v_and_b32_e32 v10, 0x7fffffff, v9
	v_cmpx_gt_u32_e32 0x43f00000, v10
	s_xor_b32 s5, exec_lo, s5
	s_cbranch_execz .LBB39_1906
; %bb.1901:
	s_mov_b32 s6, exec_lo
                                        ; implicit-def: $vgpr8
	v_cmpx_lt_u32_e32 0x3c7fffff, v10
	s_xor_b32 s6, exec_lo, s6
; %bb.1902:
	v_bfe_u32 v8, v3, 4, 1
	v_add3_u32 v8, v9, v8, 0x407ffff
	v_and_b32_e32 v9, 0xff00000, v8
	v_lshrrev_b32_e32 v8, 20, v8
	v_cmp_ne_u32_e32 vcc_lo, 0x7f00000, v9
                                        ; implicit-def: $vgpr9
	v_cndmask_b32_e32 v8, 0x7e, v8, vcc_lo
; %bb.1903:
	s_andn2_saveexec_b32 s6, s6
; %bb.1904:
	v_add_f32_e64 v8, 0x46800000, |v9|
; %bb.1905:
	s_or_b32 exec_lo, exec_lo, s6
                                        ; implicit-def: $vgpr10
.LBB39_1906:
	s_andn2_saveexec_b32 s5, s5
; %bb.1907:
	v_mov_b32_e32 v8, 0x7f
	v_cmp_lt_u32_e32 vcc_lo, 0x7f800000, v10
	v_cndmask_b32_e32 v8, 0x7e, v8, vcc_lo
; %bb.1908:
	s_or_b32 exec_lo, exec_lo, s5
	v_lshrrev_b32_e32 v3, 8, v3
	v_and_or_b32 v3, 0x80, v3, v8
	global_store_byte v[5:6], v3, off
.LBB39_1909:
	s_mov_b32 s5, 0
.LBB39_1910:
	s_andn2_b32 vcc_lo, exec_lo, s5
	s_cbranch_vccnz .LBB39_1920
; %bb.1911:
	v_lshlrev_b32_e32 v9, 16, v1
	v_and_b32_e32 v3, 0xffff, v1
	s_mov_b32 s5, exec_lo
                                        ; implicit-def: $vgpr8
	v_and_b32_e32 v10, 0x7fffffff, v9
	v_cmpx_gt_u32_e32 0x47800000, v10
	s_xor_b32 s5, exec_lo, s5
	s_cbranch_execz .LBB39_1917
; %bb.1912:
	s_mov_b32 s6, exec_lo
                                        ; implicit-def: $vgpr8
	v_cmpx_lt_u32_e32 0x387fffff, v10
	s_xor_b32 s6, exec_lo, s6
; %bb.1913:
	v_bfe_u32 v8, v3, 5, 1
	v_add3_u32 v8, v9, v8, 0x80fffff
                                        ; implicit-def: $vgpr9
	v_lshrrev_b32_e32 v8, 21, v8
; %bb.1914:
	s_andn2_saveexec_b32 s6, s6
; %bb.1915:
	v_add_f32_e64 v8, 0x43000000, |v9|
; %bb.1916:
	s_or_b32 exec_lo, exec_lo, s6
                                        ; implicit-def: $vgpr10
.LBB39_1917:
	s_andn2_saveexec_b32 s5, s5
; %bb.1918:
	v_mov_b32_e32 v8, 0x7f
	v_cmp_lt_u32_e32 vcc_lo, 0x7f800000, v10
	v_cndmask_b32_e32 v8, 0x7c, v8, vcc_lo
; %bb.1919:
	s_or_b32 exec_lo, exec_lo, s5
	v_lshrrev_b32_e32 v3, 8, v3
	v_and_or_b32 v3, 0x80, v3, v8
	global_store_byte v[5:6], v3, off
.LBB39_1920:
	s_mov_b32 s5, 0
	s_mov_b32 s6, -1
.LBB39_1921:
	s_andn2_b32 vcc_lo, exec_lo, s5
	s_mov_b32 s5, 0
	s_cbranch_vccnz .LBB39_1928
; %bb.1922:
	s_cmp_gt_i32 s4, 14
	s_mov_b32 s5, -1
	s_cbranch_scc0 .LBB39_1926
; %bb.1923:
	s_cmp_eq_u32 s4, 15
	s_mov_b32 s0, -1
	s_cbranch_scc0 .LBB39_1925
; %bb.1924:
	s_mov_b32 s0, 0
	s_mov_b32 s6, -1
	global_store_short v[5:6], v1, off
.LBB39_1925:
	s_mov_b32 s5, 0
.LBB39_1926:
	s_and_b32 vcc_lo, exec_lo, s5
	s_mov_b32 s5, 0
	s_cbranch_vccz .LBB39_1928
; %bb.1927:
	s_cmp_lg_u32 s4, 11
	s_mov_b32 s5, -1
	s_cselect_b32 s0, -1, 0
.LBB39_1928:
	s_and_b32 vcc_lo, exec_lo, s0
	s_cbranch_vccnz .LBB39_2337
; %bb.1929:
	s_andn2_b32 vcc_lo, exec_lo, s5
	s_cbranch_vccnz .LBB39_1931
.LBB39_1930:
	v_and_b32_e32 v3, 0x7fff, v1
	s_mov_b32 s6, -1
	v_cmp_ne_u16_e32 vcc_lo, 0, v3
	v_cndmask_b32_e64 v3, 0, 1, vcc_lo
	global_store_byte v[5:6], v3, off
.LBB39_1931:
	s_mov_b32 s0, 0
	s_branch .LBB39_1978
.LBB39_1932:
	s_mov_b32 s0, 0
	s_mov_b32 s4, 0
                                        ; implicit-def: $vgpr0_vgpr1
                                        ; implicit-def: $sgpr1
                                        ; implicit-def: $vgpr7
.LBB39_1933:
	s_andn2_b32 s3, s12, exec_lo
	s_and_b32 s2, s2, exec_lo
	s_and_b32 s0, s0, exec_lo
	;; [unrolled: 1-line block ×3, first 2 shown]
	s_or_b32 s12, s3, s2
.LBB39_1934:
	s_or_b32 exec_lo, exec_lo, s13
	s_and_saveexec_b32 s2, s12
	s_cbranch_execz .LBB39_1937
; %bb.1935:
	; divergent unreachable
	s_or_b32 exec_lo, exec_lo, s2
	s_and_saveexec_b32 s2, s26
	s_xor_b32 s2, exec_lo, s2
	s_cbranch_execnz .LBB39_1938
.LBB39_1936:
	s_or_b32 exec_lo, exec_lo, s2
	s_and_saveexec_b32 s2, s0
	s_cbranch_execnz .LBB39_1939
	s_branch .LBB39_1976
.LBB39_1937:
	s_or_b32 exec_lo, exec_lo, s2
	s_and_saveexec_b32 s2, s26
	s_xor_b32 s2, exec_lo, s2
	s_cbranch_execz .LBB39_1936
.LBB39_1938:
	v_and_b32_e32 v2, 0x7fff, v7
	v_cmp_ne_u16_e32 vcc_lo, 0, v2
	v_cndmask_b32_e64 v2, 0, 1, vcc_lo
	s_waitcnt vmcnt(0)
	global_store_byte v[0:1], v2, off
	s_or_b32 exec_lo, exec_lo, s2
	s_and_saveexec_b32 s2, s0
	s_cbranch_execz .LBB39_1976
.LBB39_1939:
	s_sext_i32_i16 s2, s1
	s_mov_b32 s0, -1
	s_cmp_lt_i32 s2, 5
	s_cbranch_scc1 .LBB39_1960
; %bb.1940:
	s_cmp_lt_i32 s2, 8
	s_cbranch_scc1 .LBB39_1950
; %bb.1941:
	s_cmp_lt_i32 s2, 9
	s_cbranch_scc1 .LBB39_1947
; %bb.1942:
	s_cmp_gt_i32 s2, 9
	s_cbranch_scc0 .LBB39_1944
; %bb.1943:
	v_lshlrev_b32_e32 v2, 16, v7
	s_waitcnt vmcnt(0)
	v_mov_b32_e32 v4, 0
	s_mov_b32 s0, 0
	v_cvt_f64_f32_e32 v[2:3], v2
	v_mov_b32_e32 v5, v4
	global_store_dwordx4 v[0:1], v[2:5], off
.LBB39_1944:
	s_andn2_b32 vcc_lo, exec_lo, s0
	s_cbranch_vccnz .LBB39_1946
; %bb.1945:
	v_lshlrev_b32_e32 v2, 16, v7
	s_waitcnt vmcnt(0)
	v_mov_b32_e32 v3, 0
	global_store_dwordx2 v[0:1], v[2:3], off
.LBB39_1946:
	s_mov_b32 s0, 0
.LBB39_1947:
	s_andn2_b32 vcc_lo, exec_lo, s0
	s_cbranch_vccnz .LBB39_1949
; %bb.1948:
	v_lshlrev_b32_e32 v2, 16, v7
	v_cvt_f16_f32_e32 v2, v2
	v_and_b32_e32 v2, 0xffff, v2
	s_waitcnt vmcnt(0)
	global_store_dword v[0:1], v2, off
.LBB39_1949:
	s_mov_b32 s0, 0
.LBB39_1950:
	s_andn2_b32 vcc_lo, exec_lo, s0
	s_cbranch_vccnz .LBB39_1959
; %bb.1951:
	s_sext_i32_i16 s2, s1
	s_mov_b32 s0, -1
	s_cmp_lt_i32 s2, 6
	s_cbranch_scc1 .LBB39_1957
; %bb.1952:
	s_cmp_gt_i32 s2, 6
	s_cbranch_scc0 .LBB39_1954
; %bb.1953:
	v_lshlrev_b32_e32 v2, 16, v7
	s_mov_b32 s0, 0
	s_waitcnt vmcnt(0)
	v_cvt_f64_f32_e32 v[2:3], v2
	global_store_dwordx2 v[0:1], v[2:3], off
.LBB39_1954:
	s_andn2_b32 vcc_lo, exec_lo, s0
	s_cbranch_vccnz .LBB39_1956
; %bb.1955:
	v_lshlrev_b32_e32 v2, 16, v7
	s_waitcnt vmcnt(0)
	global_store_dword v[0:1], v2, off
.LBB39_1956:
	s_mov_b32 s0, 0
.LBB39_1957:
	s_andn2_b32 vcc_lo, exec_lo, s0
	s_cbranch_vccnz .LBB39_1959
; %bb.1958:
	v_lshlrev_b32_e32 v2, 16, v7
	v_cvt_f16_f32_e32 v2, v2
	s_waitcnt vmcnt(0)
	global_store_short v[0:1], v2, off
.LBB39_1959:
	s_mov_b32 s0, 0
.LBB39_1960:
	s_andn2_b32 vcc_lo, exec_lo, s0
	s_cbranch_vccnz .LBB39_1976
; %bb.1961:
	s_sext_i32_i16 s2, s1
	s_mov_b32 s0, -1
	s_cmp_lt_i32 s2, 2
	s_cbranch_scc1 .LBB39_1971
; %bb.1962:
	s_cmp_lt_i32 s2, 3
	s_cbranch_scc1 .LBB39_1968
; %bb.1963:
	s_cmp_gt_i32 s2, 3
	s_cbranch_scc0 .LBB39_1965
; %bb.1964:
	v_lshlrev_b32_e32 v2, 16, v7
	s_mov_b32 s0, 0
	v_trunc_f32_e32 v2, v2
	s_waitcnt vmcnt(0)
	v_mul_f32_e64 v3, 0x2f800000, |v2|
	v_ashrrev_i32_e32 v5, 31, v2
	v_floor_f32_e32 v3, v3
	v_fma_f32 v4, 0xcf800000, v3, |v2|
	v_cvt_u32_f32_e32 v3, v3
	v_cvt_u32_f32_e32 v2, v4
	v_xor_b32_e32 v3, v3, v5
	v_xor_b32_e32 v2, v2, v5
	v_sub_co_u32 v2, vcc_lo, v2, v5
	v_sub_co_ci_u32_e64 v3, null, v3, v5, vcc_lo
	global_store_dwordx2 v[0:1], v[2:3], off
.LBB39_1965:
	s_andn2_b32 vcc_lo, exec_lo, s0
	s_cbranch_vccnz .LBB39_1967
; %bb.1966:
	v_lshlrev_b32_e32 v2, 16, v7
	v_cvt_i32_f32_e32 v2, v2
	s_waitcnt vmcnt(0)
	global_store_dword v[0:1], v2, off
.LBB39_1967:
	s_mov_b32 s0, 0
.LBB39_1968:
	s_andn2_b32 vcc_lo, exec_lo, s0
	s_cbranch_vccnz .LBB39_1970
; %bb.1969:
	v_lshlrev_b32_e32 v2, 16, v7
	v_cvt_i32_f32_e32 v2, v2
	s_waitcnt vmcnt(0)
	global_store_short v[0:1], v2, off
.LBB39_1970:
	s_mov_b32 s0, 0
.LBB39_1971:
	s_andn2_b32 vcc_lo, exec_lo, s0
	s_cbranch_vccnz .LBB39_1976
; %bb.1972:
	s_sext_i32_i16 s0, s1
	s_cmp_gt_i32 s0, 0
	s_mov_b32 s0, -1
	s_cbranch_scc0 .LBB39_1974
; %bb.1973:
	v_lshlrev_b32_e32 v2, 16, v7
	s_mov_b32 s0, 0
	v_cvt_i32_f32_e32 v2, v2
	s_waitcnt vmcnt(0)
	global_store_byte v[0:1], v2, off
.LBB39_1974:
	s_andn2_b32 vcc_lo, exec_lo, s0
	s_cbranch_vccnz .LBB39_1976
; %bb.1975:
	v_lshlrev_b32_e32 v2, 16, v7
	v_trunc_f32_e32 v2, v2
	s_waitcnt vmcnt(0)
	v_mul_f32_e64 v3, 0x2f800000, |v2|
	v_floor_f32_e32 v3, v3
	v_fma_f32 v3, 0xcf800000, v3, |v2|
	v_ashrrev_i32_e32 v2, 31, v2
	v_cvt_u32_f32_e32 v3, v3
	v_xor_b32_e32 v3, v3, v2
	v_sub_nc_u32_e32 v2, v3, v2
	global_store_byte v[0:1], v2, off
	s_endpgm
.LBB39_1976:
	s_endpgm
.LBB39_1977:
	s_mov_b32 s0, -1
	s_mov_b32 s6, 0
.LBB39_1978:
	s_and_b32 vcc_lo, exec_lo, s0
	s_cbranch_vccz .LBB39_2017
; %bb.1979:
	s_and_b32 s0, 0xffff, s1
	s_mov_b32 s1, -1
	s_cmp_lt_i32 s0, 5
	s_cbranch_scc1 .LBB39_2000
; %bb.1980:
	s_cmp_lt_i32 s0, 8
	s_cbranch_scc1 .LBB39_1990
; %bb.1981:
	;; [unrolled: 3-line block ×3, first 2 shown]
	s_cmp_gt_i32 s0, 9
	s_cbranch_scc0 .LBB39_1984
; %bb.1983:
	v_lshlrev_b32_e32 v3, 16, v1
	v_mov_b32_e32 v10, 0
	s_mov_b32 s1, 0
	v_cvt_f64_f32_e32 v[8:9], v3
	v_mov_b32_e32 v11, v10
	global_store_dwordx4 v[5:6], v[8:11], off
.LBB39_1984:
	s_andn2_b32 vcc_lo, exec_lo, s1
	s_cbranch_vccnz .LBB39_1986
; %bb.1985:
	v_lshlrev_b32_e32 v8, 16, v1
	v_mov_b32_e32 v9, 0
	global_store_dwordx2 v[5:6], v[8:9], off
.LBB39_1986:
	s_mov_b32 s1, 0
.LBB39_1987:
	s_andn2_b32 vcc_lo, exec_lo, s1
	s_cbranch_vccnz .LBB39_1989
; %bb.1988:
	v_lshlrev_b32_e32 v3, 16, v1
	v_cvt_f16_f32_e32 v3, v3
	v_and_b32_e32 v3, 0xffff, v3
	global_store_dword v[5:6], v3, off
.LBB39_1989:
	s_mov_b32 s1, 0
.LBB39_1990:
	s_andn2_b32 vcc_lo, exec_lo, s1
	s_cbranch_vccnz .LBB39_1999
; %bb.1991:
	s_cmp_lt_i32 s0, 6
	s_mov_b32 s1, -1
	s_cbranch_scc1 .LBB39_1997
; %bb.1992:
	s_cmp_gt_i32 s0, 6
	s_cbranch_scc0 .LBB39_1994
; %bb.1993:
	v_lshlrev_b32_e32 v3, 16, v1
	s_mov_b32 s1, 0
	v_cvt_f64_f32_e32 v[8:9], v3
	global_store_dwordx2 v[5:6], v[8:9], off
.LBB39_1994:
	s_andn2_b32 vcc_lo, exec_lo, s1
	s_cbranch_vccnz .LBB39_1996
; %bb.1995:
	v_lshlrev_b32_e32 v3, 16, v1
	global_store_dword v[5:6], v3, off
.LBB39_1996:
	s_mov_b32 s1, 0
.LBB39_1997:
	s_andn2_b32 vcc_lo, exec_lo, s1
	s_cbranch_vccnz .LBB39_1999
; %bb.1998:
	v_lshlrev_b32_e32 v3, 16, v1
	v_cvt_f16_f32_e32 v3, v3
	global_store_short v[5:6], v3, off
.LBB39_1999:
	s_mov_b32 s1, 0
.LBB39_2000:
	s_andn2_b32 vcc_lo, exec_lo, s1
	s_cbranch_vccnz .LBB39_2016
; %bb.2001:
	s_cmp_lt_i32 s0, 2
	s_mov_b32 s1, -1
	s_cbranch_scc1 .LBB39_2011
; %bb.2002:
	s_cmp_lt_i32 s0, 3
	s_cbranch_scc1 .LBB39_2008
; %bb.2003:
	s_cmp_gt_i32 s0, 3
	s_cbranch_scc0 .LBB39_2005
; %bb.2004:
	v_lshlrev_b32_e32 v3, 16, v1
	s_mov_b32 s1, 0
	v_trunc_f32_e32 v3, v3
	v_mul_f32_e64 v8, 0x2f800000, |v3|
	v_floor_f32_e32 v8, v8
	v_fma_f32 v9, 0xcf800000, v8, |v3|
	v_ashrrev_i32_e32 v3, 31, v3
	v_cvt_u32_f32_e32 v8, v8
	v_cvt_u32_f32_e32 v9, v9
	v_xor_b32_e32 v10, v8, v3
	v_xor_b32_e32 v9, v9, v3
	v_sub_co_u32 v8, vcc_lo, v9, v3
	v_sub_co_ci_u32_e64 v9, null, v10, v3, vcc_lo
	global_store_dwordx2 v[5:6], v[8:9], off
.LBB39_2005:
	s_andn2_b32 vcc_lo, exec_lo, s1
	s_cbranch_vccnz .LBB39_2007
; %bb.2006:
	v_lshlrev_b32_e32 v3, 16, v1
	v_cvt_i32_f32_e32 v3, v3
	global_store_dword v[5:6], v3, off
.LBB39_2007:
	s_mov_b32 s1, 0
.LBB39_2008:
	s_andn2_b32 vcc_lo, exec_lo, s1
	s_cbranch_vccnz .LBB39_2010
; %bb.2009:
	v_lshlrev_b32_e32 v3, 16, v1
	v_cvt_i32_f32_e32 v3, v3
	global_store_short v[5:6], v3, off
.LBB39_2010:
	s_mov_b32 s1, 0
.LBB39_2011:
	s_andn2_b32 vcc_lo, exec_lo, s1
	s_cbranch_vccnz .LBB39_2016
; %bb.2012:
	v_lshlrev_b32_e32 v1, 16, v1
	s_cmp_gt_i32 s0, 0
	s_mov_b32 s0, -1
	s_cbranch_scc0 .LBB39_2014
; %bb.2013:
	v_cvt_i32_f32_e32 v3, v1
	s_mov_b32 s0, 0
	global_store_byte v[5:6], v3, off
.LBB39_2014:
	s_andn2_b32 vcc_lo, exec_lo, s0
	s_cbranch_vccnz .LBB39_2016
; %bb.2015:
	v_trunc_f32_e32 v1, v1
	v_mul_f32_e64 v3, 0x2f800000, |v1|
	v_floor_f32_e32 v3, v3
	v_fma_f32 v3, 0xcf800000, v3, |v1|
	v_ashrrev_i32_e32 v1, 31, v1
	v_cvt_u32_f32_e32 v3, v3
	v_xor_b32_e32 v3, v3, v1
	v_sub_nc_u32_e32 v1, v3, v1
	global_store_byte v[5:6], v1, off
.LBB39_2016:
	s_mov_b32 s6, -1
.LBB39_2017:
	s_andn2_b32 vcc_lo, exec_lo, s6
	s_cbranch_vccnz .LBB39_2332
; %bb.2018:
	s_lshr_b32 s0, s3, 8
	s_and_b32 s1, s0, 0xff
	v_add_co_u32 v3, s0, s8, v4
	v_add_co_ci_u32_e64 v4, null, s9, 0, s0
	s_cmp_lt_i32 s1, 11
	s_cbranch_scc1 .LBB39_2096
; %bb.2019:
	s_and_b32 s3, 0xffff, s1
	s_mov_b32 s6, -1
	s_mov_b32 s4, 0
	s_cmp_gt_i32 s3, 25
	s_mov_b32 s5, 0
	s_mov_b32 s0, 0
	s_cbranch_scc0 .LBB39_2052
; %bb.2020:
	s_cmp_gt_i32 s3, 28
	s_cbranch_scc0 .LBB39_2035
; %bb.2021:
	s_cmp_gt_i32 s3, 43
	;; [unrolled: 3-line block ×3, first 2 shown]
	s_cbranch_scc0 .LBB39_2025
; %bb.2023:
	s_mov_b32 s0, -1
	s_mov_b32 s6, 0
	s_cmp_eq_u32 s3, 46
	s_cbranch_scc0 .LBB39_2025
; %bb.2024:
	v_and_b32_e32 v1, 0xffff, v14
	s_mov_b32 s0, 0
	s_mov_b32 s5, -1
	global_store_dword v[3:4], v1, off
.LBB39_2025:
	s_and_b32 vcc_lo, exec_lo, s6
	s_cbranch_vccz .LBB39_2030
; %bb.2026:
	s_cmp_eq_u32 s3, 44
	s_mov_b32 s0, -1
	s_cbranch_scc0 .LBB39_2030
; %bb.2027:
	v_and_b32_e32 v1, 0xffff, v14
	v_mov_b32_e32 v5, 0xff
	s_mov_b32 s5, exec_lo
	v_bfe_u32 v6, v1, 7, 8
	v_cmpx_ne_u32_e32 0xff, v6
	s_cbranch_execz .LBB39_2029
; %bb.2028:
	v_lshlrev_b32_e32 v5, 16, v1
	v_and_b32_e32 v8, 64, v1
	v_lshrrev_b32_e32 v1, 7, v1
	v_and_or_b32 v5, 0x3f0000, v5, v6
	v_cmp_ne_u32_e32 vcc_lo, 0, v8
	v_cmp_ne_u32_e64 s0, 0, v5
	s_and_b32 s0, vcc_lo, s0
	v_cndmask_b32_e64 v5, 0, 1, s0
	v_add_nc_u32_e32 v5, v1, v5
.LBB39_2029:
	s_or_b32 exec_lo, exec_lo, s5
	s_mov_b32 s0, 0
	s_mov_b32 s5, -1
	global_store_byte v[3:4], v5, off
.LBB39_2030:
	s_mov_b32 s6, 0
.LBB39_2031:
	s_and_b32 vcc_lo, exec_lo, s6
	s_cbranch_vccz .LBB39_2034
; %bb.2032:
	s_cmp_eq_u32 s3, 29
	s_mov_b32 s0, -1
	s_cbranch_scc0 .LBB39_2034
; %bb.2033:
	v_lshlrev_b32_e32 v1, 16, v14
	s_mov_b32 s0, 0
	s_mov_b32 s5, -1
	v_trunc_f32_e32 v1, v1
	v_mul_f32_e32 v5, 0x2f800000, v1
	v_floor_f32_e32 v5, v5
	v_fmamk_f32 v1, v5, 0xcf800000, v1
	v_cvt_u32_f32_e32 v6, v5
	v_cvt_u32_f32_e32 v5, v1
	global_store_dwordx2 v[3:4], v[5:6], off
.LBB39_2034:
	s_mov_b32 s6, 0
.LBB39_2035:
	s_and_b32 vcc_lo, exec_lo, s6
	s_cbranch_vccz .LBB39_2051
; %bb.2036:
	s_cmp_lt_i32 s3, 27
	s_mov_b32 s5, -1
	s_cbranch_scc1 .LBB39_2042
; %bb.2037:
	s_cmp_gt_i32 s3, 27
	s_cbranch_scc0 .LBB39_2039
; %bb.2038:
	v_lshlrev_b32_e32 v1, 16, v14
	s_mov_b32 s5, 0
	v_cvt_u32_f32_e32 v1, v1
	global_store_dword v[3:4], v1, off
.LBB39_2039:
	s_andn2_b32 vcc_lo, exec_lo, s5
	s_cbranch_vccnz .LBB39_2041
; %bb.2040:
	v_lshlrev_b32_e32 v1, 16, v14
	v_cvt_u32_f32_e32 v1, v1
	global_store_short v[3:4], v1, off
.LBB39_2041:
	s_mov_b32 s5, 0
.LBB39_2042:
	s_andn2_b32 vcc_lo, exec_lo, s5
	s_cbranch_vccnz .LBB39_2050
; %bb.2043:
	v_lshlrev_b32_e32 v6, 16, v14
	v_mov_b32_e32 v8, 0x80
	s_mov_b32 s5, exec_lo
	v_and_b32_e32 v5, 0x7fffffff, v6
	v_cmpx_gt_u32_e32 0x43800000, v5
	s_cbranch_execz .LBB39_2049
; %bb.2044:
	v_and_b32_e32 v1, 0xffff, v14
	v_cmp_lt_u32_e32 vcc_lo, 0x3bffffff, v5
	s_mov_b32 s6, 0
                                        ; implicit-def: $vgpr5
	s_and_saveexec_b32 s7, vcc_lo
	s_xor_b32 s7, exec_lo, s7
	s_cbranch_execz .LBB39_2340
; %bb.2045:
	v_bfe_u32 v5, v1, 4, 1
	s_mov_b32 s6, exec_lo
	v_add3_u32 v5, v6, v5, 0x487ffff
                                        ; implicit-def: $vgpr6
	v_lshrrev_b32_e32 v5, 20, v5
	s_andn2_saveexec_b32 s7, s7
	s_cbranch_execnz .LBB39_2341
.LBB39_2046:
	s_or_b32 exec_lo, exec_lo, s7
	v_mov_b32_e32 v8, 0
	s_and_saveexec_b32 s7, s6
.LBB39_2047:
	v_lshrrev_b32_e32 v1, 8, v1
	v_and_or_b32 v8, 0x80, v1, v5
.LBB39_2048:
	s_or_b32 exec_lo, exec_lo, s7
.LBB39_2049:
	s_or_b32 exec_lo, exec_lo, s5
	global_store_byte v[3:4], v8, off
.LBB39_2050:
	s_mov_b32 s5, -1
.LBB39_2051:
	s_mov_b32 s6, 0
.LBB39_2052:
	s_and_b32 vcc_lo, exec_lo, s6
	s_cbranch_vccz .LBB39_2092
; %bb.2053:
	s_cmp_gt_i32 s3, 22
	s_mov_b32 s4, -1
	s_cbranch_scc0 .LBB39_2085
; %bb.2054:
	s_cmp_lt_i32 s3, 24
	s_cbranch_scc1 .LBB39_2074
; %bb.2055:
	s_cmp_gt_i32 s3, 24
	s_cbranch_scc0 .LBB39_2063
; %bb.2056:
	v_lshlrev_b32_e32 v6, 16, v14
	v_mov_b32_e32 v8, 0x80
	s_mov_b32 s4, exec_lo
	v_and_b32_e32 v5, 0x7fffffff, v6
	v_cmpx_gt_u32_e32 0x47800000, v5
	s_cbranch_execz .LBB39_2062
; %bb.2057:
	v_and_b32_e32 v1, 0xffff, v14
	v_cmp_lt_u32_e32 vcc_lo, 0x37ffffff, v5
	s_mov_b32 s5, 0
                                        ; implicit-def: $vgpr5
	s_and_saveexec_b32 s6, vcc_lo
	s_xor_b32 s6, exec_lo, s6
	s_cbranch_execz .LBB39_2343
; %bb.2058:
	v_bfe_u32 v5, v1, 5, 1
	s_mov_b32 s5, exec_lo
	v_add3_u32 v5, v6, v5, 0x88fffff
                                        ; implicit-def: $vgpr6
	v_lshrrev_b32_e32 v5, 21, v5
	s_andn2_saveexec_b32 s6, s6
	s_cbranch_execnz .LBB39_2344
.LBB39_2059:
	s_or_b32 exec_lo, exec_lo, s6
	v_mov_b32_e32 v8, 0
	s_and_saveexec_b32 s6, s5
.LBB39_2060:
	v_lshrrev_b32_e32 v1, 8, v1
	v_and_or_b32 v8, 0x80, v1, v5
.LBB39_2061:
	s_or_b32 exec_lo, exec_lo, s6
.LBB39_2062:
	s_or_b32 exec_lo, exec_lo, s4
	s_mov_b32 s4, 0
	global_store_byte v[3:4], v8, off
.LBB39_2063:
	s_and_b32 vcc_lo, exec_lo, s4
	s_cbranch_vccz .LBB39_2073
; %bb.2064:
	v_lshlrev_b32_e32 v6, 16, v14
	v_and_b32_e32 v1, 0xffff, v14
	s_mov_b32 s4, exec_lo
                                        ; implicit-def: $vgpr5
	v_and_b32_e32 v8, 0x7fffffff, v6
	v_cmpx_gt_u32_e32 0x43f00000, v8
	s_xor_b32 s4, exec_lo, s4
	s_cbranch_execz .LBB39_2070
; %bb.2065:
	s_mov_b32 s5, exec_lo
                                        ; implicit-def: $vgpr5
	v_cmpx_lt_u32_e32 0x3c7fffff, v8
	s_xor_b32 s5, exec_lo, s5
; %bb.2066:
	v_bfe_u32 v5, v1, 4, 1
	v_add3_u32 v5, v6, v5, 0x407ffff
	v_and_b32_e32 v6, 0xff00000, v5
	v_lshrrev_b32_e32 v5, 20, v5
	v_cmp_ne_u32_e32 vcc_lo, 0x7f00000, v6
                                        ; implicit-def: $vgpr6
	v_cndmask_b32_e32 v5, 0x7e, v5, vcc_lo
; %bb.2067:
	s_andn2_saveexec_b32 s5, s5
; %bb.2068:
	v_add_f32_e64 v5, 0x46800000, |v6|
; %bb.2069:
	s_or_b32 exec_lo, exec_lo, s5
                                        ; implicit-def: $vgpr8
.LBB39_2070:
	s_andn2_saveexec_b32 s4, s4
; %bb.2071:
	v_mov_b32_e32 v5, 0x7f
	v_cmp_lt_u32_e32 vcc_lo, 0x7f800000, v8
	v_cndmask_b32_e32 v5, 0x7e, v5, vcc_lo
; %bb.2072:
	s_or_b32 exec_lo, exec_lo, s4
	v_lshrrev_b32_e32 v1, 8, v1
	v_and_or_b32 v1, 0x80, v1, v5
	global_store_byte v[3:4], v1, off
.LBB39_2073:
	s_mov_b32 s4, 0
.LBB39_2074:
	s_andn2_b32 vcc_lo, exec_lo, s4
	s_cbranch_vccnz .LBB39_2084
; %bb.2075:
	v_lshlrev_b32_e32 v6, 16, v14
	v_and_b32_e32 v1, 0xffff, v14
	s_mov_b32 s4, exec_lo
                                        ; implicit-def: $vgpr5
	v_and_b32_e32 v8, 0x7fffffff, v6
	v_cmpx_gt_u32_e32 0x47800000, v8
	s_xor_b32 s4, exec_lo, s4
	s_cbranch_execz .LBB39_2081
; %bb.2076:
	s_mov_b32 s5, exec_lo
                                        ; implicit-def: $vgpr5
	v_cmpx_lt_u32_e32 0x387fffff, v8
	s_xor_b32 s5, exec_lo, s5
; %bb.2077:
	v_bfe_u32 v5, v1, 5, 1
	v_add3_u32 v5, v6, v5, 0x80fffff
                                        ; implicit-def: $vgpr6
	v_lshrrev_b32_e32 v5, 21, v5
; %bb.2078:
	s_andn2_saveexec_b32 s5, s5
; %bb.2079:
	v_add_f32_e64 v5, 0x43000000, |v6|
; %bb.2080:
	s_or_b32 exec_lo, exec_lo, s5
                                        ; implicit-def: $vgpr8
.LBB39_2081:
	s_andn2_saveexec_b32 s4, s4
; %bb.2082:
	v_mov_b32_e32 v5, 0x7f
	v_cmp_lt_u32_e32 vcc_lo, 0x7f800000, v8
	v_cndmask_b32_e32 v5, 0x7c, v5, vcc_lo
; %bb.2083:
	s_or_b32 exec_lo, exec_lo, s4
	v_lshrrev_b32_e32 v1, 8, v1
	v_and_or_b32 v1, 0x80, v1, v5
	global_store_byte v[3:4], v1, off
.LBB39_2084:
	s_mov_b32 s4, 0
	s_mov_b32 s5, -1
.LBB39_2085:
	s_andn2_b32 vcc_lo, exec_lo, s4
	s_mov_b32 s4, 0
	s_cbranch_vccnz .LBB39_2092
; %bb.2086:
	s_cmp_gt_i32 s3, 14
	s_mov_b32 s4, -1
	s_cbranch_scc0 .LBB39_2090
; %bb.2087:
	s_cmp_eq_u32 s3, 15
	s_mov_b32 s0, -1
	s_cbranch_scc0 .LBB39_2089
; %bb.2088:
	s_mov_b32 s0, 0
	s_mov_b32 s5, -1
	global_store_short v[3:4], v14, off
.LBB39_2089:
	s_mov_b32 s4, 0
.LBB39_2090:
	s_and_b32 vcc_lo, exec_lo, s4
	s_mov_b32 s4, 0
	s_cbranch_vccz .LBB39_2092
; %bb.2091:
	s_cmp_lg_u32 s3, 11
	s_mov_b32 s4, -1
	s_cselect_b32 s0, -1, 0
.LBB39_2092:
	s_and_b32 vcc_lo, exec_lo, s0
	s_cbranch_vccnz .LBB39_2342
; %bb.2093:
	s_andn2_b32 vcc_lo, exec_lo, s4
	s_cbranch_vccnz .LBB39_2095
.LBB39_2094:
	v_and_b32_e32 v1, 0x7fff, v14
	s_mov_b32 s5, -1
	v_cmp_ne_u16_e32 vcc_lo, 0, v1
	v_cndmask_b32_e64 v1, 0, 1, vcc_lo
	global_store_byte v[3:4], v1, off
.LBB39_2095:
	s_mov_b32 s0, 0
	s_branch .LBB39_2097
.LBB39_2096:
	s_mov_b32 s0, -1
	s_mov_b32 s5, 0
.LBB39_2097:
	s_and_b32 vcc_lo, exec_lo, s0
	s_cbranch_vccz .LBB39_2136
; %bb.2098:
	s_and_b32 s0, 0xffff, s1
	s_mov_b32 s3, -1
	s_cmp_lt_i32 s0, 5
	s_cbranch_scc1 .LBB39_2119
; %bb.2099:
	s_cmp_lt_i32 s0, 8
	s_cbranch_scc1 .LBB39_2109
; %bb.2100:
	;; [unrolled: 3-line block ×3, first 2 shown]
	s_cmp_gt_i32 s0, 9
	s_cbranch_scc0 .LBB39_2103
; %bb.2102:
	v_lshlrev_b32_e32 v1, 16, v14
	v_mov_b32_e32 v10, 0
	s_mov_b32 s3, 0
	v_cvt_f64_f32_e32 v[8:9], v1
	v_mov_b32_e32 v11, v10
	global_store_dwordx4 v[3:4], v[8:11], off
.LBB39_2103:
	s_andn2_b32 vcc_lo, exec_lo, s3
	s_cbranch_vccnz .LBB39_2105
; %bb.2104:
	v_lshlrev_b32_e32 v5, 16, v14
	v_mov_b32_e32 v6, 0
	global_store_dwordx2 v[3:4], v[5:6], off
.LBB39_2105:
	s_mov_b32 s3, 0
.LBB39_2106:
	s_andn2_b32 vcc_lo, exec_lo, s3
	s_cbranch_vccnz .LBB39_2108
; %bb.2107:
	v_lshlrev_b32_e32 v1, 16, v14
	v_cvt_f16_f32_e32 v1, v1
	v_and_b32_e32 v1, 0xffff, v1
	global_store_dword v[3:4], v1, off
.LBB39_2108:
	s_mov_b32 s3, 0
.LBB39_2109:
	s_andn2_b32 vcc_lo, exec_lo, s3
	s_cbranch_vccnz .LBB39_2118
; %bb.2110:
	s_cmp_lt_i32 s0, 6
	s_mov_b32 s3, -1
	s_cbranch_scc1 .LBB39_2116
; %bb.2111:
	s_cmp_gt_i32 s0, 6
	s_cbranch_scc0 .LBB39_2113
; %bb.2112:
	v_lshlrev_b32_e32 v1, 16, v14
	s_mov_b32 s3, 0
	v_cvt_f64_f32_e32 v[5:6], v1
	global_store_dwordx2 v[3:4], v[5:6], off
.LBB39_2113:
	s_andn2_b32 vcc_lo, exec_lo, s3
	s_cbranch_vccnz .LBB39_2115
; %bb.2114:
	v_lshlrev_b32_e32 v1, 16, v14
	global_store_dword v[3:4], v1, off
.LBB39_2115:
	s_mov_b32 s3, 0
.LBB39_2116:
	s_andn2_b32 vcc_lo, exec_lo, s3
	s_cbranch_vccnz .LBB39_2118
; %bb.2117:
	v_lshlrev_b32_e32 v1, 16, v14
	v_cvt_f16_f32_e32 v1, v1
	global_store_short v[3:4], v1, off
.LBB39_2118:
	s_mov_b32 s3, 0
.LBB39_2119:
	s_andn2_b32 vcc_lo, exec_lo, s3
	s_cbranch_vccnz .LBB39_2135
; %bb.2120:
	s_cmp_lt_i32 s0, 2
	s_mov_b32 s3, -1
	s_cbranch_scc1 .LBB39_2130
; %bb.2121:
	s_cmp_lt_i32 s0, 3
	s_cbranch_scc1 .LBB39_2127
; %bb.2122:
	s_cmp_gt_i32 s0, 3
	s_cbranch_scc0 .LBB39_2124
; %bb.2123:
	v_lshlrev_b32_e32 v1, 16, v14
	s_mov_b32 s3, 0
	v_trunc_f32_e32 v1, v1
	v_mul_f32_e64 v5, 0x2f800000, |v1|
	v_floor_f32_e32 v5, v5
	v_fma_f32 v6, 0xcf800000, v5, |v1|
	v_ashrrev_i32_e32 v1, 31, v1
	v_cvt_u32_f32_e32 v5, v5
	v_cvt_u32_f32_e32 v6, v6
	v_xor_b32_e32 v8, v5, v1
	v_xor_b32_e32 v6, v6, v1
	v_sub_co_u32 v5, vcc_lo, v6, v1
	v_sub_co_ci_u32_e64 v6, null, v8, v1, vcc_lo
	global_store_dwordx2 v[3:4], v[5:6], off
.LBB39_2124:
	s_andn2_b32 vcc_lo, exec_lo, s3
	s_cbranch_vccnz .LBB39_2126
; %bb.2125:
	v_lshlrev_b32_e32 v1, 16, v14
	v_cvt_i32_f32_e32 v1, v1
	global_store_dword v[3:4], v1, off
.LBB39_2126:
	s_mov_b32 s3, 0
.LBB39_2127:
	s_andn2_b32 vcc_lo, exec_lo, s3
	s_cbranch_vccnz .LBB39_2129
; %bb.2128:
	v_lshlrev_b32_e32 v1, 16, v14
	v_cvt_i32_f32_e32 v1, v1
	global_store_short v[3:4], v1, off
.LBB39_2129:
	s_mov_b32 s3, 0
.LBB39_2130:
	s_andn2_b32 vcc_lo, exec_lo, s3
	s_cbranch_vccnz .LBB39_2135
; %bb.2131:
	v_lshlrev_b32_e32 v1, 16, v14
	s_cmp_gt_i32 s0, 0
	s_mov_b32 s0, -1
	s_cbranch_scc0 .LBB39_2133
; %bb.2132:
	v_cvt_i32_f32_e32 v5, v1
	s_mov_b32 s0, 0
	global_store_byte v[3:4], v5, off
.LBB39_2133:
	s_andn2_b32 vcc_lo, exec_lo, s0
	s_cbranch_vccnz .LBB39_2135
; %bb.2134:
	v_trunc_f32_e32 v1, v1
	v_mul_f32_e64 v5, 0x2f800000, |v1|
	v_floor_f32_e32 v5, v5
	v_fma_f32 v5, 0xcf800000, v5, |v1|
	v_ashrrev_i32_e32 v1, 31, v1
	v_cvt_u32_f32_e32 v5, v5
	v_xor_b32_e32 v5, v5, v1
	v_sub_nc_u32_e32 v1, v5, v1
	global_store_byte v[3:4], v1, off
.LBB39_2135:
	s_mov_b32 s5, -1
.LBB39_2136:
	s_andn2_b32 vcc_lo, exec_lo, s5
	s_cbranch_vccnz .LBB39_2332
; %bb.2137:
	v_add_co_u32 v1, s0, s8, v2
	v_add_co_ci_u32_e64 v2, null, s9, 0, s0
	s_cmp_lt_i32 s1, 11
	s_cbranch_scc1 .LBB39_2215
; %bb.2138:
	s_and_b32 s3, 0xffff, s1
	s_mov_b32 s6, -1
	s_mov_b32 s4, 0
	s_cmp_gt_i32 s3, 25
	s_mov_b32 s5, 0
	s_mov_b32 s0, 0
	s_cbranch_scc0 .LBB39_2171
; %bb.2139:
	s_cmp_gt_i32 s3, 28
	s_cbranch_scc0 .LBB39_2154
; %bb.2140:
	s_cmp_gt_i32 s3, 43
	;; [unrolled: 3-line block ×3, first 2 shown]
	s_cbranch_scc0 .LBB39_2144
; %bb.2142:
	s_mov_b32 s0, -1
	s_mov_b32 s6, 0
	s_cmp_eq_u32 s3, 46
	s_cbranch_scc0 .LBB39_2144
; %bb.2143:
	v_and_b32_e32 v3, 0xffff, v13
	s_mov_b32 s0, 0
	s_mov_b32 s5, -1
	global_store_dword v[1:2], v3, off
.LBB39_2144:
	s_and_b32 vcc_lo, exec_lo, s6
	s_cbranch_vccz .LBB39_2149
; %bb.2145:
	s_cmp_eq_u32 s3, 44
	s_mov_b32 s0, -1
	s_cbranch_scc0 .LBB39_2149
; %bb.2146:
	v_and_b32_e32 v3, 0xffff, v13
	v_mov_b32_e32 v4, 0xff
	s_mov_b32 s5, exec_lo
	v_bfe_u32 v5, v3, 7, 8
	v_cmpx_ne_u32_e32 0xff, v5
	s_cbranch_execz .LBB39_2148
; %bb.2147:
	v_lshlrev_b32_e32 v4, 16, v3
	v_and_b32_e32 v6, 64, v3
	v_lshrrev_b32_e32 v3, 7, v3
	v_and_or_b32 v4, 0x3f0000, v4, v5
	v_cmp_ne_u32_e32 vcc_lo, 0, v6
	v_cmp_ne_u32_e64 s0, 0, v4
	s_and_b32 s0, vcc_lo, s0
	v_cndmask_b32_e64 v4, 0, 1, s0
	v_add_nc_u32_e32 v4, v3, v4
.LBB39_2148:
	s_or_b32 exec_lo, exec_lo, s5
	s_mov_b32 s0, 0
	s_mov_b32 s5, -1
	global_store_byte v[1:2], v4, off
.LBB39_2149:
	s_mov_b32 s6, 0
.LBB39_2150:
	s_and_b32 vcc_lo, exec_lo, s6
	s_cbranch_vccz .LBB39_2153
; %bb.2151:
	s_cmp_eq_u32 s3, 29
	s_mov_b32 s0, -1
	s_cbranch_scc0 .LBB39_2153
; %bb.2152:
	v_lshlrev_b32_e32 v3, 16, v13
	s_mov_b32 s0, 0
	s_mov_b32 s5, -1
	v_trunc_f32_e32 v3, v3
	v_mul_f32_e32 v4, 0x2f800000, v3
	v_floor_f32_e32 v4, v4
	v_fmamk_f32 v3, v4, 0xcf800000, v3
	v_cvt_u32_f32_e32 v4, v4
	v_cvt_u32_f32_e32 v3, v3
	global_store_dwordx2 v[1:2], v[3:4], off
.LBB39_2153:
	s_mov_b32 s6, 0
.LBB39_2154:
	s_and_b32 vcc_lo, exec_lo, s6
	s_cbranch_vccz .LBB39_2170
; %bb.2155:
	s_cmp_lt_i32 s3, 27
	s_mov_b32 s5, -1
	s_cbranch_scc1 .LBB39_2161
; %bb.2156:
	s_cmp_gt_i32 s3, 27
	s_cbranch_scc0 .LBB39_2158
; %bb.2157:
	v_lshlrev_b32_e32 v3, 16, v13
	s_mov_b32 s5, 0
	v_cvt_u32_f32_e32 v3, v3
	global_store_dword v[1:2], v3, off
.LBB39_2158:
	s_andn2_b32 vcc_lo, exec_lo, s5
	s_cbranch_vccnz .LBB39_2160
; %bb.2159:
	v_lshlrev_b32_e32 v3, 16, v13
	v_cvt_u32_f32_e32 v3, v3
	global_store_short v[1:2], v3, off
.LBB39_2160:
	s_mov_b32 s5, 0
.LBB39_2161:
	s_andn2_b32 vcc_lo, exec_lo, s5
	s_cbranch_vccnz .LBB39_2169
; %bb.2162:
	v_lshlrev_b32_e32 v5, 16, v13
	v_mov_b32_e32 v6, 0x80
	s_mov_b32 s5, exec_lo
	v_and_b32_e32 v4, 0x7fffffff, v5
	v_cmpx_gt_u32_e32 0x43800000, v4
	s_cbranch_execz .LBB39_2168
; %bb.2163:
	v_and_b32_e32 v3, 0xffff, v13
	v_cmp_lt_u32_e32 vcc_lo, 0x3bffffff, v4
	s_mov_b32 s6, 0
                                        ; implicit-def: $vgpr4
	s_and_saveexec_b32 s7, vcc_lo
	s_xor_b32 s7, exec_lo, s7
	s_cbranch_execz .LBB39_2345
; %bb.2164:
	v_bfe_u32 v4, v3, 4, 1
	s_mov_b32 s6, exec_lo
	v_add3_u32 v4, v5, v4, 0x487ffff
                                        ; implicit-def: $vgpr5
	v_lshrrev_b32_e32 v4, 20, v4
	s_andn2_saveexec_b32 s7, s7
	s_cbranch_execnz .LBB39_2346
.LBB39_2165:
	s_or_b32 exec_lo, exec_lo, s7
	v_mov_b32_e32 v6, 0
	s_and_saveexec_b32 s7, s6
.LBB39_2166:
	v_lshrrev_b32_e32 v3, 8, v3
	v_and_or_b32 v6, 0x80, v3, v4
.LBB39_2167:
	s_or_b32 exec_lo, exec_lo, s7
.LBB39_2168:
	s_or_b32 exec_lo, exec_lo, s5
	global_store_byte v[1:2], v6, off
.LBB39_2169:
	s_mov_b32 s5, -1
.LBB39_2170:
	s_mov_b32 s6, 0
.LBB39_2171:
	s_and_b32 vcc_lo, exec_lo, s6
	s_cbranch_vccz .LBB39_2211
; %bb.2172:
	s_cmp_gt_i32 s3, 22
	s_mov_b32 s4, -1
	s_cbranch_scc0 .LBB39_2204
; %bb.2173:
	s_cmp_lt_i32 s3, 24
	s_cbranch_scc1 .LBB39_2193
; %bb.2174:
	s_cmp_gt_i32 s3, 24
	s_cbranch_scc0 .LBB39_2182
; %bb.2175:
	v_lshlrev_b32_e32 v5, 16, v13
	v_mov_b32_e32 v6, 0x80
	s_mov_b32 s4, exec_lo
	v_and_b32_e32 v4, 0x7fffffff, v5
	v_cmpx_gt_u32_e32 0x47800000, v4
	s_cbranch_execz .LBB39_2181
; %bb.2176:
	v_and_b32_e32 v3, 0xffff, v13
	v_cmp_lt_u32_e32 vcc_lo, 0x37ffffff, v4
	s_mov_b32 s5, 0
                                        ; implicit-def: $vgpr4
	s_and_saveexec_b32 s6, vcc_lo
	s_xor_b32 s6, exec_lo, s6
	s_cbranch_execz .LBB39_2348
; %bb.2177:
	v_bfe_u32 v4, v3, 5, 1
	s_mov_b32 s5, exec_lo
	v_add3_u32 v4, v5, v4, 0x88fffff
                                        ; implicit-def: $vgpr5
	v_lshrrev_b32_e32 v4, 21, v4
	s_andn2_saveexec_b32 s6, s6
	s_cbranch_execnz .LBB39_2349
.LBB39_2178:
	s_or_b32 exec_lo, exec_lo, s6
	v_mov_b32_e32 v6, 0
	s_and_saveexec_b32 s6, s5
.LBB39_2179:
	v_lshrrev_b32_e32 v3, 8, v3
	v_and_or_b32 v6, 0x80, v3, v4
.LBB39_2180:
	s_or_b32 exec_lo, exec_lo, s6
.LBB39_2181:
	s_or_b32 exec_lo, exec_lo, s4
	s_mov_b32 s4, 0
	global_store_byte v[1:2], v6, off
.LBB39_2182:
	s_and_b32 vcc_lo, exec_lo, s4
	s_cbranch_vccz .LBB39_2192
; %bb.2183:
	v_lshlrev_b32_e32 v5, 16, v13
	v_and_b32_e32 v3, 0xffff, v13
	s_mov_b32 s4, exec_lo
                                        ; implicit-def: $vgpr4
	v_and_b32_e32 v6, 0x7fffffff, v5
	v_cmpx_gt_u32_e32 0x43f00000, v6
	s_xor_b32 s4, exec_lo, s4
	s_cbranch_execz .LBB39_2189
; %bb.2184:
	s_mov_b32 s5, exec_lo
                                        ; implicit-def: $vgpr4
	v_cmpx_lt_u32_e32 0x3c7fffff, v6
	s_xor_b32 s5, exec_lo, s5
; %bb.2185:
	v_bfe_u32 v4, v3, 4, 1
	v_add3_u32 v4, v5, v4, 0x407ffff
	v_and_b32_e32 v5, 0xff00000, v4
	v_lshrrev_b32_e32 v4, 20, v4
	v_cmp_ne_u32_e32 vcc_lo, 0x7f00000, v5
                                        ; implicit-def: $vgpr5
	v_cndmask_b32_e32 v4, 0x7e, v4, vcc_lo
; %bb.2186:
	s_andn2_saveexec_b32 s5, s5
; %bb.2187:
	v_add_f32_e64 v4, 0x46800000, |v5|
; %bb.2188:
	s_or_b32 exec_lo, exec_lo, s5
                                        ; implicit-def: $vgpr6
.LBB39_2189:
	s_andn2_saveexec_b32 s4, s4
; %bb.2190:
	v_mov_b32_e32 v4, 0x7f
	v_cmp_lt_u32_e32 vcc_lo, 0x7f800000, v6
	v_cndmask_b32_e32 v4, 0x7e, v4, vcc_lo
; %bb.2191:
	s_or_b32 exec_lo, exec_lo, s4
	v_lshrrev_b32_e32 v3, 8, v3
	v_and_or_b32 v3, 0x80, v3, v4
	global_store_byte v[1:2], v3, off
.LBB39_2192:
	s_mov_b32 s4, 0
.LBB39_2193:
	s_andn2_b32 vcc_lo, exec_lo, s4
	s_cbranch_vccnz .LBB39_2203
; %bb.2194:
	v_lshlrev_b32_e32 v5, 16, v13
	v_and_b32_e32 v3, 0xffff, v13
	s_mov_b32 s4, exec_lo
                                        ; implicit-def: $vgpr4
	v_and_b32_e32 v6, 0x7fffffff, v5
	v_cmpx_gt_u32_e32 0x47800000, v6
	s_xor_b32 s4, exec_lo, s4
	s_cbranch_execz .LBB39_2200
; %bb.2195:
	s_mov_b32 s5, exec_lo
                                        ; implicit-def: $vgpr4
	v_cmpx_lt_u32_e32 0x387fffff, v6
	s_xor_b32 s5, exec_lo, s5
; %bb.2196:
	v_bfe_u32 v4, v3, 5, 1
	v_add3_u32 v4, v5, v4, 0x80fffff
                                        ; implicit-def: $vgpr5
	v_lshrrev_b32_e32 v4, 21, v4
; %bb.2197:
	s_andn2_saveexec_b32 s5, s5
; %bb.2198:
	v_add_f32_e64 v4, 0x43000000, |v5|
; %bb.2199:
	s_or_b32 exec_lo, exec_lo, s5
                                        ; implicit-def: $vgpr6
.LBB39_2200:
	s_andn2_saveexec_b32 s4, s4
; %bb.2201:
	v_mov_b32_e32 v4, 0x7f
	v_cmp_lt_u32_e32 vcc_lo, 0x7f800000, v6
	v_cndmask_b32_e32 v4, 0x7c, v4, vcc_lo
; %bb.2202:
	s_or_b32 exec_lo, exec_lo, s4
	v_lshrrev_b32_e32 v3, 8, v3
	v_and_or_b32 v3, 0x80, v3, v4
	global_store_byte v[1:2], v3, off
.LBB39_2203:
	s_mov_b32 s4, 0
	s_mov_b32 s5, -1
.LBB39_2204:
	s_andn2_b32 vcc_lo, exec_lo, s4
	s_mov_b32 s4, 0
	s_cbranch_vccnz .LBB39_2211
; %bb.2205:
	s_cmp_gt_i32 s3, 14
	s_mov_b32 s4, -1
	s_cbranch_scc0 .LBB39_2209
; %bb.2206:
	s_cmp_eq_u32 s3, 15
	s_mov_b32 s0, -1
	s_cbranch_scc0 .LBB39_2208
; %bb.2207:
	s_mov_b32 s0, 0
	s_mov_b32 s5, -1
	global_store_short v[1:2], v13, off
.LBB39_2208:
	s_mov_b32 s4, 0
.LBB39_2209:
	s_and_b32 vcc_lo, exec_lo, s4
	s_mov_b32 s4, 0
	s_cbranch_vccz .LBB39_2211
; %bb.2210:
	s_cmp_lg_u32 s3, 11
	s_mov_b32 s4, -1
	s_cselect_b32 s0, -1, 0
.LBB39_2211:
	s_and_b32 vcc_lo, exec_lo, s0
	s_cbranch_vccnz .LBB39_2347
; %bb.2212:
	s_andn2_b32 vcc_lo, exec_lo, s4
	s_cbranch_vccnz .LBB39_2214
.LBB39_2213:
	v_and_b32_e32 v3, 0x7fff, v13
	s_mov_b32 s5, -1
	v_cmp_ne_u16_e32 vcc_lo, 0, v3
	v_cndmask_b32_e64 v3, 0, 1, vcc_lo
	global_store_byte v[1:2], v3, off
.LBB39_2214:
	s_mov_b32 s0, 0
	s_branch .LBB39_2216
.LBB39_2215:
	s_mov_b32 s0, -1
	s_mov_b32 s5, 0
.LBB39_2216:
	s_and_b32 vcc_lo, exec_lo, s0
	s_cbranch_vccz .LBB39_2255
; %bb.2217:
	s_and_b32 s0, 0xffff, s1
	s_mov_b32 s3, -1
	s_cmp_lt_i32 s0, 5
	s_cbranch_scc1 .LBB39_2238
; %bb.2218:
	s_cmp_lt_i32 s0, 8
	s_cbranch_scc1 .LBB39_2228
; %bb.2219:
	;; [unrolled: 3-line block ×3, first 2 shown]
	s_cmp_gt_i32 s0, 9
	s_cbranch_scc0 .LBB39_2222
; %bb.2221:
	v_lshlrev_b32_e32 v3, 16, v13
	v_mov_b32_e32 v5, 0
	s_mov_b32 s3, 0
	v_cvt_f64_f32_e32 v[3:4], v3
	v_mov_b32_e32 v6, v5
	global_store_dwordx4 v[1:2], v[3:6], off
.LBB39_2222:
	s_andn2_b32 vcc_lo, exec_lo, s3
	s_cbranch_vccnz .LBB39_2224
; %bb.2223:
	v_lshlrev_b32_e32 v3, 16, v13
	v_mov_b32_e32 v4, 0
	global_store_dwordx2 v[1:2], v[3:4], off
.LBB39_2224:
	s_mov_b32 s3, 0
.LBB39_2225:
	s_andn2_b32 vcc_lo, exec_lo, s3
	s_cbranch_vccnz .LBB39_2227
; %bb.2226:
	v_lshlrev_b32_e32 v3, 16, v13
	v_cvt_f16_f32_e32 v3, v3
	v_and_b32_e32 v3, 0xffff, v3
	global_store_dword v[1:2], v3, off
.LBB39_2227:
	s_mov_b32 s3, 0
.LBB39_2228:
	s_andn2_b32 vcc_lo, exec_lo, s3
	s_cbranch_vccnz .LBB39_2237
; %bb.2229:
	s_cmp_lt_i32 s0, 6
	s_mov_b32 s3, -1
	s_cbranch_scc1 .LBB39_2235
; %bb.2230:
	s_cmp_gt_i32 s0, 6
	s_cbranch_scc0 .LBB39_2232
; %bb.2231:
	v_lshlrev_b32_e32 v3, 16, v13
	s_mov_b32 s3, 0
	v_cvt_f64_f32_e32 v[3:4], v3
	global_store_dwordx2 v[1:2], v[3:4], off
.LBB39_2232:
	s_andn2_b32 vcc_lo, exec_lo, s3
	s_cbranch_vccnz .LBB39_2234
; %bb.2233:
	v_lshlrev_b32_e32 v3, 16, v13
	global_store_dword v[1:2], v3, off
.LBB39_2234:
	s_mov_b32 s3, 0
.LBB39_2235:
	s_andn2_b32 vcc_lo, exec_lo, s3
	s_cbranch_vccnz .LBB39_2237
; %bb.2236:
	v_lshlrev_b32_e32 v3, 16, v13
	v_cvt_f16_f32_e32 v3, v3
	global_store_short v[1:2], v3, off
.LBB39_2237:
	s_mov_b32 s3, 0
.LBB39_2238:
	s_andn2_b32 vcc_lo, exec_lo, s3
	s_cbranch_vccnz .LBB39_2254
; %bb.2239:
	s_cmp_lt_i32 s0, 2
	s_mov_b32 s3, -1
	s_cbranch_scc1 .LBB39_2249
; %bb.2240:
	s_cmp_lt_i32 s0, 3
	s_cbranch_scc1 .LBB39_2246
; %bb.2241:
	s_cmp_gt_i32 s0, 3
	s_cbranch_scc0 .LBB39_2243
; %bb.2242:
	v_lshlrev_b32_e32 v3, 16, v13
	s_mov_b32 s3, 0
	v_trunc_f32_e32 v3, v3
	v_mul_f32_e64 v4, 0x2f800000, |v3|
	v_ashrrev_i32_e32 v6, 31, v3
	v_floor_f32_e32 v4, v4
	v_fma_f32 v5, 0xcf800000, v4, |v3|
	v_cvt_u32_f32_e32 v4, v4
	v_cvt_u32_f32_e32 v3, v5
	v_xor_b32_e32 v4, v4, v6
	v_xor_b32_e32 v3, v3, v6
	v_sub_co_u32 v3, vcc_lo, v3, v6
	v_sub_co_ci_u32_e64 v4, null, v4, v6, vcc_lo
	global_store_dwordx2 v[1:2], v[3:4], off
.LBB39_2243:
	s_andn2_b32 vcc_lo, exec_lo, s3
	s_cbranch_vccnz .LBB39_2245
; %bb.2244:
	v_lshlrev_b32_e32 v3, 16, v13
	v_cvt_i32_f32_e32 v3, v3
	global_store_dword v[1:2], v3, off
.LBB39_2245:
	s_mov_b32 s3, 0
.LBB39_2246:
	s_andn2_b32 vcc_lo, exec_lo, s3
	s_cbranch_vccnz .LBB39_2248
; %bb.2247:
	v_lshlrev_b32_e32 v3, 16, v13
	v_cvt_i32_f32_e32 v3, v3
	global_store_short v[1:2], v3, off
.LBB39_2248:
	s_mov_b32 s3, 0
.LBB39_2249:
	s_andn2_b32 vcc_lo, exec_lo, s3
	s_cbranch_vccnz .LBB39_2254
; %bb.2250:
	s_cmp_gt_i32 s0, 0
	s_mov_b32 s0, -1
	s_cbranch_scc0 .LBB39_2252
; %bb.2251:
	v_lshlrev_b32_e32 v3, 16, v13
	s_mov_b32 s0, 0
	v_cvt_i32_f32_e32 v3, v3
	global_store_byte v[1:2], v3, off
.LBB39_2252:
	s_andn2_b32 vcc_lo, exec_lo, s0
	s_cbranch_vccnz .LBB39_2254
; %bb.2253:
	v_lshlrev_b32_e32 v3, 16, v13
	v_trunc_f32_e32 v3, v3
	v_mul_f32_e64 v4, 0x2f800000, |v3|
	v_floor_f32_e32 v4, v4
	v_fma_f32 v4, 0xcf800000, v4, |v3|
	v_ashrrev_i32_e32 v3, 31, v3
	v_cvt_u32_f32_e32 v4, v4
	v_xor_b32_e32 v4, v4, v3
	v_sub_nc_u32_e32 v3, v4, v3
	global_store_byte v[1:2], v3, off
.LBB39_2254:
	s_mov_b32 s5, -1
.LBB39_2255:
	s_andn2_b32 vcc_lo, exec_lo, s5
	s_cbranch_vccnz .LBB39_2332
; %bb.2256:
	v_add_co_u32 v0, s0, s8, v0
	v_add_co_ci_u32_e64 v1, null, s9, 0, s0
	s_cmp_lt_i32 s1, 11
	s_cbranch_scc1 .LBB39_2333
; %bb.2257:
	s_and_b32 s3, 0xffff, s1
	s_mov_b32 s5, -1
	s_mov_b32 s4, 0
	s_cmp_gt_i32 s3, 25
	s_mov_b32 s0, 0
	s_cbranch_scc0 .LBB39_2290
; %bb.2258:
	s_cmp_gt_i32 s3, 28
	s_cbranch_scc0 .LBB39_2274
; %bb.2259:
	s_cmp_gt_i32 s3, 43
	;; [unrolled: 3-line block ×3, first 2 shown]
	s_cbranch_scc0 .LBB39_2264
; %bb.2261:
	s_cmp_eq_u32 s3, 46
	s_mov_b32 s0, -1
	s_cbranch_scc0 .LBB39_2263
; %bb.2262:
	v_and_b32_e32 v2, 0xffff, v7
	s_mov_b32 s0, 0
	global_store_dword v[0:1], v2, off
.LBB39_2263:
	s_mov_b32 s5, 0
.LBB39_2264:
	s_and_b32 vcc_lo, exec_lo, s5
	s_cbranch_vccz .LBB39_2269
; %bb.2265:
	s_cmp_eq_u32 s3, 44
	s_mov_b32 s0, -1
	s_cbranch_scc0 .LBB39_2269
; %bb.2266:
	v_and_b32_e32 v2, 0xffff, v7
	v_mov_b32_e32 v3, 0xff
	s_mov_b32 s5, exec_lo
	v_bfe_u32 v4, v2, 7, 8
	v_cmpx_ne_u32_e32 0xff, v4
	s_cbranch_execz .LBB39_2268
; %bb.2267:
	v_lshlrev_b32_e32 v3, 16, v2
	v_and_b32_e32 v5, 64, v2
	v_lshrrev_b32_e32 v2, 7, v2
	v_and_or_b32 v3, 0x3f0000, v3, v4
	v_cmp_ne_u32_e32 vcc_lo, 0, v5
	v_cmp_ne_u32_e64 s0, 0, v3
	s_and_b32 s0, vcc_lo, s0
	v_cndmask_b32_e64 v3, 0, 1, s0
	v_add_nc_u32_e32 v3, v2, v3
.LBB39_2268:
	s_or_b32 exec_lo, exec_lo, s5
	s_mov_b32 s0, 0
	global_store_byte v[0:1], v3, off
.LBB39_2269:
	s_mov_b32 s5, 0
.LBB39_2270:
	s_and_b32 vcc_lo, exec_lo, s5
	s_cbranch_vccz .LBB39_2273
; %bb.2271:
	s_cmp_eq_u32 s3, 29
	s_mov_b32 s0, -1
	s_cbranch_scc0 .LBB39_2273
; %bb.2272:
	v_lshlrev_b32_e32 v2, 16, v7
	s_mov_b32 s0, 0
	v_trunc_f32_e32 v2, v2
	v_mul_f32_e32 v3, 0x2f800000, v2
	v_floor_f32_e32 v3, v3
	v_fmamk_f32 v2, v3, 0xcf800000, v2
	v_cvt_u32_f32_e32 v3, v3
	v_cvt_u32_f32_e32 v2, v2
	global_store_dwordx2 v[0:1], v[2:3], off
.LBB39_2273:
	s_mov_b32 s5, 0
.LBB39_2274:
	s_and_b32 vcc_lo, exec_lo, s5
	s_cbranch_vccz .LBB39_2289
; %bb.2275:
	s_cmp_lt_i32 s3, 27
	s_mov_b32 s5, -1
	s_cbranch_scc1 .LBB39_2281
; %bb.2276:
	s_cmp_gt_i32 s3, 27
	s_cbranch_scc0 .LBB39_2278
; %bb.2277:
	v_lshlrev_b32_e32 v2, 16, v7
	s_mov_b32 s5, 0
	v_cvt_u32_f32_e32 v2, v2
	global_store_dword v[0:1], v2, off
.LBB39_2278:
	s_andn2_b32 vcc_lo, exec_lo, s5
	s_cbranch_vccnz .LBB39_2280
; %bb.2279:
	v_lshlrev_b32_e32 v2, 16, v7
	v_cvt_u32_f32_e32 v2, v2
	global_store_short v[0:1], v2, off
.LBB39_2280:
	s_mov_b32 s5, 0
.LBB39_2281:
	s_andn2_b32 vcc_lo, exec_lo, s5
	s_cbranch_vccnz .LBB39_2289
; %bb.2282:
	v_lshlrev_b32_e32 v4, 16, v7
	v_mov_b32_e32 v5, 0x80
	s_mov_b32 s5, exec_lo
	v_and_b32_e32 v3, 0x7fffffff, v4
	v_cmpx_gt_u32_e32 0x43800000, v3
	s_cbranch_execz .LBB39_2288
; %bb.2283:
	v_and_b32_e32 v2, 0xffff, v7
	v_cmp_lt_u32_e32 vcc_lo, 0x3bffffff, v3
	s_mov_b32 s6, 0
                                        ; implicit-def: $vgpr3
	s_and_saveexec_b32 s7, vcc_lo
	s_xor_b32 s7, exec_lo, s7
	s_cbranch_execz .LBB39_2350
; %bb.2284:
	v_bfe_u32 v3, v2, 4, 1
	s_mov_b32 s6, exec_lo
	v_add3_u32 v3, v4, v3, 0x487ffff
                                        ; implicit-def: $vgpr4
	v_lshrrev_b32_e32 v3, 20, v3
	s_andn2_saveexec_b32 s7, s7
	s_cbranch_execnz .LBB39_2351
.LBB39_2285:
	s_or_b32 exec_lo, exec_lo, s7
	v_mov_b32_e32 v5, 0
	s_and_saveexec_b32 s7, s6
.LBB39_2286:
	v_lshrrev_b32_e32 v2, 8, v2
	v_and_or_b32 v5, 0x80, v2, v3
.LBB39_2287:
	s_or_b32 exec_lo, exec_lo, s7
.LBB39_2288:
	s_or_b32 exec_lo, exec_lo, s5
	global_store_byte v[0:1], v5, off
.LBB39_2289:
	s_mov_b32 s5, 0
.LBB39_2290:
	s_and_b32 vcc_lo, exec_lo, s5
	s_cbranch_vccz .LBB39_2330
; %bb.2291:
	s_cmp_gt_i32 s3, 22
	s_mov_b32 s4, -1
	s_cbranch_scc0 .LBB39_2323
; %bb.2292:
	s_cmp_lt_i32 s3, 24
	s_cbranch_scc1 .LBB39_2312
; %bb.2293:
	s_cmp_gt_i32 s3, 24
	s_cbranch_scc0 .LBB39_2301
; %bb.2294:
	v_lshlrev_b32_e32 v4, 16, v7
	v_mov_b32_e32 v5, 0x80
	s_mov_b32 s4, exec_lo
	v_and_b32_e32 v3, 0x7fffffff, v4
	v_cmpx_gt_u32_e32 0x47800000, v3
	s_cbranch_execz .LBB39_2300
; %bb.2295:
	v_and_b32_e32 v2, 0xffff, v7
	v_cmp_lt_u32_e32 vcc_lo, 0x37ffffff, v3
	s_mov_b32 s5, 0
                                        ; implicit-def: $vgpr3
	s_and_saveexec_b32 s6, vcc_lo
	s_xor_b32 s6, exec_lo, s6
	s_cbranch_execz .LBB39_2353
; %bb.2296:
	v_bfe_u32 v3, v2, 5, 1
	s_mov_b32 s5, exec_lo
	v_add3_u32 v3, v4, v3, 0x88fffff
                                        ; implicit-def: $vgpr4
	v_lshrrev_b32_e32 v3, 21, v3
	s_andn2_saveexec_b32 s6, s6
	s_cbranch_execnz .LBB39_2354
.LBB39_2297:
	s_or_b32 exec_lo, exec_lo, s6
	v_mov_b32_e32 v5, 0
	s_and_saveexec_b32 s6, s5
.LBB39_2298:
	v_lshrrev_b32_e32 v2, 8, v2
	v_and_or_b32 v5, 0x80, v2, v3
.LBB39_2299:
	s_or_b32 exec_lo, exec_lo, s6
.LBB39_2300:
	s_or_b32 exec_lo, exec_lo, s4
	s_mov_b32 s4, 0
	global_store_byte v[0:1], v5, off
.LBB39_2301:
	s_and_b32 vcc_lo, exec_lo, s4
	s_cbranch_vccz .LBB39_2311
; %bb.2302:
	v_lshlrev_b32_e32 v4, 16, v7
	v_and_b32_e32 v2, 0xffff, v7
	s_mov_b32 s4, exec_lo
                                        ; implicit-def: $vgpr3
	v_and_b32_e32 v5, 0x7fffffff, v4
	v_cmpx_gt_u32_e32 0x43f00000, v5
	s_xor_b32 s4, exec_lo, s4
	s_cbranch_execz .LBB39_2308
; %bb.2303:
	s_mov_b32 s5, exec_lo
                                        ; implicit-def: $vgpr3
	v_cmpx_lt_u32_e32 0x3c7fffff, v5
	s_xor_b32 s5, exec_lo, s5
; %bb.2304:
	v_bfe_u32 v3, v2, 4, 1
	v_add3_u32 v3, v4, v3, 0x407ffff
	v_and_b32_e32 v4, 0xff00000, v3
	v_lshrrev_b32_e32 v3, 20, v3
	v_cmp_ne_u32_e32 vcc_lo, 0x7f00000, v4
                                        ; implicit-def: $vgpr4
	v_cndmask_b32_e32 v3, 0x7e, v3, vcc_lo
; %bb.2305:
	s_andn2_saveexec_b32 s5, s5
; %bb.2306:
	v_add_f32_e64 v3, 0x46800000, |v4|
; %bb.2307:
	s_or_b32 exec_lo, exec_lo, s5
                                        ; implicit-def: $vgpr5
.LBB39_2308:
	s_andn2_saveexec_b32 s4, s4
; %bb.2309:
	v_mov_b32_e32 v3, 0x7f
	v_cmp_lt_u32_e32 vcc_lo, 0x7f800000, v5
	v_cndmask_b32_e32 v3, 0x7e, v3, vcc_lo
; %bb.2310:
	s_or_b32 exec_lo, exec_lo, s4
	v_lshrrev_b32_e32 v2, 8, v2
	v_and_or_b32 v2, 0x80, v2, v3
	global_store_byte v[0:1], v2, off
.LBB39_2311:
	s_mov_b32 s4, 0
.LBB39_2312:
	s_andn2_b32 vcc_lo, exec_lo, s4
	s_cbranch_vccnz .LBB39_2322
; %bb.2313:
	v_lshlrev_b32_e32 v4, 16, v7
	v_and_b32_e32 v2, 0xffff, v7
	s_mov_b32 s4, exec_lo
                                        ; implicit-def: $vgpr3
	v_and_b32_e32 v5, 0x7fffffff, v4
	v_cmpx_gt_u32_e32 0x47800000, v5
	s_xor_b32 s4, exec_lo, s4
	s_cbranch_execz .LBB39_2319
; %bb.2314:
	s_mov_b32 s5, exec_lo
                                        ; implicit-def: $vgpr3
	v_cmpx_lt_u32_e32 0x387fffff, v5
	s_xor_b32 s5, exec_lo, s5
; %bb.2315:
	v_bfe_u32 v3, v2, 5, 1
	v_add3_u32 v3, v4, v3, 0x80fffff
                                        ; implicit-def: $vgpr4
	v_lshrrev_b32_e32 v3, 21, v3
; %bb.2316:
	s_andn2_saveexec_b32 s5, s5
; %bb.2317:
	v_add_f32_e64 v3, 0x43000000, |v4|
; %bb.2318:
	s_or_b32 exec_lo, exec_lo, s5
                                        ; implicit-def: $vgpr5
.LBB39_2319:
	s_andn2_saveexec_b32 s4, s4
; %bb.2320:
	v_mov_b32_e32 v3, 0x7f
	v_cmp_lt_u32_e32 vcc_lo, 0x7f800000, v5
	v_cndmask_b32_e32 v3, 0x7c, v3, vcc_lo
; %bb.2321:
	s_or_b32 exec_lo, exec_lo, s4
	v_lshrrev_b32_e32 v2, 8, v2
	v_and_or_b32 v2, 0x80, v2, v3
	global_store_byte v[0:1], v2, off
.LBB39_2322:
	s_mov_b32 s4, 0
.LBB39_2323:
	s_andn2_b32 vcc_lo, exec_lo, s4
	s_mov_b32 s4, 0
	s_cbranch_vccnz .LBB39_2330
; %bb.2324:
	s_cmp_gt_i32 s3, 14
	s_mov_b32 s4, -1
	s_cbranch_scc0 .LBB39_2328
; %bb.2325:
	s_cmp_eq_u32 s3, 15
	s_mov_b32 s0, -1
	s_cbranch_scc0 .LBB39_2327
; %bb.2326:
	s_mov_b32 s0, 0
	global_store_short v[0:1], v7, off
.LBB39_2327:
	s_mov_b32 s4, 0
.LBB39_2328:
	s_and_b32 vcc_lo, exec_lo, s4
	s_mov_b32 s4, 0
	s_cbranch_vccz .LBB39_2330
; %bb.2329:
	s_cmp_lg_u32 s3, 11
	s_mov_b32 s4, -1
	s_cselect_b32 s0, -1, 0
.LBB39_2330:
	s_and_b32 vcc_lo, exec_lo, s0
	s_cbranch_vccnz .LBB39_2352
.LBB39_2331:
	s_mov_b32 s0, 0
	s_branch .LBB39_1933
.LBB39_2332:
	s_mov_b32 s0, 0
	s_mov_b32 s4, 0
                                        ; implicit-def: $vgpr0_vgpr1
                                        ; implicit-def: $sgpr1
	s_branch .LBB39_1933
.LBB39_2333:
	s_mov_b32 s4, 0
	s_mov_b32 s0, -1
	s_branch .LBB39_1933
.LBB39_2334:
	s_or_b32 s2, s2, exec_lo
	s_trap 2
	s_cbranch_execz .LBB39_1778
	s_branch .LBB39_1779
.LBB39_2335:
	s_andn2_saveexec_b32 s10, s10
	s_cbranch_execz .LBB39_1882
.LBB39_2336:
	v_add_f32_e64 v8, 0x46000000, |v9|
	s_andn2_b32 s7, s7, exec_lo
	v_and_b32_e32 v8, 0xff, v8
	v_cmp_ne_u32_e32 vcc_lo, 0, v8
	s_and_b32 s11, vcc_lo, exec_lo
	s_or_b32 s7, s7, s11
	s_or_b32 exec_lo, exec_lo, s10
	v_mov_b32_e32 v10, 0
	s_and_saveexec_b32 s10, s7
	s_cbranch_execnz .LBB39_1883
	s_branch .LBB39_1884
.LBB39_2337:
	s_or_b32 s2, s2, exec_lo
	s_trap 2
	s_cbranch_execz .LBB39_1930
	s_branch .LBB39_1931
.LBB39_2338:
	s_andn2_saveexec_b32 s7, s7
	s_cbranch_execz .LBB39_1895
.LBB39_2339:
	v_add_f32_e64 v8, 0x42800000, |v9|
	s_andn2_b32 s6, s6, exec_lo
	v_and_b32_e32 v8, 0xff, v8
	v_cmp_ne_u32_e32 vcc_lo, 0, v8
	s_and_b32 s10, vcc_lo, exec_lo
	s_or_b32 s6, s6, s10
	s_or_b32 exec_lo, exec_lo, s7
	v_mov_b32_e32 v10, 0
	s_and_saveexec_b32 s7, s6
	s_cbranch_execnz .LBB39_1896
	s_branch .LBB39_1897
.LBB39_2340:
	s_andn2_saveexec_b32 s7, s7
	s_cbranch_execz .LBB39_2046
.LBB39_2341:
	v_add_f32_e64 v5, 0x46000000, |v6|
	s_andn2_b32 s6, s6, exec_lo
	v_and_b32_e32 v5, 0xff, v5
	v_cmp_ne_u32_e32 vcc_lo, 0, v5
	s_and_b32 s10, vcc_lo, exec_lo
	s_or_b32 s6, s6, s10
	s_or_b32 exec_lo, exec_lo, s7
	v_mov_b32_e32 v8, 0
	s_and_saveexec_b32 s7, s6
	s_cbranch_execnz .LBB39_2047
	s_branch .LBB39_2048
.LBB39_2342:
	s_or_b32 s2, s2, exec_lo
	s_trap 2
	s_cbranch_execz .LBB39_2094
	s_branch .LBB39_2095
.LBB39_2343:
	s_andn2_saveexec_b32 s6, s6
	s_cbranch_execz .LBB39_2059
.LBB39_2344:
	v_add_f32_e64 v5, 0x42800000, |v6|
	s_andn2_b32 s5, s5, exec_lo
	v_and_b32_e32 v5, 0xff, v5
	v_cmp_ne_u32_e32 vcc_lo, 0, v5
	s_and_b32 s7, vcc_lo, exec_lo
	s_or_b32 s5, s5, s7
	s_or_b32 exec_lo, exec_lo, s6
	v_mov_b32_e32 v8, 0
	s_and_saveexec_b32 s6, s5
	s_cbranch_execnz .LBB39_2060
	s_branch .LBB39_2061
.LBB39_2345:
	s_andn2_saveexec_b32 s7, s7
	s_cbranch_execz .LBB39_2165
.LBB39_2346:
	v_add_f32_e64 v4, 0x46000000, |v5|
	s_andn2_b32 s6, s6, exec_lo
	v_and_b32_e32 v4, 0xff, v4
	v_cmp_ne_u32_e32 vcc_lo, 0, v4
	s_and_b32 s10, vcc_lo, exec_lo
	s_or_b32 s6, s6, s10
	s_or_b32 exec_lo, exec_lo, s7
	v_mov_b32_e32 v6, 0
	s_and_saveexec_b32 s7, s6
	s_cbranch_execnz .LBB39_2166
	s_branch .LBB39_2167
.LBB39_2347:
	s_or_b32 s2, s2, exec_lo
	s_trap 2
	s_cbranch_execz .LBB39_2213
	s_branch .LBB39_2214
.LBB39_2348:
	s_andn2_saveexec_b32 s6, s6
	s_cbranch_execz .LBB39_2178
.LBB39_2349:
	v_add_f32_e64 v4, 0x42800000, |v5|
	s_andn2_b32 s5, s5, exec_lo
	v_and_b32_e32 v4, 0xff, v4
	v_cmp_ne_u32_e32 vcc_lo, 0, v4
	s_and_b32 s7, vcc_lo, exec_lo
	s_or_b32 s5, s5, s7
	s_or_b32 exec_lo, exec_lo, s6
	v_mov_b32_e32 v6, 0
	s_and_saveexec_b32 s6, s5
	s_cbranch_execnz .LBB39_2179
	s_branch .LBB39_2180
.LBB39_2350:
	s_andn2_saveexec_b32 s7, s7
	s_cbranch_execz .LBB39_2285
.LBB39_2351:
	v_add_f32_e64 v3, 0x46000000, |v4|
	s_andn2_b32 s6, s6, exec_lo
	v_and_b32_e32 v3, 0xff, v3
	v_cmp_ne_u32_e32 vcc_lo, 0, v3
	s_and_b32 s8, vcc_lo, exec_lo
	s_or_b32 s6, s6, s8
	s_or_b32 exec_lo, exec_lo, s7
	v_mov_b32_e32 v5, 0
	s_and_saveexec_b32 s7, s6
	s_cbranch_execnz .LBB39_2286
	s_branch .LBB39_2287
.LBB39_2352:
	s_mov_b32 s4, 0
	s_or_b32 s2, s2, exec_lo
	s_trap 2
	s_branch .LBB39_2331
.LBB39_2353:
	s_andn2_saveexec_b32 s6, s6
	s_cbranch_execz .LBB39_2297
.LBB39_2354:
	v_add_f32_e64 v3, 0x42800000, |v4|
	s_andn2_b32 s5, s5, exec_lo
	v_and_b32_e32 v3, 0xff, v3
	v_cmp_ne_u32_e32 vcc_lo, 0, v3
	s_and_b32 s7, vcc_lo, exec_lo
	s_or_b32 s5, s5, s7
	s_or_b32 exec_lo, exec_lo, s6
	v_mov_b32_e32 v5, 0
	s_and_saveexec_b32 s6, s5
	s_cbranch_execnz .LBB39_2298
	s_branch .LBB39_2299
	.section	.rodata,"a",@progbits
	.p2align	6, 0x0
	.amdhsa_kernel _ZN2at6native32elementwise_kernel_manual_unrollILi128ELi4EZNS0_15gpu_kernel_implIZZZNS0_19digamma_kernel_cudaERNS_18TensorIteratorBaseEENKUlvE_clEvENKUlvE2_clEvEUlN3c108BFloat16EE_EEvS4_RKT_EUlibE0_EEviT1_
		.amdhsa_group_segment_fixed_size 0
		.amdhsa_private_segment_fixed_size 0
		.amdhsa_kernarg_size 360
		.amdhsa_user_sgpr_count 6
		.amdhsa_user_sgpr_private_segment_buffer 1
		.amdhsa_user_sgpr_dispatch_ptr 0
		.amdhsa_user_sgpr_queue_ptr 0
		.amdhsa_user_sgpr_kernarg_segment_ptr 1
		.amdhsa_user_sgpr_dispatch_id 0
		.amdhsa_user_sgpr_flat_scratch_init 0
		.amdhsa_user_sgpr_private_segment_size 0
		.amdhsa_wavefront_size32 1
		.amdhsa_uses_dynamic_stack 0
		.amdhsa_system_sgpr_private_segment_wavefront_offset 0
		.amdhsa_system_sgpr_workgroup_id_x 1
		.amdhsa_system_sgpr_workgroup_id_y 0
		.amdhsa_system_sgpr_workgroup_id_z 0
		.amdhsa_system_sgpr_workgroup_info 0
		.amdhsa_system_vgpr_workitem_id 0
		.amdhsa_next_free_vgpr 45
		.amdhsa_next_free_sgpr 68
		.amdhsa_reserve_vcc 1
		.amdhsa_reserve_flat_scratch 0
		.amdhsa_float_round_mode_32 0
		.amdhsa_float_round_mode_16_64 0
		.amdhsa_float_denorm_mode_32 3
		.amdhsa_float_denorm_mode_16_64 3
		.amdhsa_dx10_clamp 1
		.amdhsa_ieee_mode 1
		.amdhsa_fp16_overflow 0
		.amdhsa_workgroup_processor_mode 1
		.amdhsa_memory_ordered 1
		.amdhsa_forward_progress 1
		.amdhsa_shared_vgpr_count 0
		.amdhsa_exception_fp_ieee_invalid_op 0
		.amdhsa_exception_fp_denorm_src 0
		.amdhsa_exception_fp_ieee_div_zero 0
		.amdhsa_exception_fp_ieee_overflow 0
		.amdhsa_exception_fp_ieee_underflow 0
		.amdhsa_exception_fp_ieee_inexact 0
		.amdhsa_exception_int_div_zero 0
	.end_amdhsa_kernel
	.section	.text._ZN2at6native32elementwise_kernel_manual_unrollILi128ELi4EZNS0_15gpu_kernel_implIZZZNS0_19digamma_kernel_cudaERNS_18TensorIteratorBaseEENKUlvE_clEvENKUlvE2_clEvEUlN3c108BFloat16EE_EEvS4_RKT_EUlibE0_EEviT1_,"axG",@progbits,_ZN2at6native32elementwise_kernel_manual_unrollILi128ELi4EZNS0_15gpu_kernel_implIZZZNS0_19digamma_kernel_cudaERNS_18TensorIteratorBaseEENKUlvE_clEvENKUlvE2_clEvEUlN3c108BFloat16EE_EEvS4_RKT_EUlibE0_EEviT1_,comdat
.Lfunc_end39:
	.size	_ZN2at6native32elementwise_kernel_manual_unrollILi128ELi4EZNS0_15gpu_kernel_implIZZZNS0_19digamma_kernel_cudaERNS_18TensorIteratorBaseEENKUlvE_clEvENKUlvE2_clEvEUlN3c108BFloat16EE_EEvS4_RKT_EUlibE0_EEviT1_, .Lfunc_end39-_ZN2at6native32elementwise_kernel_manual_unrollILi128ELi4EZNS0_15gpu_kernel_implIZZZNS0_19digamma_kernel_cudaERNS_18TensorIteratorBaseEENKUlvE_clEvENKUlvE2_clEvEUlN3c108BFloat16EE_EEvS4_RKT_EUlibE0_EEviT1_
                                        ; -- End function
	.set _ZN2at6native32elementwise_kernel_manual_unrollILi128ELi4EZNS0_15gpu_kernel_implIZZZNS0_19digamma_kernel_cudaERNS_18TensorIteratorBaseEENKUlvE_clEvENKUlvE2_clEvEUlN3c108BFloat16EE_EEvS4_RKT_EUlibE0_EEviT1_.num_vgpr, 45
	.set _ZN2at6native32elementwise_kernel_manual_unrollILi128ELi4EZNS0_15gpu_kernel_implIZZZNS0_19digamma_kernel_cudaERNS_18TensorIteratorBaseEENKUlvE_clEvENKUlvE2_clEvEUlN3c108BFloat16EE_EEvS4_RKT_EUlibE0_EEviT1_.num_agpr, 0
	.set _ZN2at6native32elementwise_kernel_manual_unrollILi128ELi4EZNS0_15gpu_kernel_implIZZZNS0_19digamma_kernel_cudaERNS_18TensorIteratorBaseEENKUlvE_clEvENKUlvE2_clEvEUlN3c108BFloat16EE_EEvS4_RKT_EUlibE0_EEviT1_.numbered_sgpr, 68
	.set _ZN2at6native32elementwise_kernel_manual_unrollILi128ELi4EZNS0_15gpu_kernel_implIZZZNS0_19digamma_kernel_cudaERNS_18TensorIteratorBaseEENKUlvE_clEvENKUlvE2_clEvEUlN3c108BFloat16EE_EEvS4_RKT_EUlibE0_EEviT1_.num_named_barrier, 0
	.set _ZN2at6native32elementwise_kernel_manual_unrollILi128ELi4EZNS0_15gpu_kernel_implIZZZNS0_19digamma_kernel_cudaERNS_18TensorIteratorBaseEENKUlvE_clEvENKUlvE2_clEvEUlN3c108BFloat16EE_EEvS4_RKT_EUlibE0_EEviT1_.private_seg_size, 0
	.set _ZN2at6native32elementwise_kernel_manual_unrollILi128ELi4EZNS0_15gpu_kernel_implIZZZNS0_19digamma_kernel_cudaERNS_18TensorIteratorBaseEENKUlvE_clEvENKUlvE2_clEvEUlN3c108BFloat16EE_EEvS4_RKT_EUlibE0_EEviT1_.uses_vcc, 1
	.set _ZN2at6native32elementwise_kernel_manual_unrollILi128ELi4EZNS0_15gpu_kernel_implIZZZNS0_19digamma_kernel_cudaERNS_18TensorIteratorBaseEENKUlvE_clEvENKUlvE2_clEvEUlN3c108BFloat16EE_EEvS4_RKT_EUlibE0_EEviT1_.uses_flat_scratch, 0
	.set _ZN2at6native32elementwise_kernel_manual_unrollILi128ELi4EZNS0_15gpu_kernel_implIZZZNS0_19digamma_kernel_cudaERNS_18TensorIteratorBaseEENKUlvE_clEvENKUlvE2_clEvEUlN3c108BFloat16EE_EEvS4_RKT_EUlibE0_EEviT1_.has_dyn_sized_stack, 0
	.set _ZN2at6native32elementwise_kernel_manual_unrollILi128ELi4EZNS0_15gpu_kernel_implIZZZNS0_19digamma_kernel_cudaERNS_18TensorIteratorBaseEENKUlvE_clEvENKUlvE2_clEvEUlN3c108BFloat16EE_EEvS4_RKT_EUlibE0_EEviT1_.has_recursion, 0
	.set _ZN2at6native32elementwise_kernel_manual_unrollILi128ELi4EZNS0_15gpu_kernel_implIZZZNS0_19digamma_kernel_cudaERNS_18TensorIteratorBaseEENKUlvE_clEvENKUlvE2_clEvEUlN3c108BFloat16EE_EEvS4_RKT_EUlibE0_EEviT1_.has_indirect_call, 0
	.section	.AMDGPU.csdata,"",@progbits
; Kernel info:
; codeLenInByte = 62052
; TotalNumSgprs: 70
; NumVgprs: 45
; ScratchSize: 0
; MemoryBound: 0
; FloatMode: 240
; IeeeMode: 1
; LDSByteSize: 0 bytes/workgroup (compile time only)
; SGPRBlocks: 0
; VGPRBlocks: 5
; NumSGPRsForWavesPerEU: 70
; NumVGPRsForWavesPerEU: 45
; Occupancy: 16
; WaveLimiterHint : 1
; COMPUTE_PGM_RSRC2:SCRATCH_EN: 0
; COMPUTE_PGM_RSRC2:USER_SGPR: 6
; COMPUTE_PGM_RSRC2:TRAP_HANDLER: 0
; COMPUTE_PGM_RSRC2:TGID_X_EN: 1
; COMPUTE_PGM_RSRC2:TGID_Y_EN: 0
; COMPUTE_PGM_RSRC2:TGID_Z_EN: 0
; COMPUTE_PGM_RSRC2:TIDIG_COMP_CNT: 0
	.text
	.p2align	2                               ; -- Begin function _ZN2at6native25elementwise_kernel_helperILb0EZZZNS0_20trigamma_kernel_cudaERNS_18TensorIteratorBaseEENKUlvE_clEvENKUlvE_clEvEUldE_NS0_6memory8policies11unroll_baseILi256ESt5arrayIPcLm2EE23TrivialOffsetCalculatorILi1EjESE_NS7_15LoadWithoutCastENS7_16StoreWithoutCastELi4ELi1EEEEEvT0_T1_
	.type	_ZN2at6native25elementwise_kernel_helperILb0EZZZNS0_20trigamma_kernel_cudaERNS_18TensorIteratorBaseEENKUlvE_clEvENKUlvE_clEvEUldE_NS0_6memory8policies11unroll_baseILi256ESt5arrayIPcLm2EE23TrivialOffsetCalculatorILi1EjESE_NS7_15LoadWithoutCastENS7_16StoreWithoutCastELi4ELi1EEEEEvT0_T1_,@function
_ZN2at6native25elementwise_kernel_helperILb0EZZZNS0_20trigamma_kernel_cudaERNS_18TensorIteratorBaseEENKUlvE_clEvENKUlvE_clEvEUldE_NS0_6memory8policies11unroll_baseILi256ESt5arrayIPcLm2EE23TrivialOffsetCalculatorILi1EjESE_NS7_15LoadWithoutCastENS7_16StoreWithoutCastELi4ELi1EEEEEvT0_T1_: ; @_ZN2at6native25elementwise_kernel_helperILb0EZZZNS0_20trigamma_kernel_cudaERNS_18TensorIteratorBaseEENKUlvE_clEvENKUlvE_clEvEUldE_NS0_6memory8policies11unroll_baseILi256ESt5arrayIPcLm2EE23TrivialOffsetCalculatorILi1EjESE_NS7_15LoadWithoutCastENS7_16StoreWithoutCastELi4ELi1EEEEEvT0_T1_
; %bb.0:
	s_waitcnt vmcnt(0) expcnt(0) lgkmcnt(0)
	v_and_b32_e32 v22, 0x3ff, v31
	s_lshl_b32 s8, s12, 10
	v_mov_b32_e32 v16, 0
	v_mov_b32_e32 v18, 0
	;; [unrolled: 1-line block ×3, first 2 shown]
	v_cmp_lt_i32_e64 s4, v22, v4
	v_or_b32_e32 v5, s8, v22
	v_add_nc_u32_e32 v23, 0x100, v22
	v_mov_b32_e32 v19, 0
	v_mov_b32_e32 v10, v22
	s_and_saveexec_b32 s5, s4
	s_cbranch_execz .LBB40_2
; %bb.1:
	v_mov_b32_e32 v6, 0
	v_add_nc_u32_e32 v10, 0x100, v22
	v_lshlrev_b64 v[6:7], 3, v[5:6]
	v_add_co_u32 v6, vcc_lo, v2, v6
	v_add_co_ci_u32_e64 v7, null, v3, v7, vcc_lo
	flat_load_dwordx2 v[18:19], v[6:7]
.LBB40_2:
	s_or_b32 exec_lo, exec_lo, s5
	s_mov_b32 s5, exec_lo
	v_cmpx_lt_i32_e64 v10, v4
	s_cbranch_execz .LBB40_4
; %bb.3:
	v_add_nc_u32_e32 v6, s8, v10
	v_mov_b32_e32 v7, 0
	v_add_nc_u32_e32 v10, 0x100, v10
	v_lshlrev_b64 v[6:7], 3, v[6:7]
	v_add_co_u32 v6, vcc_lo, v2, v6
	v_add_co_ci_u32_e64 v7, null, v3, v7, vcc_lo
	flat_load_dwordx2 v[16:17], v[6:7]
.LBB40_4:
	s_or_b32 exec_lo, exec_lo, s5
	v_mov_b32_e32 v6, 0
	v_mov_b32_e32 v8, 0
	;; [unrolled: 1-line block ×4, first 2 shown]
	s_mov_b32 s5, exec_lo
	v_cmpx_lt_i32_e64 v10, v4
	s_cbranch_execz .LBB40_6
; %bb.5:
	v_add_nc_u32_e32 v8, s8, v10
	v_mov_b32_e32 v9, 0
	v_add_nc_u32_e32 v10, 0x100, v10
	v_lshlrev_b64 v[8:9], 3, v[8:9]
	v_add_co_u32 v8, vcc_lo, v2, v8
	v_add_co_ci_u32_e64 v9, null, v3, v9, vcc_lo
	flat_load_dwordx2 v[8:9], v[8:9]
.LBB40_6:
	s_or_b32 exec_lo, exec_lo, s5
	s_mov_b32 s5, exec_lo
	v_cmpx_lt_i32_e64 v10, v4
	s_cbranch_execz .LBB40_8
; %bb.7:
	v_add_nc_u32_e32 v6, s8, v10
	v_mov_b32_e32 v7, 0
	v_lshlrev_b64 v[6:7], 3, v[6:7]
	v_add_co_u32 v2, vcc_lo, v2, v6
	v_add_co_ci_u32_e64 v3, null, v3, v7, vcc_lo
	flat_load_dwordx2 v[6:7], v[2:3]
.LBB40_8:
	s_or_b32 exec_lo, exec_lo, s5
	v_mov_b32_e32 v2, 0
	v_mov_b32_e32 v3, v2
	;; [unrolled: 1-line block ×8, first 2 shown]
	s_and_saveexec_b32 s9, s4
	s_cbranch_execz .LBB40_16
; %bb.9:
	v_mov_b32_e32 v10, 0
	v_mov_b32_e32 v2, 0
	;; [unrolled: 1-line block ×4, first 2 shown]
	s_mov_b32 s10, exec_lo
	s_waitcnt vmcnt(0) lgkmcnt(0)
	v_cmpx_gt_f64_e32 0.5, v[18:19]
	s_cbranch_execz .LBB40_15
; %bb.10:
	s_mov_b32 s7, 0x400921fb
	s_mov_b32 s6, 0x54442d18
                                        ; implicit-def: $vgpr14
                                        ; implicit-def: $vgpr10_vgpr11
                                        ; implicit-def: $vgpr12_vgpr13
	v_mul_f64 v[2:3], v[18:19], s[6:7]
	v_cmp_ngt_f64_e64 s5, 0x41d00000, |v[2:3]|
	s_and_saveexec_b32 s7, s5
	s_xor_b32 s5, exec_lo, s7
	s_cbranch_execz .LBB40_12
; %bb.11:
	v_ldexp_f64 v[10:11], |v[2:3]|, 0xffffff80
	v_cmp_le_f64_e64 vcc_lo, 0x7b000000, |v[2:3]|
	v_trig_preop_f64 v[12:13], |v[2:3]|, 0
	v_and_b32_e32 v14, 0x7fffffff, v3
	v_trig_preop_f64 v[30:31], |v[2:3]|, 2
	v_mov_b32_e32 v38, 0
	s_mov_b32 s7, 0x3ff921fb
	s_mov_b32 s12, 0x33145c07
	;; [unrolled: 1-line block ×3, first 2 shown]
	v_cndmask_b32_e32 v11, v14, v11, vcc_lo
	v_cndmask_b32_e32 v10, v2, v10, vcc_lo
	v_trig_preop_f64 v[14:15], |v[2:3]|, 1
	v_mul_f64 v[20:21], v[12:13], v[10:11]
	v_mul_f64 v[36:37], v[30:31], v[10:11]
	;; [unrolled: 1-line block ×3, first 2 shown]
	v_fma_f64 v[12:13], v[12:13], v[10:11], -v[20:21]
	v_fma_f64 v[14:15], v[14:15], v[10:11], -v[24:25]
	;; [unrolled: 1-line block ×3, first 2 shown]
	v_add_f64 v[26:27], v[24:25], v[12:13]
	v_add_f64 v[28:29], v[26:27], -v[24:25]
	v_add_f64 v[34:35], v[20:21], v[26:27]
	v_add_f64 v[32:33], v[26:27], -v[28:29]
	v_add_f64 v[12:13], v[12:13], -v[28:29]
	v_ldexp_f64 v[28:29], v[34:35], -2
	v_add_f64 v[20:21], v[34:35], -v[20:21]
	v_add_f64 v[24:25], v[24:25], -v[32:33]
	v_add_f64 v[32:33], v[36:37], v[14:15]
	v_cmp_neq_f64_e64 vcc_lo, 0x7ff00000, |v[28:29]|
	v_add_f64 v[20:21], v[26:27], -v[20:21]
	v_add_f64 v[12:13], v[12:13], v[24:25]
	v_fract_f64_e32 v[24:25], v[28:29]
	v_add_f64 v[26:27], v[32:33], v[12:13]
	v_ldexp_f64 v[24:25], v[24:25], 2
	v_add_f64 v[28:29], v[20:21], v[26:27]
	v_cndmask_b32_e32 v25, 0, v25, vcc_lo
	v_cndmask_b32_e32 v24, 0, v24, vcc_lo
	v_add_f64 v[48:49], v[26:27], -v[32:33]
	v_add_f64 v[34:35], v[28:29], v[24:25]
	v_add_f64 v[20:21], v[28:29], -v[20:21]
	v_add_f64 v[54:55], v[26:27], -v[48:49]
	;; [unrolled: 1-line block ×3, first 2 shown]
	v_cmp_gt_f64_e32 vcc_lo, 0, v[34:35]
	v_add_f64 v[34:35], v[32:33], -v[36:37]
	v_cndmask_b32_e64 v39, 0, 0x40100000, vcc_lo
	v_add_f64 v[52:53], v[32:33], -v[34:35]
	v_add_f64 v[14:15], v[14:15], -v[34:35]
	;; [unrolled: 1-line block ×3, first 2 shown]
	v_add_f64 v[24:25], v[24:25], v[38:39]
	v_add_f64 v[34:35], v[36:37], -v[52:53]
	v_add_f64 v[12:13], v[12:13], v[32:33]
	v_add_f64 v[50:51], v[28:29], v[24:25]
	;; [unrolled: 1-line block ×3, first 2 shown]
	v_cvt_i32_f64_e32 v39, v[50:51]
	v_add_f64 v[12:13], v[14:15], v[12:13]
	v_add_f64 v[14:15], v[26:27], -v[20:21]
	v_cvt_f64_i32_e32 v[48:49], v39
	v_add_f64 v[10:11], v[10:11], v[12:13]
	v_add_f64 v[24:25], v[24:25], -v[48:49]
	v_add_f64 v[10:11], v[14:15], v[10:11]
	v_add_f64 v[30:31], v[28:29], v[24:25]
	v_add_f64 v[12:13], v[30:31], -v[24:25]
	v_cmp_le_f64_e32 vcc_lo, 0.5, v[30:31]
	v_add_f64 v[12:13], v[28:29], -v[12:13]
	v_add_co_ci_u32_e64 v14, null, 0, v39, vcc_lo
	v_cndmask_b32_e64 v39, 0, 0x3ff00000, vcc_lo
	v_add_f64 v[10:11], v[10:11], v[12:13]
	v_add_f64 v[12:13], v[30:31], -v[38:39]
	v_add_f64 v[20:21], v[12:13], v[10:11]
	v_mul_f64 v[24:25], v[20:21], s[6:7]
	v_add_f64 v[12:13], v[20:21], -v[12:13]
	v_fma_f64 v[26:27], v[20:21], s[6:7], -v[24:25]
	v_add_f64 v[10:11], v[10:11], -v[12:13]
	v_fma_f64 v[12:13], v[20:21], s[12:13], v[26:27]
	v_fma_f64 v[12:13], v[10:11], s[6:7], v[12:13]
	v_add_f64 v[10:11], v[24:25], v[12:13]
	v_add_f64 v[20:21], v[10:11], -v[24:25]
	v_add_f64 v[12:13], v[12:13], -v[20:21]
.LBB40_12:
	s_andn2_saveexec_b32 s5, s5
	s_cbranch_execz .LBB40_14
; %bb.13:
	s_mov_b32 s6, 0x6dc9c883
	s_mov_b32 s7, 0x3fe45f30
	;; [unrolled: 1-line block ×3, first 2 shown]
	v_mul_f64 v[10:11], |v[2:3]|, s[6:7]
	s_mov_b32 s6, 0x54442d18
	s_mov_b32 s7, 0xbff921fb
	;; [unrolled: 1-line block ×3, first 2 shown]
	v_rndne_f64_e32 v[14:15], v[10:11]
	v_fma_f64 v[10:11], v[14:15], s[6:7], |v[2:3]|
	v_mul_f64 v[12:13], v[14:15], s[12:13]
	s_mov_b32 s6, 0x252049c0
	s_mov_b32 s7, 0xb97b839a
	v_fma_f64 v[24:25], v[14:15], s[12:13], v[10:11]
	v_add_f64 v[20:21], v[10:11], v[12:13]
	s_mov_b32 s13, 0x3c91a626
	v_add_f64 v[10:11], v[10:11], -v[20:21]
	v_add_f64 v[20:21], v[20:21], -v[24:25]
	v_add_f64 v[10:11], v[10:11], v[12:13]
	v_fma_f64 v[12:13], v[14:15], s[12:13], v[12:13]
	v_add_f64 v[10:11], v[20:21], v[10:11]
	v_add_f64 v[10:11], v[10:11], -v[12:13]
	v_fma_f64 v[12:13], v[14:15], s[6:7], v[10:11]
	v_cvt_i32_f64_e32 v14, v[14:15]
	v_add_f64 v[10:11], v[24:25], v[12:13]
	v_add_f64 v[20:21], v[10:11], -v[24:25]
	v_add_f64 v[12:13], v[12:13], -v[20:21]
.LBB40_14:
	s_or_b32 exec_lo, exec_lo, s5
	v_mul_f64 v[20:21], v[10:11], v[10:11]
	s_mov_b32 s6, 0xb42fdfa7
	s_mov_b32 s12, 0xf9a43bb8
	;; [unrolled: 1-line block ×6, first 2 shown]
	v_mul_f64 v[32:33], v[12:13], 0.5
	v_cmp_class_f64_e64 s5, v[2:3], 0x1f8
	v_lshlrev_b32_e32 v2, 30, v14
	v_add_f64 v[18:19], -v[18:19], 1.0
	v_xor_b32_e32 v2, v2, v3
	v_and_b32_e32 v2, 0x80000000, v2
	v_fma_f64 v[24:25], v[20:21], s[12:13], s[6:7]
	s_mov_b32 s6, 0x9037ab78
	s_mov_b32 s12, 0x46cc5e42
	;; [unrolled: 1-line block ×4, first 2 shown]
	v_mul_f64 v[28:29], v[20:21], 0.5
	v_fma_f64 v[26:27], v[20:21], s[12:13], s[6:7]
	s_mov_b32 s6, 0xa17f65f6
	s_mov_b32 s12, 0x19e83e5c
	;; [unrolled: 1-line block ×4, first 2 shown]
	v_mul_f64 v[34:35], v[10:11], -v[20:21]
	v_fma_f64 v[24:25], v[20:21], v[24:25], s[14:15]
	v_add_f64 v[30:31], -v[28:29], 1.0
	v_fma_f64 v[26:27], v[20:21], v[26:27], s[6:7]
	s_mov_b32 s6, 0x19f4ec90
	s_mov_b32 s7, 0x3efa01a0
	v_fma_f64 v[24:25], v[20:21], v[24:25], s[12:13]
	s_mov_b32 s12, 0x11110bb3
	s_mov_b32 s13, 0x3f811111
	v_add_f64 v[36:37], -v[30:31], 1.0
	v_fma_f64 v[26:27], v[20:21], v[26:27], s[6:7]
	s_mov_b32 s6, 0x16c16967
	s_mov_b32 s7, 0xbf56c16c
	v_fma_f64 v[24:25], v[20:21], v[24:25], s[12:13]
	v_add_f64 v[28:29], v[36:37], -v[28:29]
	v_fma_f64 v[26:27], v[20:21], v[26:27], s[6:7]
	s_mov_b32 s7, 0x3fa55555
	s_mov_b32 s6, 0x55555555
	v_fma_f64 v[24:25], v[34:35], v[24:25], v[32:33]
	v_mul_f64 v[32:33], v[20:21], v[20:21]
	v_fma_f64 v[28:29], v[10:11], -v[12:13], v[28:29]
	v_fma_f64 v[26:27], v[20:21], v[26:27], s[6:7]
	s_mov_b32 s7, 0xbfc55555
	v_fma_f64 v[12:13], v[20:21], v[24:25], -v[12:13]
	v_fma_f64 v[20:21], v[32:33], v[26:27], v[28:29]
	v_fma_f64 v[12:13], v[34:35], s[6:7], v[12:13]
	s_mov_b32 s6, 0xc9be45de
	s_mov_b32 s7, 0xc023bd3c
	v_add_f64 v[20:21], v[30:31], v[20:21]
	v_add_f64 v[10:11], v[10:11], -v[12:13]
	v_and_b32_e32 v12, 1, v14
	v_cmp_eq_u32_e32 vcc_lo, 0, v12
	v_cndmask_b32_e32 v3, v21, v11, vcc_lo
	v_cndmask_b32_e32 v10, v20, v10, vcc_lo
	v_xor_b32_e32 v3, v3, v2
	v_cndmask_b32_e64 v2, 0, v10, s5
	v_cndmask_b32_e64 v3, 0x7ff80000, v3, s5
	v_mul_f64 v[2:3], v[2:3], v[2:3]
	v_div_scale_f64 v[10:11], null, v[2:3], v[2:3], s[6:7]
	v_div_scale_f64 v[20:21], vcc_lo, s[6:7], v[2:3], s[6:7]
	v_rcp_f64_e32 v[12:13], v[10:11]
	v_fma_f64 v[14:15], -v[10:11], v[12:13], 1.0
	v_fma_f64 v[12:13], v[12:13], v[14:15], v[12:13]
	v_fma_f64 v[14:15], -v[10:11], v[12:13], 1.0
	v_fma_f64 v[12:13], v[12:13], v[14:15], v[12:13]
	v_mul_f64 v[14:15], v[20:21], v[12:13]
	v_fma_f64 v[10:11], -v[10:11], v[14:15], v[20:21]
	v_div_fmas_f64 v[10:11], v[10:11], v[12:13], v[14:15]
	v_div_fixup_f64 v[2:3], v[10:11], v[2:3], s[6:7]
	v_add_f64 v[10:11], v[2:3], 0
	v_mov_b32_e32 v2, 0
	v_mov_b32_e32 v3, 0xbff00000
.LBB40_15:
	s_or_b32 exec_lo, exec_lo, s10
	v_mul_f64 v[12:13], v[18:19], v[18:19]
	s_mov_b32 s6, 0x11111111
	s_mov_b32 s10, 0x18618618
	;; [unrolled: 1-line block ×4, first 2 shown]
	v_div_scale_f64 v[14:15], null, v[12:13], v[12:13], 1.0
	v_rcp_f64_e32 v[20:21], v[14:15]
	v_fma_f64 v[24:25], -v[14:15], v[20:21], 1.0
	v_fma_f64 v[20:21], v[20:21], v[24:25], v[20:21]
	v_fma_f64 v[24:25], -v[14:15], v[20:21], 1.0
	v_fma_f64 v[20:21], v[20:21], v[24:25], v[20:21]
	v_div_scale_f64 v[24:25], vcc_lo, 1.0, v[12:13], 1.0
	v_mul_f64 v[26:27], v[24:25], v[20:21]
	v_fma_f64 v[14:15], -v[14:15], v[26:27], v[24:25]
	v_div_fmas_f64 v[14:15], v[14:15], v[20:21], v[26:27]
	v_div_fixup_f64 v[12:13], v[14:15], v[12:13], 1.0
	v_add_f64 v[10:11], v[10:11], v[12:13]
	v_add_f64 v[12:13], v[18:19], 1.0
	v_mul_f64 v[14:15], v[12:13], v[12:13]
	v_add_f64 v[12:13], v[12:13], 1.0
	v_div_scale_f64 v[18:19], null, v[14:15], v[14:15], 1.0
	v_rcp_f64_e32 v[20:21], v[18:19]
	v_fma_f64 v[24:25], -v[18:19], v[20:21], 1.0
	v_fma_f64 v[20:21], v[20:21], v[24:25], v[20:21]
	v_fma_f64 v[24:25], -v[18:19], v[20:21], 1.0
	v_fma_f64 v[20:21], v[20:21], v[24:25], v[20:21]
	v_div_scale_f64 v[24:25], vcc_lo, 1.0, v[14:15], 1.0
	v_mul_f64 v[26:27], v[24:25], v[20:21]
	v_fma_f64 v[18:19], -v[18:19], v[26:27], v[24:25]
	v_div_fmas_f64 v[18:19], v[18:19], v[20:21], v[26:27]
	v_div_fixup_f64 v[14:15], v[18:19], v[14:15], 1.0
	v_add_f64 v[10:11], v[10:11], v[14:15]
	v_mul_f64 v[14:15], v[12:13], v[12:13]
	v_add_f64 v[12:13], v[12:13], 1.0
	v_div_scale_f64 v[18:19], null, v[14:15], v[14:15], 1.0
	v_rcp_f64_e32 v[20:21], v[18:19]
	v_fma_f64 v[24:25], -v[18:19], v[20:21], 1.0
	v_fma_f64 v[20:21], v[20:21], v[24:25], v[20:21]
	v_fma_f64 v[24:25], -v[18:19], v[20:21], 1.0
	v_fma_f64 v[20:21], v[20:21], v[24:25], v[20:21]
	v_div_scale_f64 v[24:25], vcc_lo, 1.0, v[14:15], 1.0
	v_mul_f64 v[26:27], v[24:25], v[20:21]
	v_fma_f64 v[18:19], -v[18:19], v[26:27], v[24:25]
	v_div_fmas_f64 v[18:19], v[18:19], v[20:21], v[26:27]
	v_div_fixup_f64 v[14:15], v[18:19], v[14:15], 1.0
	v_add_f64 v[10:11], v[10:11], v[14:15]
	;; [unrolled: 14-line block ×5, first 2 shown]
	v_mul_f64 v[14:15], v[12:13], v[12:13]
	v_div_scale_f64 v[18:19], null, v[14:15], v[14:15], 1.0
	v_rcp_f64_e32 v[20:21], v[18:19]
	v_fma_f64 v[24:25], -v[18:19], v[20:21], 1.0
	v_fma_f64 v[20:21], v[20:21], v[24:25], v[20:21]
	v_fma_f64 v[24:25], -v[18:19], v[20:21], 1.0
	v_fma_f64 v[20:21], v[20:21], v[24:25], v[20:21]
	v_div_scale_f64 v[24:25], vcc_lo, 1.0, v[14:15], 1.0
	v_mul_f64 v[26:27], v[24:25], v[20:21]
	v_fma_f64 v[18:19], -v[18:19], v[26:27], v[24:25]
	v_div_fmas_f64 v[18:19], v[18:19], v[20:21], v[26:27]
	v_div_fixup_f64 v[14:15], v[18:19], v[14:15], 1.0
	v_add_f64 v[18:19], v[12:13], v[12:13]
	v_div_scale_f64 v[20:21], null, v[18:19], v[18:19], 1.0
	v_rcp_f64_e32 v[24:25], v[20:21]
	v_fma_f64 v[26:27], -v[20:21], v[24:25], 1.0
	v_fma_f64 v[24:25], v[24:25], v[26:27], v[24:25]
	v_fma_f64 v[26:27], -v[20:21], v[24:25], 1.0
	v_fma_f64 v[24:25], v[24:25], v[26:27], v[24:25]
	v_div_scale_f64 v[26:27], vcc_lo, 1.0, v[18:19], 1.0
	v_mul_f64 v[28:29], v[26:27], v[24:25]
	v_fma_f64 v[20:21], -v[20:21], v[28:29], v[26:27]
	v_div_fmas_f64 v[20:21], v[20:21], v[24:25], v[28:29]
	v_div_fixup_f64 v[18:19], v[20:21], v[18:19], 1.0
	v_fma_f64 v[20:21], v[14:15], s[10:11], s[6:7]
	s_mov_b32 s6, 0x55555555
	s_mov_b32 s7, 0x3fc55555
	v_add_f64 v[18:19], v[18:19], 1.0
	v_fma_f64 v[20:21], -v[14:15], v[20:21], s[6:7]
	v_fma_f64 v[14:15], v[14:15], v[20:21], v[18:19]
	v_div_scale_f64 v[18:19], null, v[12:13], v[12:13], v[14:15]
	v_rcp_f64_e32 v[20:21], v[18:19]
	v_fma_f64 v[24:25], -v[18:19], v[20:21], 1.0
	v_fma_f64 v[20:21], v[20:21], v[24:25], v[20:21]
	v_fma_f64 v[24:25], -v[18:19], v[20:21], 1.0
	v_fma_f64 v[20:21], v[20:21], v[24:25], v[20:21]
	v_div_scale_f64 v[24:25], vcc_lo, v[14:15], v[12:13], v[14:15]
	v_mul_f64 v[26:27], v[24:25], v[20:21]
	v_fma_f64 v[18:19], -v[18:19], v[26:27], v[24:25]
	v_div_fmas_f64 v[18:19], v[18:19], v[20:21], v[26:27]
	v_div_fixup_f64 v[12:13], v[18:19], v[12:13], v[14:15]
	v_mov_b32_e32 v14, 0
	v_mov_b32_e32 v15, v14
	v_add_f64 v[10:11], v[10:11], v[12:13]
	v_mov_b32_e32 v12, v14
	v_mov_b32_e32 v13, v14
	v_mul_f64 v[2:3], v[2:3], v[10:11]
	v_mov_b32_e32 v10, v14
	v_mov_b32_e32 v11, v14
.LBB40_16:
	s_or_b32 exec_lo, exec_lo, s9
	s_mov_b32 s9, exec_lo
	v_cmpx_lt_i32_e64 v23, v4
	s_cbranch_execz .LBB40_24
; %bb.17:
	s_waitcnt vmcnt(0) lgkmcnt(0)
	v_mov_b32_e32 v18, 0
	v_mov_b32_e32 v14, 0
	;; [unrolled: 1-line block ×4, first 2 shown]
	s_mov_b32 s10, exec_lo
	v_cmpx_gt_f64_e32 0.5, v[16:17]
	s_cbranch_execz .LBB40_23
; %bb.18:
	s_mov_b32 s7, 0x400921fb
	s_mov_b32 s6, 0x54442d18
                                        ; implicit-def: $vgpr24
                                        ; implicit-def: $vgpr18_vgpr19
                                        ; implicit-def: $vgpr20_vgpr21
	v_mul_f64 v[14:15], v[16:17], s[6:7]
	v_cmp_ngt_f64_e64 s5, 0x41d00000, |v[14:15]|
	s_and_saveexec_b32 s7, s5
	s_xor_b32 s5, exec_lo, s7
	s_cbranch_execz .LBB40_20
; %bb.19:
	v_ldexp_f64 v[18:19], |v[14:15]|, 0xffffff80
	v_cmp_le_f64_e64 vcc_lo, 0x7b000000, |v[14:15]|
	v_trig_preop_f64 v[20:21], |v[14:15]|, 0
	v_and_b32_e32 v24, 0x7fffffff, v15
	v_trig_preop_f64 v[34:35], |v[14:15]|, 2
	v_mov_b32_e32 v50, 0
	s_mov_b32 s7, 0x3ff921fb
	s_mov_b32 s12, 0x33145c07
	;; [unrolled: 1-line block ×3, first 2 shown]
	v_cndmask_b32_e32 v19, v24, v19, vcc_lo
	v_cndmask_b32_e32 v18, v14, v18, vcc_lo
	v_trig_preop_f64 v[24:25], |v[14:15]|, 1
	v_mul_f64 v[26:27], v[20:21], v[18:19]
	v_mul_f64 v[48:49], v[34:35], v[18:19]
	;; [unrolled: 1-line block ×3, first 2 shown]
	v_fma_f64 v[20:21], v[20:21], v[18:19], -v[26:27]
	v_fma_f64 v[24:25], v[24:25], v[18:19], -v[28:29]
	;; [unrolled: 1-line block ×3, first 2 shown]
	v_add_f64 v[30:31], v[28:29], v[20:21]
	v_add_f64 v[32:33], v[30:31], -v[28:29]
	v_add_f64 v[38:39], v[26:27], v[30:31]
	v_add_f64 v[36:37], v[30:31], -v[32:33]
	v_add_f64 v[20:21], v[20:21], -v[32:33]
	v_ldexp_f64 v[32:33], v[38:39], -2
	v_add_f64 v[26:27], v[38:39], -v[26:27]
	v_add_f64 v[28:29], v[28:29], -v[36:37]
	v_add_f64 v[36:37], v[48:49], v[24:25]
	v_cmp_neq_f64_e64 vcc_lo, 0x7ff00000, |v[32:33]|
	v_add_f64 v[26:27], v[30:31], -v[26:27]
	v_add_f64 v[20:21], v[20:21], v[28:29]
	v_fract_f64_e32 v[28:29], v[32:33]
	v_add_f64 v[30:31], v[36:37], v[20:21]
	v_ldexp_f64 v[28:29], v[28:29], 2
	v_add_f64 v[32:33], v[26:27], v[30:31]
	v_cndmask_b32_e32 v29, 0, v29, vcc_lo
	v_cndmask_b32_e32 v28, 0, v28, vcc_lo
	v_add_f64 v[38:39], v[32:33], v[28:29]
	v_add_f64 v[26:27], v[32:33], -v[26:27]
	v_cmp_gt_f64_e32 vcc_lo, 0, v[38:39]
	v_add_f64 v[38:39], v[36:37], -v[48:49]
	v_cndmask_b32_e64 v51, 0, 0x40100000, vcc_lo
	v_add_f64 v[64:65], v[36:37], -v[38:39]
	v_add_f64 v[24:25], v[24:25], -v[38:39]
	v_add_f64 v[28:29], v[28:29], v[50:51]
	v_add_f64 v[51:52], v[30:31], -v[36:37]
	v_add_f64 v[38:39], v[48:49], -v[64:65]
	v_add_f64 v[53:54], v[32:33], v[28:29]
	;; [unrolled: 3-line block ×3, first 2 shown]
	v_cvt_i32_f64_e32 v53, v[53:54]
	v_add_f64 v[36:37], v[36:37], -v[66:67]
	v_cvt_f64_i32_e32 v[51:52], v53
	v_add_f64 v[20:21], v[20:21], v[36:37]
	v_add_f64 v[28:29], v[28:29], -v[51:52]
	v_add_f64 v[20:21], v[24:25], v[20:21]
	v_add_f64 v[24:25], v[30:31], -v[26:27]
	v_add_f64 v[34:35], v[32:33], v[28:29]
	v_add_f64 v[18:19], v[18:19], v[20:21]
	v_add_f64 v[20:21], v[34:35], -v[28:29]
	v_cmp_le_f64_e32 vcc_lo, 0.5, v[34:35]
	v_add_f64 v[18:19], v[24:25], v[18:19]
	v_add_f64 v[20:21], v[32:33], -v[20:21]
	v_cndmask_b32_e64 v51, 0, 0x3ff00000, vcc_lo
	v_add_co_ci_u32_e64 v24, null, 0, v53, vcc_lo
	v_add_f64 v[18:19], v[18:19], v[20:21]
	v_add_f64 v[20:21], v[34:35], -v[50:51]
	v_add_f64 v[25:26], v[20:21], v[18:19]
	v_mul_f64 v[27:28], v[25:26], s[6:7]
	v_add_f64 v[20:21], v[25:26], -v[20:21]
	v_fma_f64 v[29:30], v[25:26], s[6:7], -v[27:28]
	v_add_f64 v[18:19], v[18:19], -v[20:21]
	v_fma_f64 v[20:21], v[25:26], s[12:13], v[29:30]
	v_fma_f64 v[20:21], v[18:19], s[6:7], v[20:21]
	v_add_f64 v[18:19], v[27:28], v[20:21]
	v_add_f64 v[25:26], v[18:19], -v[27:28]
	v_add_f64 v[20:21], v[20:21], -v[25:26]
.LBB40_20:
	s_andn2_saveexec_b32 s5, s5
	s_cbranch_execz .LBB40_22
; %bb.21:
	s_mov_b32 s6, 0x6dc9c883
	s_mov_b32 s7, 0x3fe45f30
	;; [unrolled: 1-line block ×3, first 2 shown]
	v_mul_f64 v[18:19], |v[14:15]|, s[6:7]
	s_mov_b32 s6, 0x54442d18
	s_mov_b32 s7, 0xbff921fb
	;; [unrolled: 1-line block ×3, first 2 shown]
	v_rndne_f64_e32 v[24:25], v[18:19]
	v_fma_f64 v[18:19], v[24:25], s[6:7], |v[14:15]|
	v_mul_f64 v[20:21], v[24:25], s[12:13]
	s_mov_b32 s6, 0x252049c0
	s_mov_b32 s7, 0xb97b839a
	v_fma_f64 v[28:29], v[24:25], s[12:13], v[18:19]
	v_add_f64 v[26:27], v[18:19], v[20:21]
	s_mov_b32 s13, 0x3c91a626
	v_add_f64 v[18:19], v[18:19], -v[26:27]
	v_add_f64 v[26:27], v[26:27], -v[28:29]
	v_add_f64 v[18:19], v[18:19], v[20:21]
	v_fma_f64 v[20:21], v[24:25], s[12:13], v[20:21]
	v_add_f64 v[18:19], v[26:27], v[18:19]
	v_add_f64 v[18:19], v[18:19], -v[20:21]
	v_fma_f64 v[20:21], v[24:25], s[6:7], v[18:19]
	v_cvt_i32_f64_e32 v24, v[24:25]
	v_add_f64 v[18:19], v[28:29], v[20:21]
	v_add_f64 v[26:27], v[18:19], -v[28:29]
	v_add_f64 v[20:21], v[20:21], -v[26:27]
.LBB40_22:
	s_or_b32 exec_lo, exec_lo, s5
	v_mul_f64 v[25:26], v[18:19], v[18:19]
	s_mov_b32 s6, 0xb42fdfa7
	s_mov_b32 s12, 0xf9a43bb8
	;; [unrolled: 1-line block ×6, first 2 shown]
	v_mul_f64 v[35:36], v[20:21], 0.5
	v_cmp_class_f64_e64 s5, v[14:15], 0x1f8
	v_lshlrev_b32_e32 v14, 30, v24
	v_add_f64 v[16:17], -v[16:17], 1.0
	v_xor_b32_e32 v14, v14, v15
	v_and_b32_e32 v14, 0x80000000, v14
	v_fma_f64 v[27:28], v[25:26], s[12:13], s[6:7]
	s_mov_b32 s6, 0x9037ab78
	s_mov_b32 s12, 0x46cc5e42
	;; [unrolled: 1-line block ×4, first 2 shown]
	v_mul_f64 v[31:32], v[25:26], 0.5
	v_fma_f64 v[29:30], v[25:26], s[12:13], s[6:7]
	s_mov_b32 s6, 0xa17f65f6
	s_mov_b32 s12, 0x19e83e5c
	;; [unrolled: 1-line block ×4, first 2 shown]
	v_mul_f64 v[37:38], v[18:19], -v[25:26]
	v_fma_f64 v[27:28], v[25:26], v[27:28], s[14:15]
	v_add_f64 v[33:34], -v[31:32], 1.0
	v_fma_f64 v[29:30], v[25:26], v[29:30], s[6:7]
	s_mov_b32 s6, 0x19f4ec90
	s_mov_b32 s7, 0x3efa01a0
	v_fma_f64 v[27:28], v[25:26], v[27:28], s[12:13]
	s_mov_b32 s12, 0x11110bb3
	s_mov_b32 s13, 0x3f811111
	v_add_f64 v[48:49], -v[33:34], 1.0
	v_fma_f64 v[29:30], v[25:26], v[29:30], s[6:7]
	s_mov_b32 s6, 0x16c16967
	s_mov_b32 s7, 0xbf56c16c
	v_fma_f64 v[27:28], v[25:26], v[27:28], s[12:13]
	v_add_f64 v[31:32], v[48:49], -v[31:32]
	v_fma_f64 v[29:30], v[25:26], v[29:30], s[6:7]
	s_mov_b32 s7, 0x3fa55555
	s_mov_b32 s6, 0x55555555
	v_fma_f64 v[27:28], v[37:38], v[27:28], v[35:36]
	v_mul_f64 v[35:36], v[25:26], v[25:26]
	v_fma_f64 v[31:32], v[18:19], -v[20:21], v[31:32]
	v_fma_f64 v[29:30], v[25:26], v[29:30], s[6:7]
	s_mov_b32 s7, 0xbfc55555
	v_fma_f64 v[20:21], v[25:26], v[27:28], -v[20:21]
	v_fma_f64 v[25:26], v[35:36], v[29:30], v[31:32]
	v_fma_f64 v[20:21], v[37:38], s[6:7], v[20:21]
	s_mov_b32 s6, 0xc9be45de
	s_mov_b32 s7, 0xc023bd3c
	v_add_f64 v[25:26], v[33:34], v[25:26]
	v_add_f64 v[18:19], v[18:19], -v[20:21]
	v_and_b32_e32 v20, 1, v24
	v_cmp_eq_u32_e32 vcc_lo, 0, v20
	v_cndmask_b32_e32 v15, v26, v19, vcc_lo
	v_cndmask_b32_e32 v18, v25, v18, vcc_lo
	v_xor_b32_e32 v15, v15, v14
	v_cndmask_b32_e64 v14, 0, v18, s5
	v_cndmask_b32_e64 v15, 0x7ff80000, v15, s5
	v_mul_f64 v[14:15], v[14:15], v[14:15]
	v_div_scale_f64 v[18:19], null, v[14:15], v[14:15], s[6:7]
	v_div_scale_f64 v[26:27], vcc_lo, s[6:7], v[14:15], s[6:7]
	v_rcp_f64_e32 v[20:21], v[18:19]
	v_fma_f64 v[24:25], -v[18:19], v[20:21], 1.0
	v_fma_f64 v[20:21], v[20:21], v[24:25], v[20:21]
	v_fma_f64 v[24:25], -v[18:19], v[20:21], 1.0
	v_fma_f64 v[20:21], v[20:21], v[24:25], v[20:21]
	v_mul_f64 v[24:25], v[26:27], v[20:21]
	v_fma_f64 v[18:19], -v[18:19], v[24:25], v[26:27]
	v_div_fmas_f64 v[18:19], v[18:19], v[20:21], v[24:25]
	v_div_fixup_f64 v[14:15], v[18:19], v[14:15], s[6:7]
	v_add_f64 v[18:19], v[14:15], 0
	v_mov_b32_e32 v14, 0
	v_mov_b32_e32 v15, 0xbff00000
.LBB40_23:
	s_or_b32 exec_lo, exec_lo, s10
	v_mul_f64 v[20:21], v[16:17], v[16:17]
	v_add_f64 v[16:17], v[16:17], 1.0
	s_mov_b32 s6, 0x11111111
	s_mov_b32 s10, 0x18618618
	;; [unrolled: 1-line block ×4, first 2 shown]
	v_div_scale_f64 v[24:25], null, v[20:21], v[20:21], 1.0
	v_rcp_f64_e32 v[26:27], v[24:25]
	v_fma_f64 v[28:29], -v[24:25], v[26:27], 1.0
	v_fma_f64 v[26:27], v[26:27], v[28:29], v[26:27]
	v_fma_f64 v[28:29], -v[24:25], v[26:27], 1.0
	v_fma_f64 v[26:27], v[26:27], v[28:29], v[26:27]
	v_div_scale_f64 v[28:29], vcc_lo, 1.0, v[20:21], 1.0
	v_mul_f64 v[30:31], v[28:29], v[26:27]
	v_fma_f64 v[24:25], -v[24:25], v[30:31], v[28:29]
	v_div_fmas_f64 v[24:25], v[24:25], v[26:27], v[30:31]
	v_div_fixup_f64 v[20:21], v[24:25], v[20:21], 1.0
	v_add_f64 v[18:19], v[18:19], v[20:21]
	v_mul_f64 v[20:21], v[16:17], v[16:17]
	v_add_f64 v[16:17], v[16:17], 1.0
	v_div_scale_f64 v[24:25], null, v[20:21], v[20:21], 1.0
	v_rcp_f64_e32 v[26:27], v[24:25]
	v_fma_f64 v[28:29], -v[24:25], v[26:27], 1.0
	v_fma_f64 v[26:27], v[26:27], v[28:29], v[26:27]
	v_fma_f64 v[28:29], -v[24:25], v[26:27], 1.0
	v_fma_f64 v[26:27], v[26:27], v[28:29], v[26:27]
	v_div_scale_f64 v[28:29], vcc_lo, 1.0, v[20:21], 1.0
	v_mul_f64 v[30:31], v[28:29], v[26:27]
	v_fma_f64 v[24:25], -v[24:25], v[30:31], v[28:29]
	v_div_fmas_f64 v[24:25], v[24:25], v[26:27], v[30:31]
	v_div_fixup_f64 v[20:21], v[24:25], v[20:21], 1.0
	v_add_f64 v[18:19], v[18:19], v[20:21]
	v_mul_f64 v[20:21], v[16:17], v[16:17]
	v_add_f64 v[16:17], v[16:17], 1.0
	;; [unrolled: 14-line block ×5, first 2 shown]
	v_div_scale_f64 v[24:25], null, v[20:21], v[20:21], 1.0
	v_rcp_f64_e32 v[26:27], v[24:25]
	v_fma_f64 v[28:29], -v[24:25], v[26:27], 1.0
	v_fma_f64 v[26:27], v[26:27], v[28:29], v[26:27]
	v_fma_f64 v[28:29], -v[24:25], v[26:27], 1.0
	v_fma_f64 v[26:27], v[26:27], v[28:29], v[26:27]
	v_div_scale_f64 v[28:29], vcc_lo, 1.0, v[20:21], 1.0
	v_mul_f64 v[30:31], v[28:29], v[26:27]
	v_fma_f64 v[24:25], -v[24:25], v[30:31], v[28:29]
	v_div_fmas_f64 v[24:25], v[24:25], v[26:27], v[30:31]
	v_div_fixup_f64 v[20:21], v[24:25], v[20:21], 1.0
	v_add_f64 v[18:19], v[18:19], v[20:21]
	v_mul_f64 v[20:21], v[16:17], v[16:17]
	v_div_scale_f64 v[24:25], null, v[20:21], v[20:21], 1.0
	v_rcp_f64_e32 v[26:27], v[24:25]
	v_fma_f64 v[28:29], -v[24:25], v[26:27], 1.0
	v_fma_f64 v[26:27], v[26:27], v[28:29], v[26:27]
	v_fma_f64 v[28:29], -v[24:25], v[26:27], 1.0
	v_fma_f64 v[26:27], v[26:27], v[28:29], v[26:27]
	v_div_scale_f64 v[28:29], vcc_lo, 1.0, v[20:21], 1.0
	v_mul_f64 v[30:31], v[28:29], v[26:27]
	v_fma_f64 v[24:25], -v[24:25], v[30:31], v[28:29]
	v_div_fmas_f64 v[24:25], v[24:25], v[26:27], v[30:31]
	v_div_fixup_f64 v[20:21], v[24:25], v[20:21], 1.0
	v_add_f64 v[24:25], v[16:17], v[16:17]
	v_div_scale_f64 v[26:27], null, v[24:25], v[24:25], 1.0
	v_rcp_f64_e32 v[28:29], v[26:27]
	v_fma_f64 v[30:31], -v[26:27], v[28:29], 1.0
	v_fma_f64 v[28:29], v[28:29], v[30:31], v[28:29]
	v_fma_f64 v[30:31], -v[26:27], v[28:29], 1.0
	v_fma_f64 v[28:29], v[28:29], v[30:31], v[28:29]
	v_div_scale_f64 v[30:31], vcc_lo, 1.0, v[24:25], 1.0
	v_mul_f64 v[32:33], v[30:31], v[28:29]
	v_fma_f64 v[26:27], -v[26:27], v[32:33], v[30:31]
	v_div_fmas_f64 v[26:27], v[26:27], v[28:29], v[32:33]
	v_div_fixup_f64 v[24:25], v[26:27], v[24:25], 1.0
	v_fma_f64 v[26:27], v[20:21], s[10:11], s[6:7]
	s_mov_b32 s6, 0x55555555
	s_mov_b32 s7, 0x3fc55555
	v_add_f64 v[24:25], v[24:25], 1.0
	v_fma_f64 v[26:27], -v[20:21], v[26:27], s[6:7]
	v_fma_f64 v[20:21], v[20:21], v[26:27], v[24:25]
	v_div_scale_f64 v[24:25], null, v[16:17], v[16:17], v[20:21]
	v_rcp_f64_e32 v[26:27], v[24:25]
	v_fma_f64 v[28:29], -v[24:25], v[26:27], 1.0
	v_fma_f64 v[26:27], v[26:27], v[28:29], v[26:27]
	v_fma_f64 v[28:29], -v[24:25], v[26:27], 1.0
	v_fma_f64 v[26:27], v[26:27], v[28:29], v[26:27]
	v_div_scale_f64 v[28:29], vcc_lo, v[20:21], v[16:17], v[20:21]
	v_mul_f64 v[30:31], v[28:29], v[26:27]
	v_fma_f64 v[24:25], -v[24:25], v[30:31], v[28:29]
	v_div_fmas_f64 v[24:25], v[24:25], v[26:27], v[30:31]
	v_div_fixup_f64 v[16:17], v[24:25], v[16:17], v[20:21]
	v_add_f64 v[16:17], v[18:19], v[16:17]
	v_mul_f64 v[14:15], v[14:15], v[16:17]
.LBB40_24:
	s_or_b32 exec_lo, exec_lo, s9
	s_waitcnt vmcnt(0) lgkmcnt(0)
	v_add_nc_u32_e32 v16, 0x200, v22
	s_mov_b32 s9, exec_lo
	v_cmpx_lt_i32_e64 v16, v4
	s_cbranch_execz .LBB40_32
; %bb.25:
	v_mov_b32_e32 v16, 0
	v_mov_b32_e32 v12, 0
	;; [unrolled: 1-line block ×4, first 2 shown]
	s_mov_b32 s10, exec_lo
	v_cmpx_gt_f64_e32 0.5, v[8:9]
	s_cbranch_execz .LBB40_31
; %bb.26:
	s_mov_b32 s7, 0x400921fb
	s_mov_b32 s6, 0x54442d18
                                        ; implicit-def: $vgpr20
                                        ; implicit-def: $vgpr16_vgpr17
                                        ; implicit-def: $vgpr18_vgpr19
	v_mul_f64 v[12:13], v[8:9], s[6:7]
	v_cmp_ngt_f64_e64 s5, 0x41d00000, |v[12:13]|
	s_and_saveexec_b32 s7, s5
	s_xor_b32 s5, exec_lo, s7
	s_cbranch_execz .LBB40_28
; %bb.27:
	v_ldexp_f64 v[16:17], |v[12:13]|, 0xffffff80
	v_cmp_le_f64_e64 vcc_lo, 0x7b000000, |v[12:13]|
	v_trig_preop_f64 v[18:19], |v[12:13]|, 0
	v_and_b32_e32 v20, 0x7fffffff, v13
	v_trig_preop_f64 v[32:33], |v[12:13]|, 2
	v_mov_b32_e32 v48, 0
	s_mov_b32 s7, 0x3ff921fb
	s_mov_b32 s12, 0x33145c07
	;; [unrolled: 1-line block ×3, first 2 shown]
	v_cndmask_b32_e32 v17, v20, v17, vcc_lo
	v_cndmask_b32_e32 v16, v12, v16, vcc_lo
	v_trig_preop_f64 v[20:21], |v[12:13]|, 1
	v_mul_f64 v[24:25], v[18:19], v[16:17]
	v_mul_f64 v[38:39], v[32:33], v[16:17]
	v_mul_f64 v[26:27], v[20:21], v[16:17]
	v_fma_f64 v[18:19], v[18:19], v[16:17], -v[24:25]
	v_fma_f64 v[20:21], v[20:21], v[16:17], -v[26:27]
	;; [unrolled: 1-line block ×3, first 2 shown]
	v_add_f64 v[28:29], v[26:27], v[18:19]
	v_add_f64 v[30:31], v[28:29], -v[26:27]
	v_add_f64 v[36:37], v[24:25], v[28:29]
	v_add_f64 v[34:35], v[28:29], -v[30:31]
	v_add_f64 v[18:19], v[18:19], -v[30:31]
	v_ldexp_f64 v[30:31], v[36:37], -2
	v_add_f64 v[24:25], v[36:37], -v[24:25]
	v_add_f64 v[26:27], v[26:27], -v[34:35]
	v_add_f64 v[34:35], v[38:39], v[20:21]
	v_cmp_neq_f64_e64 vcc_lo, 0x7ff00000, |v[30:31]|
	v_add_f64 v[24:25], v[28:29], -v[24:25]
	v_add_f64 v[18:19], v[18:19], v[26:27]
	v_fract_f64_e32 v[26:27], v[30:31]
	v_add_f64 v[28:29], v[34:35], v[18:19]
	v_ldexp_f64 v[26:27], v[26:27], 2
	v_add_f64 v[30:31], v[24:25], v[28:29]
	v_cndmask_b32_e32 v27, 0, v27, vcc_lo
	v_cndmask_b32_e32 v26, 0, v26, vcc_lo
	v_add_f64 v[36:37], v[30:31], v[26:27]
	v_add_f64 v[24:25], v[30:31], -v[24:25]
	v_cmp_gt_f64_e32 vcc_lo, 0, v[36:37]
	v_add_f64 v[36:37], v[34:35], -v[38:39]
	v_cndmask_b32_e64 v49, 0, 0x40100000, vcc_lo
	v_add_f64 v[53:54], v[34:35], -v[36:37]
	v_add_f64 v[20:21], v[20:21], -v[36:37]
	v_add_f64 v[26:27], v[26:27], v[48:49]
	v_add_f64 v[49:50], v[28:29], -v[34:35]
	v_add_f64 v[36:37], v[38:39], -v[53:54]
	v_add_f64 v[51:52], v[30:31], v[26:27]
	v_add_f64 v[64:65], v[28:29], -v[49:50]
	v_add_f64 v[18:19], v[18:19], -v[49:50]
	v_add_f64 v[20:21], v[20:21], v[36:37]
	v_cvt_i32_f64_e32 v51, v[51:52]
	v_add_f64 v[34:35], v[34:35], -v[64:65]
	v_cvt_f64_i32_e32 v[49:50], v51
	v_add_f64 v[18:19], v[18:19], v[34:35]
	v_add_f64 v[26:27], v[26:27], -v[49:50]
	v_add_f64 v[18:19], v[20:21], v[18:19]
	v_add_f64 v[20:21], v[28:29], -v[24:25]
	v_add_f64 v[32:33], v[30:31], v[26:27]
	v_add_f64 v[16:17], v[16:17], v[18:19]
	v_add_f64 v[18:19], v[32:33], -v[26:27]
	v_cmp_le_f64_e32 vcc_lo, 0.5, v[32:33]
	v_add_f64 v[16:17], v[20:21], v[16:17]
	v_add_f64 v[18:19], v[30:31], -v[18:19]
	v_cndmask_b32_e64 v49, 0, 0x3ff00000, vcc_lo
	v_add_co_ci_u32_e64 v20, null, 0, v51, vcc_lo
	v_add_f64 v[16:17], v[16:17], v[18:19]
	v_add_f64 v[18:19], v[32:33], -v[48:49]
	v_add_f64 v[24:25], v[18:19], v[16:17]
	v_mul_f64 v[26:27], v[24:25], s[6:7]
	v_add_f64 v[18:19], v[24:25], -v[18:19]
	v_fma_f64 v[28:29], v[24:25], s[6:7], -v[26:27]
	v_add_f64 v[16:17], v[16:17], -v[18:19]
	v_fma_f64 v[18:19], v[24:25], s[12:13], v[28:29]
	v_fma_f64 v[18:19], v[16:17], s[6:7], v[18:19]
	v_add_f64 v[16:17], v[26:27], v[18:19]
	v_add_f64 v[24:25], v[16:17], -v[26:27]
	v_add_f64 v[18:19], v[18:19], -v[24:25]
.LBB40_28:
	s_andn2_saveexec_b32 s5, s5
	s_cbranch_execz .LBB40_30
; %bb.29:
	s_mov_b32 s6, 0x6dc9c883
	s_mov_b32 s7, 0x3fe45f30
	;; [unrolled: 1-line block ×3, first 2 shown]
	v_mul_f64 v[16:17], |v[12:13]|, s[6:7]
	s_mov_b32 s6, 0x54442d18
	s_mov_b32 s7, 0xbff921fb
	;; [unrolled: 1-line block ×3, first 2 shown]
	v_rndne_f64_e32 v[20:21], v[16:17]
	v_fma_f64 v[16:17], v[20:21], s[6:7], |v[12:13]|
	v_mul_f64 v[18:19], v[20:21], s[12:13]
	s_mov_b32 s6, 0x252049c0
	s_mov_b32 s7, 0xb97b839a
	v_fma_f64 v[26:27], v[20:21], s[12:13], v[16:17]
	v_add_f64 v[24:25], v[16:17], v[18:19]
	s_mov_b32 s13, 0x3c91a626
	v_add_f64 v[16:17], v[16:17], -v[24:25]
	v_add_f64 v[24:25], v[24:25], -v[26:27]
	v_add_f64 v[16:17], v[16:17], v[18:19]
	v_fma_f64 v[18:19], v[20:21], s[12:13], v[18:19]
	v_add_f64 v[16:17], v[24:25], v[16:17]
	v_add_f64 v[16:17], v[16:17], -v[18:19]
	v_fma_f64 v[18:19], v[20:21], s[6:7], v[16:17]
	v_cvt_i32_f64_e32 v20, v[20:21]
	v_add_f64 v[16:17], v[26:27], v[18:19]
	v_add_f64 v[24:25], v[16:17], -v[26:27]
	v_add_f64 v[18:19], v[18:19], -v[24:25]
.LBB40_30:
	s_or_b32 exec_lo, exec_lo, s5
	v_mul_f64 v[24:25], v[16:17], v[16:17]
	s_mov_b32 s6, 0xb42fdfa7
	s_mov_b32 s12, 0xf9a43bb8
	;; [unrolled: 1-line block ×6, first 2 shown]
	v_mul_f64 v[34:35], v[18:19], 0.5
	v_cmp_class_f64_e64 s5, v[12:13], 0x1f8
	v_lshlrev_b32_e32 v12, 30, v20
	v_add_f64 v[8:9], -v[8:9], 1.0
	v_xor_b32_e32 v12, v12, v13
	v_and_b32_e32 v12, 0x80000000, v12
	v_fma_f64 v[26:27], v[24:25], s[12:13], s[6:7]
	s_mov_b32 s6, 0x9037ab78
	s_mov_b32 s12, 0x46cc5e42
	;; [unrolled: 1-line block ×4, first 2 shown]
	v_mul_f64 v[30:31], v[24:25], 0.5
	v_fma_f64 v[28:29], v[24:25], s[12:13], s[6:7]
	s_mov_b32 s6, 0xa17f65f6
	s_mov_b32 s12, 0x19e83e5c
	;; [unrolled: 1-line block ×4, first 2 shown]
	v_mul_f64 v[36:37], v[16:17], -v[24:25]
	v_fma_f64 v[26:27], v[24:25], v[26:27], s[14:15]
	v_add_f64 v[32:33], -v[30:31], 1.0
	v_fma_f64 v[28:29], v[24:25], v[28:29], s[6:7]
	s_mov_b32 s6, 0x19f4ec90
	s_mov_b32 s7, 0x3efa01a0
	v_fma_f64 v[26:27], v[24:25], v[26:27], s[12:13]
	s_mov_b32 s12, 0x11110bb3
	s_mov_b32 s13, 0x3f811111
	v_add_f64 v[38:39], -v[32:33], 1.0
	v_fma_f64 v[28:29], v[24:25], v[28:29], s[6:7]
	s_mov_b32 s6, 0x16c16967
	s_mov_b32 s7, 0xbf56c16c
	v_fma_f64 v[26:27], v[24:25], v[26:27], s[12:13]
	v_add_f64 v[30:31], v[38:39], -v[30:31]
	v_fma_f64 v[28:29], v[24:25], v[28:29], s[6:7]
	s_mov_b32 s7, 0x3fa55555
	s_mov_b32 s6, 0x55555555
	v_fma_f64 v[26:27], v[36:37], v[26:27], v[34:35]
	v_mul_f64 v[34:35], v[24:25], v[24:25]
	v_fma_f64 v[30:31], v[16:17], -v[18:19], v[30:31]
	v_fma_f64 v[28:29], v[24:25], v[28:29], s[6:7]
	s_mov_b32 s7, 0xbfc55555
	v_fma_f64 v[18:19], v[24:25], v[26:27], -v[18:19]
	v_fma_f64 v[24:25], v[34:35], v[28:29], v[30:31]
	v_fma_f64 v[18:19], v[36:37], s[6:7], v[18:19]
	s_mov_b32 s6, 0xc9be45de
	s_mov_b32 s7, 0xc023bd3c
	v_add_f64 v[24:25], v[32:33], v[24:25]
	v_add_f64 v[16:17], v[16:17], -v[18:19]
	v_and_b32_e32 v18, 1, v20
	v_cmp_eq_u32_e32 vcc_lo, 0, v18
	v_cndmask_b32_e32 v13, v25, v17, vcc_lo
	v_cndmask_b32_e32 v16, v24, v16, vcc_lo
	v_xor_b32_e32 v13, v13, v12
	v_cndmask_b32_e64 v12, 0, v16, s5
	v_cndmask_b32_e64 v13, 0x7ff80000, v13, s5
	v_mul_f64 v[12:13], v[12:13], v[12:13]
	v_div_scale_f64 v[16:17], null, v[12:13], v[12:13], s[6:7]
	v_div_scale_f64 v[24:25], vcc_lo, s[6:7], v[12:13], s[6:7]
	v_rcp_f64_e32 v[18:19], v[16:17]
	v_fma_f64 v[20:21], -v[16:17], v[18:19], 1.0
	v_fma_f64 v[18:19], v[18:19], v[20:21], v[18:19]
	v_fma_f64 v[20:21], -v[16:17], v[18:19], 1.0
	v_fma_f64 v[18:19], v[18:19], v[20:21], v[18:19]
	v_mul_f64 v[20:21], v[24:25], v[18:19]
	v_fma_f64 v[16:17], -v[16:17], v[20:21], v[24:25]
	v_div_fmas_f64 v[16:17], v[16:17], v[18:19], v[20:21]
	v_div_fixup_f64 v[12:13], v[16:17], v[12:13], s[6:7]
	v_add_f64 v[16:17], v[12:13], 0
	v_mov_b32_e32 v12, 0
	v_mov_b32_e32 v13, 0xbff00000
.LBB40_31:
	s_or_b32 exec_lo, exec_lo, s10
	v_mul_f64 v[18:19], v[8:9], v[8:9]
	v_add_f64 v[8:9], v[8:9], 1.0
	s_mov_b32 s6, 0x11111111
	s_mov_b32 s10, 0x18618618
	;; [unrolled: 1-line block ×4, first 2 shown]
	v_div_scale_f64 v[20:21], null, v[18:19], v[18:19], 1.0
	v_rcp_f64_e32 v[24:25], v[20:21]
	v_fma_f64 v[26:27], -v[20:21], v[24:25], 1.0
	v_fma_f64 v[24:25], v[24:25], v[26:27], v[24:25]
	v_fma_f64 v[26:27], -v[20:21], v[24:25], 1.0
	v_fma_f64 v[24:25], v[24:25], v[26:27], v[24:25]
	v_div_scale_f64 v[26:27], vcc_lo, 1.0, v[18:19], 1.0
	v_mul_f64 v[28:29], v[26:27], v[24:25]
	v_fma_f64 v[20:21], -v[20:21], v[28:29], v[26:27]
	v_div_fmas_f64 v[20:21], v[20:21], v[24:25], v[28:29]
	v_div_fixup_f64 v[18:19], v[20:21], v[18:19], 1.0
	v_add_f64 v[16:17], v[16:17], v[18:19]
	v_mul_f64 v[18:19], v[8:9], v[8:9]
	v_add_f64 v[8:9], v[8:9], 1.0
	v_div_scale_f64 v[20:21], null, v[18:19], v[18:19], 1.0
	v_rcp_f64_e32 v[24:25], v[20:21]
	v_fma_f64 v[26:27], -v[20:21], v[24:25], 1.0
	v_fma_f64 v[24:25], v[24:25], v[26:27], v[24:25]
	v_fma_f64 v[26:27], -v[20:21], v[24:25], 1.0
	v_fma_f64 v[24:25], v[24:25], v[26:27], v[24:25]
	v_div_scale_f64 v[26:27], vcc_lo, 1.0, v[18:19], 1.0
	v_mul_f64 v[28:29], v[26:27], v[24:25]
	v_fma_f64 v[20:21], -v[20:21], v[28:29], v[26:27]
	v_div_fmas_f64 v[20:21], v[20:21], v[24:25], v[28:29]
	v_div_fixup_f64 v[18:19], v[20:21], v[18:19], 1.0
	v_add_f64 v[16:17], v[16:17], v[18:19]
	v_mul_f64 v[18:19], v[8:9], v[8:9]
	v_add_f64 v[8:9], v[8:9], 1.0
	;; [unrolled: 14-line block ×5, first 2 shown]
	v_div_scale_f64 v[20:21], null, v[18:19], v[18:19], 1.0
	v_rcp_f64_e32 v[24:25], v[20:21]
	v_fma_f64 v[26:27], -v[20:21], v[24:25], 1.0
	v_fma_f64 v[24:25], v[24:25], v[26:27], v[24:25]
	v_fma_f64 v[26:27], -v[20:21], v[24:25], 1.0
	v_fma_f64 v[24:25], v[24:25], v[26:27], v[24:25]
	v_div_scale_f64 v[26:27], vcc_lo, 1.0, v[18:19], 1.0
	v_mul_f64 v[28:29], v[26:27], v[24:25]
	v_fma_f64 v[20:21], -v[20:21], v[28:29], v[26:27]
	v_div_fmas_f64 v[20:21], v[20:21], v[24:25], v[28:29]
	v_div_fixup_f64 v[18:19], v[20:21], v[18:19], 1.0
	v_add_f64 v[16:17], v[16:17], v[18:19]
	v_mul_f64 v[18:19], v[8:9], v[8:9]
	v_div_scale_f64 v[20:21], null, v[18:19], v[18:19], 1.0
	v_rcp_f64_e32 v[24:25], v[20:21]
	v_fma_f64 v[26:27], -v[20:21], v[24:25], 1.0
	v_fma_f64 v[24:25], v[24:25], v[26:27], v[24:25]
	v_fma_f64 v[26:27], -v[20:21], v[24:25], 1.0
	v_fma_f64 v[24:25], v[24:25], v[26:27], v[24:25]
	v_div_scale_f64 v[26:27], vcc_lo, 1.0, v[18:19], 1.0
	v_mul_f64 v[28:29], v[26:27], v[24:25]
	v_fma_f64 v[20:21], -v[20:21], v[28:29], v[26:27]
	v_div_fmas_f64 v[20:21], v[20:21], v[24:25], v[28:29]
	v_div_fixup_f64 v[18:19], v[20:21], v[18:19], 1.0
	v_add_f64 v[20:21], v[8:9], v[8:9]
	v_div_scale_f64 v[24:25], null, v[20:21], v[20:21], 1.0
	v_rcp_f64_e32 v[26:27], v[24:25]
	v_fma_f64 v[28:29], -v[24:25], v[26:27], 1.0
	v_fma_f64 v[26:27], v[26:27], v[28:29], v[26:27]
	v_fma_f64 v[28:29], -v[24:25], v[26:27], 1.0
	v_fma_f64 v[26:27], v[26:27], v[28:29], v[26:27]
	v_div_scale_f64 v[28:29], vcc_lo, 1.0, v[20:21], 1.0
	v_mul_f64 v[30:31], v[28:29], v[26:27]
	v_fma_f64 v[24:25], -v[24:25], v[30:31], v[28:29]
	v_div_fmas_f64 v[24:25], v[24:25], v[26:27], v[30:31]
	v_div_fixup_f64 v[20:21], v[24:25], v[20:21], 1.0
	v_fma_f64 v[24:25], v[18:19], s[10:11], s[6:7]
	s_mov_b32 s6, 0x55555555
	s_mov_b32 s7, 0x3fc55555
	v_add_f64 v[20:21], v[20:21], 1.0
	v_fma_f64 v[24:25], -v[18:19], v[24:25], s[6:7]
	v_fma_f64 v[18:19], v[18:19], v[24:25], v[20:21]
	v_div_scale_f64 v[20:21], null, v[8:9], v[8:9], v[18:19]
	v_rcp_f64_e32 v[24:25], v[20:21]
	v_fma_f64 v[26:27], -v[20:21], v[24:25], 1.0
	v_fma_f64 v[24:25], v[24:25], v[26:27], v[24:25]
	v_fma_f64 v[26:27], -v[20:21], v[24:25], 1.0
	v_fma_f64 v[24:25], v[24:25], v[26:27], v[24:25]
	v_div_scale_f64 v[26:27], vcc_lo, v[18:19], v[8:9], v[18:19]
	v_mul_f64 v[28:29], v[26:27], v[24:25]
	v_fma_f64 v[20:21], -v[20:21], v[28:29], v[26:27]
	v_div_fmas_f64 v[20:21], v[20:21], v[24:25], v[28:29]
	v_div_fixup_f64 v[8:9], v[20:21], v[8:9], v[18:19]
	v_add_f64 v[8:9], v[16:17], v[8:9]
	v_mul_f64 v[12:13], v[12:13], v[8:9]
.LBB40_32:
	s_or_b32 exec_lo, exec_lo, s9
	v_add_nc_u32_e32 v8, 0x300, v22
	s_mov_b32 s9, exec_lo
	v_cmpx_lt_i32_e64 v8, v4
	s_cbranch_execnz .LBB40_38
; %bb.33:
	s_or_b32 exec_lo, exec_lo, s9
	s_and_saveexec_b32 s5, s4
	s_xor_b32 s4, exec_lo, s5
	s_cbranch_execnz .LBB40_45
.LBB40_34:
	s_or_b32 exec_lo, exec_lo, s4
	s_mov_b32 s4, exec_lo
	v_cmpx_lt_i32_e64 v22, v4
	s_cbranch_execnz .LBB40_46
.LBB40_35:
	s_or_b32 exec_lo, exec_lo, s4
	s_mov_b32 s4, exec_lo
	v_cmpx_lt_i32_e64 v22, v4
	s_cbranch_execnz .LBB40_47
.LBB40_36:
	s_or_b32 exec_lo, exec_lo, s4
	s_mov_b32 s4, exec_lo
	v_cmpx_lt_i32_e64 v22, v4
	s_cbranch_execnz .LBB40_48
.LBB40_37:
	s_or_b32 exec_lo, exec_lo, s4
	s_waitcnt lgkmcnt(0)
	s_setpc_b64 s[30:31]
.LBB40_38:
	v_mov_b32_e32 v10, 0
	v_mov_b32_e32 v8, 0
	;; [unrolled: 1-line block ×4, first 2 shown]
	s_mov_b32 s10, exec_lo
	v_cmpx_gt_f64_e32 0.5, v[6:7]
	s_cbranch_execz .LBB40_44
; %bb.39:
	s_mov_b32 s7, 0x400921fb
	s_mov_b32 s6, 0x54442d18
                                        ; implicit-def: $vgpr18
                                        ; implicit-def: $vgpr10_vgpr11
                                        ; implicit-def: $vgpr16_vgpr17
	v_mul_f64 v[8:9], v[6:7], s[6:7]
	v_cmp_ngt_f64_e64 s5, 0x41d00000, |v[8:9]|
	s_and_saveexec_b32 s7, s5
	s_xor_b32 s5, exec_lo, s7
	s_cbranch_execz .LBB40_41
; %bb.40:
	v_ldexp_f64 v[10:11], |v[8:9]|, 0xffffff80
	v_cmp_le_f64_e64 vcc_lo, 0x7b000000, |v[8:9]|
	v_trig_preop_f64 v[16:17], |v[8:9]|, 0
	v_and_b32_e32 v18, 0x7fffffff, v9
	v_trig_preop_f64 v[30:31], |v[8:9]|, 2
	v_mov_b32_e32 v38, 0
	s_mov_b32 s7, 0x3ff921fb
	s_mov_b32 s12, 0x33145c07
	;; [unrolled: 1-line block ×3, first 2 shown]
	v_cndmask_b32_e32 v11, v18, v11, vcc_lo
	v_cndmask_b32_e32 v10, v8, v10, vcc_lo
	v_trig_preop_f64 v[18:19], |v[8:9]|, 1
	v_mul_f64 v[20:21], v[16:17], v[10:11]
	v_mul_f64 v[36:37], v[30:31], v[10:11]
	;; [unrolled: 1-line block ×3, first 2 shown]
	v_fma_f64 v[16:17], v[16:17], v[10:11], -v[20:21]
	v_fma_f64 v[18:19], v[18:19], v[10:11], -v[24:25]
	;; [unrolled: 1-line block ×3, first 2 shown]
	v_add_f64 v[26:27], v[24:25], v[16:17]
	v_add_f64 v[28:29], v[26:27], -v[24:25]
	v_add_f64 v[34:35], v[20:21], v[26:27]
	v_add_f64 v[32:33], v[26:27], -v[28:29]
	v_add_f64 v[16:17], v[16:17], -v[28:29]
	v_ldexp_f64 v[28:29], v[34:35], -2
	v_add_f64 v[20:21], v[34:35], -v[20:21]
	v_add_f64 v[24:25], v[24:25], -v[32:33]
	v_add_f64 v[32:33], v[36:37], v[18:19]
	v_cmp_neq_f64_e64 vcc_lo, 0x7ff00000, |v[28:29]|
	v_add_f64 v[20:21], v[26:27], -v[20:21]
	v_add_f64 v[16:17], v[16:17], v[24:25]
	v_fract_f64_e32 v[24:25], v[28:29]
	v_add_f64 v[26:27], v[32:33], v[16:17]
	v_ldexp_f64 v[24:25], v[24:25], 2
	v_add_f64 v[28:29], v[20:21], v[26:27]
	v_cndmask_b32_e32 v25, 0, v25, vcc_lo
	v_cndmask_b32_e32 v24, 0, v24, vcc_lo
	v_add_f64 v[48:49], v[26:27], -v[32:33]
	v_add_f64 v[34:35], v[28:29], v[24:25]
	v_add_f64 v[20:21], v[28:29], -v[20:21]
	v_add_f64 v[54:55], v[26:27], -v[48:49]
	;; [unrolled: 1-line block ×3, first 2 shown]
	v_cmp_gt_f64_e32 vcc_lo, 0, v[34:35]
	v_add_f64 v[34:35], v[32:33], -v[36:37]
	v_cndmask_b32_e64 v39, 0, 0x40100000, vcc_lo
	v_add_f64 v[52:53], v[32:33], -v[34:35]
	v_add_f64 v[18:19], v[18:19], -v[34:35]
	;; [unrolled: 1-line block ×3, first 2 shown]
	v_add_f64 v[24:25], v[24:25], v[38:39]
	v_add_f64 v[34:35], v[36:37], -v[52:53]
	v_add_f64 v[16:17], v[16:17], v[32:33]
	v_add_f64 v[50:51], v[28:29], v[24:25]
	;; [unrolled: 1-line block ×3, first 2 shown]
	v_cvt_i32_f64_e32 v39, v[50:51]
	v_add_f64 v[16:17], v[18:19], v[16:17]
	v_add_f64 v[18:19], v[26:27], -v[20:21]
	v_cvt_f64_i32_e32 v[48:49], v39
	v_add_f64 v[10:11], v[10:11], v[16:17]
	v_add_f64 v[24:25], v[24:25], -v[48:49]
	v_add_f64 v[10:11], v[18:19], v[10:11]
	v_add_f64 v[30:31], v[28:29], v[24:25]
	v_add_f64 v[16:17], v[30:31], -v[24:25]
	v_cmp_le_f64_e32 vcc_lo, 0.5, v[30:31]
	v_add_f64 v[16:17], v[28:29], -v[16:17]
	v_add_co_ci_u32_e64 v18, null, 0, v39, vcc_lo
	v_cndmask_b32_e64 v39, 0, 0x3ff00000, vcc_lo
	v_add_f64 v[10:11], v[10:11], v[16:17]
	v_add_f64 v[16:17], v[30:31], -v[38:39]
	v_add_f64 v[19:20], v[16:17], v[10:11]
	v_mul_f64 v[24:25], v[19:20], s[6:7]
	v_add_f64 v[16:17], v[19:20], -v[16:17]
	v_fma_f64 v[26:27], v[19:20], s[6:7], -v[24:25]
	v_add_f64 v[10:11], v[10:11], -v[16:17]
	v_fma_f64 v[16:17], v[19:20], s[12:13], v[26:27]
	v_fma_f64 v[16:17], v[10:11], s[6:7], v[16:17]
	v_add_f64 v[10:11], v[24:25], v[16:17]
	v_add_f64 v[19:20], v[10:11], -v[24:25]
	v_add_f64 v[16:17], v[16:17], -v[19:20]
.LBB40_41:
	s_andn2_saveexec_b32 s5, s5
	s_cbranch_execz .LBB40_43
; %bb.42:
	s_mov_b32 s6, 0x6dc9c883
	s_mov_b32 s7, 0x3fe45f30
	;; [unrolled: 1-line block ×3, first 2 shown]
	v_mul_f64 v[10:11], |v[8:9]|, s[6:7]
	s_mov_b32 s6, 0x54442d18
	s_mov_b32 s7, 0xbff921fb
	;; [unrolled: 1-line block ×3, first 2 shown]
	v_rndne_f64_e32 v[18:19], v[10:11]
	v_fma_f64 v[10:11], v[18:19], s[6:7], |v[8:9]|
	v_mul_f64 v[16:17], v[18:19], s[12:13]
	s_mov_b32 s6, 0x252049c0
	s_mov_b32 s7, 0xb97b839a
	v_fma_f64 v[24:25], v[18:19], s[12:13], v[10:11]
	v_add_f64 v[20:21], v[10:11], v[16:17]
	s_mov_b32 s13, 0x3c91a626
	v_add_f64 v[10:11], v[10:11], -v[20:21]
	v_add_f64 v[20:21], v[20:21], -v[24:25]
	v_add_f64 v[10:11], v[10:11], v[16:17]
	v_fma_f64 v[16:17], v[18:19], s[12:13], v[16:17]
	v_add_f64 v[10:11], v[20:21], v[10:11]
	v_add_f64 v[10:11], v[10:11], -v[16:17]
	v_fma_f64 v[16:17], v[18:19], s[6:7], v[10:11]
	v_cvt_i32_f64_e32 v18, v[18:19]
	v_add_f64 v[10:11], v[24:25], v[16:17]
	v_add_f64 v[20:21], v[10:11], -v[24:25]
	v_add_f64 v[16:17], v[16:17], -v[20:21]
.LBB40_43:
	s_or_b32 exec_lo, exec_lo, s5
	v_mul_f64 v[19:20], v[10:11], v[10:11]
	s_mov_b32 s6, 0xb42fdfa7
	s_mov_b32 s12, 0xf9a43bb8
	;; [unrolled: 1-line block ×6, first 2 shown]
	v_mul_f64 v[32:33], v[16:17], 0.5
	v_cmp_class_f64_e64 s5, v[8:9], 0x1f8
	v_lshlrev_b32_e32 v8, 30, v18
	v_add_f64 v[6:7], -v[6:7], 1.0
	v_xor_b32_e32 v8, v8, v9
	v_and_b32_e32 v8, 0x80000000, v8
	v_fma_f64 v[24:25], v[19:20], s[12:13], s[6:7]
	s_mov_b32 s6, 0x9037ab78
	s_mov_b32 s12, 0x46cc5e42
	;; [unrolled: 1-line block ×4, first 2 shown]
	v_mul_f64 v[28:29], v[19:20], 0.5
	v_fma_f64 v[26:27], v[19:20], s[12:13], s[6:7]
	s_mov_b32 s6, 0xa17f65f6
	s_mov_b32 s12, 0x19e83e5c
	;; [unrolled: 1-line block ×4, first 2 shown]
	v_mul_f64 v[34:35], v[10:11], -v[19:20]
	v_fma_f64 v[24:25], v[19:20], v[24:25], s[14:15]
	v_add_f64 v[30:31], -v[28:29], 1.0
	v_fma_f64 v[26:27], v[19:20], v[26:27], s[6:7]
	s_mov_b32 s6, 0x19f4ec90
	s_mov_b32 s7, 0x3efa01a0
	v_fma_f64 v[24:25], v[19:20], v[24:25], s[12:13]
	s_mov_b32 s12, 0x11110bb3
	s_mov_b32 s13, 0x3f811111
	v_add_f64 v[36:37], -v[30:31], 1.0
	v_fma_f64 v[26:27], v[19:20], v[26:27], s[6:7]
	s_mov_b32 s6, 0x16c16967
	s_mov_b32 s7, 0xbf56c16c
	v_fma_f64 v[24:25], v[19:20], v[24:25], s[12:13]
	v_add_f64 v[28:29], v[36:37], -v[28:29]
	v_fma_f64 v[26:27], v[19:20], v[26:27], s[6:7]
	s_mov_b32 s7, 0x3fa55555
	s_mov_b32 s6, 0x55555555
	v_fma_f64 v[24:25], v[34:35], v[24:25], v[32:33]
	v_mul_f64 v[32:33], v[19:20], v[19:20]
	v_fma_f64 v[28:29], v[10:11], -v[16:17], v[28:29]
	v_fma_f64 v[26:27], v[19:20], v[26:27], s[6:7]
	s_mov_b32 s7, 0xbfc55555
	v_fma_f64 v[16:17], v[19:20], v[24:25], -v[16:17]
	v_fma_f64 v[19:20], v[32:33], v[26:27], v[28:29]
	v_fma_f64 v[16:17], v[34:35], s[6:7], v[16:17]
	s_mov_b32 s6, 0xc9be45de
	s_mov_b32 s7, 0xc023bd3c
	v_add_f64 v[19:20], v[30:31], v[19:20]
	v_add_f64 v[10:11], v[10:11], -v[16:17]
	v_and_b32_e32 v16, 1, v18
	v_cmp_eq_u32_e32 vcc_lo, 0, v16
	v_cndmask_b32_e32 v9, v20, v11, vcc_lo
	v_cndmask_b32_e32 v10, v19, v10, vcc_lo
	v_xor_b32_e32 v9, v9, v8
	v_cndmask_b32_e64 v8, 0, v10, s5
	v_cndmask_b32_e64 v9, 0x7ff80000, v9, s5
	v_mul_f64 v[8:9], v[8:9], v[8:9]
	v_div_scale_f64 v[10:11], null, v[8:9], v[8:9], s[6:7]
	v_div_scale_f64 v[20:21], vcc_lo, s[6:7], v[8:9], s[6:7]
	v_rcp_f64_e32 v[16:17], v[10:11]
	v_fma_f64 v[18:19], -v[10:11], v[16:17], 1.0
	v_fma_f64 v[16:17], v[16:17], v[18:19], v[16:17]
	v_fma_f64 v[18:19], -v[10:11], v[16:17], 1.0
	v_fma_f64 v[16:17], v[16:17], v[18:19], v[16:17]
	v_mul_f64 v[18:19], v[20:21], v[16:17]
	v_fma_f64 v[10:11], -v[10:11], v[18:19], v[20:21]
	v_div_fmas_f64 v[10:11], v[10:11], v[16:17], v[18:19]
	v_div_fixup_f64 v[8:9], v[10:11], v[8:9], s[6:7]
	v_add_f64 v[10:11], v[8:9], 0
	v_mov_b32_e32 v8, 0
	v_mov_b32_e32 v9, 0xbff00000
.LBB40_44:
	s_or_b32 exec_lo, exec_lo, s10
	v_mul_f64 v[16:17], v[6:7], v[6:7]
	v_add_f64 v[6:7], v[6:7], 1.0
	s_mov_b32 s6, 0x11111111
	s_mov_b32 s10, 0x18618618
	;; [unrolled: 1-line block ×4, first 2 shown]
	v_div_scale_f64 v[18:19], null, v[16:17], v[16:17], 1.0
	v_rcp_f64_e32 v[20:21], v[18:19]
	v_fma_f64 v[24:25], -v[18:19], v[20:21], 1.0
	v_fma_f64 v[20:21], v[20:21], v[24:25], v[20:21]
	v_fma_f64 v[24:25], -v[18:19], v[20:21], 1.0
	v_fma_f64 v[20:21], v[20:21], v[24:25], v[20:21]
	v_div_scale_f64 v[24:25], vcc_lo, 1.0, v[16:17], 1.0
	v_mul_f64 v[26:27], v[24:25], v[20:21]
	v_fma_f64 v[18:19], -v[18:19], v[26:27], v[24:25]
	v_div_fmas_f64 v[18:19], v[18:19], v[20:21], v[26:27]
	v_div_fixup_f64 v[16:17], v[18:19], v[16:17], 1.0
	v_add_f64 v[10:11], v[10:11], v[16:17]
	v_mul_f64 v[16:17], v[6:7], v[6:7]
	v_add_f64 v[6:7], v[6:7], 1.0
	v_div_scale_f64 v[18:19], null, v[16:17], v[16:17], 1.0
	v_rcp_f64_e32 v[20:21], v[18:19]
	v_fma_f64 v[24:25], -v[18:19], v[20:21], 1.0
	v_fma_f64 v[20:21], v[20:21], v[24:25], v[20:21]
	v_fma_f64 v[24:25], -v[18:19], v[20:21], 1.0
	v_fma_f64 v[20:21], v[20:21], v[24:25], v[20:21]
	v_div_scale_f64 v[24:25], vcc_lo, 1.0, v[16:17], 1.0
	v_mul_f64 v[26:27], v[24:25], v[20:21]
	v_fma_f64 v[18:19], -v[18:19], v[26:27], v[24:25]
	v_div_fmas_f64 v[18:19], v[18:19], v[20:21], v[26:27]
	v_div_fixup_f64 v[16:17], v[18:19], v[16:17], 1.0
	v_add_f64 v[10:11], v[10:11], v[16:17]
	v_mul_f64 v[16:17], v[6:7], v[6:7]
	v_add_f64 v[6:7], v[6:7], 1.0
	;; [unrolled: 14-line block ×5, first 2 shown]
	v_div_scale_f64 v[18:19], null, v[16:17], v[16:17], 1.0
	v_rcp_f64_e32 v[20:21], v[18:19]
	v_fma_f64 v[24:25], -v[18:19], v[20:21], 1.0
	v_fma_f64 v[20:21], v[20:21], v[24:25], v[20:21]
	v_fma_f64 v[24:25], -v[18:19], v[20:21], 1.0
	v_fma_f64 v[20:21], v[20:21], v[24:25], v[20:21]
	v_div_scale_f64 v[24:25], vcc_lo, 1.0, v[16:17], 1.0
	v_mul_f64 v[26:27], v[24:25], v[20:21]
	v_fma_f64 v[18:19], -v[18:19], v[26:27], v[24:25]
	v_div_fmas_f64 v[18:19], v[18:19], v[20:21], v[26:27]
	v_div_fixup_f64 v[16:17], v[18:19], v[16:17], 1.0
	v_add_f64 v[10:11], v[10:11], v[16:17]
	v_mul_f64 v[16:17], v[6:7], v[6:7]
	v_div_scale_f64 v[18:19], null, v[16:17], v[16:17], 1.0
	v_rcp_f64_e32 v[20:21], v[18:19]
	v_fma_f64 v[24:25], -v[18:19], v[20:21], 1.0
	v_fma_f64 v[20:21], v[20:21], v[24:25], v[20:21]
	v_fma_f64 v[24:25], -v[18:19], v[20:21], 1.0
	v_fma_f64 v[20:21], v[20:21], v[24:25], v[20:21]
	v_div_scale_f64 v[24:25], vcc_lo, 1.0, v[16:17], 1.0
	v_mul_f64 v[26:27], v[24:25], v[20:21]
	v_fma_f64 v[18:19], -v[18:19], v[26:27], v[24:25]
	v_div_fmas_f64 v[18:19], v[18:19], v[20:21], v[26:27]
	v_div_fixup_f64 v[16:17], v[18:19], v[16:17], 1.0
	v_add_f64 v[18:19], v[6:7], v[6:7]
	v_div_scale_f64 v[20:21], null, v[18:19], v[18:19], 1.0
	v_rcp_f64_e32 v[24:25], v[20:21]
	v_fma_f64 v[26:27], -v[20:21], v[24:25], 1.0
	v_fma_f64 v[24:25], v[24:25], v[26:27], v[24:25]
	v_fma_f64 v[26:27], -v[20:21], v[24:25], 1.0
	v_fma_f64 v[24:25], v[24:25], v[26:27], v[24:25]
	v_div_scale_f64 v[26:27], vcc_lo, 1.0, v[18:19], 1.0
	v_mul_f64 v[28:29], v[26:27], v[24:25]
	v_fma_f64 v[20:21], -v[20:21], v[28:29], v[26:27]
	v_div_fmas_f64 v[20:21], v[20:21], v[24:25], v[28:29]
	v_div_fixup_f64 v[18:19], v[20:21], v[18:19], 1.0
	v_fma_f64 v[20:21], v[16:17], s[10:11], s[6:7]
	s_mov_b32 s6, 0x55555555
	s_mov_b32 s7, 0x3fc55555
	v_add_f64 v[18:19], v[18:19], 1.0
	v_fma_f64 v[20:21], -v[16:17], v[20:21], s[6:7]
	v_fma_f64 v[16:17], v[16:17], v[20:21], v[18:19]
	v_div_scale_f64 v[18:19], null, v[6:7], v[6:7], v[16:17]
	v_rcp_f64_e32 v[20:21], v[18:19]
	v_fma_f64 v[24:25], -v[18:19], v[20:21], 1.0
	v_fma_f64 v[20:21], v[20:21], v[24:25], v[20:21]
	v_fma_f64 v[24:25], -v[18:19], v[20:21], 1.0
	v_fma_f64 v[20:21], v[20:21], v[24:25], v[20:21]
	v_div_scale_f64 v[24:25], vcc_lo, v[16:17], v[6:7], v[16:17]
	v_mul_f64 v[26:27], v[24:25], v[20:21]
	v_fma_f64 v[18:19], -v[18:19], v[26:27], v[24:25]
	v_div_fmas_f64 v[18:19], v[18:19], v[20:21], v[26:27]
	v_div_fixup_f64 v[6:7], v[18:19], v[6:7], v[16:17]
	v_add_f64 v[6:7], v[10:11], v[6:7]
	v_mul_f64 v[10:11], v[8:9], v[6:7]
	s_or_b32 exec_lo, exec_lo, s9
	s_and_saveexec_b32 s5, s4
	s_xor_b32 s4, exec_lo, s5
	s_cbranch_execz .LBB40_34
.LBB40_45:
	v_mov_b32_e32 v6, 0
	v_mov_b32_e32 v22, v23
	v_lshlrev_b64 v[5:6], 3, v[5:6]
	v_add_co_u32 v5, vcc_lo, v0, v5
	v_add_co_ci_u32_e64 v6, null, v1, v6, vcc_lo
	flat_store_dwordx2 v[5:6], v[2:3]
	s_or_b32 exec_lo, exec_lo, s4
	s_mov_b32 s4, exec_lo
	v_cmpx_lt_i32_e64 v22, v4
	s_cbranch_execz .LBB40_35
.LBB40_46:
	v_add_nc_u32_e32 v2, s8, v22
	v_mov_b32_e32 v3, 0
	v_add_nc_u32_e32 v22, 0x100, v22
	v_lshlrev_b64 v[2:3], 3, v[2:3]
	v_add_co_u32 v2, vcc_lo, v0, v2
	v_add_co_ci_u32_e64 v3, null, v1, v3, vcc_lo
	flat_store_dwordx2 v[2:3], v[14:15]
	s_or_b32 exec_lo, exec_lo, s4
	s_mov_b32 s4, exec_lo
	v_cmpx_lt_i32_e64 v22, v4
	s_cbranch_execz .LBB40_36
.LBB40_47:
	v_add_nc_u32_e32 v2, s8, v22
	v_mov_b32_e32 v3, 0
	v_add_nc_u32_e32 v22, 0x100, v22
	v_lshlrev_b64 v[2:3], 3, v[2:3]
	v_add_co_u32 v2, vcc_lo, v0, v2
	v_add_co_ci_u32_e64 v3, null, v1, v3, vcc_lo
	flat_store_dwordx2 v[2:3], v[12:13]
	s_or_b32 exec_lo, exec_lo, s4
	s_mov_b32 s4, exec_lo
	v_cmpx_lt_i32_e64 v22, v4
	s_cbranch_execz .LBB40_37
.LBB40_48:
	v_add_nc_u32_e32 v2, s8, v22
	v_mov_b32_e32 v3, 0
	v_lshlrev_b64 v[2:3], 3, v[2:3]
	v_add_co_u32 v0, vcc_lo, v0, v2
	v_add_co_ci_u32_e64 v1, null, v1, v3, vcc_lo
	flat_store_dwordx2 v[0:1], v[10:11]
	s_or_b32 exec_lo, exec_lo, s4
	s_waitcnt lgkmcnt(0)
	s_setpc_b64 s[30:31]
.Lfunc_end40:
	.size	_ZN2at6native25elementwise_kernel_helperILb0EZZZNS0_20trigamma_kernel_cudaERNS_18TensorIteratorBaseEENKUlvE_clEvENKUlvE_clEvEUldE_NS0_6memory8policies11unroll_baseILi256ESt5arrayIPcLm2EE23TrivialOffsetCalculatorILi1EjESE_NS7_15LoadWithoutCastENS7_16StoreWithoutCastELi4ELi1EEEEEvT0_T1_, .Lfunc_end40-_ZN2at6native25elementwise_kernel_helperILb0EZZZNS0_20trigamma_kernel_cudaERNS_18TensorIteratorBaseEENKUlvE_clEvENKUlvE_clEvEUldE_NS0_6memory8policies11unroll_baseILi256ESt5arrayIPcLm2EE23TrivialOffsetCalculatorILi1EjESE_NS7_15LoadWithoutCastENS7_16StoreWithoutCastELi4ELi1EEEEEvT0_T1_
                                        ; -- End function
	.set .L_ZN2at6native25elementwise_kernel_helperILb0EZZZNS0_20trigamma_kernel_cudaERNS_18TensorIteratorBaseEENKUlvE_clEvENKUlvE_clEvEUldE_NS0_6memory8policies11unroll_baseILi256ESt5arrayIPcLm2EE23TrivialOffsetCalculatorILi1EjESE_NS7_15LoadWithoutCastENS7_16StoreWithoutCastELi4ELi1EEEEEvT0_T1_.num_vgpr, 68
	.set .L_ZN2at6native25elementwise_kernel_helperILb0EZZZNS0_20trigamma_kernel_cudaERNS_18TensorIteratorBaseEENKUlvE_clEvENKUlvE_clEvEUldE_NS0_6memory8policies11unroll_baseILi256ESt5arrayIPcLm2EE23TrivialOffsetCalculatorILi1EjESE_NS7_15LoadWithoutCastENS7_16StoreWithoutCastELi4ELi1EEEEEvT0_T1_.num_agpr, 0
	.set .L_ZN2at6native25elementwise_kernel_helperILb0EZZZNS0_20trigamma_kernel_cudaERNS_18TensorIteratorBaseEENKUlvE_clEvENKUlvE_clEvEUldE_NS0_6memory8policies11unroll_baseILi256ESt5arrayIPcLm2EE23TrivialOffsetCalculatorILi1EjESE_NS7_15LoadWithoutCastENS7_16StoreWithoutCastELi4ELi1EEEEEvT0_T1_.numbered_sgpr, 32
	.set .L_ZN2at6native25elementwise_kernel_helperILb0EZZZNS0_20trigamma_kernel_cudaERNS_18TensorIteratorBaseEENKUlvE_clEvENKUlvE_clEvEUldE_NS0_6memory8policies11unroll_baseILi256ESt5arrayIPcLm2EE23TrivialOffsetCalculatorILi1EjESE_NS7_15LoadWithoutCastENS7_16StoreWithoutCastELi4ELi1EEEEEvT0_T1_.num_named_barrier, 0
	.set .L_ZN2at6native25elementwise_kernel_helperILb0EZZZNS0_20trigamma_kernel_cudaERNS_18TensorIteratorBaseEENKUlvE_clEvENKUlvE_clEvEUldE_NS0_6memory8policies11unroll_baseILi256ESt5arrayIPcLm2EE23TrivialOffsetCalculatorILi1EjESE_NS7_15LoadWithoutCastENS7_16StoreWithoutCastELi4ELi1EEEEEvT0_T1_.private_seg_size, 0
	.set .L_ZN2at6native25elementwise_kernel_helperILb0EZZZNS0_20trigamma_kernel_cudaERNS_18TensorIteratorBaseEENKUlvE_clEvENKUlvE_clEvEUldE_NS0_6memory8policies11unroll_baseILi256ESt5arrayIPcLm2EE23TrivialOffsetCalculatorILi1EjESE_NS7_15LoadWithoutCastENS7_16StoreWithoutCastELi4ELi1EEEEEvT0_T1_.uses_vcc, 1
	.set .L_ZN2at6native25elementwise_kernel_helperILb0EZZZNS0_20trigamma_kernel_cudaERNS_18TensorIteratorBaseEENKUlvE_clEvENKUlvE_clEvEUldE_NS0_6memory8policies11unroll_baseILi256ESt5arrayIPcLm2EE23TrivialOffsetCalculatorILi1EjESE_NS7_15LoadWithoutCastENS7_16StoreWithoutCastELi4ELi1EEEEEvT0_T1_.uses_flat_scratch, 0
	.set .L_ZN2at6native25elementwise_kernel_helperILb0EZZZNS0_20trigamma_kernel_cudaERNS_18TensorIteratorBaseEENKUlvE_clEvENKUlvE_clEvEUldE_NS0_6memory8policies11unroll_baseILi256ESt5arrayIPcLm2EE23TrivialOffsetCalculatorILi1EjESE_NS7_15LoadWithoutCastENS7_16StoreWithoutCastELi4ELi1EEEEEvT0_T1_.has_dyn_sized_stack, 0
	.set .L_ZN2at6native25elementwise_kernel_helperILb0EZZZNS0_20trigamma_kernel_cudaERNS_18TensorIteratorBaseEENKUlvE_clEvENKUlvE_clEvEUldE_NS0_6memory8policies11unroll_baseILi256ESt5arrayIPcLm2EE23TrivialOffsetCalculatorILi1EjESE_NS7_15LoadWithoutCastENS7_16StoreWithoutCastELi4ELi1EEEEEvT0_T1_.has_recursion, 0
	.set .L_ZN2at6native25elementwise_kernel_helperILb0EZZZNS0_20trigamma_kernel_cudaERNS_18TensorIteratorBaseEENKUlvE_clEvENKUlvE_clEvEUldE_NS0_6memory8policies11unroll_baseILi256ESt5arrayIPcLm2EE23TrivialOffsetCalculatorILi1EjESE_NS7_15LoadWithoutCastENS7_16StoreWithoutCastELi4ELi1EEEEEvT0_T1_.has_indirect_call, 0
	.section	.AMDGPU.csdata,"",@progbits
; Function info:
; codeLenInByte = 10764
; TotalNumSgprs: 34
; NumVgprs: 68
; ScratchSize: 0
; MemoryBound: 0
	.text
	.p2align	2                               ; -- Begin function _ZN2at6native25elementwise_kernel_helperILb0EZZZNS0_20trigamma_kernel_cudaERNS_18TensorIteratorBaseEENKUlvE_clEvENKUlvE_clEvEUldE_NS0_6memory8policies10vectorizedILi4ESt5arrayIPcLm2EELi4EEEEEvT0_T1_
	.type	_ZN2at6native25elementwise_kernel_helperILb0EZZZNS0_20trigamma_kernel_cudaERNS_18TensorIteratorBaseEENKUlvE_clEvENKUlvE_clEvEUldE_NS0_6memory8policies10vectorizedILi4ESt5arrayIPcLm2EELi4EEEEEvT0_T1_,@function
_ZN2at6native25elementwise_kernel_helperILb0EZZZNS0_20trigamma_kernel_cudaERNS_18TensorIteratorBaseEENKUlvE_clEvENKUlvE_clEvEUldE_NS0_6memory8policies10vectorizedILi4ESt5arrayIPcLm2EELi4EEEEEvT0_T1_: ; @_ZN2at6native25elementwise_kernel_helperILb0EZZZNS0_20trigamma_kernel_cudaERNS_18TensorIteratorBaseEENKUlvE_clEvENKUlvE_clEvEUldE_NS0_6memory8policies10vectorizedILi4ESt5arrayIPcLm2EELi4EEEEEvT0_T1_
; %bb.0:
	s_waitcnt vmcnt(0) expcnt(0) lgkmcnt(0)
	s_lshl_b32 s4, s12, 10
	v_and_b32_e32 v4, 0x3ff, v31
	s_ashr_i32 s5, s4, 31
	v_mov_b32_e32 v12, 0
	s_lshl_b64 s[6:7], s[4:5], 3
	v_mov_b32_e32 v10, 0
	v_lshlrev_b32_e32 v28, 5, v4
	v_add_co_u32 v2, vcc_lo, v2, s6
	v_add_co_ci_u32_e64 v3, null, s7, v3, vcc_lo
	v_mov_b32_e32 v13, 0
	v_add_co_u32 v2, vcc_lo, v2, v28
	v_add_co_ci_u32_e64 v3, null, 0, v3, vcc_lo
	v_mov_b32_e32 v11, 0x3ff00000
	s_mov_b32 s8, exec_lo
	s_clause 0x1
	flat_load_dwordx4 v[6:9], v[2:3]
	flat_load_dwordx4 v[2:5], v[2:3] offset:16
	s_waitcnt vmcnt(1) lgkmcnt(1)
	v_cmpx_gt_f64_e32 0.5, v[6:7]
	s_cbranch_execz .LBB41_6
; %bb.1:
	s_mov_b32 s5, 0x400921fb
	s_mov_b32 s4, 0x54442d18
	s_mov_b32 s9, exec_lo
	v_mul_f64 v[10:11], v[6:7], s[4:5]
                                        ; implicit-def: $vgpr16
                                        ; implicit-def: $vgpr12_vgpr13
                                        ; implicit-def: $vgpr14_vgpr15
	v_cmpx_ngt_f64_e64 0x41d00000, |v[10:11]|
	s_xor_b32 s9, exec_lo, s9
	s_cbranch_execz .LBB41_3
; %bb.2:
	v_ldexp_f64 v[12:13], |v[10:11]|, 0xffffff80
	v_cmp_le_f64_e64 vcc_lo, 0x7b000000, |v[10:11]|
	v_trig_preop_f64 v[14:15], |v[10:11]|, 0
	v_and_b32_e32 v16, 0x7fffffff, v11
	v_trig_preop_f64 v[26:27], |v[10:11]|, 2
	v_mov_b32_e32 v35, 0
	s_mov_b32 s5, 0x3ff921fb
	s_mov_b32 s10, 0x33145c07
	s_mov_b32 s11, 0x3c91a626
	v_cndmask_b32_e32 v13, v16, v13, vcc_lo
	v_cndmask_b32_e32 v12, v10, v12, vcc_lo
	v_trig_preop_f64 v[16:17], |v[10:11]|, 1
	v_mul_f64 v[18:19], v[14:15], v[12:13]
	v_mul_f64 v[33:34], v[26:27], v[12:13]
	;; [unrolled: 1-line block ×3, first 2 shown]
	v_fma_f64 v[14:15], v[14:15], v[12:13], -v[18:19]
	v_fma_f64 v[16:17], v[16:17], v[12:13], -v[20:21]
	;; [unrolled: 1-line block ×3, first 2 shown]
	v_add_f64 v[22:23], v[20:21], v[14:15]
	v_add_f64 v[24:25], v[22:23], -v[20:21]
	v_add_f64 v[31:32], v[18:19], v[22:23]
	v_add_f64 v[29:30], v[22:23], -v[24:25]
	v_add_f64 v[14:15], v[14:15], -v[24:25]
	v_ldexp_f64 v[24:25], v[31:32], -2
	v_add_f64 v[18:19], v[31:32], -v[18:19]
	v_add_f64 v[20:21], v[20:21], -v[29:30]
	v_add_f64 v[29:30], v[33:34], v[16:17]
	v_cmp_neq_f64_e64 vcc_lo, 0x7ff00000, |v[24:25]|
	v_add_f64 v[18:19], v[22:23], -v[18:19]
	v_add_f64 v[14:15], v[14:15], v[20:21]
	v_fract_f64_e32 v[20:21], v[24:25]
	v_add_f64 v[22:23], v[29:30], v[14:15]
	v_ldexp_f64 v[20:21], v[20:21], 2
	v_add_f64 v[24:25], v[18:19], v[22:23]
	v_cndmask_b32_e32 v21, 0, v21, vcc_lo
	v_cndmask_b32_e32 v20, 0, v20, vcc_lo
	v_add_f64 v[31:32], v[24:25], v[20:21]
	v_add_f64 v[18:19], v[24:25], -v[18:19]
	v_cmp_gt_f64_e32 vcc_lo, 0, v[31:32]
	v_add_f64 v[31:32], v[29:30], -v[33:34]
	v_cndmask_b32_e64 v36, 0, 0x40100000, vcc_lo
	v_add_f64 v[48:49], v[29:30], -v[31:32]
	v_add_f64 v[16:17], v[16:17], -v[31:32]
	v_add_f64 v[20:21], v[20:21], v[35:36]
	v_add_f64 v[36:37], v[22:23], -v[29:30]
	v_add_f64 v[31:32], v[33:34], -v[48:49]
	v_add_f64 v[38:39], v[24:25], v[20:21]
	;; [unrolled: 3-line block ×3, first 2 shown]
	v_cvt_i32_f64_e32 v38, v[38:39]
	v_add_f64 v[29:30], v[29:30], -v[50:51]
	v_cvt_f64_i32_e32 v[36:37], v38
	v_add_f64 v[14:15], v[14:15], v[29:30]
	v_add_f64 v[20:21], v[20:21], -v[36:37]
	v_add_f64 v[14:15], v[16:17], v[14:15]
	v_add_f64 v[16:17], v[22:23], -v[18:19]
	v_add_f64 v[26:27], v[24:25], v[20:21]
	v_add_f64 v[12:13], v[12:13], v[14:15]
	v_add_f64 v[14:15], v[26:27], -v[20:21]
	v_cmp_le_f64_e32 vcc_lo, 0.5, v[26:27]
	v_add_f64 v[12:13], v[16:17], v[12:13]
	v_add_f64 v[14:15], v[24:25], -v[14:15]
	v_cndmask_b32_e64 v36, 0, 0x3ff00000, vcc_lo
	v_add_co_ci_u32_e64 v16, null, 0, v38, vcc_lo
	v_add_f64 v[12:13], v[12:13], v[14:15]
	v_add_f64 v[14:15], v[26:27], -v[35:36]
	v_add_f64 v[17:18], v[14:15], v[12:13]
	v_mul_f64 v[19:20], v[17:18], s[4:5]
	v_add_f64 v[14:15], v[17:18], -v[14:15]
	v_fma_f64 v[21:22], v[17:18], s[4:5], -v[19:20]
	v_add_f64 v[12:13], v[12:13], -v[14:15]
	v_fma_f64 v[14:15], v[17:18], s[10:11], v[21:22]
	v_fma_f64 v[14:15], v[12:13], s[4:5], v[14:15]
	v_add_f64 v[12:13], v[19:20], v[14:15]
	v_add_f64 v[17:18], v[12:13], -v[19:20]
	v_add_f64 v[14:15], v[14:15], -v[17:18]
.LBB41_3:
	s_andn2_saveexec_b32 s4, s9
	s_cbranch_execz .LBB41_5
; %bb.4:
	s_mov_b32 s10, 0x6dc9c883
	s_mov_b32 s11, 0x3fe45f30
	;; [unrolled: 1-line block ×3, first 2 shown]
	v_mul_f64 v[12:13], |v[10:11]|, s[10:11]
	s_mov_b32 s10, 0x54442d18
	s_mov_b32 s11, 0xbff921fb
	;; [unrolled: 1-line block ×3, first 2 shown]
	v_rndne_f64_e32 v[16:17], v[12:13]
	v_fma_f64 v[12:13], v[16:17], s[10:11], |v[10:11]|
	v_mul_f64 v[14:15], v[16:17], s[12:13]
	s_mov_b32 s10, 0x252049c0
	s_mov_b32 s11, 0xb97b839a
	v_fma_f64 v[20:21], v[16:17], s[12:13], v[12:13]
	v_add_f64 v[18:19], v[12:13], v[14:15]
	s_mov_b32 s13, 0x3c91a626
	v_add_f64 v[12:13], v[12:13], -v[18:19]
	v_add_f64 v[18:19], v[18:19], -v[20:21]
	v_add_f64 v[12:13], v[12:13], v[14:15]
	v_fma_f64 v[14:15], v[16:17], s[12:13], v[14:15]
	v_add_f64 v[12:13], v[18:19], v[12:13]
	v_add_f64 v[12:13], v[12:13], -v[14:15]
	v_fma_f64 v[14:15], v[16:17], s[10:11], v[12:13]
	v_cvt_i32_f64_e32 v16, v[16:17]
	v_add_f64 v[12:13], v[20:21], v[14:15]
	v_add_f64 v[18:19], v[12:13], -v[20:21]
	v_add_f64 v[14:15], v[14:15], -v[18:19]
.LBB41_5:
	s_or_b32 exec_lo, exec_lo, s4
	v_mul_f64 v[17:18], v[12:13], v[12:13]
	s_mov_b32 s4, 0xb42fdfa7
	s_mov_b32 s10, 0xf9a43bb8
	;; [unrolled: 1-line block ×6, first 2 shown]
	v_mul_f64 v[29:30], v[14:15], 0.5
	v_add_f64 v[6:7], -v[6:7], 1.0
	v_fma_f64 v[19:20], v[17:18], s[10:11], s[4:5]
	s_mov_b32 s4, 0x9037ab78
	s_mov_b32 s10, 0x46cc5e42
	;; [unrolled: 1-line block ×4, first 2 shown]
	v_mul_f64 v[23:24], v[17:18], 0.5
	v_fma_f64 v[21:22], v[17:18], s[10:11], s[4:5]
	s_mov_b32 s4, 0xa17f65f6
	s_mov_b32 s10, 0x19e83e5c
	;; [unrolled: 1-line block ×4, first 2 shown]
	v_mul_f64 v[31:32], v[12:13], -v[17:18]
	v_fma_f64 v[19:20], v[17:18], v[19:20], s[12:13]
	v_add_f64 v[25:26], -v[23:24], 1.0
	v_fma_f64 v[21:22], v[17:18], v[21:22], s[4:5]
	s_mov_b32 s4, 0x19f4ec90
	s_mov_b32 s5, 0x3efa01a0
	v_fma_f64 v[19:20], v[17:18], v[19:20], s[10:11]
	s_mov_b32 s10, 0x11110bb3
	s_mov_b32 s11, 0x3f811111
	v_add_f64 v[33:34], -v[25:26], 1.0
	v_fma_f64 v[21:22], v[17:18], v[21:22], s[4:5]
	s_mov_b32 s4, 0x16c16967
	s_mov_b32 s5, 0xbf56c16c
	v_fma_f64 v[19:20], v[17:18], v[19:20], s[10:11]
	v_add_f64 v[23:24], v[33:34], -v[23:24]
	v_fma_f64 v[21:22], v[17:18], v[21:22], s[4:5]
	s_mov_b32 s5, 0x3fa55555
	s_mov_b32 s4, 0x55555555
	v_fma_f64 v[19:20], v[31:32], v[19:20], v[29:30]
	v_mul_f64 v[29:30], v[17:18], v[17:18]
	v_fma_f64 v[23:24], v[12:13], -v[14:15], v[23:24]
	v_fma_f64 v[21:22], v[17:18], v[21:22], s[4:5]
	s_mov_b32 s5, 0xbfc55555
	v_fma_f64 v[14:15], v[17:18], v[19:20], -v[14:15]
	v_fma_f64 v[17:18], v[29:30], v[21:22], v[23:24]
	v_fma_f64 v[14:15], v[31:32], s[4:5], v[14:15]
	v_cmp_class_f64_e64 s4, v[10:11], 0x1f8
	v_lshlrev_b32_e32 v10, 30, v16
	v_add_f64 v[17:18], v[25:26], v[17:18]
	v_xor_b32_e32 v10, v10, v11
	v_and_b32_e32 v10, 0x80000000, v10
	v_add_f64 v[12:13], v[12:13], -v[14:15]
	v_and_b32_e32 v14, 1, v16
	v_cmp_eq_u32_e32 vcc_lo, 0, v14
	v_cndmask_b32_e32 v11, v18, v13, vcc_lo
	v_cndmask_b32_e32 v12, v17, v12, vcc_lo
	v_xor_b32_e32 v11, v11, v10
	v_cndmask_b32_e64 v10, 0, v12, s4
	v_cndmask_b32_e64 v11, 0x7ff80000, v11, s4
	s_mov_b32 s4, 0xc9be45de
	s_mov_b32 s5, 0xc023bd3c
	v_mul_f64 v[10:11], v[10:11], v[10:11]
	v_div_scale_f64 v[12:13], null, v[10:11], v[10:11], s[4:5]
	v_div_scale_f64 v[18:19], vcc_lo, s[4:5], v[10:11], s[4:5]
	v_rcp_f64_e32 v[14:15], v[12:13]
	v_fma_f64 v[16:17], -v[12:13], v[14:15], 1.0
	v_fma_f64 v[14:15], v[14:15], v[16:17], v[14:15]
	v_fma_f64 v[16:17], -v[12:13], v[14:15], 1.0
	v_fma_f64 v[14:15], v[14:15], v[16:17], v[14:15]
	v_mul_f64 v[16:17], v[18:19], v[14:15]
	v_fma_f64 v[12:13], -v[12:13], v[16:17], v[18:19]
	v_div_fmas_f64 v[12:13], v[12:13], v[14:15], v[16:17]
	v_div_fixup_f64 v[10:11], v[12:13], v[10:11], s[4:5]
	v_add_f64 v[12:13], v[10:11], 0
	v_mov_b32_e32 v10, 0
	v_mov_b32_e32 v11, 0xbff00000
.LBB41_6:
	s_or_b32 exec_lo, exec_lo, s8
	v_mov_b32_e32 v16, 0
	v_mov_b32_e32 v14, 0
	v_mov_b32_e32 v17, 0
	v_mov_b32_e32 v15, 0x3ff00000
	s_mov_b32 s8, exec_lo
	v_cmpx_gt_f64_e32 0.5, v[8:9]
	s_cbranch_execz .LBB41_12
; %bb.7:
	s_mov_b32 s5, 0x400921fb
	s_mov_b32 s4, 0x54442d18
	s_mov_b32 s9, exec_lo
	v_mul_f64 v[14:15], v[8:9], s[4:5]
                                        ; implicit-def: $vgpr20
                                        ; implicit-def: $vgpr16_vgpr17
                                        ; implicit-def: $vgpr18_vgpr19
	v_cmpx_ngt_f64_e64 0x41d00000, |v[14:15]|
	s_xor_b32 s9, exec_lo, s9
	s_cbranch_execz .LBB41_9
; %bb.8:
	v_ldexp_f64 v[16:17], |v[14:15]|, 0xffffff80
	v_cmp_le_f64_e64 vcc_lo, 0x7b000000, |v[14:15]|
	v_trig_preop_f64 v[18:19], |v[14:15]|, 0
	v_and_b32_e32 v20, 0x7fffffff, v15
	v_trig_preop_f64 v[31:32], |v[14:15]|, 2
	v_mov_b32_e32 v48, 0
	s_mov_b32 s5, 0x3ff921fb
	s_mov_b32 s10, 0x33145c07
	;; [unrolled: 1-line block ×3, first 2 shown]
	v_cndmask_b32_e32 v17, v20, v17, vcc_lo
	v_cndmask_b32_e32 v16, v14, v16, vcc_lo
	v_trig_preop_f64 v[20:21], |v[14:15]|, 1
	v_mul_f64 v[22:23], v[18:19], v[16:17]
	v_mul_f64 v[37:38], v[31:32], v[16:17]
	;; [unrolled: 1-line block ×3, first 2 shown]
	v_fma_f64 v[18:19], v[18:19], v[16:17], -v[22:23]
	v_fma_f64 v[20:21], v[20:21], v[16:17], -v[24:25]
	;; [unrolled: 1-line block ×3, first 2 shown]
	v_add_f64 v[26:27], v[24:25], v[18:19]
	v_add_f64 v[29:30], v[26:27], -v[24:25]
	v_add_f64 v[35:36], v[22:23], v[26:27]
	v_add_f64 v[33:34], v[26:27], -v[29:30]
	v_add_f64 v[18:19], v[18:19], -v[29:30]
	v_ldexp_f64 v[29:30], v[35:36], -2
	v_add_f64 v[22:23], v[35:36], -v[22:23]
	v_add_f64 v[24:25], v[24:25], -v[33:34]
	v_add_f64 v[33:34], v[37:38], v[20:21]
	v_cmp_neq_f64_e64 vcc_lo, 0x7ff00000, |v[29:30]|
	v_add_f64 v[22:23], v[26:27], -v[22:23]
	v_add_f64 v[18:19], v[18:19], v[24:25]
	v_fract_f64_e32 v[24:25], v[29:30]
	v_add_f64 v[26:27], v[33:34], v[18:19]
	v_ldexp_f64 v[24:25], v[24:25], 2
	v_add_f64 v[29:30], v[22:23], v[26:27]
	v_cndmask_b32_e32 v25, 0, v25, vcc_lo
	v_cndmask_b32_e32 v24, 0, v24, vcc_lo
	v_add_f64 v[35:36], v[29:30], v[24:25]
	v_add_f64 v[22:23], v[29:30], -v[22:23]
	v_cmp_gt_f64_e32 vcc_lo, 0, v[35:36]
	v_add_f64 v[35:36], v[33:34], -v[37:38]
	v_cndmask_b32_e64 v49, 0, 0x40100000, vcc_lo
	v_add_f64 v[53:54], v[33:34], -v[35:36]
	v_add_f64 v[20:21], v[20:21], -v[35:36]
	v_add_f64 v[24:25], v[24:25], v[48:49]
	v_add_f64 v[49:50], v[26:27], -v[33:34]
	v_add_f64 v[35:36], v[37:38], -v[53:54]
	v_add_f64 v[51:52], v[29:30], v[24:25]
	;; [unrolled: 3-line block ×3, first 2 shown]
	v_cvt_i32_f64_e32 v39, v[51:52]
	v_add_f64 v[33:34], v[33:34], -v[64:65]
	v_cvt_f64_i32_e32 v[49:50], v39
	v_add_f64 v[18:19], v[18:19], v[33:34]
	v_add_f64 v[24:25], v[24:25], -v[49:50]
	v_add_f64 v[18:19], v[20:21], v[18:19]
	v_add_f64 v[20:21], v[26:27], -v[22:23]
	v_add_f64 v[31:32], v[29:30], v[24:25]
	v_add_f64 v[16:17], v[16:17], v[18:19]
	v_add_f64 v[18:19], v[31:32], -v[24:25]
	v_cmp_le_f64_e32 vcc_lo, 0.5, v[31:32]
	v_add_f64 v[16:17], v[20:21], v[16:17]
	v_add_f64 v[18:19], v[29:30], -v[18:19]
	v_cndmask_b32_e64 v49, 0, 0x3ff00000, vcc_lo
	v_add_co_ci_u32_e64 v20, null, 0, v39, vcc_lo
	v_add_f64 v[16:17], v[16:17], v[18:19]
	v_add_f64 v[18:19], v[31:32], -v[48:49]
	v_add_f64 v[21:22], v[18:19], v[16:17]
	v_mul_f64 v[23:24], v[21:22], s[4:5]
	v_add_f64 v[18:19], v[21:22], -v[18:19]
	v_fma_f64 v[25:26], v[21:22], s[4:5], -v[23:24]
	v_add_f64 v[16:17], v[16:17], -v[18:19]
	v_fma_f64 v[18:19], v[21:22], s[10:11], v[25:26]
	v_fma_f64 v[18:19], v[16:17], s[4:5], v[18:19]
	v_add_f64 v[16:17], v[23:24], v[18:19]
	v_add_f64 v[21:22], v[16:17], -v[23:24]
	v_add_f64 v[18:19], v[18:19], -v[21:22]
.LBB41_9:
	s_andn2_saveexec_b32 s4, s9
	s_cbranch_execz .LBB41_11
; %bb.10:
	s_mov_b32 s10, 0x6dc9c883
	s_mov_b32 s11, 0x3fe45f30
	;; [unrolled: 1-line block ×3, first 2 shown]
	v_mul_f64 v[16:17], |v[14:15]|, s[10:11]
	s_mov_b32 s10, 0x54442d18
	s_mov_b32 s11, 0xbff921fb
	;; [unrolled: 1-line block ×3, first 2 shown]
	v_rndne_f64_e32 v[20:21], v[16:17]
	v_fma_f64 v[16:17], v[20:21], s[10:11], |v[14:15]|
	v_mul_f64 v[18:19], v[20:21], s[12:13]
	s_mov_b32 s10, 0x252049c0
	s_mov_b32 s11, 0xb97b839a
	v_fma_f64 v[24:25], v[20:21], s[12:13], v[16:17]
	v_add_f64 v[22:23], v[16:17], v[18:19]
	s_mov_b32 s13, 0x3c91a626
	v_add_f64 v[16:17], v[16:17], -v[22:23]
	v_add_f64 v[22:23], v[22:23], -v[24:25]
	v_add_f64 v[16:17], v[16:17], v[18:19]
	v_fma_f64 v[18:19], v[20:21], s[12:13], v[18:19]
	v_add_f64 v[16:17], v[22:23], v[16:17]
	v_add_f64 v[16:17], v[16:17], -v[18:19]
	v_fma_f64 v[18:19], v[20:21], s[10:11], v[16:17]
	v_cvt_i32_f64_e32 v20, v[20:21]
	v_add_f64 v[16:17], v[24:25], v[18:19]
	v_add_f64 v[22:23], v[16:17], -v[24:25]
	v_add_f64 v[18:19], v[18:19], -v[22:23]
.LBB41_11:
	s_or_b32 exec_lo, exec_lo, s4
	v_mul_f64 v[21:22], v[16:17], v[16:17]
	s_mov_b32 s4, 0xb42fdfa7
	s_mov_b32 s10, 0xf9a43bb8
	s_mov_b32 s5, 0xbe5ae600
	s_mov_b32 s11, 0x3de5e0b2
	s_mov_b32 s12, 0x796cde01
	s_mov_b32 s13, 0x3ec71de3
	v_mul_f64 v[33:34], v[18:19], 0.5
	v_add_f64 v[8:9], -v[8:9], 1.0
	v_fma_f64 v[23:24], v[21:22], s[10:11], s[4:5]
	s_mov_b32 s4, 0x9037ab78
	s_mov_b32 s10, 0x46cc5e42
	;; [unrolled: 1-line block ×4, first 2 shown]
	v_mul_f64 v[29:30], v[21:22], 0.5
	v_fma_f64 v[25:26], v[21:22], s[10:11], s[4:5]
	s_mov_b32 s4, 0xa17f65f6
	s_mov_b32 s10, 0x19e83e5c
	;; [unrolled: 1-line block ×4, first 2 shown]
	v_mul_f64 v[35:36], v[16:17], -v[21:22]
	v_fma_f64 v[23:24], v[21:22], v[23:24], s[12:13]
	v_add_f64 v[31:32], -v[29:30], 1.0
	v_fma_f64 v[25:26], v[21:22], v[25:26], s[4:5]
	s_mov_b32 s4, 0x19f4ec90
	s_mov_b32 s5, 0x3efa01a0
	v_fma_f64 v[23:24], v[21:22], v[23:24], s[10:11]
	s_mov_b32 s10, 0x11110bb3
	s_mov_b32 s11, 0x3f811111
	v_add_f64 v[37:38], -v[31:32], 1.0
	v_fma_f64 v[25:26], v[21:22], v[25:26], s[4:5]
	s_mov_b32 s4, 0x16c16967
	s_mov_b32 s5, 0xbf56c16c
	v_fma_f64 v[23:24], v[21:22], v[23:24], s[10:11]
	v_add_f64 v[29:30], v[37:38], -v[29:30]
	v_fma_f64 v[25:26], v[21:22], v[25:26], s[4:5]
	s_mov_b32 s5, 0x3fa55555
	s_mov_b32 s4, 0x55555555
	v_fma_f64 v[23:24], v[35:36], v[23:24], v[33:34]
	v_mul_f64 v[33:34], v[21:22], v[21:22]
	v_fma_f64 v[29:30], v[16:17], -v[18:19], v[29:30]
	v_fma_f64 v[25:26], v[21:22], v[25:26], s[4:5]
	s_mov_b32 s5, 0xbfc55555
	v_fma_f64 v[18:19], v[21:22], v[23:24], -v[18:19]
	v_fma_f64 v[21:22], v[33:34], v[25:26], v[29:30]
	v_fma_f64 v[18:19], v[35:36], s[4:5], v[18:19]
	v_cmp_class_f64_e64 s4, v[14:15], 0x1f8
	v_lshlrev_b32_e32 v14, 30, v20
	v_add_f64 v[21:22], v[31:32], v[21:22]
	v_xor_b32_e32 v14, v14, v15
	v_and_b32_e32 v14, 0x80000000, v14
	v_add_f64 v[16:17], v[16:17], -v[18:19]
	v_and_b32_e32 v18, 1, v20
	v_cmp_eq_u32_e32 vcc_lo, 0, v18
	v_cndmask_b32_e32 v15, v22, v17, vcc_lo
	v_cndmask_b32_e32 v16, v21, v16, vcc_lo
	v_xor_b32_e32 v15, v15, v14
	v_cndmask_b32_e64 v14, 0, v16, s4
	v_cndmask_b32_e64 v15, 0x7ff80000, v15, s4
	s_mov_b32 s4, 0xc9be45de
	s_mov_b32 s5, 0xc023bd3c
	v_mul_f64 v[14:15], v[14:15], v[14:15]
	v_div_scale_f64 v[16:17], null, v[14:15], v[14:15], s[4:5]
	v_div_scale_f64 v[22:23], vcc_lo, s[4:5], v[14:15], s[4:5]
	v_rcp_f64_e32 v[18:19], v[16:17]
	v_fma_f64 v[20:21], -v[16:17], v[18:19], 1.0
	v_fma_f64 v[18:19], v[18:19], v[20:21], v[18:19]
	v_fma_f64 v[20:21], -v[16:17], v[18:19], 1.0
	v_fma_f64 v[18:19], v[18:19], v[20:21], v[18:19]
	v_mul_f64 v[20:21], v[22:23], v[18:19]
	v_fma_f64 v[16:17], -v[16:17], v[20:21], v[22:23]
	v_div_fmas_f64 v[16:17], v[16:17], v[18:19], v[20:21]
	v_div_fixup_f64 v[14:15], v[16:17], v[14:15], s[4:5]
	v_add_f64 v[16:17], v[14:15], 0
	v_mov_b32_e32 v14, 0
	v_mov_b32_e32 v15, 0xbff00000
.LBB41_12:
	s_or_b32 exec_lo, exec_lo, s8
	v_mov_b32_e32 v24, 0
	v_mov_b32_e32 v20, 0
	v_mov_b32_e32 v25, 0
	v_mov_b32_e32 v21, 0x3ff00000
	s_mov_b32 s8, exec_lo
	s_waitcnt vmcnt(0) lgkmcnt(0)
	v_cmpx_gt_f64_e32 0.5, v[2:3]
	s_cbranch_execz .LBB41_18
; %bb.13:
	s_mov_b32 s5, 0x400921fb
	s_mov_b32 s4, 0x54442d18
	s_mov_b32 s9, exec_lo
	v_mul_f64 v[18:19], v[2:3], s[4:5]
                                        ; implicit-def: $vgpr24
                                        ; implicit-def: $vgpr20_vgpr21
                                        ; implicit-def: $vgpr22_vgpr23
	v_cmpx_ngt_f64_e64 0x41d00000, |v[18:19]|
	s_xor_b32 s9, exec_lo, s9
	s_cbranch_execz .LBB41_15
; %bb.14:
	v_ldexp_f64 v[20:21], |v[18:19]|, 0xffffff80
	v_cmp_le_f64_e64 vcc_lo, 0x7b000000, |v[18:19]|
	v_trig_preop_f64 v[22:23], |v[18:19]|, 0
	v_and_b32_e32 v24, 0x7fffffff, v19
	v_trig_preop_f64 v[35:36], |v[18:19]|, 2
	v_mov_b32_e32 v52, 0
	s_mov_b32 s5, 0x3ff921fb
	s_mov_b32 s10, 0x33145c07
	;; [unrolled: 1-line block ×3, first 2 shown]
	v_cndmask_b32_e32 v21, v24, v21, vcc_lo
	v_cndmask_b32_e32 v20, v18, v20, vcc_lo
	v_trig_preop_f64 v[24:25], |v[18:19]|, 1
	v_mul_f64 v[26:27], v[22:23], v[20:21]
	v_mul_f64 v[50:51], v[35:36], v[20:21]
	;; [unrolled: 1-line block ×3, first 2 shown]
	v_fma_f64 v[22:23], v[22:23], v[20:21], -v[26:27]
	v_fma_f64 v[24:25], v[24:25], v[20:21], -v[29:30]
	;; [unrolled: 1-line block ×3, first 2 shown]
	v_add_f64 v[31:32], v[29:30], v[22:23]
	v_add_f64 v[33:34], v[31:32], -v[29:30]
	v_add_f64 v[48:49], v[26:27], v[31:32]
	v_add_f64 v[37:38], v[31:32], -v[33:34]
	v_add_f64 v[22:23], v[22:23], -v[33:34]
	v_ldexp_f64 v[33:34], v[48:49], -2
	v_add_f64 v[26:27], v[48:49], -v[26:27]
	v_add_f64 v[29:30], v[29:30], -v[37:38]
	v_add_f64 v[37:38], v[50:51], v[24:25]
	v_cmp_neq_f64_e64 vcc_lo, 0x7ff00000, |v[33:34]|
	v_add_f64 v[26:27], v[31:32], -v[26:27]
	v_add_f64 v[22:23], v[22:23], v[29:30]
	v_fract_f64_e32 v[29:30], v[33:34]
	v_add_f64 v[31:32], v[37:38], v[22:23]
	v_ldexp_f64 v[29:30], v[29:30], 2
	v_add_f64 v[33:34], v[26:27], v[31:32]
	v_cndmask_b32_e32 v30, 0, v30, vcc_lo
	v_cndmask_b32_e32 v29, 0, v29, vcc_lo
	v_add_f64 v[48:49], v[33:34], v[29:30]
	v_add_f64 v[26:27], v[33:34], -v[26:27]
	v_cmp_gt_f64_e32 vcc_lo, 0, v[48:49]
	v_add_f64 v[48:49], v[37:38], -v[50:51]
	v_cndmask_b32_e64 v53, 0, 0x40100000, vcc_lo
	v_add_f64 v[66:67], v[37:38], -v[48:49]
	v_add_f64 v[24:25], v[24:25], -v[48:49]
	v_add_f64 v[29:30], v[29:30], v[52:53]
	v_add_f64 v[53:54], v[31:32], -v[37:38]
	v_add_f64 v[48:49], v[50:51], -v[66:67]
	v_add_f64 v[64:65], v[33:34], v[29:30]
	;; [unrolled: 3-line block ×3, first 2 shown]
	v_cvt_i32_f64_e32 v39, v[64:65]
	v_add_f64 v[37:38], v[37:38], -v[68:69]
	v_cvt_f64_i32_e32 v[53:54], v39
	v_add_f64 v[22:23], v[22:23], v[37:38]
	v_add_f64 v[29:30], v[29:30], -v[53:54]
	v_add_f64 v[22:23], v[24:25], v[22:23]
	v_add_f64 v[24:25], v[31:32], -v[26:27]
	v_add_f64 v[35:36], v[33:34], v[29:30]
	v_add_f64 v[20:21], v[20:21], v[22:23]
	v_add_f64 v[22:23], v[35:36], -v[29:30]
	v_cmp_le_f64_e32 vcc_lo, 0.5, v[35:36]
	v_add_f64 v[20:21], v[24:25], v[20:21]
	v_add_f64 v[22:23], v[33:34], -v[22:23]
	v_cndmask_b32_e64 v53, 0, 0x3ff00000, vcc_lo
	v_add_co_ci_u32_e64 v24, null, 0, v39, vcc_lo
	v_add_f64 v[20:21], v[20:21], v[22:23]
	v_add_f64 v[22:23], v[35:36], -v[52:53]
	v_add_f64 v[25:26], v[22:23], v[20:21]
	v_mul_f64 v[29:30], v[25:26], s[4:5]
	v_add_f64 v[22:23], v[25:26], -v[22:23]
	v_fma_f64 v[31:32], v[25:26], s[4:5], -v[29:30]
	v_add_f64 v[20:21], v[20:21], -v[22:23]
	v_fma_f64 v[22:23], v[25:26], s[10:11], v[31:32]
	v_fma_f64 v[22:23], v[20:21], s[4:5], v[22:23]
	v_add_f64 v[20:21], v[29:30], v[22:23]
	v_add_f64 v[25:26], v[20:21], -v[29:30]
	v_add_f64 v[22:23], v[22:23], -v[25:26]
.LBB41_15:
	s_andn2_saveexec_b32 s4, s9
	s_cbranch_execz .LBB41_17
; %bb.16:
	s_mov_b32 s10, 0x6dc9c883
	s_mov_b32 s11, 0x3fe45f30
	;; [unrolled: 1-line block ×3, first 2 shown]
	v_mul_f64 v[20:21], |v[18:19]|, s[10:11]
	s_mov_b32 s10, 0x54442d18
	s_mov_b32 s11, 0xbff921fb
	;; [unrolled: 1-line block ×3, first 2 shown]
	v_rndne_f64_e32 v[24:25], v[20:21]
	v_fma_f64 v[20:21], v[24:25], s[10:11], |v[18:19]|
	v_mul_f64 v[22:23], v[24:25], s[12:13]
	s_mov_b32 s10, 0x252049c0
	s_mov_b32 s11, 0xb97b839a
	v_fma_f64 v[29:30], v[24:25], s[12:13], v[20:21]
	v_add_f64 v[26:27], v[20:21], v[22:23]
	s_mov_b32 s13, 0x3c91a626
	v_add_f64 v[20:21], v[20:21], -v[26:27]
	v_add_f64 v[26:27], v[26:27], -v[29:30]
	v_add_f64 v[20:21], v[20:21], v[22:23]
	v_fma_f64 v[22:23], v[24:25], s[12:13], v[22:23]
	v_add_f64 v[20:21], v[26:27], v[20:21]
	v_add_f64 v[20:21], v[20:21], -v[22:23]
	v_fma_f64 v[22:23], v[24:25], s[10:11], v[20:21]
	v_cvt_i32_f64_e32 v24, v[24:25]
	v_add_f64 v[20:21], v[29:30], v[22:23]
	v_add_f64 v[26:27], v[20:21], -v[29:30]
	v_add_f64 v[22:23], v[22:23], -v[26:27]
.LBB41_17:
	s_or_b32 exec_lo, exec_lo, s4
	v_mul_f64 v[25:26], v[20:21], v[20:21]
	s_mov_b32 s4, 0xb42fdfa7
	s_mov_b32 s10, 0xf9a43bb8
	;; [unrolled: 1-line block ×6, first 2 shown]
	v_mul_f64 v[37:38], v[22:23], 0.5
	v_add_f64 v[2:3], -v[2:3], 1.0
	v_fma_f64 v[29:30], v[25:26], s[10:11], s[4:5]
	s_mov_b32 s4, 0x9037ab78
	s_mov_b32 s10, 0x46cc5e42
	s_mov_b32 s5, 0x3e21eeb6
	s_mov_b32 s11, 0xbda907db
	v_mul_f64 v[33:34], v[25:26], 0.5
	v_fma_f64 v[31:32], v[25:26], s[10:11], s[4:5]
	s_mov_b32 s4, 0xa17f65f6
	s_mov_b32 s10, 0x19e83e5c
	;; [unrolled: 1-line block ×4, first 2 shown]
	v_mul_f64 v[48:49], v[20:21], -v[25:26]
	v_fma_f64 v[29:30], v[25:26], v[29:30], s[12:13]
	v_add_f64 v[35:36], -v[33:34], 1.0
	v_fma_f64 v[31:32], v[25:26], v[31:32], s[4:5]
	s_mov_b32 s4, 0x19f4ec90
	s_mov_b32 s5, 0x3efa01a0
	v_fma_f64 v[29:30], v[25:26], v[29:30], s[10:11]
	s_mov_b32 s10, 0x11110bb3
	s_mov_b32 s11, 0x3f811111
	v_add_f64 v[50:51], -v[35:36], 1.0
	v_fma_f64 v[31:32], v[25:26], v[31:32], s[4:5]
	s_mov_b32 s4, 0x16c16967
	s_mov_b32 s5, 0xbf56c16c
	v_fma_f64 v[29:30], v[25:26], v[29:30], s[10:11]
	v_add_f64 v[33:34], v[50:51], -v[33:34]
	v_fma_f64 v[31:32], v[25:26], v[31:32], s[4:5]
	s_mov_b32 s5, 0x3fa55555
	s_mov_b32 s4, 0x55555555
	v_fma_f64 v[29:30], v[48:49], v[29:30], v[37:38]
	v_mul_f64 v[37:38], v[25:26], v[25:26]
	v_fma_f64 v[33:34], v[20:21], -v[22:23], v[33:34]
	v_fma_f64 v[31:32], v[25:26], v[31:32], s[4:5]
	s_mov_b32 s5, 0xbfc55555
	v_fma_f64 v[22:23], v[25:26], v[29:30], -v[22:23]
	v_fma_f64 v[25:26], v[37:38], v[31:32], v[33:34]
	v_fma_f64 v[22:23], v[48:49], s[4:5], v[22:23]
	v_cmp_class_f64_e64 s4, v[18:19], 0x1f8
	v_lshlrev_b32_e32 v18, 30, v24
	v_add_f64 v[25:26], v[35:36], v[25:26]
	v_xor_b32_e32 v18, v18, v19
	v_and_b32_e32 v18, 0x80000000, v18
	v_add_f64 v[20:21], v[20:21], -v[22:23]
	v_and_b32_e32 v22, 1, v24
	v_cmp_eq_u32_e32 vcc_lo, 0, v22
	v_cndmask_b32_e32 v19, v26, v21, vcc_lo
	v_cndmask_b32_e32 v20, v25, v20, vcc_lo
	v_xor_b32_e32 v19, v19, v18
	v_cndmask_b32_e64 v18, 0, v20, s4
	v_cndmask_b32_e64 v19, 0x7ff80000, v19, s4
	s_mov_b32 s4, 0xc9be45de
	s_mov_b32 s5, 0xc023bd3c
	v_mul_f64 v[18:19], v[18:19], v[18:19]
	v_div_scale_f64 v[20:21], null, v[18:19], v[18:19], s[4:5]
	v_div_scale_f64 v[26:27], vcc_lo, s[4:5], v[18:19], s[4:5]
	v_rcp_f64_e32 v[22:23], v[20:21]
	v_fma_f64 v[24:25], -v[20:21], v[22:23], 1.0
	v_fma_f64 v[22:23], v[22:23], v[24:25], v[22:23]
	v_fma_f64 v[24:25], -v[20:21], v[22:23], 1.0
	v_fma_f64 v[22:23], v[22:23], v[24:25], v[22:23]
	v_mul_f64 v[24:25], v[26:27], v[22:23]
	v_fma_f64 v[20:21], -v[20:21], v[24:25], v[26:27]
	v_div_fmas_f64 v[20:21], v[20:21], v[22:23], v[24:25]
	v_div_fixup_f64 v[18:19], v[20:21], v[18:19], s[4:5]
	v_mov_b32_e32 v20, 0
	v_mov_b32_e32 v21, 0xbff00000
	v_add_f64 v[24:25], v[18:19], 0
.LBB41_18:
	s_or_b32 exec_lo, exec_lo, s8
	v_mov_b32_e32 v22, 0
	v_mov_b32_e32 v18, 0
	v_mov_b32_e32 v23, 0
	v_mov_b32_e32 v19, 0x3ff00000
	s_mov_b32 s8, exec_lo
	v_cmpx_gt_f64_e32 0.5, v[4:5]
	s_cbranch_execz .LBB41_24
; %bb.19:
	s_mov_b32 s5, 0x400921fb
	s_mov_b32 s4, 0x54442d18
	s_mov_b32 s9, exec_lo
	v_mul_f64 v[18:19], v[4:5], s[4:5]
                                        ; implicit-def: $vgpr29
                                        ; implicit-def: $vgpr22_vgpr23
                                        ; implicit-def: $vgpr26_vgpr27
	v_cmpx_ngt_f64_e64 0x41d00000, |v[18:19]|
	s_xor_b32 s9, exec_lo, s9
	s_cbranch_execz .LBB41_21
; %bb.20:
	v_ldexp_f64 v[22:23], |v[18:19]|, 0xffffff80
	v_cmp_le_f64_e64 vcc_lo, 0x7b000000, |v[18:19]|
	v_trig_preop_f64 v[26:27], |v[18:19]|, 0
	v_and_b32_e32 v29, 0x7fffffff, v19
	v_trig_preop_f64 v[48:49], |v[18:19]|, 2
	v_mov_b32_e32 v64, 0
	s_mov_b32 s5, 0x3ff921fb
	s_mov_b32 s10, 0x33145c07
	;; [unrolled: 1-line block ×3, first 2 shown]
	v_cndmask_b32_e32 v23, v29, v23, vcc_lo
	v_cndmask_b32_e32 v22, v18, v22, vcc_lo
	v_trig_preop_f64 v[29:30], |v[18:19]|, 1
	v_mul_f64 v[31:32], v[26:27], v[22:23]
	v_mul_f64 v[54:55], v[48:49], v[22:23]
	v_mul_f64 v[33:34], v[29:30], v[22:23]
	v_fma_f64 v[26:27], v[26:27], v[22:23], -v[31:32]
	v_fma_f64 v[29:30], v[29:30], v[22:23], -v[33:34]
	;; [unrolled: 1-line block ×3, first 2 shown]
	v_add_f64 v[35:36], v[33:34], v[26:27]
	v_add_f64 v[37:38], v[35:36], -v[33:34]
	v_add_f64 v[52:53], v[31:32], v[35:36]
	v_add_f64 v[50:51], v[35:36], -v[37:38]
	v_add_f64 v[26:27], v[26:27], -v[37:38]
	v_ldexp_f64 v[37:38], v[52:53], -2
	v_add_f64 v[31:32], v[52:53], -v[31:32]
	v_add_f64 v[33:34], v[33:34], -v[50:51]
	v_add_f64 v[50:51], v[54:55], v[29:30]
	v_cmp_neq_f64_e64 vcc_lo, 0x7ff00000, |v[37:38]|
	v_add_f64 v[31:32], v[35:36], -v[31:32]
	v_add_f64 v[26:27], v[26:27], v[33:34]
	v_fract_f64_e32 v[33:34], v[37:38]
	v_add_f64 v[35:36], v[50:51], v[26:27]
	v_ldexp_f64 v[33:34], v[33:34], 2
	v_add_f64 v[37:38], v[31:32], v[35:36]
	v_cndmask_b32_e32 v34, 0, v34, vcc_lo
	v_cndmask_b32_e32 v33, 0, v33, vcc_lo
	v_add_f64 v[52:53], v[37:38], v[33:34]
	v_add_f64 v[31:32], v[37:38], -v[31:32]
	v_cmp_gt_f64_e32 vcc_lo, 0, v[52:53]
	v_add_f64 v[52:53], v[50:51], -v[54:55]
	v_cndmask_b32_e64 v65, 0, 0x40100000, vcc_lo
	v_add_f64 v[69:70], v[50:51], -v[52:53]
	v_add_f64 v[29:30], v[29:30], -v[52:53]
	v_add_f64 v[33:34], v[33:34], v[64:65]
	v_add_f64 v[65:66], v[35:36], -v[50:51]
	v_add_f64 v[52:53], v[54:55], -v[69:70]
	v_add_f64 v[67:68], v[37:38], v[33:34]
	;; [unrolled: 3-line block ×3, first 2 shown]
	v_cvt_i32_f64_e32 v39, v[67:68]
	v_add_f64 v[50:51], v[50:51], -v[80:81]
	v_cvt_f64_i32_e32 v[65:66], v39
	v_add_f64 v[26:27], v[26:27], v[50:51]
	v_add_f64 v[33:34], v[33:34], -v[65:66]
	v_add_f64 v[26:27], v[29:30], v[26:27]
	v_add_f64 v[29:30], v[35:36], -v[31:32]
	v_add_f64 v[48:49], v[37:38], v[33:34]
	v_add_f64 v[22:23], v[22:23], v[26:27]
	v_add_f64 v[26:27], v[48:49], -v[33:34]
	v_cmp_le_f64_e32 vcc_lo, 0.5, v[48:49]
	v_add_f64 v[22:23], v[29:30], v[22:23]
	v_add_f64 v[26:27], v[37:38], -v[26:27]
	v_cndmask_b32_e64 v65, 0, 0x3ff00000, vcc_lo
	v_add_co_ci_u32_e64 v29, null, 0, v39, vcc_lo
	v_add_f64 v[22:23], v[22:23], v[26:27]
	v_add_f64 v[26:27], v[48:49], -v[64:65]
	v_add_f64 v[30:31], v[26:27], v[22:23]
	v_mul_f64 v[32:33], v[30:31], s[4:5]
	v_add_f64 v[26:27], v[30:31], -v[26:27]
	v_fma_f64 v[34:35], v[30:31], s[4:5], -v[32:33]
	v_add_f64 v[22:23], v[22:23], -v[26:27]
	v_fma_f64 v[26:27], v[30:31], s[10:11], v[34:35]
	v_fma_f64 v[26:27], v[22:23], s[4:5], v[26:27]
	v_add_f64 v[22:23], v[32:33], v[26:27]
	v_add_f64 v[30:31], v[22:23], -v[32:33]
	v_add_f64 v[26:27], v[26:27], -v[30:31]
.LBB41_21:
	s_andn2_saveexec_b32 s4, s9
	s_cbranch_execz .LBB41_23
; %bb.22:
	s_mov_b32 s10, 0x6dc9c883
	s_mov_b32 s11, 0x3fe45f30
	;; [unrolled: 1-line block ×3, first 2 shown]
	v_mul_f64 v[22:23], |v[18:19]|, s[10:11]
	s_mov_b32 s10, 0x54442d18
	s_mov_b32 s11, 0xbff921fb
	;; [unrolled: 1-line block ×3, first 2 shown]
	v_rndne_f64_e32 v[29:30], v[22:23]
	v_fma_f64 v[22:23], v[29:30], s[10:11], |v[18:19]|
	v_mul_f64 v[26:27], v[29:30], s[12:13]
	s_mov_b32 s10, 0x252049c0
	s_mov_b32 s11, 0xb97b839a
	v_fma_f64 v[33:34], v[29:30], s[12:13], v[22:23]
	v_add_f64 v[31:32], v[22:23], v[26:27]
	s_mov_b32 s13, 0x3c91a626
	v_add_f64 v[22:23], v[22:23], -v[31:32]
	v_add_f64 v[31:32], v[31:32], -v[33:34]
	v_add_f64 v[22:23], v[22:23], v[26:27]
	v_fma_f64 v[26:27], v[29:30], s[12:13], v[26:27]
	v_add_f64 v[22:23], v[31:32], v[22:23]
	v_add_f64 v[22:23], v[22:23], -v[26:27]
	v_fma_f64 v[26:27], v[29:30], s[10:11], v[22:23]
	v_cvt_i32_f64_e32 v29, v[29:30]
	v_add_f64 v[22:23], v[33:34], v[26:27]
	v_add_f64 v[31:32], v[22:23], -v[33:34]
	v_add_f64 v[26:27], v[26:27], -v[31:32]
.LBB41_23:
	s_or_b32 exec_lo, exec_lo, s4
	v_mul_f64 v[30:31], v[22:23], v[22:23]
	s_mov_b32 s4, 0xb42fdfa7
	s_mov_b32 s10, 0xf9a43bb8
	;; [unrolled: 1-line block ×6, first 2 shown]
	v_mul_f64 v[48:49], v[26:27], 0.5
	v_add_f64 v[4:5], -v[4:5], 1.0
	v_fma_f64 v[32:33], v[30:31], s[10:11], s[4:5]
	s_mov_b32 s4, 0x9037ab78
	s_mov_b32 s10, 0x46cc5e42
	;; [unrolled: 1-line block ×4, first 2 shown]
	v_mul_f64 v[36:37], v[30:31], 0.5
	v_fma_f64 v[34:35], v[30:31], s[10:11], s[4:5]
	s_mov_b32 s4, 0xa17f65f6
	s_mov_b32 s10, 0x19e83e5c
	;; [unrolled: 1-line block ×4, first 2 shown]
	v_mul_f64 v[50:51], v[22:23], -v[30:31]
	v_fma_f64 v[32:33], v[30:31], v[32:33], s[12:13]
	v_add_f64 v[38:39], -v[36:37], 1.0
	v_fma_f64 v[34:35], v[30:31], v[34:35], s[4:5]
	s_mov_b32 s4, 0x19f4ec90
	s_mov_b32 s5, 0x3efa01a0
	v_fma_f64 v[32:33], v[30:31], v[32:33], s[10:11]
	s_mov_b32 s10, 0x11110bb3
	s_mov_b32 s11, 0x3f811111
	v_add_f64 v[52:53], -v[38:39], 1.0
	v_fma_f64 v[34:35], v[30:31], v[34:35], s[4:5]
	s_mov_b32 s4, 0x16c16967
	s_mov_b32 s5, 0xbf56c16c
	v_fma_f64 v[32:33], v[30:31], v[32:33], s[10:11]
	v_add_f64 v[36:37], v[52:53], -v[36:37]
	v_fma_f64 v[34:35], v[30:31], v[34:35], s[4:5]
	s_mov_b32 s5, 0x3fa55555
	s_mov_b32 s4, 0x55555555
	v_fma_f64 v[32:33], v[50:51], v[32:33], v[48:49]
	v_mul_f64 v[48:49], v[30:31], v[30:31]
	v_fma_f64 v[36:37], v[22:23], -v[26:27], v[36:37]
	v_fma_f64 v[34:35], v[30:31], v[34:35], s[4:5]
	s_mov_b32 s5, 0xbfc55555
	v_fma_f64 v[26:27], v[30:31], v[32:33], -v[26:27]
	v_fma_f64 v[30:31], v[48:49], v[34:35], v[36:37]
	v_fma_f64 v[26:27], v[50:51], s[4:5], v[26:27]
	v_cmp_class_f64_e64 s4, v[18:19], 0x1f8
	v_lshlrev_b32_e32 v18, 30, v29
	v_add_f64 v[30:31], v[38:39], v[30:31]
	v_xor_b32_e32 v18, v18, v19
	v_and_b32_e32 v18, 0x80000000, v18
	v_add_f64 v[22:23], v[22:23], -v[26:27]
	v_and_b32_e32 v26, 1, v29
	v_cmp_eq_u32_e32 vcc_lo, 0, v26
	v_cndmask_b32_e32 v19, v31, v23, vcc_lo
	v_cndmask_b32_e32 v22, v30, v22, vcc_lo
	v_xor_b32_e32 v19, v19, v18
	v_cndmask_b32_e64 v18, 0, v22, s4
	v_cndmask_b32_e64 v19, 0x7ff80000, v19, s4
	s_mov_b32 s4, 0xc9be45de
	s_mov_b32 s5, 0xc023bd3c
	v_mul_f64 v[18:19], v[18:19], v[18:19]
	v_div_scale_f64 v[22:23], null, v[18:19], v[18:19], s[4:5]
	v_div_scale_f64 v[31:32], vcc_lo, s[4:5], v[18:19], s[4:5]
	v_rcp_f64_e32 v[26:27], v[22:23]
	v_fma_f64 v[29:30], -v[22:23], v[26:27], 1.0
	v_fma_f64 v[26:27], v[26:27], v[29:30], v[26:27]
	v_fma_f64 v[29:30], -v[22:23], v[26:27], 1.0
	v_fma_f64 v[26:27], v[26:27], v[29:30], v[26:27]
	v_mul_f64 v[29:30], v[31:32], v[26:27]
	v_fma_f64 v[22:23], -v[22:23], v[29:30], v[31:32]
	v_div_fmas_f64 v[22:23], v[22:23], v[26:27], v[29:30]
	v_div_fixup_f64 v[18:19], v[22:23], v[18:19], s[4:5]
	v_add_f64 v[22:23], v[18:19], 0
	v_mov_b32_e32 v18, 0
	v_mov_b32_e32 v19, 0xbff00000
.LBB41_24:
	s_or_b32 exec_lo, exec_lo, s8
	v_mul_f64 v[26:27], v[2:3], v[2:3]
	v_add_f64 v[2:3], v[2:3], 1.0
	s_mov_b32 s4, 0x11111111
	s_mov_b32 s8, 0x18618618
	;; [unrolled: 1-line block ×6, first 2 shown]
	v_div_scale_f64 v[29:30], null, v[26:27], v[26:27], 1.0
	v_rcp_f64_e32 v[31:32], v[29:30]
	v_fma_f64 v[33:34], -v[29:30], v[31:32], 1.0
	v_fma_f64 v[31:32], v[31:32], v[33:34], v[31:32]
	v_fma_f64 v[33:34], -v[29:30], v[31:32], 1.0
	v_fma_f64 v[31:32], v[31:32], v[33:34], v[31:32]
	v_div_scale_f64 v[33:34], vcc_lo, 1.0, v[26:27], 1.0
	v_mul_f64 v[35:36], v[33:34], v[31:32]
	v_fma_f64 v[29:30], -v[29:30], v[35:36], v[33:34]
	v_div_fmas_f64 v[29:30], v[29:30], v[31:32], v[35:36]
	v_div_fixup_f64 v[26:27], v[29:30], v[26:27], 1.0
	v_add_f64 v[24:25], v[24:25], v[26:27]
	v_mul_f64 v[26:27], v[2:3], v[2:3]
	v_add_f64 v[2:3], v[2:3], 1.0
	v_div_scale_f64 v[29:30], null, v[26:27], v[26:27], 1.0
	v_rcp_f64_e32 v[31:32], v[29:30]
	v_fma_f64 v[33:34], -v[29:30], v[31:32], 1.0
	v_fma_f64 v[31:32], v[31:32], v[33:34], v[31:32]
	v_fma_f64 v[33:34], -v[29:30], v[31:32], 1.0
	v_fma_f64 v[31:32], v[31:32], v[33:34], v[31:32]
	v_div_scale_f64 v[33:34], vcc_lo, 1.0, v[26:27], 1.0
	v_mul_f64 v[35:36], v[33:34], v[31:32]
	v_fma_f64 v[29:30], -v[29:30], v[35:36], v[33:34]
	v_div_fmas_f64 v[29:30], v[29:30], v[31:32], v[35:36]
	v_div_fixup_f64 v[26:27], v[29:30], v[26:27], 1.0
	v_add_f64 v[24:25], v[24:25], v[26:27]
	v_mul_f64 v[26:27], v[2:3], v[2:3]
	v_add_f64 v[2:3], v[2:3], 1.0
	;; [unrolled: 14-line block ×5, first 2 shown]
	v_div_scale_f64 v[29:30], null, v[26:27], v[26:27], 1.0
	v_rcp_f64_e32 v[31:32], v[29:30]
	v_fma_f64 v[33:34], -v[29:30], v[31:32], 1.0
	v_fma_f64 v[31:32], v[31:32], v[33:34], v[31:32]
	v_fma_f64 v[33:34], -v[29:30], v[31:32], 1.0
	v_fma_f64 v[31:32], v[31:32], v[33:34], v[31:32]
	v_div_scale_f64 v[33:34], vcc_lo, 1.0, v[26:27], 1.0
	v_mul_f64 v[35:36], v[33:34], v[31:32]
	v_fma_f64 v[29:30], -v[29:30], v[35:36], v[33:34]
	v_div_fmas_f64 v[29:30], v[29:30], v[31:32], v[35:36]
	v_div_fixup_f64 v[26:27], v[29:30], v[26:27], 1.0
	v_add_f64 v[24:25], v[24:25], v[26:27]
	v_add_f64 v[26:27], v[2:3], v[2:3]
	v_div_scale_f64 v[29:30], null, v[26:27], v[26:27], 1.0
	v_rcp_f64_e32 v[31:32], v[29:30]
	v_fma_f64 v[33:34], -v[29:30], v[31:32], 1.0
	v_fma_f64 v[31:32], v[31:32], v[33:34], v[31:32]
	v_fma_f64 v[33:34], -v[29:30], v[31:32], 1.0
	v_fma_f64 v[31:32], v[31:32], v[33:34], v[31:32]
	v_div_scale_f64 v[33:34], vcc_lo, 1.0, v[26:27], 1.0
	v_mul_f64 v[35:36], v[33:34], v[31:32]
	v_fma_f64 v[29:30], -v[29:30], v[35:36], v[33:34]
	v_div_fmas_f64 v[29:30], v[29:30], v[31:32], v[35:36]
	v_div_fixup_f64 v[26:27], v[29:30], v[26:27], 1.0
	v_mul_f64 v[29:30], v[2:3], v[2:3]
	v_add_f64 v[26:27], v[26:27], 1.0
	v_div_scale_f64 v[31:32], null, v[29:30], v[29:30], 1.0
	v_rcp_f64_e32 v[33:34], v[31:32]
	v_fma_f64 v[35:36], -v[31:32], v[33:34], 1.0
	v_fma_f64 v[33:34], v[33:34], v[35:36], v[33:34]
	v_fma_f64 v[35:36], -v[31:32], v[33:34], 1.0
	v_fma_f64 v[33:34], v[33:34], v[35:36], v[33:34]
	v_div_scale_f64 v[35:36], vcc_lo, 1.0, v[29:30], 1.0
	v_mul_f64 v[37:38], v[35:36], v[33:34]
	v_fma_f64 v[31:32], -v[31:32], v[37:38], v[35:36]
	v_div_fmas_f64 v[31:32], v[31:32], v[33:34], v[37:38]
	v_div_fixup_f64 v[29:30], v[31:32], v[29:30], 1.0
	v_fma_f64 v[31:32], v[29:30], s[8:9], s[4:5]
	v_fma_f64 v[31:32], -v[29:30], v[31:32], s[10:11]
	v_fma_f64 v[26:27], v[29:30], v[31:32], v[26:27]
	v_div_scale_f64 v[29:30], null, v[2:3], v[2:3], v[26:27]
	v_rcp_f64_e32 v[31:32], v[29:30]
	v_fma_f64 v[33:34], -v[29:30], v[31:32], 1.0
	v_fma_f64 v[31:32], v[31:32], v[33:34], v[31:32]
	v_fma_f64 v[33:34], -v[29:30], v[31:32], 1.0
	v_fma_f64 v[31:32], v[31:32], v[33:34], v[31:32]
	v_div_scale_f64 v[33:34], vcc_lo, v[26:27], v[2:3], v[26:27]
	v_mul_f64 v[35:36], v[33:34], v[31:32]
	v_fma_f64 v[29:30], -v[29:30], v[35:36], v[33:34]
	v_div_fmas_f64 v[29:30], v[29:30], v[31:32], v[35:36]
	v_div_fixup_f64 v[2:3], v[29:30], v[2:3], v[26:27]
	v_add_f64 v[2:3], v[24:25], v[2:3]
	v_mul_f64 v[2:3], v[20:21], v[2:3]
	v_mul_f64 v[20:21], v[8:9], v[8:9]
	v_add_f64 v[8:9], v[8:9], 1.0
	v_div_scale_f64 v[24:25], null, v[20:21], v[20:21], 1.0
	v_rcp_f64_e32 v[26:27], v[24:25]
	v_fma_f64 v[29:30], -v[24:25], v[26:27], 1.0
	v_fma_f64 v[26:27], v[26:27], v[29:30], v[26:27]
	v_fma_f64 v[29:30], -v[24:25], v[26:27], 1.0
	v_fma_f64 v[26:27], v[26:27], v[29:30], v[26:27]
	v_div_scale_f64 v[29:30], vcc_lo, 1.0, v[20:21], 1.0
	v_mul_f64 v[31:32], v[29:30], v[26:27]
	v_fma_f64 v[24:25], -v[24:25], v[31:32], v[29:30]
	v_div_fmas_f64 v[24:25], v[24:25], v[26:27], v[31:32]
	v_div_fixup_f64 v[20:21], v[24:25], v[20:21], 1.0
	v_add_f64 v[16:17], v[16:17], v[20:21]
	v_mul_f64 v[20:21], v[8:9], v[8:9]
	v_add_f64 v[8:9], v[8:9], 1.0
	v_div_scale_f64 v[24:25], null, v[20:21], v[20:21], 1.0
	v_rcp_f64_e32 v[26:27], v[24:25]
	v_fma_f64 v[29:30], -v[24:25], v[26:27], 1.0
	v_fma_f64 v[26:27], v[26:27], v[29:30], v[26:27]
	v_fma_f64 v[29:30], -v[24:25], v[26:27], 1.0
	v_fma_f64 v[26:27], v[26:27], v[29:30], v[26:27]
	v_div_scale_f64 v[29:30], vcc_lo, 1.0, v[20:21], 1.0
	v_mul_f64 v[31:32], v[29:30], v[26:27]
	v_fma_f64 v[24:25], -v[24:25], v[31:32], v[29:30]
	v_div_fmas_f64 v[24:25], v[24:25], v[26:27], v[31:32]
	v_div_fixup_f64 v[20:21], v[24:25], v[20:21], 1.0
	v_add_f64 v[16:17], v[16:17], v[20:21]
	;; [unrolled: 14-line block ×6, first 2 shown]
	v_add_f64 v[20:21], v[8:9], v[8:9]
	v_div_scale_f64 v[24:25], null, v[20:21], v[20:21], 1.0
	v_rcp_f64_e32 v[26:27], v[24:25]
	v_fma_f64 v[29:30], -v[24:25], v[26:27], 1.0
	v_fma_f64 v[26:27], v[26:27], v[29:30], v[26:27]
	v_fma_f64 v[29:30], -v[24:25], v[26:27], 1.0
	v_fma_f64 v[26:27], v[26:27], v[29:30], v[26:27]
	v_div_scale_f64 v[29:30], vcc_lo, 1.0, v[20:21], 1.0
	v_mul_f64 v[31:32], v[29:30], v[26:27]
	v_fma_f64 v[24:25], -v[24:25], v[31:32], v[29:30]
	v_div_fmas_f64 v[24:25], v[24:25], v[26:27], v[31:32]
	v_div_fixup_f64 v[20:21], v[24:25], v[20:21], 1.0
	v_mul_f64 v[24:25], v[8:9], v[8:9]
	v_add_f64 v[20:21], v[20:21], 1.0
	v_div_scale_f64 v[26:27], null, v[24:25], v[24:25], 1.0
	v_rcp_f64_e32 v[29:30], v[26:27]
	v_fma_f64 v[31:32], -v[26:27], v[29:30], 1.0
	v_fma_f64 v[29:30], v[29:30], v[31:32], v[29:30]
	v_fma_f64 v[31:32], -v[26:27], v[29:30], 1.0
	v_fma_f64 v[29:30], v[29:30], v[31:32], v[29:30]
	v_div_scale_f64 v[31:32], vcc_lo, 1.0, v[24:25], 1.0
	v_mul_f64 v[33:34], v[31:32], v[29:30]
	v_fma_f64 v[26:27], -v[26:27], v[33:34], v[31:32]
	v_div_fmas_f64 v[26:27], v[26:27], v[29:30], v[33:34]
	v_div_fixup_f64 v[24:25], v[26:27], v[24:25], 1.0
	v_fma_f64 v[26:27], v[24:25], s[8:9], s[4:5]
	v_fma_f64 v[26:27], -v[24:25], v[26:27], s[10:11]
	v_fma_f64 v[20:21], v[24:25], v[26:27], v[20:21]
	v_div_scale_f64 v[24:25], null, v[8:9], v[8:9], v[20:21]
	v_rcp_f64_e32 v[26:27], v[24:25]
	v_fma_f64 v[29:30], -v[24:25], v[26:27], 1.0
	v_fma_f64 v[26:27], v[26:27], v[29:30], v[26:27]
	v_fma_f64 v[29:30], -v[24:25], v[26:27], 1.0
	v_fma_f64 v[26:27], v[26:27], v[29:30], v[26:27]
	v_div_scale_f64 v[29:30], vcc_lo, v[20:21], v[8:9], v[20:21]
	v_mul_f64 v[31:32], v[29:30], v[26:27]
	v_fma_f64 v[24:25], -v[24:25], v[31:32], v[29:30]
	v_div_fmas_f64 v[24:25], v[24:25], v[26:27], v[31:32]
	v_div_fixup_f64 v[8:9], v[24:25], v[8:9], v[20:21]
	v_add_f64 v[8:9], v[16:17], v[8:9]
	v_mul_f64 v[8:9], v[14:15], v[8:9]
	v_mul_f64 v[14:15], v[6:7], v[6:7]
	v_add_f64 v[6:7], v[6:7], 1.0
	v_div_scale_f64 v[16:17], null, v[14:15], v[14:15], 1.0
	v_rcp_f64_e32 v[20:21], v[16:17]
	v_fma_f64 v[24:25], -v[16:17], v[20:21], 1.0
	v_fma_f64 v[20:21], v[20:21], v[24:25], v[20:21]
	v_fma_f64 v[24:25], -v[16:17], v[20:21], 1.0
	v_fma_f64 v[20:21], v[20:21], v[24:25], v[20:21]
	v_div_scale_f64 v[24:25], vcc_lo, 1.0, v[14:15], 1.0
	v_mul_f64 v[26:27], v[24:25], v[20:21]
	v_fma_f64 v[16:17], -v[16:17], v[26:27], v[24:25]
	v_div_fmas_f64 v[16:17], v[16:17], v[20:21], v[26:27]
	v_div_fixup_f64 v[14:15], v[16:17], v[14:15], 1.0
	v_add_f64 v[12:13], v[12:13], v[14:15]
	v_mul_f64 v[14:15], v[6:7], v[6:7]
	v_add_f64 v[6:7], v[6:7], 1.0
	v_div_scale_f64 v[16:17], null, v[14:15], v[14:15], 1.0
	v_rcp_f64_e32 v[20:21], v[16:17]
	v_fma_f64 v[24:25], -v[16:17], v[20:21], 1.0
	v_fma_f64 v[20:21], v[20:21], v[24:25], v[20:21]
	v_fma_f64 v[24:25], -v[16:17], v[20:21], 1.0
	v_fma_f64 v[20:21], v[20:21], v[24:25], v[20:21]
	v_div_scale_f64 v[24:25], vcc_lo, 1.0, v[14:15], 1.0
	v_mul_f64 v[26:27], v[24:25], v[20:21]
	v_fma_f64 v[16:17], -v[16:17], v[26:27], v[24:25]
	v_div_fmas_f64 v[16:17], v[16:17], v[20:21], v[26:27]
	v_div_fixup_f64 v[14:15], v[16:17], v[14:15], 1.0
	v_add_f64 v[12:13], v[12:13], v[14:15]
	;; [unrolled: 14-line block ×6, first 2 shown]
	v_add_f64 v[14:15], v[6:7], v[6:7]
	v_div_scale_f64 v[16:17], null, v[14:15], v[14:15], 1.0
	v_rcp_f64_e32 v[20:21], v[16:17]
	v_fma_f64 v[24:25], -v[16:17], v[20:21], 1.0
	v_fma_f64 v[20:21], v[20:21], v[24:25], v[20:21]
	v_fma_f64 v[24:25], -v[16:17], v[20:21], 1.0
	v_fma_f64 v[20:21], v[20:21], v[24:25], v[20:21]
	v_div_scale_f64 v[24:25], vcc_lo, 1.0, v[14:15], 1.0
	v_mul_f64 v[26:27], v[24:25], v[20:21]
	v_fma_f64 v[16:17], -v[16:17], v[26:27], v[24:25]
	v_div_fmas_f64 v[16:17], v[16:17], v[20:21], v[26:27]
	v_div_fixup_f64 v[14:15], v[16:17], v[14:15], 1.0
	v_mul_f64 v[16:17], v[6:7], v[6:7]
	v_add_f64 v[14:15], v[14:15], 1.0
	v_div_scale_f64 v[20:21], null, v[16:17], v[16:17], 1.0
	v_rcp_f64_e32 v[24:25], v[20:21]
	v_fma_f64 v[26:27], -v[20:21], v[24:25], 1.0
	v_fma_f64 v[24:25], v[24:25], v[26:27], v[24:25]
	v_fma_f64 v[26:27], -v[20:21], v[24:25], 1.0
	v_fma_f64 v[24:25], v[24:25], v[26:27], v[24:25]
	v_div_scale_f64 v[26:27], vcc_lo, 1.0, v[16:17], 1.0
	v_mul_f64 v[29:30], v[26:27], v[24:25]
	v_fma_f64 v[20:21], -v[20:21], v[29:30], v[26:27]
	v_div_fmas_f64 v[20:21], v[20:21], v[24:25], v[29:30]
	v_div_fixup_f64 v[16:17], v[20:21], v[16:17], 1.0
	v_fma_f64 v[20:21], v[16:17], s[8:9], s[4:5]
	v_fma_f64 v[20:21], -v[16:17], v[20:21], s[10:11]
	v_fma_f64 v[14:15], v[16:17], v[20:21], v[14:15]
	v_div_scale_f64 v[16:17], null, v[6:7], v[6:7], v[14:15]
	v_rcp_f64_e32 v[20:21], v[16:17]
	v_fma_f64 v[24:25], -v[16:17], v[20:21], 1.0
	v_fma_f64 v[20:21], v[20:21], v[24:25], v[20:21]
	v_fma_f64 v[24:25], -v[16:17], v[20:21], 1.0
	v_fma_f64 v[20:21], v[20:21], v[24:25], v[20:21]
	v_div_scale_f64 v[24:25], vcc_lo, v[14:15], v[6:7], v[14:15]
	v_mul_f64 v[26:27], v[24:25], v[20:21]
	v_fma_f64 v[16:17], -v[16:17], v[26:27], v[24:25]
	v_div_fmas_f64 v[16:17], v[16:17], v[20:21], v[26:27]
	v_div_fixup_f64 v[6:7], v[16:17], v[6:7], v[14:15]
	v_add_f64 v[6:7], v[12:13], v[6:7]
	v_mul_f64 v[6:7], v[10:11], v[6:7]
	v_mul_f64 v[10:11], v[4:5], v[4:5]
	v_add_f64 v[4:5], v[4:5], 1.0
	v_div_scale_f64 v[12:13], null, v[10:11], v[10:11], 1.0
	v_rcp_f64_e32 v[14:15], v[12:13]
	v_fma_f64 v[16:17], -v[12:13], v[14:15], 1.0
	v_fma_f64 v[14:15], v[14:15], v[16:17], v[14:15]
	v_fma_f64 v[16:17], -v[12:13], v[14:15], 1.0
	v_fma_f64 v[14:15], v[14:15], v[16:17], v[14:15]
	v_div_scale_f64 v[16:17], vcc_lo, 1.0, v[10:11], 1.0
	v_mul_f64 v[20:21], v[16:17], v[14:15]
	v_fma_f64 v[12:13], -v[12:13], v[20:21], v[16:17]
	v_div_fmas_f64 v[12:13], v[12:13], v[14:15], v[20:21]
	v_div_fixup_f64 v[10:11], v[12:13], v[10:11], 1.0
	v_mul_f64 v[12:13], v[4:5], v[4:5]
	v_add_f64 v[4:5], v[4:5], 1.0
	v_add_f64 v[10:11], v[22:23], v[10:11]
	v_div_scale_f64 v[14:15], null, v[12:13], v[12:13], 1.0
	v_rcp_f64_e32 v[16:17], v[14:15]
	v_fma_f64 v[20:21], -v[14:15], v[16:17], 1.0
	v_fma_f64 v[16:17], v[16:17], v[20:21], v[16:17]
	v_fma_f64 v[20:21], -v[14:15], v[16:17], 1.0
	v_fma_f64 v[16:17], v[16:17], v[20:21], v[16:17]
	v_div_scale_f64 v[20:21], vcc_lo, 1.0, v[12:13], 1.0
	v_mul_f64 v[22:23], v[20:21], v[16:17]
	v_fma_f64 v[14:15], -v[14:15], v[22:23], v[20:21]
	v_div_fmas_f64 v[14:15], v[14:15], v[16:17], v[22:23]
	v_div_fixup_f64 v[12:13], v[14:15], v[12:13], 1.0
	v_add_f64 v[10:11], v[10:11], v[12:13]
	v_mul_f64 v[12:13], v[4:5], v[4:5]
	v_add_f64 v[4:5], v[4:5], 1.0
	v_div_scale_f64 v[14:15], null, v[12:13], v[12:13], 1.0
	v_rcp_f64_e32 v[16:17], v[14:15]
	v_fma_f64 v[20:21], -v[14:15], v[16:17], 1.0
	v_fma_f64 v[16:17], v[16:17], v[20:21], v[16:17]
	v_fma_f64 v[20:21], -v[14:15], v[16:17], 1.0
	v_fma_f64 v[16:17], v[16:17], v[20:21], v[16:17]
	v_div_scale_f64 v[20:21], vcc_lo, 1.0, v[12:13], 1.0
	v_mul_f64 v[22:23], v[20:21], v[16:17]
	v_fma_f64 v[14:15], -v[14:15], v[22:23], v[20:21]
	v_div_fmas_f64 v[14:15], v[14:15], v[16:17], v[22:23]
	v_div_fixup_f64 v[12:13], v[14:15], v[12:13], 1.0
	v_add_f64 v[10:11], v[10:11], v[12:13]
	v_mul_f64 v[12:13], v[4:5], v[4:5]
	v_add_f64 v[4:5], v[4:5], 1.0
	;; [unrolled: 14-line block ×4, first 2 shown]
	v_div_scale_f64 v[14:15], null, v[12:13], v[12:13], 1.0
	v_rcp_f64_e32 v[16:17], v[14:15]
	v_fma_f64 v[20:21], -v[14:15], v[16:17], 1.0
	v_fma_f64 v[16:17], v[16:17], v[20:21], v[16:17]
	v_fma_f64 v[20:21], -v[14:15], v[16:17], 1.0
	v_fma_f64 v[16:17], v[16:17], v[20:21], v[16:17]
	v_div_scale_f64 v[20:21], vcc_lo, 1.0, v[12:13], 1.0
	v_mul_f64 v[22:23], v[20:21], v[16:17]
	v_fma_f64 v[14:15], -v[14:15], v[22:23], v[20:21]
	v_div_fmas_f64 v[14:15], v[14:15], v[16:17], v[22:23]
	v_div_fixup_f64 v[12:13], v[14:15], v[12:13], 1.0
	v_add_f64 v[10:11], v[10:11], v[12:13]
	v_mul_f64 v[12:13], v[4:5], v[4:5]
	v_div_scale_f64 v[14:15], null, v[12:13], v[12:13], 1.0
	v_rcp_f64_e32 v[16:17], v[14:15]
	v_fma_f64 v[20:21], -v[14:15], v[16:17], 1.0
	v_fma_f64 v[16:17], v[16:17], v[20:21], v[16:17]
	v_fma_f64 v[20:21], -v[14:15], v[16:17], 1.0
	v_fma_f64 v[16:17], v[16:17], v[20:21], v[16:17]
	v_div_scale_f64 v[20:21], vcc_lo, 1.0, v[12:13], 1.0
	v_mul_f64 v[22:23], v[20:21], v[16:17]
	v_fma_f64 v[14:15], -v[14:15], v[22:23], v[20:21]
	v_div_fmas_f64 v[14:15], v[14:15], v[16:17], v[22:23]
	v_div_fixup_f64 v[12:13], v[14:15], v[12:13], 1.0
	v_add_f64 v[14:15], v[4:5], v[4:5]
	v_div_scale_f64 v[16:17], null, v[14:15], v[14:15], 1.0
	v_rcp_f64_e32 v[20:21], v[16:17]
	v_fma_f64 v[22:23], -v[16:17], v[20:21], 1.0
	v_fma_f64 v[20:21], v[20:21], v[22:23], v[20:21]
	v_fma_f64 v[22:23], -v[16:17], v[20:21], 1.0
	v_fma_f64 v[20:21], v[20:21], v[22:23], v[20:21]
	v_div_scale_f64 v[22:23], vcc_lo, 1.0, v[14:15], 1.0
	v_mul_f64 v[24:25], v[22:23], v[20:21]
	v_fma_f64 v[16:17], -v[16:17], v[24:25], v[22:23]
	v_div_fmas_f64 v[16:17], v[16:17], v[20:21], v[24:25]
	v_div_fixup_f64 v[14:15], v[16:17], v[14:15], 1.0
	v_fma_f64 v[16:17], v[12:13], s[8:9], s[4:5]
	v_add_f64 v[14:15], v[14:15], 1.0
	v_fma_f64 v[16:17], -v[12:13], v[16:17], s[10:11]
	v_fma_f64 v[12:13], v[12:13], v[16:17], v[14:15]
	v_div_scale_f64 v[14:15], null, v[4:5], v[4:5], v[12:13]
	v_rcp_f64_e32 v[16:17], v[14:15]
	v_fma_f64 v[20:21], -v[14:15], v[16:17], 1.0
	v_fma_f64 v[16:17], v[16:17], v[20:21], v[16:17]
	v_fma_f64 v[20:21], -v[14:15], v[16:17], 1.0
	v_fma_f64 v[16:17], v[16:17], v[20:21], v[16:17]
	v_div_scale_f64 v[20:21], vcc_lo, v[12:13], v[4:5], v[12:13]
	v_mul_f64 v[22:23], v[20:21], v[16:17]
	v_fma_f64 v[14:15], -v[14:15], v[22:23], v[20:21]
	v_div_fmas_f64 v[14:15], v[14:15], v[16:17], v[22:23]
	v_add_co_u32 v0, vcc_lo, v0, s6
	v_add_co_ci_u32_e64 v1, null, s7, v1, vcc_lo
	v_add_co_u32 v0, vcc_lo, v0, v28
	v_add_co_ci_u32_e64 v1, null, 0, v1, vcc_lo
	v_div_fixup_f64 v[4:5], v[14:15], v[4:5], v[12:13]
	v_add_f64 v[4:5], v[10:11], v[4:5]
	v_mul_f64 v[4:5], v[18:19], v[4:5]
	flat_store_dwordx4 v[0:1], v[6:9]
	flat_store_dwordx4 v[0:1], v[2:5] offset:16
	s_waitcnt lgkmcnt(0)
	s_setpc_b64 s[30:31]
.Lfunc_end41:
	.size	_ZN2at6native25elementwise_kernel_helperILb0EZZZNS0_20trigamma_kernel_cudaERNS_18TensorIteratorBaseEENKUlvE_clEvENKUlvE_clEvEUldE_NS0_6memory8policies10vectorizedILi4ESt5arrayIPcLm2EELi4EEEEEvT0_T1_, .Lfunc_end41-_ZN2at6native25elementwise_kernel_helperILb0EZZZNS0_20trigamma_kernel_cudaERNS_18TensorIteratorBaseEENKUlvE_clEvENKUlvE_clEvEUldE_NS0_6memory8policies10vectorizedILi4ESt5arrayIPcLm2EELi4EEEEEvT0_T1_
                                        ; -- End function
	.set .L_ZN2at6native25elementwise_kernel_helperILb0EZZZNS0_20trigamma_kernel_cudaERNS_18TensorIteratorBaseEENKUlvE_clEvENKUlvE_clEvEUldE_NS0_6memory8policies10vectorizedILi4ESt5arrayIPcLm2EELi4EEEEEvT0_T1_.num_vgpr, 82
	.set .L_ZN2at6native25elementwise_kernel_helperILb0EZZZNS0_20trigamma_kernel_cudaERNS_18TensorIteratorBaseEENKUlvE_clEvENKUlvE_clEvEUldE_NS0_6memory8policies10vectorizedILi4ESt5arrayIPcLm2EELi4EEEEEvT0_T1_.num_agpr, 0
	.set .L_ZN2at6native25elementwise_kernel_helperILb0EZZZNS0_20trigamma_kernel_cudaERNS_18TensorIteratorBaseEENKUlvE_clEvENKUlvE_clEvEUldE_NS0_6memory8policies10vectorizedILi4ESt5arrayIPcLm2EELi4EEEEEvT0_T1_.numbered_sgpr, 32
	.set .L_ZN2at6native25elementwise_kernel_helperILb0EZZZNS0_20trigamma_kernel_cudaERNS_18TensorIteratorBaseEENKUlvE_clEvENKUlvE_clEvEUldE_NS0_6memory8policies10vectorizedILi4ESt5arrayIPcLm2EELi4EEEEEvT0_T1_.num_named_barrier, 0
	.set .L_ZN2at6native25elementwise_kernel_helperILb0EZZZNS0_20trigamma_kernel_cudaERNS_18TensorIteratorBaseEENKUlvE_clEvENKUlvE_clEvEUldE_NS0_6memory8policies10vectorizedILi4ESt5arrayIPcLm2EELi4EEEEEvT0_T1_.private_seg_size, 0
	.set .L_ZN2at6native25elementwise_kernel_helperILb0EZZZNS0_20trigamma_kernel_cudaERNS_18TensorIteratorBaseEENKUlvE_clEvENKUlvE_clEvEUldE_NS0_6memory8policies10vectorizedILi4ESt5arrayIPcLm2EELi4EEEEEvT0_T1_.uses_vcc, 1
	.set .L_ZN2at6native25elementwise_kernel_helperILb0EZZZNS0_20trigamma_kernel_cudaERNS_18TensorIteratorBaseEENKUlvE_clEvENKUlvE_clEvEUldE_NS0_6memory8policies10vectorizedILi4ESt5arrayIPcLm2EELi4EEEEEvT0_T1_.uses_flat_scratch, 1
	.set .L_ZN2at6native25elementwise_kernel_helperILb0EZZZNS0_20trigamma_kernel_cudaERNS_18TensorIteratorBaseEENKUlvE_clEvENKUlvE_clEvEUldE_NS0_6memory8policies10vectorizedILi4ESt5arrayIPcLm2EELi4EEEEEvT0_T1_.has_dyn_sized_stack, 0
	.set .L_ZN2at6native25elementwise_kernel_helperILb0EZZZNS0_20trigamma_kernel_cudaERNS_18TensorIteratorBaseEENKUlvE_clEvENKUlvE_clEvEUldE_NS0_6memory8policies10vectorizedILi4ESt5arrayIPcLm2EELi4EEEEEvT0_T1_.has_recursion, 0
	.set .L_ZN2at6native25elementwise_kernel_helperILb0EZZZNS0_20trigamma_kernel_cudaERNS_18TensorIteratorBaseEENKUlvE_clEvENKUlvE_clEvEUldE_NS0_6memory8policies10vectorizedILi4ESt5arrayIPcLm2EELi4EEEEEvT0_T1_.has_indirect_call, 0
	.section	.AMDGPU.csdata,"",@progbits
; Function info:
; codeLenInByte = 9936
; TotalNumSgprs: 34
; NumVgprs: 82
; ScratchSize: 0
; MemoryBound: 0
	.section	.text._ZN2at6native29vectorized_elementwise_kernelILi16EZZZNS0_20trigamma_kernel_cudaERNS_18TensorIteratorBaseEENKUlvE_clEvENKUlvE_clEvEUldE_St5arrayIPcLm2EEEEviT0_T1_,"axG",@progbits,_ZN2at6native29vectorized_elementwise_kernelILi16EZZZNS0_20trigamma_kernel_cudaERNS_18TensorIteratorBaseEENKUlvE_clEvENKUlvE_clEvEUldE_St5arrayIPcLm2EEEEviT0_T1_,comdat
	.globl	_ZN2at6native29vectorized_elementwise_kernelILi16EZZZNS0_20trigamma_kernel_cudaERNS_18TensorIteratorBaseEENKUlvE_clEvENKUlvE_clEvEUldE_St5arrayIPcLm2EEEEviT0_T1_ ; -- Begin function _ZN2at6native29vectorized_elementwise_kernelILi16EZZZNS0_20trigamma_kernel_cudaERNS_18TensorIteratorBaseEENKUlvE_clEvENKUlvE_clEvEUldE_St5arrayIPcLm2EEEEviT0_T1_
	.p2align	8
	.type	_ZN2at6native29vectorized_elementwise_kernelILi16EZZZNS0_20trigamma_kernel_cudaERNS_18TensorIteratorBaseEENKUlvE_clEvENKUlvE_clEvEUldE_St5arrayIPcLm2EEEEviT0_T1_,@function
_ZN2at6native29vectorized_elementwise_kernelILi16EZZZNS0_20trigamma_kernel_cudaERNS_18TensorIteratorBaseEENKUlvE_clEvENKUlvE_clEvEUldE_St5arrayIPcLm2EEEEviT0_T1_: ; @_ZN2at6native29vectorized_elementwise_kernelILi16EZZZNS0_20trigamma_kernel_cudaERNS_18TensorIteratorBaseEENKUlvE_clEvENKUlvE_clEvEUldE_St5arrayIPcLm2EEEEviT0_T1_
; %bb.0:
	s_mov_b32 s14, s6
	s_clause 0x1
	s_load_dword s6, s[4:5], 0x0
	s_load_dwordx4 s[16:19], s[4:5], 0x8
	s_add_u32 s0, s0, s7
	s_addc_u32 s1, s1, 0
	s_lshl_b32 s4, s14, 10
	v_mov_b32_e32 v40, v0
	s_mov_b32 s32, 0
	s_waitcnt lgkmcnt(0)
	s_sub_i32 s15, s6, s4
	s_mov_b32 s4, -1
	s_cmpk_gt_i32 s15, 0x3ff
	s_cbranch_scc1 .LBB42_3
; %bb.1:
	s_andn2_b32 vcc_lo, exec_lo, s4
	s_cbranch_vccz .LBB42_4
.LBB42_2:
	s_endpgm
.LBB42_3:
	v_mov_b32_e32 v31, v40
	v_mov_b32_e32 v0, s16
	v_mov_b32_e32 v1, s17
	v_mov_b32_e32 v2, s18
	v_mov_b32_e32 v3, s19
	s_getpc_b64 s[4:5]
	s_add_u32 s4, s4, _ZN2at6native25elementwise_kernel_helperILb0EZZZNS0_20trigamma_kernel_cudaERNS_18TensorIteratorBaseEENKUlvE_clEvENKUlvE_clEvEUldE_NS0_6memory8policies10vectorizedILi4ESt5arrayIPcLm2EELi4EEEEEvT0_T1_@rel32@lo+4
	s_addc_u32 s5, s5, _ZN2at6native25elementwise_kernel_helperILb0EZZZNS0_20trigamma_kernel_cudaERNS_18TensorIteratorBaseEENKUlvE_clEvENKUlvE_clEvEUldE_NS0_6memory8policies10vectorizedILi4ESt5arrayIPcLm2EELi4EEEEEvT0_T1_@rel32@hi+12
	s_mov_b32 s12, s14
	s_swappc_b64 s[30:31], s[4:5]
	s_cbranch_execnz .LBB42_2
.LBB42_4:
	v_mov_b32_e32 v31, v40
	v_mov_b32_e32 v0, s16
	;; [unrolled: 1-line block ×6, first 2 shown]
	s_getpc_b64 s[4:5]
	s_add_u32 s4, s4, _ZN2at6native25elementwise_kernel_helperILb0EZZZNS0_20trigamma_kernel_cudaERNS_18TensorIteratorBaseEENKUlvE_clEvENKUlvE_clEvEUldE_NS0_6memory8policies11unroll_baseILi256ESt5arrayIPcLm2EE23TrivialOffsetCalculatorILi1EjESE_NS7_15LoadWithoutCastENS7_16StoreWithoutCastELi4ELi1EEEEEvT0_T1_@rel32@lo+4
	s_addc_u32 s5, s5, _ZN2at6native25elementwise_kernel_helperILb0EZZZNS0_20trigamma_kernel_cudaERNS_18TensorIteratorBaseEENKUlvE_clEvENKUlvE_clEvEUldE_NS0_6memory8policies11unroll_baseILi256ESt5arrayIPcLm2EE23TrivialOffsetCalculatorILi1EjESE_NS7_15LoadWithoutCastENS7_16StoreWithoutCastELi4ELi1EEEEEvT0_T1_@rel32@hi+12
	s_mov_b32 s12, s14
	s_swappc_b64 s[30:31], s[4:5]
	s_endpgm
	.section	.rodata,"a",@progbits
	.p2align	6, 0x0
	.amdhsa_kernel _ZN2at6native29vectorized_elementwise_kernelILi16EZZZNS0_20trigamma_kernel_cudaERNS_18TensorIteratorBaseEENKUlvE_clEvENKUlvE_clEvEUldE_St5arrayIPcLm2EEEEviT0_T1_
		.amdhsa_group_segment_fixed_size 0
		.amdhsa_private_segment_fixed_size 0
		.amdhsa_kernarg_size 24
		.amdhsa_user_sgpr_count 6
		.amdhsa_user_sgpr_private_segment_buffer 1
		.amdhsa_user_sgpr_dispatch_ptr 0
		.amdhsa_user_sgpr_queue_ptr 0
		.amdhsa_user_sgpr_kernarg_segment_ptr 1
		.amdhsa_user_sgpr_dispatch_id 0
		.amdhsa_user_sgpr_flat_scratch_init 0
		.amdhsa_user_sgpr_private_segment_size 0
		.amdhsa_wavefront_size32 1
		.amdhsa_uses_dynamic_stack 0
		.amdhsa_system_sgpr_private_segment_wavefront_offset 0
		.amdhsa_system_sgpr_workgroup_id_x 1
		.amdhsa_system_sgpr_workgroup_id_y 0
		.amdhsa_system_sgpr_workgroup_id_z 0
		.amdhsa_system_sgpr_workgroup_info 0
		.amdhsa_system_vgpr_workitem_id 0
		.amdhsa_next_free_vgpr 82
		.amdhsa_next_free_sgpr 33
		.amdhsa_reserve_vcc 1
		.amdhsa_reserve_flat_scratch 1
		.amdhsa_float_round_mode_32 0
		.amdhsa_float_round_mode_16_64 0
		.amdhsa_float_denorm_mode_32 3
		.amdhsa_float_denorm_mode_16_64 3
		.amdhsa_dx10_clamp 1
		.amdhsa_ieee_mode 1
		.amdhsa_fp16_overflow 0
		.amdhsa_workgroup_processor_mode 1
		.amdhsa_memory_ordered 1
		.amdhsa_forward_progress 1
		.amdhsa_shared_vgpr_count 0
		.amdhsa_exception_fp_ieee_invalid_op 0
		.amdhsa_exception_fp_denorm_src 0
		.amdhsa_exception_fp_ieee_div_zero 0
		.amdhsa_exception_fp_ieee_overflow 0
		.amdhsa_exception_fp_ieee_underflow 0
		.amdhsa_exception_fp_ieee_inexact 0
		.amdhsa_exception_int_div_zero 0
	.end_amdhsa_kernel
	.section	.text._ZN2at6native29vectorized_elementwise_kernelILi16EZZZNS0_20trigamma_kernel_cudaERNS_18TensorIteratorBaseEENKUlvE_clEvENKUlvE_clEvEUldE_St5arrayIPcLm2EEEEviT0_T1_,"axG",@progbits,_ZN2at6native29vectorized_elementwise_kernelILi16EZZZNS0_20trigamma_kernel_cudaERNS_18TensorIteratorBaseEENKUlvE_clEvENKUlvE_clEvEUldE_St5arrayIPcLm2EEEEviT0_T1_,comdat
.Lfunc_end42:
	.size	_ZN2at6native29vectorized_elementwise_kernelILi16EZZZNS0_20trigamma_kernel_cudaERNS_18TensorIteratorBaseEENKUlvE_clEvENKUlvE_clEvEUldE_St5arrayIPcLm2EEEEviT0_T1_, .Lfunc_end42-_ZN2at6native29vectorized_elementwise_kernelILi16EZZZNS0_20trigamma_kernel_cudaERNS_18TensorIteratorBaseEENKUlvE_clEvENKUlvE_clEvEUldE_St5arrayIPcLm2EEEEviT0_T1_
                                        ; -- End function
	.set _ZN2at6native29vectorized_elementwise_kernelILi16EZZZNS0_20trigamma_kernel_cudaERNS_18TensorIteratorBaseEENKUlvE_clEvENKUlvE_clEvEUldE_St5arrayIPcLm2EEEEviT0_T1_.num_vgpr, max(41, .L_ZN2at6native25elementwise_kernel_helperILb0EZZZNS0_20trigamma_kernel_cudaERNS_18TensorIteratorBaseEENKUlvE_clEvENKUlvE_clEvEUldE_NS0_6memory8policies10vectorizedILi4ESt5arrayIPcLm2EELi4EEEEEvT0_T1_.num_vgpr, .L_ZN2at6native25elementwise_kernel_helperILb0EZZZNS0_20trigamma_kernel_cudaERNS_18TensorIteratorBaseEENKUlvE_clEvENKUlvE_clEvEUldE_NS0_6memory8policies11unroll_baseILi256ESt5arrayIPcLm2EE23TrivialOffsetCalculatorILi1EjESE_NS7_15LoadWithoutCastENS7_16StoreWithoutCastELi4ELi1EEEEEvT0_T1_.num_vgpr)
	.set _ZN2at6native29vectorized_elementwise_kernelILi16EZZZNS0_20trigamma_kernel_cudaERNS_18TensorIteratorBaseEENKUlvE_clEvENKUlvE_clEvEUldE_St5arrayIPcLm2EEEEviT0_T1_.num_agpr, max(0, .L_ZN2at6native25elementwise_kernel_helperILb0EZZZNS0_20trigamma_kernel_cudaERNS_18TensorIteratorBaseEENKUlvE_clEvENKUlvE_clEvEUldE_NS0_6memory8policies10vectorizedILi4ESt5arrayIPcLm2EELi4EEEEEvT0_T1_.num_agpr, .L_ZN2at6native25elementwise_kernel_helperILb0EZZZNS0_20trigamma_kernel_cudaERNS_18TensorIteratorBaseEENKUlvE_clEvENKUlvE_clEvEUldE_NS0_6memory8policies11unroll_baseILi256ESt5arrayIPcLm2EE23TrivialOffsetCalculatorILi1EjESE_NS7_15LoadWithoutCastENS7_16StoreWithoutCastELi4ELi1EEEEEvT0_T1_.num_agpr)
	.set _ZN2at6native29vectorized_elementwise_kernelILi16EZZZNS0_20trigamma_kernel_cudaERNS_18TensorIteratorBaseEENKUlvE_clEvENKUlvE_clEvEUldE_St5arrayIPcLm2EEEEviT0_T1_.numbered_sgpr, max(33, .L_ZN2at6native25elementwise_kernel_helperILb0EZZZNS0_20trigamma_kernel_cudaERNS_18TensorIteratorBaseEENKUlvE_clEvENKUlvE_clEvEUldE_NS0_6memory8policies10vectorizedILi4ESt5arrayIPcLm2EELi4EEEEEvT0_T1_.numbered_sgpr, .L_ZN2at6native25elementwise_kernel_helperILb0EZZZNS0_20trigamma_kernel_cudaERNS_18TensorIteratorBaseEENKUlvE_clEvENKUlvE_clEvEUldE_NS0_6memory8policies11unroll_baseILi256ESt5arrayIPcLm2EE23TrivialOffsetCalculatorILi1EjESE_NS7_15LoadWithoutCastENS7_16StoreWithoutCastELi4ELi1EEEEEvT0_T1_.numbered_sgpr)
	.set _ZN2at6native29vectorized_elementwise_kernelILi16EZZZNS0_20trigamma_kernel_cudaERNS_18TensorIteratorBaseEENKUlvE_clEvENKUlvE_clEvEUldE_St5arrayIPcLm2EEEEviT0_T1_.num_named_barrier, max(0, .L_ZN2at6native25elementwise_kernel_helperILb0EZZZNS0_20trigamma_kernel_cudaERNS_18TensorIteratorBaseEENKUlvE_clEvENKUlvE_clEvEUldE_NS0_6memory8policies10vectorizedILi4ESt5arrayIPcLm2EELi4EEEEEvT0_T1_.num_named_barrier, .L_ZN2at6native25elementwise_kernel_helperILb0EZZZNS0_20trigamma_kernel_cudaERNS_18TensorIteratorBaseEENKUlvE_clEvENKUlvE_clEvEUldE_NS0_6memory8policies11unroll_baseILi256ESt5arrayIPcLm2EE23TrivialOffsetCalculatorILi1EjESE_NS7_15LoadWithoutCastENS7_16StoreWithoutCastELi4ELi1EEEEEvT0_T1_.num_named_barrier)
	.set _ZN2at6native29vectorized_elementwise_kernelILi16EZZZNS0_20trigamma_kernel_cudaERNS_18TensorIteratorBaseEENKUlvE_clEvENKUlvE_clEvEUldE_St5arrayIPcLm2EEEEviT0_T1_.private_seg_size, 0+max(.L_ZN2at6native25elementwise_kernel_helperILb0EZZZNS0_20trigamma_kernel_cudaERNS_18TensorIteratorBaseEENKUlvE_clEvENKUlvE_clEvEUldE_NS0_6memory8policies10vectorizedILi4ESt5arrayIPcLm2EELi4EEEEEvT0_T1_.private_seg_size, .L_ZN2at6native25elementwise_kernel_helperILb0EZZZNS0_20trigamma_kernel_cudaERNS_18TensorIteratorBaseEENKUlvE_clEvENKUlvE_clEvEUldE_NS0_6memory8policies11unroll_baseILi256ESt5arrayIPcLm2EE23TrivialOffsetCalculatorILi1EjESE_NS7_15LoadWithoutCastENS7_16StoreWithoutCastELi4ELi1EEEEEvT0_T1_.private_seg_size)
	.set _ZN2at6native29vectorized_elementwise_kernelILi16EZZZNS0_20trigamma_kernel_cudaERNS_18TensorIteratorBaseEENKUlvE_clEvENKUlvE_clEvEUldE_St5arrayIPcLm2EEEEviT0_T1_.uses_vcc, or(1, .L_ZN2at6native25elementwise_kernel_helperILb0EZZZNS0_20trigamma_kernel_cudaERNS_18TensorIteratorBaseEENKUlvE_clEvENKUlvE_clEvEUldE_NS0_6memory8policies10vectorizedILi4ESt5arrayIPcLm2EELi4EEEEEvT0_T1_.uses_vcc, .L_ZN2at6native25elementwise_kernel_helperILb0EZZZNS0_20trigamma_kernel_cudaERNS_18TensorIteratorBaseEENKUlvE_clEvENKUlvE_clEvEUldE_NS0_6memory8policies11unroll_baseILi256ESt5arrayIPcLm2EE23TrivialOffsetCalculatorILi1EjESE_NS7_15LoadWithoutCastENS7_16StoreWithoutCastELi4ELi1EEEEEvT0_T1_.uses_vcc)
	.set _ZN2at6native29vectorized_elementwise_kernelILi16EZZZNS0_20trigamma_kernel_cudaERNS_18TensorIteratorBaseEENKUlvE_clEvENKUlvE_clEvEUldE_St5arrayIPcLm2EEEEviT0_T1_.uses_flat_scratch, or(0, .L_ZN2at6native25elementwise_kernel_helperILb0EZZZNS0_20trigamma_kernel_cudaERNS_18TensorIteratorBaseEENKUlvE_clEvENKUlvE_clEvEUldE_NS0_6memory8policies10vectorizedILi4ESt5arrayIPcLm2EELi4EEEEEvT0_T1_.uses_flat_scratch, .L_ZN2at6native25elementwise_kernel_helperILb0EZZZNS0_20trigamma_kernel_cudaERNS_18TensorIteratorBaseEENKUlvE_clEvENKUlvE_clEvEUldE_NS0_6memory8policies11unroll_baseILi256ESt5arrayIPcLm2EE23TrivialOffsetCalculatorILi1EjESE_NS7_15LoadWithoutCastENS7_16StoreWithoutCastELi4ELi1EEEEEvT0_T1_.uses_flat_scratch)
	.set _ZN2at6native29vectorized_elementwise_kernelILi16EZZZNS0_20trigamma_kernel_cudaERNS_18TensorIteratorBaseEENKUlvE_clEvENKUlvE_clEvEUldE_St5arrayIPcLm2EEEEviT0_T1_.has_dyn_sized_stack, or(0, .L_ZN2at6native25elementwise_kernel_helperILb0EZZZNS0_20trigamma_kernel_cudaERNS_18TensorIteratorBaseEENKUlvE_clEvENKUlvE_clEvEUldE_NS0_6memory8policies10vectorizedILi4ESt5arrayIPcLm2EELi4EEEEEvT0_T1_.has_dyn_sized_stack, .L_ZN2at6native25elementwise_kernel_helperILb0EZZZNS0_20trigamma_kernel_cudaERNS_18TensorIteratorBaseEENKUlvE_clEvENKUlvE_clEvEUldE_NS0_6memory8policies11unroll_baseILi256ESt5arrayIPcLm2EE23TrivialOffsetCalculatorILi1EjESE_NS7_15LoadWithoutCastENS7_16StoreWithoutCastELi4ELi1EEEEEvT0_T1_.has_dyn_sized_stack)
	.set _ZN2at6native29vectorized_elementwise_kernelILi16EZZZNS0_20trigamma_kernel_cudaERNS_18TensorIteratorBaseEENKUlvE_clEvENKUlvE_clEvEUldE_St5arrayIPcLm2EEEEviT0_T1_.has_recursion, or(0, .L_ZN2at6native25elementwise_kernel_helperILb0EZZZNS0_20trigamma_kernel_cudaERNS_18TensorIteratorBaseEENKUlvE_clEvENKUlvE_clEvEUldE_NS0_6memory8policies10vectorizedILi4ESt5arrayIPcLm2EELi4EEEEEvT0_T1_.has_recursion, .L_ZN2at6native25elementwise_kernel_helperILb0EZZZNS0_20trigamma_kernel_cudaERNS_18TensorIteratorBaseEENKUlvE_clEvENKUlvE_clEvEUldE_NS0_6memory8policies11unroll_baseILi256ESt5arrayIPcLm2EE23TrivialOffsetCalculatorILi1EjESE_NS7_15LoadWithoutCastENS7_16StoreWithoutCastELi4ELi1EEEEEvT0_T1_.has_recursion)
	.set _ZN2at6native29vectorized_elementwise_kernelILi16EZZZNS0_20trigamma_kernel_cudaERNS_18TensorIteratorBaseEENKUlvE_clEvENKUlvE_clEvEUldE_St5arrayIPcLm2EEEEviT0_T1_.has_indirect_call, or(0, .L_ZN2at6native25elementwise_kernel_helperILb0EZZZNS0_20trigamma_kernel_cudaERNS_18TensorIteratorBaseEENKUlvE_clEvENKUlvE_clEvEUldE_NS0_6memory8policies10vectorizedILi4ESt5arrayIPcLm2EELi4EEEEEvT0_T1_.has_indirect_call, .L_ZN2at6native25elementwise_kernel_helperILb0EZZZNS0_20trigamma_kernel_cudaERNS_18TensorIteratorBaseEENKUlvE_clEvENKUlvE_clEvEUldE_NS0_6memory8policies11unroll_baseILi256ESt5arrayIPcLm2EE23TrivialOffsetCalculatorILi1EjESE_NS7_15LoadWithoutCastENS7_16StoreWithoutCastELi4ELi1EEEEEvT0_T1_.has_indirect_call)
	.section	.AMDGPU.csdata,"",@progbits
; Kernel info:
; codeLenInByte = 184
; TotalNumSgprs: 35
; NumVgprs: 82
; ScratchSize: 0
; MemoryBound: 0
; FloatMode: 240
; IeeeMode: 1
; LDSByteSize: 0 bytes/workgroup (compile time only)
; SGPRBlocks: 0
; VGPRBlocks: 10
; NumSGPRsForWavesPerEU: 35
; NumVGPRsForWavesPerEU: 82
; Occupancy: 10
; WaveLimiterHint : 0
; COMPUTE_PGM_RSRC2:SCRATCH_EN: 0
; COMPUTE_PGM_RSRC2:USER_SGPR: 6
; COMPUTE_PGM_RSRC2:TRAP_HANDLER: 0
; COMPUTE_PGM_RSRC2:TGID_X_EN: 1
; COMPUTE_PGM_RSRC2:TGID_Y_EN: 0
; COMPUTE_PGM_RSRC2:TGID_Z_EN: 0
; COMPUTE_PGM_RSRC2:TIDIG_COMP_CNT: 0
	.section	.text._ZN2at6native29vectorized_elementwise_kernelILi8EZZZNS0_20trigamma_kernel_cudaERNS_18TensorIteratorBaseEENKUlvE_clEvENKUlvE_clEvEUldE_St5arrayIPcLm2EEEEviT0_T1_,"axG",@progbits,_ZN2at6native29vectorized_elementwise_kernelILi8EZZZNS0_20trigamma_kernel_cudaERNS_18TensorIteratorBaseEENKUlvE_clEvENKUlvE_clEvEUldE_St5arrayIPcLm2EEEEviT0_T1_,comdat
	.globl	_ZN2at6native29vectorized_elementwise_kernelILi8EZZZNS0_20trigamma_kernel_cudaERNS_18TensorIteratorBaseEENKUlvE_clEvENKUlvE_clEvEUldE_St5arrayIPcLm2EEEEviT0_T1_ ; -- Begin function _ZN2at6native29vectorized_elementwise_kernelILi8EZZZNS0_20trigamma_kernel_cudaERNS_18TensorIteratorBaseEENKUlvE_clEvENKUlvE_clEvEUldE_St5arrayIPcLm2EEEEviT0_T1_
	.p2align	8
	.type	_ZN2at6native29vectorized_elementwise_kernelILi8EZZZNS0_20trigamma_kernel_cudaERNS_18TensorIteratorBaseEENKUlvE_clEvENKUlvE_clEvEUldE_St5arrayIPcLm2EEEEviT0_T1_,@function
_ZN2at6native29vectorized_elementwise_kernelILi8EZZZNS0_20trigamma_kernel_cudaERNS_18TensorIteratorBaseEENKUlvE_clEvENKUlvE_clEvEUldE_St5arrayIPcLm2EEEEviT0_T1_: ; @_ZN2at6native29vectorized_elementwise_kernelILi8EZZZNS0_20trigamma_kernel_cudaERNS_18TensorIteratorBaseEENKUlvE_clEvENKUlvE_clEvEUldE_St5arrayIPcLm2EEEEviT0_T1_
; %bb.0:
	s_mov_b32 s14, s6
	s_clause 0x1
	s_load_dword s6, s[4:5], 0x0
	s_load_dwordx4 s[16:19], s[4:5], 0x8
	s_add_u32 s0, s0, s7
	s_addc_u32 s1, s1, 0
	s_lshl_b32 s4, s14, 10
	v_mov_b32_e32 v40, v0
	s_mov_b32 s32, 0
	s_waitcnt lgkmcnt(0)
	s_sub_i32 s15, s6, s4
	s_mov_b32 s4, -1
	s_cmpk_gt_i32 s15, 0x3ff
	s_cbranch_scc1 .LBB43_3
; %bb.1:
	s_andn2_b32 vcc_lo, exec_lo, s4
	s_cbranch_vccz .LBB43_4
.LBB43_2:
	s_endpgm
.LBB43_3:
	v_mov_b32_e32 v31, v40
	v_mov_b32_e32 v0, s16
	;; [unrolled: 1-line block ×5, first 2 shown]
	s_getpc_b64 s[4:5]
	s_add_u32 s4, s4, _ZN2at6native25elementwise_kernel_helperILb0EZZZNS0_20trigamma_kernel_cudaERNS_18TensorIteratorBaseEENKUlvE_clEvENKUlvE_clEvEUldE_NS0_6memory8policies10vectorizedILi4ESt5arrayIPcLm2EELi4EEEEEvT0_T1_@rel32@lo+4
	s_addc_u32 s5, s5, _ZN2at6native25elementwise_kernel_helperILb0EZZZNS0_20trigamma_kernel_cudaERNS_18TensorIteratorBaseEENKUlvE_clEvENKUlvE_clEvEUldE_NS0_6memory8policies10vectorizedILi4ESt5arrayIPcLm2EELi4EEEEEvT0_T1_@rel32@hi+12
	s_mov_b32 s12, s14
	s_swappc_b64 s[30:31], s[4:5]
	s_cbranch_execnz .LBB43_2
.LBB43_4:
	v_mov_b32_e32 v31, v40
	v_mov_b32_e32 v0, s16
	;; [unrolled: 1-line block ×6, first 2 shown]
	s_getpc_b64 s[4:5]
	s_add_u32 s4, s4, _ZN2at6native25elementwise_kernel_helperILb0EZZZNS0_20trigamma_kernel_cudaERNS_18TensorIteratorBaseEENKUlvE_clEvENKUlvE_clEvEUldE_NS0_6memory8policies11unroll_baseILi256ESt5arrayIPcLm2EE23TrivialOffsetCalculatorILi1EjESE_NS7_15LoadWithoutCastENS7_16StoreWithoutCastELi4ELi1EEEEEvT0_T1_@rel32@lo+4
	s_addc_u32 s5, s5, _ZN2at6native25elementwise_kernel_helperILb0EZZZNS0_20trigamma_kernel_cudaERNS_18TensorIteratorBaseEENKUlvE_clEvENKUlvE_clEvEUldE_NS0_6memory8policies11unroll_baseILi256ESt5arrayIPcLm2EE23TrivialOffsetCalculatorILi1EjESE_NS7_15LoadWithoutCastENS7_16StoreWithoutCastELi4ELi1EEEEEvT0_T1_@rel32@hi+12
	s_mov_b32 s12, s14
	s_swappc_b64 s[30:31], s[4:5]
	s_endpgm
	.section	.rodata,"a",@progbits
	.p2align	6, 0x0
	.amdhsa_kernel _ZN2at6native29vectorized_elementwise_kernelILi8EZZZNS0_20trigamma_kernel_cudaERNS_18TensorIteratorBaseEENKUlvE_clEvENKUlvE_clEvEUldE_St5arrayIPcLm2EEEEviT0_T1_
		.amdhsa_group_segment_fixed_size 0
		.amdhsa_private_segment_fixed_size 0
		.amdhsa_kernarg_size 24
		.amdhsa_user_sgpr_count 6
		.amdhsa_user_sgpr_private_segment_buffer 1
		.amdhsa_user_sgpr_dispatch_ptr 0
		.amdhsa_user_sgpr_queue_ptr 0
		.amdhsa_user_sgpr_kernarg_segment_ptr 1
		.amdhsa_user_sgpr_dispatch_id 0
		.amdhsa_user_sgpr_flat_scratch_init 0
		.amdhsa_user_sgpr_private_segment_size 0
		.amdhsa_wavefront_size32 1
		.amdhsa_uses_dynamic_stack 0
		.amdhsa_system_sgpr_private_segment_wavefront_offset 0
		.amdhsa_system_sgpr_workgroup_id_x 1
		.amdhsa_system_sgpr_workgroup_id_y 0
		.amdhsa_system_sgpr_workgroup_id_z 0
		.amdhsa_system_sgpr_workgroup_info 0
		.amdhsa_system_vgpr_workitem_id 0
		.amdhsa_next_free_vgpr 82
		.amdhsa_next_free_sgpr 33
		.amdhsa_reserve_vcc 1
		.amdhsa_reserve_flat_scratch 1
		.amdhsa_float_round_mode_32 0
		.amdhsa_float_round_mode_16_64 0
		.amdhsa_float_denorm_mode_32 3
		.amdhsa_float_denorm_mode_16_64 3
		.amdhsa_dx10_clamp 1
		.amdhsa_ieee_mode 1
		.amdhsa_fp16_overflow 0
		.amdhsa_workgroup_processor_mode 1
		.amdhsa_memory_ordered 1
		.amdhsa_forward_progress 1
		.amdhsa_shared_vgpr_count 0
		.amdhsa_exception_fp_ieee_invalid_op 0
		.amdhsa_exception_fp_denorm_src 0
		.amdhsa_exception_fp_ieee_div_zero 0
		.amdhsa_exception_fp_ieee_overflow 0
		.amdhsa_exception_fp_ieee_underflow 0
		.amdhsa_exception_fp_ieee_inexact 0
		.amdhsa_exception_int_div_zero 0
	.end_amdhsa_kernel
	.section	.text._ZN2at6native29vectorized_elementwise_kernelILi8EZZZNS0_20trigamma_kernel_cudaERNS_18TensorIteratorBaseEENKUlvE_clEvENKUlvE_clEvEUldE_St5arrayIPcLm2EEEEviT0_T1_,"axG",@progbits,_ZN2at6native29vectorized_elementwise_kernelILi8EZZZNS0_20trigamma_kernel_cudaERNS_18TensorIteratorBaseEENKUlvE_clEvENKUlvE_clEvEUldE_St5arrayIPcLm2EEEEviT0_T1_,comdat
.Lfunc_end43:
	.size	_ZN2at6native29vectorized_elementwise_kernelILi8EZZZNS0_20trigamma_kernel_cudaERNS_18TensorIteratorBaseEENKUlvE_clEvENKUlvE_clEvEUldE_St5arrayIPcLm2EEEEviT0_T1_, .Lfunc_end43-_ZN2at6native29vectorized_elementwise_kernelILi8EZZZNS0_20trigamma_kernel_cudaERNS_18TensorIteratorBaseEENKUlvE_clEvENKUlvE_clEvEUldE_St5arrayIPcLm2EEEEviT0_T1_
                                        ; -- End function
	.set _ZN2at6native29vectorized_elementwise_kernelILi8EZZZNS0_20trigamma_kernel_cudaERNS_18TensorIteratorBaseEENKUlvE_clEvENKUlvE_clEvEUldE_St5arrayIPcLm2EEEEviT0_T1_.num_vgpr, max(41, .L_ZN2at6native25elementwise_kernel_helperILb0EZZZNS0_20trigamma_kernel_cudaERNS_18TensorIteratorBaseEENKUlvE_clEvENKUlvE_clEvEUldE_NS0_6memory8policies10vectorizedILi4ESt5arrayIPcLm2EELi4EEEEEvT0_T1_.num_vgpr, .L_ZN2at6native25elementwise_kernel_helperILb0EZZZNS0_20trigamma_kernel_cudaERNS_18TensorIteratorBaseEENKUlvE_clEvENKUlvE_clEvEUldE_NS0_6memory8policies11unroll_baseILi256ESt5arrayIPcLm2EE23TrivialOffsetCalculatorILi1EjESE_NS7_15LoadWithoutCastENS7_16StoreWithoutCastELi4ELi1EEEEEvT0_T1_.num_vgpr)
	.set _ZN2at6native29vectorized_elementwise_kernelILi8EZZZNS0_20trigamma_kernel_cudaERNS_18TensorIteratorBaseEENKUlvE_clEvENKUlvE_clEvEUldE_St5arrayIPcLm2EEEEviT0_T1_.num_agpr, max(0, .L_ZN2at6native25elementwise_kernel_helperILb0EZZZNS0_20trigamma_kernel_cudaERNS_18TensorIteratorBaseEENKUlvE_clEvENKUlvE_clEvEUldE_NS0_6memory8policies10vectorizedILi4ESt5arrayIPcLm2EELi4EEEEEvT0_T1_.num_agpr, .L_ZN2at6native25elementwise_kernel_helperILb0EZZZNS0_20trigamma_kernel_cudaERNS_18TensorIteratorBaseEENKUlvE_clEvENKUlvE_clEvEUldE_NS0_6memory8policies11unroll_baseILi256ESt5arrayIPcLm2EE23TrivialOffsetCalculatorILi1EjESE_NS7_15LoadWithoutCastENS7_16StoreWithoutCastELi4ELi1EEEEEvT0_T1_.num_agpr)
	.set _ZN2at6native29vectorized_elementwise_kernelILi8EZZZNS0_20trigamma_kernel_cudaERNS_18TensorIteratorBaseEENKUlvE_clEvENKUlvE_clEvEUldE_St5arrayIPcLm2EEEEviT0_T1_.numbered_sgpr, max(33, .L_ZN2at6native25elementwise_kernel_helperILb0EZZZNS0_20trigamma_kernel_cudaERNS_18TensorIteratorBaseEENKUlvE_clEvENKUlvE_clEvEUldE_NS0_6memory8policies10vectorizedILi4ESt5arrayIPcLm2EELi4EEEEEvT0_T1_.numbered_sgpr, .L_ZN2at6native25elementwise_kernel_helperILb0EZZZNS0_20trigamma_kernel_cudaERNS_18TensorIteratorBaseEENKUlvE_clEvENKUlvE_clEvEUldE_NS0_6memory8policies11unroll_baseILi256ESt5arrayIPcLm2EE23TrivialOffsetCalculatorILi1EjESE_NS7_15LoadWithoutCastENS7_16StoreWithoutCastELi4ELi1EEEEEvT0_T1_.numbered_sgpr)
	.set _ZN2at6native29vectorized_elementwise_kernelILi8EZZZNS0_20trigamma_kernel_cudaERNS_18TensorIteratorBaseEENKUlvE_clEvENKUlvE_clEvEUldE_St5arrayIPcLm2EEEEviT0_T1_.num_named_barrier, max(0, .L_ZN2at6native25elementwise_kernel_helperILb0EZZZNS0_20trigamma_kernel_cudaERNS_18TensorIteratorBaseEENKUlvE_clEvENKUlvE_clEvEUldE_NS0_6memory8policies10vectorizedILi4ESt5arrayIPcLm2EELi4EEEEEvT0_T1_.num_named_barrier, .L_ZN2at6native25elementwise_kernel_helperILb0EZZZNS0_20trigamma_kernel_cudaERNS_18TensorIteratorBaseEENKUlvE_clEvENKUlvE_clEvEUldE_NS0_6memory8policies11unroll_baseILi256ESt5arrayIPcLm2EE23TrivialOffsetCalculatorILi1EjESE_NS7_15LoadWithoutCastENS7_16StoreWithoutCastELi4ELi1EEEEEvT0_T1_.num_named_barrier)
	.set _ZN2at6native29vectorized_elementwise_kernelILi8EZZZNS0_20trigamma_kernel_cudaERNS_18TensorIteratorBaseEENKUlvE_clEvENKUlvE_clEvEUldE_St5arrayIPcLm2EEEEviT0_T1_.private_seg_size, 0+max(.L_ZN2at6native25elementwise_kernel_helperILb0EZZZNS0_20trigamma_kernel_cudaERNS_18TensorIteratorBaseEENKUlvE_clEvENKUlvE_clEvEUldE_NS0_6memory8policies10vectorizedILi4ESt5arrayIPcLm2EELi4EEEEEvT0_T1_.private_seg_size, .L_ZN2at6native25elementwise_kernel_helperILb0EZZZNS0_20trigamma_kernel_cudaERNS_18TensorIteratorBaseEENKUlvE_clEvENKUlvE_clEvEUldE_NS0_6memory8policies11unroll_baseILi256ESt5arrayIPcLm2EE23TrivialOffsetCalculatorILi1EjESE_NS7_15LoadWithoutCastENS7_16StoreWithoutCastELi4ELi1EEEEEvT0_T1_.private_seg_size)
	.set _ZN2at6native29vectorized_elementwise_kernelILi8EZZZNS0_20trigamma_kernel_cudaERNS_18TensorIteratorBaseEENKUlvE_clEvENKUlvE_clEvEUldE_St5arrayIPcLm2EEEEviT0_T1_.uses_vcc, or(1, .L_ZN2at6native25elementwise_kernel_helperILb0EZZZNS0_20trigamma_kernel_cudaERNS_18TensorIteratorBaseEENKUlvE_clEvENKUlvE_clEvEUldE_NS0_6memory8policies10vectorizedILi4ESt5arrayIPcLm2EELi4EEEEEvT0_T1_.uses_vcc, .L_ZN2at6native25elementwise_kernel_helperILb0EZZZNS0_20trigamma_kernel_cudaERNS_18TensorIteratorBaseEENKUlvE_clEvENKUlvE_clEvEUldE_NS0_6memory8policies11unroll_baseILi256ESt5arrayIPcLm2EE23TrivialOffsetCalculatorILi1EjESE_NS7_15LoadWithoutCastENS7_16StoreWithoutCastELi4ELi1EEEEEvT0_T1_.uses_vcc)
	.set _ZN2at6native29vectorized_elementwise_kernelILi8EZZZNS0_20trigamma_kernel_cudaERNS_18TensorIteratorBaseEENKUlvE_clEvENKUlvE_clEvEUldE_St5arrayIPcLm2EEEEviT0_T1_.uses_flat_scratch, or(0, .L_ZN2at6native25elementwise_kernel_helperILb0EZZZNS0_20trigamma_kernel_cudaERNS_18TensorIteratorBaseEENKUlvE_clEvENKUlvE_clEvEUldE_NS0_6memory8policies10vectorizedILi4ESt5arrayIPcLm2EELi4EEEEEvT0_T1_.uses_flat_scratch, .L_ZN2at6native25elementwise_kernel_helperILb0EZZZNS0_20trigamma_kernel_cudaERNS_18TensorIteratorBaseEENKUlvE_clEvENKUlvE_clEvEUldE_NS0_6memory8policies11unroll_baseILi256ESt5arrayIPcLm2EE23TrivialOffsetCalculatorILi1EjESE_NS7_15LoadWithoutCastENS7_16StoreWithoutCastELi4ELi1EEEEEvT0_T1_.uses_flat_scratch)
	.set _ZN2at6native29vectorized_elementwise_kernelILi8EZZZNS0_20trigamma_kernel_cudaERNS_18TensorIteratorBaseEENKUlvE_clEvENKUlvE_clEvEUldE_St5arrayIPcLm2EEEEviT0_T1_.has_dyn_sized_stack, or(0, .L_ZN2at6native25elementwise_kernel_helperILb0EZZZNS0_20trigamma_kernel_cudaERNS_18TensorIteratorBaseEENKUlvE_clEvENKUlvE_clEvEUldE_NS0_6memory8policies10vectorizedILi4ESt5arrayIPcLm2EELi4EEEEEvT0_T1_.has_dyn_sized_stack, .L_ZN2at6native25elementwise_kernel_helperILb0EZZZNS0_20trigamma_kernel_cudaERNS_18TensorIteratorBaseEENKUlvE_clEvENKUlvE_clEvEUldE_NS0_6memory8policies11unroll_baseILi256ESt5arrayIPcLm2EE23TrivialOffsetCalculatorILi1EjESE_NS7_15LoadWithoutCastENS7_16StoreWithoutCastELi4ELi1EEEEEvT0_T1_.has_dyn_sized_stack)
	.set _ZN2at6native29vectorized_elementwise_kernelILi8EZZZNS0_20trigamma_kernel_cudaERNS_18TensorIteratorBaseEENKUlvE_clEvENKUlvE_clEvEUldE_St5arrayIPcLm2EEEEviT0_T1_.has_recursion, or(0, .L_ZN2at6native25elementwise_kernel_helperILb0EZZZNS0_20trigamma_kernel_cudaERNS_18TensorIteratorBaseEENKUlvE_clEvENKUlvE_clEvEUldE_NS0_6memory8policies10vectorizedILi4ESt5arrayIPcLm2EELi4EEEEEvT0_T1_.has_recursion, .L_ZN2at6native25elementwise_kernel_helperILb0EZZZNS0_20trigamma_kernel_cudaERNS_18TensorIteratorBaseEENKUlvE_clEvENKUlvE_clEvEUldE_NS0_6memory8policies11unroll_baseILi256ESt5arrayIPcLm2EE23TrivialOffsetCalculatorILi1EjESE_NS7_15LoadWithoutCastENS7_16StoreWithoutCastELi4ELi1EEEEEvT0_T1_.has_recursion)
	.set _ZN2at6native29vectorized_elementwise_kernelILi8EZZZNS0_20trigamma_kernel_cudaERNS_18TensorIteratorBaseEENKUlvE_clEvENKUlvE_clEvEUldE_St5arrayIPcLm2EEEEviT0_T1_.has_indirect_call, or(0, .L_ZN2at6native25elementwise_kernel_helperILb0EZZZNS0_20trigamma_kernel_cudaERNS_18TensorIteratorBaseEENKUlvE_clEvENKUlvE_clEvEUldE_NS0_6memory8policies10vectorizedILi4ESt5arrayIPcLm2EELi4EEEEEvT0_T1_.has_indirect_call, .L_ZN2at6native25elementwise_kernel_helperILb0EZZZNS0_20trigamma_kernel_cudaERNS_18TensorIteratorBaseEENKUlvE_clEvENKUlvE_clEvEUldE_NS0_6memory8policies11unroll_baseILi256ESt5arrayIPcLm2EE23TrivialOffsetCalculatorILi1EjESE_NS7_15LoadWithoutCastENS7_16StoreWithoutCastELi4ELi1EEEEEvT0_T1_.has_indirect_call)
	.section	.AMDGPU.csdata,"",@progbits
; Kernel info:
; codeLenInByte = 184
; TotalNumSgprs: 35
; NumVgprs: 82
; ScratchSize: 0
; MemoryBound: 0
; FloatMode: 240
; IeeeMode: 1
; LDSByteSize: 0 bytes/workgroup (compile time only)
; SGPRBlocks: 0
; VGPRBlocks: 10
; NumSGPRsForWavesPerEU: 35
; NumVGPRsForWavesPerEU: 82
; Occupancy: 10
; WaveLimiterHint : 0
; COMPUTE_PGM_RSRC2:SCRATCH_EN: 0
; COMPUTE_PGM_RSRC2:USER_SGPR: 6
; COMPUTE_PGM_RSRC2:TRAP_HANDLER: 0
; COMPUTE_PGM_RSRC2:TGID_X_EN: 1
; COMPUTE_PGM_RSRC2:TGID_Y_EN: 0
; COMPUTE_PGM_RSRC2:TGID_Z_EN: 0
; COMPUTE_PGM_RSRC2:TIDIG_COMP_CNT: 0
	.section	.text._ZN2at6native29vectorized_elementwise_kernelILi4EZZZNS0_20trigamma_kernel_cudaERNS_18TensorIteratorBaseEENKUlvE_clEvENKUlvE_clEvEUldE_St5arrayIPcLm2EEEEviT0_T1_,"axG",@progbits,_ZN2at6native29vectorized_elementwise_kernelILi4EZZZNS0_20trigamma_kernel_cudaERNS_18TensorIteratorBaseEENKUlvE_clEvENKUlvE_clEvEUldE_St5arrayIPcLm2EEEEviT0_T1_,comdat
	.globl	_ZN2at6native29vectorized_elementwise_kernelILi4EZZZNS0_20trigamma_kernel_cudaERNS_18TensorIteratorBaseEENKUlvE_clEvENKUlvE_clEvEUldE_St5arrayIPcLm2EEEEviT0_T1_ ; -- Begin function _ZN2at6native29vectorized_elementwise_kernelILi4EZZZNS0_20trigamma_kernel_cudaERNS_18TensorIteratorBaseEENKUlvE_clEvENKUlvE_clEvEUldE_St5arrayIPcLm2EEEEviT0_T1_
	.p2align	8
	.type	_ZN2at6native29vectorized_elementwise_kernelILi4EZZZNS0_20trigamma_kernel_cudaERNS_18TensorIteratorBaseEENKUlvE_clEvENKUlvE_clEvEUldE_St5arrayIPcLm2EEEEviT0_T1_,@function
_ZN2at6native29vectorized_elementwise_kernelILi4EZZZNS0_20trigamma_kernel_cudaERNS_18TensorIteratorBaseEENKUlvE_clEvENKUlvE_clEvEUldE_St5arrayIPcLm2EEEEviT0_T1_: ; @_ZN2at6native29vectorized_elementwise_kernelILi4EZZZNS0_20trigamma_kernel_cudaERNS_18TensorIteratorBaseEENKUlvE_clEvENKUlvE_clEvEUldE_St5arrayIPcLm2EEEEviT0_T1_
; %bb.0:
	s_mov_b32 s14, s6
	s_clause 0x1
	s_load_dword s6, s[4:5], 0x0
	s_load_dwordx4 s[16:19], s[4:5], 0x8
	s_add_u32 s0, s0, s7
	s_addc_u32 s1, s1, 0
	s_lshl_b32 s4, s14, 10
	v_mov_b32_e32 v40, v0
	s_mov_b32 s32, 0
	s_waitcnt lgkmcnt(0)
	s_sub_i32 s15, s6, s4
	s_mov_b32 s4, -1
	s_cmpk_gt_i32 s15, 0x3ff
	s_cbranch_scc1 .LBB44_3
; %bb.1:
	s_andn2_b32 vcc_lo, exec_lo, s4
	s_cbranch_vccz .LBB44_4
.LBB44_2:
	s_endpgm
.LBB44_3:
	v_mov_b32_e32 v31, v40
	v_mov_b32_e32 v0, s16
	;; [unrolled: 1-line block ×5, first 2 shown]
	s_getpc_b64 s[4:5]
	s_add_u32 s4, s4, _ZN2at6native25elementwise_kernel_helperILb0EZZZNS0_20trigamma_kernel_cudaERNS_18TensorIteratorBaseEENKUlvE_clEvENKUlvE_clEvEUldE_NS0_6memory8policies10vectorizedILi4ESt5arrayIPcLm2EELi4EEEEEvT0_T1_@rel32@lo+4
	s_addc_u32 s5, s5, _ZN2at6native25elementwise_kernel_helperILb0EZZZNS0_20trigamma_kernel_cudaERNS_18TensorIteratorBaseEENKUlvE_clEvENKUlvE_clEvEUldE_NS0_6memory8policies10vectorizedILi4ESt5arrayIPcLm2EELi4EEEEEvT0_T1_@rel32@hi+12
	s_mov_b32 s12, s14
	s_swappc_b64 s[30:31], s[4:5]
	s_cbranch_execnz .LBB44_2
.LBB44_4:
	v_mov_b32_e32 v31, v40
	v_mov_b32_e32 v0, s16
	;; [unrolled: 1-line block ×6, first 2 shown]
	s_getpc_b64 s[4:5]
	s_add_u32 s4, s4, _ZN2at6native25elementwise_kernel_helperILb0EZZZNS0_20trigamma_kernel_cudaERNS_18TensorIteratorBaseEENKUlvE_clEvENKUlvE_clEvEUldE_NS0_6memory8policies11unroll_baseILi256ESt5arrayIPcLm2EE23TrivialOffsetCalculatorILi1EjESE_NS7_15LoadWithoutCastENS7_16StoreWithoutCastELi4ELi1EEEEEvT0_T1_@rel32@lo+4
	s_addc_u32 s5, s5, _ZN2at6native25elementwise_kernel_helperILb0EZZZNS0_20trigamma_kernel_cudaERNS_18TensorIteratorBaseEENKUlvE_clEvENKUlvE_clEvEUldE_NS0_6memory8policies11unroll_baseILi256ESt5arrayIPcLm2EE23TrivialOffsetCalculatorILi1EjESE_NS7_15LoadWithoutCastENS7_16StoreWithoutCastELi4ELi1EEEEEvT0_T1_@rel32@hi+12
	s_mov_b32 s12, s14
	s_swappc_b64 s[30:31], s[4:5]
	s_endpgm
	.section	.rodata,"a",@progbits
	.p2align	6, 0x0
	.amdhsa_kernel _ZN2at6native29vectorized_elementwise_kernelILi4EZZZNS0_20trigamma_kernel_cudaERNS_18TensorIteratorBaseEENKUlvE_clEvENKUlvE_clEvEUldE_St5arrayIPcLm2EEEEviT0_T1_
		.amdhsa_group_segment_fixed_size 0
		.amdhsa_private_segment_fixed_size 0
		.amdhsa_kernarg_size 24
		.amdhsa_user_sgpr_count 6
		.amdhsa_user_sgpr_private_segment_buffer 1
		.amdhsa_user_sgpr_dispatch_ptr 0
		.amdhsa_user_sgpr_queue_ptr 0
		.amdhsa_user_sgpr_kernarg_segment_ptr 1
		.amdhsa_user_sgpr_dispatch_id 0
		.amdhsa_user_sgpr_flat_scratch_init 0
		.amdhsa_user_sgpr_private_segment_size 0
		.amdhsa_wavefront_size32 1
		.amdhsa_uses_dynamic_stack 0
		.amdhsa_system_sgpr_private_segment_wavefront_offset 0
		.amdhsa_system_sgpr_workgroup_id_x 1
		.amdhsa_system_sgpr_workgroup_id_y 0
		.amdhsa_system_sgpr_workgroup_id_z 0
		.amdhsa_system_sgpr_workgroup_info 0
		.amdhsa_system_vgpr_workitem_id 0
		.amdhsa_next_free_vgpr 82
		.amdhsa_next_free_sgpr 33
		.amdhsa_reserve_vcc 1
		.amdhsa_reserve_flat_scratch 1
		.amdhsa_float_round_mode_32 0
		.amdhsa_float_round_mode_16_64 0
		.amdhsa_float_denorm_mode_32 3
		.amdhsa_float_denorm_mode_16_64 3
		.amdhsa_dx10_clamp 1
		.amdhsa_ieee_mode 1
		.amdhsa_fp16_overflow 0
		.amdhsa_workgroup_processor_mode 1
		.amdhsa_memory_ordered 1
		.amdhsa_forward_progress 1
		.amdhsa_shared_vgpr_count 0
		.amdhsa_exception_fp_ieee_invalid_op 0
		.amdhsa_exception_fp_denorm_src 0
		.amdhsa_exception_fp_ieee_div_zero 0
		.amdhsa_exception_fp_ieee_overflow 0
		.amdhsa_exception_fp_ieee_underflow 0
		.amdhsa_exception_fp_ieee_inexact 0
		.amdhsa_exception_int_div_zero 0
	.end_amdhsa_kernel
	.section	.text._ZN2at6native29vectorized_elementwise_kernelILi4EZZZNS0_20trigamma_kernel_cudaERNS_18TensorIteratorBaseEENKUlvE_clEvENKUlvE_clEvEUldE_St5arrayIPcLm2EEEEviT0_T1_,"axG",@progbits,_ZN2at6native29vectorized_elementwise_kernelILi4EZZZNS0_20trigamma_kernel_cudaERNS_18TensorIteratorBaseEENKUlvE_clEvENKUlvE_clEvEUldE_St5arrayIPcLm2EEEEviT0_T1_,comdat
.Lfunc_end44:
	.size	_ZN2at6native29vectorized_elementwise_kernelILi4EZZZNS0_20trigamma_kernel_cudaERNS_18TensorIteratorBaseEENKUlvE_clEvENKUlvE_clEvEUldE_St5arrayIPcLm2EEEEviT0_T1_, .Lfunc_end44-_ZN2at6native29vectorized_elementwise_kernelILi4EZZZNS0_20trigamma_kernel_cudaERNS_18TensorIteratorBaseEENKUlvE_clEvENKUlvE_clEvEUldE_St5arrayIPcLm2EEEEviT0_T1_
                                        ; -- End function
	.set _ZN2at6native29vectorized_elementwise_kernelILi4EZZZNS0_20trigamma_kernel_cudaERNS_18TensorIteratorBaseEENKUlvE_clEvENKUlvE_clEvEUldE_St5arrayIPcLm2EEEEviT0_T1_.num_vgpr, max(41, .L_ZN2at6native25elementwise_kernel_helperILb0EZZZNS0_20trigamma_kernel_cudaERNS_18TensorIteratorBaseEENKUlvE_clEvENKUlvE_clEvEUldE_NS0_6memory8policies10vectorizedILi4ESt5arrayIPcLm2EELi4EEEEEvT0_T1_.num_vgpr, .L_ZN2at6native25elementwise_kernel_helperILb0EZZZNS0_20trigamma_kernel_cudaERNS_18TensorIteratorBaseEENKUlvE_clEvENKUlvE_clEvEUldE_NS0_6memory8policies11unroll_baseILi256ESt5arrayIPcLm2EE23TrivialOffsetCalculatorILi1EjESE_NS7_15LoadWithoutCastENS7_16StoreWithoutCastELi4ELi1EEEEEvT0_T1_.num_vgpr)
	.set _ZN2at6native29vectorized_elementwise_kernelILi4EZZZNS0_20trigamma_kernel_cudaERNS_18TensorIteratorBaseEENKUlvE_clEvENKUlvE_clEvEUldE_St5arrayIPcLm2EEEEviT0_T1_.num_agpr, max(0, .L_ZN2at6native25elementwise_kernel_helperILb0EZZZNS0_20trigamma_kernel_cudaERNS_18TensorIteratorBaseEENKUlvE_clEvENKUlvE_clEvEUldE_NS0_6memory8policies10vectorizedILi4ESt5arrayIPcLm2EELi4EEEEEvT0_T1_.num_agpr, .L_ZN2at6native25elementwise_kernel_helperILb0EZZZNS0_20trigamma_kernel_cudaERNS_18TensorIteratorBaseEENKUlvE_clEvENKUlvE_clEvEUldE_NS0_6memory8policies11unroll_baseILi256ESt5arrayIPcLm2EE23TrivialOffsetCalculatorILi1EjESE_NS7_15LoadWithoutCastENS7_16StoreWithoutCastELi4ELi1EEEEEvT0_T1_.num_agpr)
	.set _ZN2at6native29vectorized_elementwise_kernelILi4EZZZNS0_20trigamma_kernel_cudaERNS_18TensorIteratorBaseEENKUlvE_clEvENKUlvE_clEvEUldE_St5arrayIPcLm2EEEEviT0_T1_.numbered_sgpr, max(33, .L_ZN2at6native25elementwise_kernel_helperILb0EZZZNS0_20trigamma_kernel_cudaERNS_18TensorIteratorBaseEENKUlvE_clEvENKUlvE_clEvEUldE_NS0_6memory8policies10vectorizedILi4ESt5arrayIPcLm2EELi4EEEEEvT0_T1_.numbered_sgpr, .L_ZN2at6native25elementwise_kernel_helperILb0EZZZNS0_20trigamma_kernel_cudaERNS_18TensorIteratorBaseEENKUlvE_clEvENKUlvE_clEvEUldE_NS0_6memory8policies11unroll_baseILi256ESt5arrayIPcLm2EE23TrivialOffsetCalculatorILi1EjESE_NS7_15LoadWithoutCastENS7_16StoreWithoutCastELi4ELi1EEEEEvT0_T1_.numbered_sgpr)
	.set _ZN2at6native29vectorized_elementwise_kernelILi4EZZZNS0_20trigamma_kernel_cudaERNS_18TensorIteratorBaseEENKUlvE_clEvENKUlvE_clEvEUldE_St5arrayIPcLm2EEEEviT0_T1_.num_named_barrier, max(0, .L_ZN2at6native25elementwise_kernel_helperILb0EZZZNS0_20trigamma_kernel_cudaERNS_18TensorIteratorBaseEENKUlvE_clEvENKUlvE_clEvEUldE_NS0_6memory8policies10vectorizedILi4ESt5arrayIPcLm2EELi4EEEEEvT0_T1_.num_named_barrier, .L_ZN2at6native25elementwise_kernel_helperILb0EZZZNS0_20trigamma_kernel_cudaERNS_18TensorIteratorBaseEENKUlvE_clEvENKUlvE_clEvEUldE_NS0_6memory8policies11unroll_baseILi256ESt5arrayIPcLm2EE23TrivialOffsetCalculatorILi1EjESE_NS7_15LoadWithoutCastENS7_16StoreWithoutCastELi4ELi1EEEEEvT0_T1_.num_named_barrier)
	.set _ZN2at6native29vectorized_elementwise_kernelILi4EZZZNS0_20trigamma_kernel_cudaERNS_18TensorIteratorBaseEENKUlvE_clEvENKUlvE_clEvEUldE_St5arrayIPcLm2EEEEviT0_T1_.private_seg_size, 0+max(.L_ZN2at6native25elementwise_kernel_helperILb0EZZZNS0_20trigamma_kernel_cudaERNS_18TensorIteratorBaseEENKUlvE_clEvENKUlvE_clEvEUldE_NS0_6memory8policies10vectorizedILi4ESt5arrayIPcLm2EELi4EEEEEvT0_T1_.private_seg_size, .L_ZN2at6native25elementwise_kernel_helperILb0EZZZNS0_20trigamma_kernel_cudaERNS_18TensorIteratorBaseEENKUlvE_clEvENKUlvE_clEvEUldE_NS0_6memory8policies11unroll_baseILi256ESt5arrayIPcLm2EE23TrivialOffsetCalculatorILi1EjESE_NS7_15LoadWithoutCastENS7_16StoreWithoutCastELi4ELi1EEEEEvT0_T1_.private_seg_size)
	.set _ZN2at6native29vectorized_elementwise_kernelILi4EZZZNS0_20trigamma_kernel_cudaERNS_18TensorIteratorBaseEENKUlvE_clEvENKUlvE_clEvEUldE_St5arrayIPcLm2EEEEviT0_T1_.uses_vcc, or(1, .L_ZN2at6native25elementwise_kernel_helperILb0EZZZNS0_20trigamma_kernel_cudaERNS_18TensorIteratorBaseEENKUlvE_clEvENKUlvE_clEvEUldE_NS0_6memory8policies10vectorizedILi4ESt5arrayIPcLm2EELi4EEEEEvT0_T1_.uses_vcc, .L_ZN2at6native25elementwise_kernel_helperILb0EZZZNS0_20trigamma_kernel_cudaERNS_18TensorIteratorBaseEENKUlvE_clEvENKUlvE_clEvEUldE_NS0_6memory8policies11unroll_baseILi256ESt5arrayIPcLm2EE23TrivialOffsetCalculatorILi1EjESE_NS7_15LoadWithoutCastENS7_16StoreWithoutCastELi4ELi1EEEEEvT0_T1_.uses_vcc)
	.set _ZN2at6native29vectorized_elementwise_kernelILi4EZZZNS0_20trigamma_kernel_cudaERNS_18TensorIteratorBaseEENKUlvE_clEvENKUlvE_clEvEUldE_St5arrayIPcLm2EEEEviT0_T1_.uses_flat_scratch, or(0, .L_ZN2at6native25elementwise_kernel_helperILb0EZZZNS0_20trigamma_kernel_cudaERNS_18TensorIteratorBaseEENKUlvE_clEvENKUlvE_clEvEUldE_NS0_6memory8policies10vectorizedILi4ESt5arrayIPcLm2EELi4EEEEEvT0_T1_.uses_flat_scratch, .L_ZN2at6native25elementwise_kernel_helperILb0EZZZNS0_20trigamma_kernel_cudaERNS_18TensorIteratorBaseEENKUlvE_clEvENKUlvE_clEvEUldE_NS0_6memory8policies11unroll_baseILi256ESt5arrayIPcLm2EE23TrivialOffsetCalculatorILi1EjESE_NS7_15LoadWithoutCastENS7_16StoreWithoutCastELi4ELi1EEEEEvT0_T1_.uses_flat_scratch)
	.set _ZN2at6native29vectorized_elementwise_kernelILi4EZZZNS0_20trigamma_kernel_cudaERNS_18TensorIteratorBaseEENKUlvE_clEvENKUlvE_clEvEUldE_St5arrayIPcLm2EEEEviT0_T1_.has_dyn_sized_stack, or(0, .L_ZN2at6native25elementwise_kernel_helperILb0EZZZNS0_20trigamma_kernel_cudaERNS_18TensorIteratorBaseEENKUlvE_clEvENKUlvE_clEvEUldE_NS0_6memory8policies10vectorizedILi4ESt5arrayIPcLm2EELi4EEEEEvT0_T1_.has_dyn_sized_stack, .L_ZN2at6native25elementwise_kernel_helperILb0EZZZNS0_20trigamma_kernel_cudaERNS_18TensorIteratorBaseEENKUlvE_clEvENKUlvE_clEvEUldE_NS0_6memory8policies11unroll_baseILi256ESt5arrayIPcLm2EE23TrivialOffsetCalculatorILi1EjESE_NS7_15LoadWithoutCastENS7_16StoreWithoutCastELi4ELi1EEEEEvT0_T1_.has_dyn_sized_stack)
	.set _ZN2at6native29vectorized_elementwise_kernelILi4EZZZNS0_20trigamma_kernel_cudaERNS_18TensorIteratorBaseEENKUlvE_clEvENKUlvE_clEvEUldE_St5arrayIPcLm2EEEEviT0_T1_.has_recursion, or(0, .L_ZN2at6native25elementwise_kernel_helperILb0EZZZNS0_20trigamma_kernel_cudaERNS_18TensorIteratorBaseEENKUlvE_clEvENKUlvE_clEvEUldE_NS0_6memory8policies10vectorizedILi4ESt5arrayIPcLm2EELi4EEEEEvT0_T1_.has_recursion, .L_ZN2at6native25elementwise_kernel_helperILb0EZZZNS0_20trigamma_kernel_cudaERNS_18TensorIteratorBaseEENKUlvE_clEvENKUlvE_clEvEUldE_NS0_6memory8policies11unroll_baseILi256ESt5arrayIPcLm2EE23TrivialOffsetCalculatorILi1EjESE_NS7_15LoadWithoutCastENS7_16StoreWithoutCastELi4ELi1EEEEEvT0_T1_.has_recursion)
	.set _ZN2at6native29vectorized_elementwise_kernelILi4EZZZNS0_20trigamma_kernel_cudaERNS_18TensorIteratorBaseEENKUlvE_clEvENKUlvE_clEvEUldE_St5arrayIPcLm2EEEEviT0_T1_.has_indirect_call, or(0, .L_ZN2at6native25elementwise_kernel_helperILb0EZZZNS0_20trigamma_kernel_cudaERNS_18TensorIteratorBaseEENKUlvE_clEvENKUlvE_clEvEUldE_NS0_6memory8policies10vectorizedILi4ESt5arrayIPcLm2EELi4EEEEEvT0_T1_.has_indirect_call, .L_ZN2at6native25elementwise_kernel_helperILb0EZZZNS0_20trigamma_kernel_cudaERNS_18TensorIteratorBaseEENKUlvE_clEvENKUlvE_clEvEUldE_NS0_6memory8policies11unroll_baseILi256ESt5arrayIPcLm2EE23TrivialOffsetCalculatorILi1EjESE_NS7_15LoadWithoutCastENS7_16StoreWithoutCastELi4ELi1EEEEEvT0_T1_.has_indirect_call)
	.section	.AMDGPU.csdata,"",@progbits
; Kernel info:
; codeLenInByte = 184
; TotalNumSgprs: 35
; NumVgprs: 82
; ScratchSize: 0
; MemoryBound: 0
; FloatMode: 240
; IeeeMode: 1
; LDSByteSize: 0 bytes/workgroup (compile time only)
; SGPRBlocks: 0
; VGPRBlocks: 10
; NumSGPRsForWavesPerEU: 35
; NumVGPRsForWavesPerEU: 82
; Occupancy: 10
; WaveLimiterHint : 0
; COMPUTE_PGM_RSRC2:SCRATCH_EN: 0
; COMPUTE_PGM_RSRC2:USER_SGPR: 6
; COMPUTE_PGM_RSRC2:TRAP_HANDLER: 0
; COMPUTE_PGM_RSRC2:TGID_X_EN: 1
; COMPUTE_PGM_RSRC2:TGID_Y_EN: 0
; COMPUTE_PGM_RSRC2:TGID_Z_EN: 0
; COMPUTE_PGM_RSRC2:TIDIG_COMP_CNT: 0
	.section	.text._ZN2at6native29vectorized_elementwise_kernelILi2EZZZNS0_20trigamma_kernel_cudaERNS_18TensorIteratorBaseEENKUlvE_clEvENKUlvE_clEvEUldE_St5arrayIPcLm2EEEEviT0_T1_,"axG",@progbits,_ZN2at6native29vectorized_elementwise_kernelILi2EZZZNS0_20trigamma_kernel_cudaERNS_18TensorIteratorBaseEENKUlvE_clEvENKUlvE_clEvEUldE_St5arrayIPcLm2EEEEviT0_T1_,comdat
	.globl	_ZN2at6native29vectorized_elementwise_kernelILi2EZZZNS0_20trigamma_kernel_cudaERNS_18TensorIteratorBaseEENKUlvE_clEvENKUlvE_clEvEUldE_St5arrayIPcLm2EEEEviT0_T1_ ; -- Begin function _ZN2at6native29vectorized_elementwise_kernelILi2EZZZNS0_20trigamma_kernel_cudaERNS_18TensorIteratorBaseEENKUlvE_clEvENKUlvE_clEvEUldE_St5arrayIPcLm2EEEEviT0_T1_
	.p2align	8
	.type	_ZN2at6native29vectorized_elementwise_kernelILi2EZZZNS0_20trigamma_kernel_cudaERNS_18TensorIteratorBaseEENKUlvE_clEvENKUlvE_clEvEUldE_St5arrayIPcLm2EEEEviT0_T1_,@function
_ZN2at6native29vectorized_elementwise_kernelILi2EZZZNS0_20trigamma_kernel_cudaERNS_18TensorIteratorBaseEENKUlvE_clEvENKUlvE_clEvEUldE_St5arrayIPcLm2EEEEviT0_T1_: ; @_ZN2at6native29vectorized_elementwise_kernelILi2EZZZNS0_20trigamma_kernel_cudaERNS_18TensorIteratorBaseEENKUlvE_clEvENKUlvE_clEvEUldE_St5arrayIPcLm2EEEEviT0_T1_
; %bb.0:
	s_add_u32 s0, s0, s7
	s_clause 0x1
	s_load_dword s7, s[4:5], 0x0
	s_load_dwordx4 s[16:19], s[4:5], 0x8
	s_addc_u32 s1, s1, 0
	s_lshl_b32 s4, s6, 10
	s_mov_b32 s5, -1
	s_mov_b32 s32, 0
	s_waitcnt lgkmcnt(0)
	s_sub_i32 s13, s7, s4
	s_cmpk_gt_i32 s13, 0x3ff
	s_cbranch_scc1 .LBB45_3
; %bb.1:
	s_and_b32 vcc_lo, exec_lo, s5
	s_cbranch_vccnz .LBB45_28
.LBB45_2:
	s_endpgm
.LBB45_3:
	s_ashr_i32 s5, s4, 31
	v_lshlrev_b32_e32 v91, 4, v0
	s_lshl_b64 s[14:15], s[4:5], 3
	v_mov_b32_e32 v11, 0
	s_add_u32 s4, s18, s14
	s_addc_u32 s5, s19, s15
	v_mov_b32_e32 v9, 0
	global_load_dwordx4 v[5:8], v91, s[4:5]
	v_add_co_u32 v1, s4, s4, v91
	v_add_co_ci_u32_e64 v2, null, s5, 0, s4
	v_mov_b32_e32 v12, 0
	v_add_co_u32 v1, vcc_lo, 0x1000, v1
	v_add_co_ci_u32_e64 v2, null, 0, v2, vcc_lo
	v_mov_b32_e32 v10, 0x3ff00000
	s_mov_b32 s7, exec_lo
	global_load_dwordx4 v[1:4], v[1:2], off
	s_waitcnt vmcnt(1)
	v_cmpx_gt_f64_e32 0.5, v[5:6]
	s_cbranch_execz .LBB45_9
; %bb.4:
	s_mov_b32 s5, 0x400921fb
	s_mov_b32 s4, 0x54442d18
	s_mov_b32 s8, exec_lo
	v_mul_f64 v[9:10], v[5:6], s[4:5]
                                        ; implicit-def: $vgpr15
                                        ; implicit-def: $vgpr11_vgpr12
                                        ; implicit-def: $vgpr13_vgpr14
	v_cmpx_ngt_f64_e64 0x41d00000, |v[9:10]|
	s_xor_b32 s8, exec_lo, s8
	s_cbranch_execz .LBB45_6
; %bb.5:
	v_ldexp_f64 v[11:12], |v[9:10]|, 0xffffff80
	v_cmp_le_f64_e64 vcc_lo, 0x7b000000, |v[9:10]|
	v_trig_preop_f64 v[13:14], |v[9:10]|, 0
	v_and_b32_e32 v15, 0x7fffffff, v10
	v_trig_preop_f64 v[25:26], |v[9:10]|, 2
	v_mov_b32_e32 v33, 0
	s_mov_b32 s5, 0x3ff921fb
	s_mov_b32 s10, 0x33145c07
	;; [unrolled: 1-line block ×3, first 2 shown]
	v_cndmask_b32_e32 v12, v15, v12, vcc_lo
	v_cndmask_b32_e32 v11, v9, v11, vcc_lo
	v_trig_preop_f64 v[15:16], |v[9:10]|, 1
	v_mul_f64 v[17:18], v[13:14], v[11:12]
	v_mul_f64 v[31:32], v[25:26], v[11:12]
	;; [unrolled: 1-line block ×3, first 2 shown]
	v_fma_f64 v[13:14], v[13:14], v[11:12], -v[17:18]
	v_fma_f64 v[15:16], v[15:16], v[11:12], -v[19:20]
	;; [unrolled: 1-line block ×3, first 2 shown]
	v_add_f64 v[21:22], v[19:20], v[13:14]
	v_add_f64 v[23:24], v[21:22], -v[19:20]
	v_add_f64 v[29:30], v[17:18], v[21:22]
	v_add_f64 v[27:28], v[21:22], -v[23:24]
	v_add_f64 v[13:14], v[13:14], -v[23:24]
	v_ldexp_f64 v[23:24], v[29:30], -2
	v_add_f64 v[17:18], v[29:30], -v[17:18]
	v_add_f64 v[19:20], v[19:20], -v[27:28]
	v_add_f64 v[27:28], v[31:32], v[15:16]
	v_cmp_neq_f64_e64 vcc_lo, 0x7ff00000, |v[23:24]|
	v_add_f64 v[17:18], v[21:22], -v[17:18]
	v_add_f64 v[13:14], v[13:14], v[19:20]
	v_fract_f64_e32 v[19:20], v[23:24]
	v_add_f64 v[21:22], v[27:28], v[13:14]
	v_ldexp_f64 v[19:20], v[19:20], 2
	v_add_f64 v[23:24], v[17:18], v[21:22]
	v_cndmask_b32_e32 v20, 0, v20, vcc_lo
	v_cndmask_b32_e32 v19, 0, v19, vcc_lo
	v_add_f64 v[29:30], v[23:24], v[19:20]
	v_add_f64 v[17:18], v[23:24], -v[17:18]
	v_cmp_gt_f64_e32 vcc_lo, 0, v[29:30]
	v_add_f64 v[29:30], v[27:28], -v[31:32]
	v_cndmask_b32_e64 v34, 0, 0x40100000, vcc_lo
	v_add_f64 v[38:39], v[27:28], -v[29:30]
	v_add_f64 v[15:16], v[15:16], -v[29:30]
	v_add_f64 v[19:20], v[19:20], v[33:34]
	v_add_f64 v[34:35], v[21:22], -v[27:28]
	v_add_f64 v[29:30], v[31:32], -v[38:39]
	v_add_f64 v[36:37], v[23:24], v[19:20]
	;; [unrolled: 3-line block ×3, first 2 shown]
	v_cvt_i32_f64_e32 v36, v[36:37]
	v_add_f64 v[27:28], v[27:28], -v[40:41]
	v_cvt_f64_i32_e32 v[34:35], v36
	v_add_f64 v[13:14], v[13:14], v[27:28]
	v_add_f64 v[19:20], v[19:20], -v[34:35]
	v_add_f64 v[13:14], v[15:16], v[13:14]
	v_add_f64 v[15:16], v[21:22], -v[17:18]
	v_add_f64 v[25:26], v[23:24], v[19:20]
	v_add_f64 v[11:12], v[11:12], v[13:14]
	v_add_f64 v[13:14], v[25:26], -v[19:20]
	v_cmp_le_f64_e32 vcc_lo, 0.5, v[25:26]
	v_add_f64 v[11:12], v[15:16], v[11:12]
	v_add_f64 v[13:14], v[23:24], -v[13:14]
	v_cndmask_b32_e64 v34, 0, 0x3ff00000, vcc_lo
	v_add_co_ci_u32_e64 v15, null, 0, v36, vcc_lo
	v_add_f64 v[11:12], v[11:12], v[13:14]
	v_add_f64 v[13:14], v[25:26], -v[33:34]
	v_add_f64 v[16:17], v[13:14], v[11:12]
	v_mul_f64 v[18:19], v[16:17], s[4:5]
	v_add_f64 v[13:14], v[16:17], -v[13:14]
	v_fma_f64 v[20:21], v[16:17], s[4:5], -v[18:19]
	v_add_f64 v[11:12], v[11:12], -v[13:14]
	v_fma_f64 v[13:14], v[16:17], s[10:11], v[20:21]
	v_fma_f64 v[13:14], v[11:12], s[4:5], v[13:14]
	v_add_f64 v[11:12], v[18:19], v[13:14]
	v_add_f64 v[16:17], v[11:12], -v[18:19]
	v_add_f64 v[13:14], v[13:14], -v[16:17]
.LBB45_6:
	s_andn2_saveexec_b32 s4, s8
	s_cbranch_execz .LBB45_8
; %bb.7:
	s_mov_b32 s8, 0x6dc9c883
	s_mov_b32 s9, 0x3fe45f30
	;; [unrolled: 1-line block ×3, first 2 shown]
	v_mul_f64 v[11:12], |v[9:10]|, s[8:9]
	s_mov_b32 s8, 0x54442d18
	s_mov_b32 s9, 0xbff921fb
	;; [unrolled: 1-line block ×3, first 2 shown]
	v_rndne_f64_e32 v[15:16], v[11:12]
	v_fma_f64 v[11:12], v[15:16], s[8:9], |v[9:10]|
	v_mul_f64 v[13:14], v[15:16], s[10:11]
	s_mov_b32 s8, 0x252049c0
	s_mov_b32 s9, 0xb97b839a
	v_fma_f64 v[19:20], v[15:16], s[10:11], v[11:12]
	v_add_f64 v[17:18], v[11:12], v[13:14]
	s_mov_b32 s11, 0x3c91a626
	v_add_f64 v[11:12], v[11:12], -v[17:18]
	v_add_f64 v[17:18], v[17:18], -v[19:20]
	v_add_f64 v[11:12], v[11:12], v[13:14]
	v_fma_f64 v[13:14], v[15:16], s[10:11], v[13:14]
	v_add_f64 v[11:12], v[17:18], v[11:12]
	v_add_f64 v[11:12], v[11:12], -v[13:14]
	v_fma_f64 v[13:14], v[15:16], s[8:9], v[11:12]
	v_cvt_i32_f64_e32 v15, v[15:16]
	v_add_f64 v[11:12], v[19:20], v[13:14]
	v_add_f64 v[17:18], v[11:12], -v[19:20]
	v_add_f64 v[13:14], v[13:14], -v[17:18]
.LBB45_8:
	s_or_b32 exec_lo, exec_lo, s4
	v_mul_f64 v[16:17], v[11:12], v[11:12]
	s_mov_b32 s4, 0xb42fdfa7
	s_mov_b32 s8, 0xf9a43bb8
	;; [unrolled: 1-line block ×6, first 2 shown]
	v_mul_f64 v[26:27], v[13:14], 0.5
	v_add_f64 v[5:6], -v[5:6], 1.0
	v_fma_f64 v[18:19], v[16:17], s[8:9], s[4:5]
	s_mov_b32 s4, 0x9037ab78
	s_mov_b32 s8, 0x46cc5e42
	;; [unrolled: 1-line block ×4, first 2 shown]
	v_mul_f64 v[22:23], v[16:17], 0.5
	v_fma_f64 v[20:21], v[16:17], s[8:9], s[4:5]
	s_mov_b32 s4, 0xa17f65f6
	s_mov_b32 s8, 0x19e83e5c
	;; [unrolled: 1-line block ×4, first 2 shown]
	v_mul_f64 v[28:29], v[11:12], -v[16:17]
	v_fma_f64 v[18:19], v[16:17], v[18:19], s[10:11]
	v_add_f64 v[24:25], -v[22:23], 1.0
	v_fma_f64 v[20:21], v[16:17], v[20:21], s[4:5]
	s_mov_b32 s4, 0x19f4ec90
	s_mov_b32 s5, 0x3efa01a0
	v_fma_f64 v[18:19], v[16:17], v[18:19], s[8:9]
	s_mov_b32 s8, 0x11110bb3
	s_mov_b32 s9, 0x3f811111
	v_add_f64 v[30:31], -v[24:25], 1.0
	v_fma_f64 v[20:21], v[16:17], v[20:21], s[4:5]
	s_mov_b32 s4, 0x16c16967
	s_mov_b32 s5, 0xbf56c16c
	v_fma_f64 v[18:19], v[16:17], v[18:19], s[8:9]
	v_add_f64 v[22:23], v[30:31], -v[22:23]
	v_fma_f64 v[20:21], v[16:17], v[20:21], s[4:5]
	s_mov_b32 s5, 0x3fa55555
	s_mov_b32 s4, 0x55555555
	v_fma_f64 v[18:19], v[28:29], v[18:19], v[26:27]
	v_mul_f64 v[26:27], v[16:17], v[16:17]
	v_fma_f64 v[22:23], v[11:12], -v[13:14], v[22:23]
	v_fma_f64 v[20:21], v[16:17], v[20:21], s[4:5]
	s_mov_b32 s5, 0xbfc55555
	v_fma_f64 v[13:14], v[16:17], v[18:19], -v[13:14]
	v_fma_f64 v[16:17], v[26:27], v[20:21], v[22:23]
	v_fma_f64 v[13:14], v[28:29], s[4:5], v[13:14]
	v_cmp_class_f64_e64 s4, v[9:10], 0x1f8
	v_lshlrev_b32_e32 v9, 30, v15
	v_add_f64 v[16:17], v[24:25], v[16:17]
	v_xor_b32_e32 v9, v9, v10
	v_and_b32_e32 v9, 0x80000000, v9
	v_add_f64 v[11:12], v[11:12], -v[13:14]
	v_and_b32_e32 v13, 1, v15
	v_cmp_eq_u32_e32 vcc_lo, 0, v13
	v_cndmask_b32_e32 v10, v17, v12, vcc_lo
	v_cndmask_b32_e32 v11, v16, v11, vcc_lo
	v_xor_b32_e32 v10, v10, v9
	v_cndmask_b32_e64 v9, 0, v11, s4
	v_cndmask_b32_e64 v10, 0x7ff80000, v10, s4
	s_mov_b32 s4, 0xc9be45de
	s_mov_b32 s5, 0xc023bd3c
	v_mul_f64 v[9:10], v[9:10], v[9:10]
	v_div_scale_f64 v[11:12], null, v[9:10], v[9:10], s[4:5]
	v_div_scale_f64 v[17:18], vcc_lo, s[4:5], v[9:10], s[4:5]
	v_rcp_f64_e32 v[13:14], v[11:12]
	v_fma_f64 v[15:16], -v[11:12], v[13:14], 1.0
	v_fma_f64 v[13:14], v[13:14], v[15:16], v[13:14]
	v_fma_f64 v[15:16], -v[11:12], v[13:14], 1.0
	v_fma_f64 v[13:14], v[13:14], v[15:16], v[13:14]
	v_mul_f64 v[15:16], v[17:18], v[13:14]
	v_fma_f64 v[11:12], -v[11:12], v[15:16], v[17:18]
	v_div_fmas_f64 v[11:12], v[11:12], v[13:14], v[15:16]
	v_div_fixup_f64 v[9:10], v[11:12], v[9:10], s[4:5]
	v_add_f64 v[11:12], v[9:10], 0
	v_mov_b32_e32 v9, 0
	v_mov_b32_e32 v10, 0xbff00000
.LBB45_9:
	s_or_b32 exec_lo, exec_lo, s7
	v_mov_b32_e32 v15, 0
	v_mov_b32_e32 v13, 0
	;; [unrolled: 1-line block ×4, first 2 shown]
	s_mov_b32 s7, exec_lo
	v_cmpx_gt_f64_e32 0.5, v[7:8]
	s_cbranch_execz .LBB45_15
; %bb.10:
	s_mov_b32 s5, 0x400921fb
	s_mov_b32 s4, 0x54442d18
	s_mov_b32 s8, exec_lo
	v_mul_f64 v[13:14], v[7:8], s[4:5]
                                        ; implicit-def: $vgpr19
                                        ; implicit-def: $vgpr15_vgpr16
                                        ; implicit-def: $vgpr17_vgpr18
	v_cmpx_ngt_f64_e64 0x41d00000, |v[13:14]|
	s_xor_b32 s8, exec_lo, s8
	s_cbranch_execz .LBB45_12
; %bb.11:
	v_ldexp_f64 v[15:16], |v[13:14]|, 0xffffff80
	v_cmp_le_f64_e64 vcc_lo, 0x7b000000, |v[13:14]|
	v_trig_preop_f64 v[17:18], |v[13:14]|, 0
	v_and_b32_e32 v19, 0x7fffffff, v14
	v_trig_preop_f64 v[29:30], |v[13:14]|, 2
	v_mov_b32_e32 v37, 0
	s_mov_b32 s5, 0x3ff921fb
	s_mov_b32 s10, 0x33145c07
	s_mov_b32 s11, 0x3c91a626
	v_cndmask_b32_e32 v16, v19, v16, vcc_lo
	v_cndmask_b32_e32 v15, v13, v15, vcc_lo
	v_trig_preop_f64 v[19:20], |v[13:14]|, 1
	v_mul_f64 v[21:22], v[17:18], v[15:16]
	v_mul_f64 v[35:36], v[29:30], v[15:16]
	v_mul_f64 v[23:24], v[19:20], v[15:16]
	v_fma_f64 v[17:18], v[17:18], v[15:16], -v[21:22]
	v_fma_f64 v[19:20], v[19:20], v[15:16], -v[23:24]
	v_fma_f64 v[15:16], v[29:30], v[15:16], -v[35:36]
	v_add_f64 v[25:26], v[23:24], v[17:18]
	v_add_f64 v[27:28], v[25:26], -v[23:24]
	v_add_f64 v[33:34], v[21:22], v[25:26]
	v_add_f64 v[31:32], v[25:26], -v[27:28]
	v_add_f64 v[17:18], v[17:18], -v[27:28]
	v_ldexp_f64 v[27:28], v[33:34], -2
	v_add_f64 v[21:22], v[33:34], -v[21:22]
	v_add_f64 v[23:24], v[23:24], -v[31:32]
	v_add_f64 v[31:32], v[35:36], v[19:20]
	v_cmp_neq_f64_e64 vcc_lo, 0x7ff00000, |v[27:28]|
	v_add_f64 v[21:22], v[25:26], -v[21:22]
	v_add_f64 v[17:18], v[17:18], v[23:24]
	v_fract_f64_e32 v[23:24], v[27:28]
	v_add_f64 v[25:26], v[31:32], v[17:18]
	v_ldexp_f64 v[23:24], v[23:24], 2
	v_add_f64 v[27:28], v[21:22], v[25:26]
	v_cndmask_b32_e32 v24, 0, v24, vcc_lo
	v_cndmask_b32_e32 v23, 0, v23, vcc_lo
	v_add_f64 v[33:34], v[27:28], v[23:24]
	v_add_f64 v[21:22], v[27:28], -v[21:22]
	v_cmp_gt_f64_e32 vcc_lo, 0, v[33:34]
	v_add_f64 v[33:34], v[31:32], -v[35:36]
	v_cndmask_b32_e64 v38, 0, 0x40100000, vcc_lo
	v_add_f64 v[42:43], v[31:32], -v[33:34]
	v_add_f64 v[19:20], v[19:20], -v[33:34]
	v_add_f64 v[23:24], v[23:24], v[37:38]
	v_add_f64 v[38:39], v[25:26], -v[31:32]
	v_add_f64 v[33:34], v[35:36], -v[42:43]
	v_add_f64 v[40:41], v[27:28], v[23:24]
	;; [unrolled: 3-line block ×3, first 2 shown]
	v_cvt_i32_f64_e32 v40, v[40:41]
	v_add_f64 v[31:32], v[31:32], -v[44:45]
	v_cvt_f64_i32_e32 v[38:39], v40
	v_add_f64 v[17:18], v[17:18], v[31:32]
	v_add_f64 v[23:24], v[23:24], -v[38:39]
	v_add_f64 v[17:18], v[19:20], v[17:18]
	v_add_f64 v[19:20], v[25:26], -v[21:22]
	v_add_f64 v[29:30], v[27:28], v[23:24]
	v_add_f64 v[15:16], v[15:16], v[17:18]
	v_add_f64 v[17:18], v[29:30], -v[23:24]
	v_cmp_le_f64_e32 vcc_lo, 0.5, v[29:30]
	v_add_f64 v[15:16], v[19:20], v[15:16]
	v_add_f64 v[17:18], v[27:28], -v[17:18]
	v_cndmask_b32_e64 v38, 0, 0x3ff00000, vcc_lo
	v_add_co_ci_u32_e64 v19, null, 0, v40, vcc_lo
	v_add_f64 v[15:16], v[15:16], v[17:18]
	v_add_f64 v[17:18], v[29:30], -v[37:38]
	v_add_f64 v[20:21], v[17:18], v[15:16]
	v_mul_f64 v[22:23], v[20:21], s[4:5]
	v_add_f64 v[17:18], v[20:21], -v[17:18]
	v_fma_f64 v[24:25], v[20:21], s[4:5], -v[22:23]
	v_add_f64 v[15:16], v[15:16], -v[17:18]
	v_fma_f64 v[17:18], v[20:21], s[10:11], v[24:25]
	v_fma_f64 v[17:18], v[15:16], s[4:5], v[17:18]
	v_add_f64 v[15:16], v[22:23], v[17:18]
	v_add_f64 v[20:21], v[15:16], -v[22:23]
	v_add_f64 v[17:18], v[17:18], -v[20:21]
.LBB45_12:
	s_andn2_saveexec_b32 s4, s8
	s_cbranch_execz .LBB45_14
; %bb.13:
	s_mov_b32 s8, 0x6dc9c883
	s_mov_b32 s9, 0x3fe45f30
	;; [unrolled: 1-line block ×3, first 2 shown]
	v_mul_f64 v[15:16], |v[13:14]|, s[8:9]
	s_mov_b32 s8, 0x54442d18
	s_mov_b32 s9, 0xbff921fb
	;; [unrolled: 1-line block ×3, first 2 shown]
	v_rndne_f64_e32 v[19:20], v[15:16]
	v_fma_f64 v[15:16], v[19:20], s[8:9], |v[13:14]|
	v_mul_f64 v[17:18], v[19:20], s[10:11]
	s_mov_b32 s8, 0x252049c0
	s_mov_b32 s9, 0xb97b839a
	v_fma_f64 v[23:24], v[19:20], s[10:11], v[15:16]
	v_add_f64 v[21:22], v[15:16], v[17:18]
	s_mov_b32 s11, 0x3c91a626
	v_add_f64 v[15:16], v[15:16], -v[21:22]
	v_add_f64 v[21:22], v[21:22], -v[23:24]
	v_add_f64 v[15:16], v[15:16], v[17:18]
	v_fma_f64 v[17:18], v[19:20], s[10:11], v[17:18]
	v_add_f64 v[15:16], v[21:22], v[15:16]
	v_add_f64 v[15:16], v[15:16], -v[17:18]
	v_fma_f64 v[17:18], v[19:20], s[8:9], v[15:16]
	v_cvt_i32_f64_e32 v19, v[19:20]
	v_add_f64 v[15:16], v[23:24], v[17:18]
	v_add_f64 v[21:22], v[15:16], -v[23:24]
	v_add_f64 v[17:18], v[17:18], -v[21:22]
.LBB45_14:
	s_or_b32 exec_lo, exec_lo, s4
	v_mul_f64 v[20:21], v[15:16], v[15:16]
	s_mov_b32 s4, 0xb42fdfa7
	s_mov_b32 s8, 0xf9a43bb8
	;; [unrolled: 1-line block ×6, first 2 shown]
	v_mul_f64 v[30:31], v[17:18], 0.5
	v_add_f64 v[7:8], -v[7:8], 1.0
	v_fma_f64 v[22:23], v[20:21], s[8:9], s[4:5]
	s_mov_b32 s4, 0x9037ab78
	s_mov_b32 s8, 0x46cc5e42
	;; [unrolled: 1-line block ×4, first 2 shown]
	v_mul_f64 v[26:27], v[20:21], 0.5
	v_fma_f64 v[24:25], v[20:21], s[8:9], s[4:5]
	s_mov_b32 s4, 0xa17f65f6
	s_mov_b32 s8, 0x19e83e5c
	;; [unrolled: 1-line block ×4, first 2 shown]
	v_mul_f64 v[32:33], v[15:16], -v[20:21]
	v_fma_f64 v[22:23], v[20:21], v[22:23], s[10:11]
	v_add_f64 v[28:29], -v[26:27], 1.0
	v_fma_f64 v[24:25], v[20:21], v[24:25], s[4:5]
	s_mov_b32 s4, 0x19f4ec90
	s_mov_b32 s5, 0x3efa01a0
	v_fma_f64 v[22:23], v[20:21], v[22:23], s[8:9]
	s_mov_b32 s8, 0x11110bb3
	s_mov_b32 s9, 0x3f811111
	v_add_f64 v[34:35], -v[28:29], 1.0
	v_fma_f64 v[24:25], v[20:21], v[24:25], s[4:5]
	s_mov_b32 s4, 0x16c16967
	s_mov_b32 s5, 0xbf56c16c
	v_fma_f64 v[22:23], v[20:21], v[22:23], s[8:9]
	v_add_f64 v[26:27], v[34:35], -v[26:27]
	v_fma_f64 v[24:25], v[20:21], v[24:25], s[4:5]
	s_mov_b32 s5, 0x3fa55555
	s_mov_b32 s4, 0x55555555
	v_fma_f64 v[22:23], v[32:33], v[22:23], v[30:31]
	v_mul_f64 v[30:31], v[20:21], v[20:21]
	v_fma_f64 v[26:27], v[15:16], -v[17:18], v[26:27]
	v_fma_f64 v[24:25], v[20:21], v[24:25], s[4:5]
	s_mov_b32 s5, 0xbfc55555
	v_fma_f64 v[17:18], v[20:21], v[22:23], -v[17:18]
	v_fma_f64 v[20:21], v[30:31], v[24:25], v[26:27]
	v_fma_f64 v[17:18], v[32:33], s[4:5], v[17:18]
	v_cmp_class_f64_e64 s4, v[13:14], 0x1f8
	v_lshlrev_b32_e32 v13, 30, v19
	v_add_f64 v[20:21], v[28:29], v[20:21]
	v_xor_b32_e32 v13, v13, v14
	v_and_b32_e32 v13, 0x80000000, v13
	v_add_f64 v[15:16], v[15:16], -v[17:18]
	v_and_b32_e32 v17, 1, v19
	v_cmp_eq_u32_e32 vcc_lo, 0, v17
	v_cndmask_b32_e32 v14, v21, v16, vcc_lo
	v_cndmask_b32_e32 v15, v20, v15, vcc_lo
	v_xor_b32_e32 v14, v14, v13
	v_cndmask_b32_e64 v13, 0, v15, s4
	v_cndmask_b32_e64 v14, 0x7ff80000, v14, s4
	s_mov_b32 s4, 0xc9be45de
	s_mov_b32 s5, 0xc023bd3c
	v_mul_f64 v[13:14], v[13:14], v[13:14]
	v_div_scale_f64 v[15:16], null, v[13:14], v[13:14], s[4:5]
	v_div_scale_f64 v[21:22], vcc_lo, s[4:5], v[13:14], s[4:5]
	v_rcp_f64_e32 v[17:18], v[15:16]
	v_fma_f64 v[19:20], -v[15:16], v[17:18], 1.0
	v_fma_f64 v[17:18], v[17:18], v[19:20], v[17:18]
	v_fma_f64 v[19:20], -v[15:16], v[17:18], 1.0
	v_fma_f64 v[17:18], v[17:18], v[19:20], v[17:18]
	v_mul_f64 v[19:20], v[21:22], v[17:18]
	v_fma_f64 v[15:16], -v[15:16], v[19:20], v[21:22]
	v_div_fmas_f64 v[15:16], v[15:16], v[17:18], v[19:20]
	v_div_fixup_f64 v[13:14], v[15:16], v[13:14], s[4:5]
	v_add_f64 v[15:16], v[13:14], 0
	v_mov_b32_e32 v13, 0
	v_mov_b32_e32 v14, 0xbff00000
.LBB45_15:
	s_or_b32 exec_lo, exec_lo, s7
	v_mov_b32_e32 v19, 0
	v_mov_b32_e32 v17, 0
	;; [unrolled: 1-line block ×4, first 2 shown]
	s_mov_b32 s7, exec_lo
	s_waitcnt vmcnt(0)
	v_cmpx_gt_f64_e32 0.5, v[1:2]
	s_cbranch_execz .LBB45_21
; %bb.16:
	s_mov_b32 s5, 0x400921fb
	s_mov_b32 s4, 0x54442d18
	s_mov_b32 s8, exec_lo
	v_mul_f64 v[17:18], v[1:2], s[4:5]
                                        ; implicit-def: $vgpr23
                                        ; implicit-def: $vgpr19_vgpr20
                                        ; implicit-def: $vgpr21_vgpr22
	v_cmpx_ngt_f64_e64 0x41d00000, |v[17:18]|
	s_xor_b32 s8, exec_lo, s8
	s_cbranch_execz .LBB45_18
; %bb.17:
	v_ldexp_f64 v[19:20], |v[17:18]|, 0xffffff80
	v_cmp_le_f64_e64 vcc_lo, 0x7b000000, |v[17:18]|
	v_trig_preop_f64 v[21:22], |v[17:18]|, 0
	v_and_b32_e32 v23, 0x7fffffff, v18
	v_trig_preop_f64 v[33:34], |v[17:18]|, 2
	v_mov_b32_e32 v41, 0
	s_mov_b32 s5, 0x3ff921fb
	s_mov_b32 s10, 0x33145c07
	;; [unrolled: 1-line block ×3, first 2 shown]
	v_cndmask_b32_e32 v20, v23, v20, vcc_lo
	v_cndmask_b32_e32 v19, v17, v19, vcc_lo
	v_trig_preop_f64 v[23:24], |v[17:18]|, 1
	v_mul_f64 v[25:26], v[21:22], v[19:20]
	v_mul_f64 v[39:40], v[33:34], v[19:20]
	;; [unrolled: 1-line block ×3, first 2 shown]
	v_fma_f64 v[21:22], v[21:22], v[19:20], -v[25:26]
	v_fma_f64 v[23:24], v[23:24], v[19:20], -v[27:28]
	;; [unrolled: 1-line block ×3, first 2 shown]
	v_add_f64 v[29:30], v[27:28], v[21:22]
	v_add_f64 v[31:32], v[29:30], -v[27:28]
	v_add_f64 v[37:38], v[25:26], v[29:30]
	v_add_f64 v[35:36], v[29:30], -v[31:32]
	v_add_f64 v[21:22], v[21:22], -v[31:32]
	v_ldexp_f64 v[31:32], v[37:38], -2
	v_add_f64 v[25:26], v[37:38], -v[25:26]
	v_add_f64 v[27:28], v[27:28], -v[35:36]
	v_add_f64 v[35:36], v[39:40], v[23:24]
	v_cmp_neq_f64_e64 vcc_lo, 0x7ff00000, |v[31:32]|
	v_add_f64 v[25:26], v[29:30], -v[25:26]
	v_add_f64 v[21:22], v[21:22], v[27:28]
	v_fract_f64_e32 v[27:28], v[31:32]
	v_add_f64 v[29:30], v[35:36], v[21:22]
	v_ldexp_f64 v[27:28], v[27:28], 2
	v_add_f64 v[31:32], v[25:26], v[29:30]
	v_cndmask_b32_e32 v28, 0, v28, vcc_lo
	v_cndmask_b32_e32 v27, 0, v27, vcc_lo
	v_add_f64 v[37:38], v[31:32], v[27:28]
	v_add_f64 v[25:26], v[31:32], -v[25:26]
	v_cmp_gt_f64_e32 vcc_lo, 0, v[37:38]
	v_add_f64 v[37:38], v[35:36], -v[39:40]
	v_cndmask_b32_e64 v42, 0, 0x40100000, vcc_lo
	v_add_f64 v[46:47], v[35:36], -v[37:38]
	v_add_f64 v[23:24], v[23:24], -v[37:38]
	v_add_f64 v[27:28], v[27:28], v[41:42]
	v_add_f64 v[42:43], v[29:30], -v[35:36]
	v_add_f64 v[37:38], v[39:40], -v[46:47]
	v_add_f64 v[44:45], v[31:32], v[27:28]
	;; [unrolled: 3-line block ×3, first 2 shown]
	v_cvt_i32_f64_e32 v44, v[44:45]
	v_add_f64 v[35:36], v[35:36], -v[48:49]
	v_cvt_f64_i32_e32 v[42:43], v44
	v_add_f64 v[21:22], v[21:22], v[35:36]
	v_add_f64 v[27:28], v[27:28], -v[42:43]
	v_add_f64 v[21:22], v[23:24], v[21:22]
	v_add_f64 v[23:24], v[29:30], -v[25:26]
	v_add_f64 v[33:34], v[31:32], v[27:28]
	v_add_f64 v[19:20], v[19:20], v[21:22]
	v_add_f64 v[21:22], v[33:34], -v[27:28]
	v_cmp_le_f64_e32 vcc_lo, 0.5, v[33:34]
	v_add_f64 v[19:20], v[23:24], v[19:20]
	v_add_f64 v[21:22], v[31:32], -v[21:22]
	v_cndmask_b32_e64 v42, 0, 0x3ff00000, vcc_lo
	v_add_co_ci_u32_e64 v23, null, 0, v44, vcc_lo
	v_add_f64 v[19:20], v[19:20], v[21:22]
	v_add_f64 v[21:22], v[33:34], -v[41:42]
	v_add_f64 v[24:25], v[21:22], v[19:20]
	v_mul_f64 v[26:27], v[24:25], s[4:5]
	v_add_f64 v[21:22], v[24:25], -v[21:22]
	v_fma_f64 v[28:29], v[24:25], s[4:5], -v[26:27]
	v_add_f64 v[19:20], v[19:20], -v[21:22]
	v_fma_f64 v[21:22], v[24:25], s[10:11], v[28:29]
	v_fma_f64 v[21:22], v[19:20], s[4:5], v[21:22]
	v_add_f64 v[19:20], v[26:27], v[21:22]
	v_add_f64 v[24:25], v[19:20], -v[26:27]
	v_add_f64 v[21:22], v[21:22], -v[24:25]
.LBB45_18:
	s_andn2_saveexec_b32 s4, s8
	s_cbranch_execz .LBB45_20
; %bb.19:
	s_mov_b32 s8, 0x6dc9c883
	s_mov_b32 s9, 0x3fe45f30
	;; [unrolled: 1-line block ×3, first 2 shown]
	v_mul_f64 v[19:20], |v[17:18]|, s[8:9]
	s_mov_b32 s8, 0x54442d18
	s_mov_b32 s9, 0xbff921fb
	;; [unrolled: 1-line block ×3, first 2 shown]
	v_rndne_f64_e32 v[23:24], v[19:20]
	v_fma_f64 v[19:20], v[23:24], s[8:9], |v[17:18]|
	v_mul_f64 v[21:22], v[23:24], s[10:11]
	s_mov_b32 s8, 0x252049c0
	s_mov_b32 s9, 0xb97b839a
	v_fma_f64 v[27:28], v[23:24], s[10:11], v[19:20]
	v_add_f64 v[25:26], v[19:20], v[21:22]
	s_mov_b32 s11, 0x3c91a626
	v_add_f64 v[19:20], v[19:20], -v[25:26]
	v_add_f64 v[25:26], v[25:26], -v[27:28]
	v_add_f64 v[19:20], v[19:20], v[21:22]
	v_fma_f64 v[21:22], v[23:24], s[10:11], v[21:22]
	v_add_f64 v[19:20], v[25:26], v[19:20]
	v_add_f64 v[19:20], v[19:20], -v[21:22]
	v_fma_f64 v[21:22], v[23:24], s[8:9], v[19:20]
	v_cvt_i32_f64_e32 v23, v[23:24]
	v_add_f64 v[19:20], v[27:28], v[21:22]
	v_add_f64 v[25:26], v[19:20], -v[27:28]
	v_add_f64 v[21:22], v[21:22], -v[25:26]
.LBB45_20:
	s_or_b32 exec_lo, exec_lo, s4
	v_mul_f64 v[24:25], v[19:20], v[19:20]
	s_mov_b32 s4, 0xb42fdfa7
	s_mov_b32 s8, 0xf9a43bb8
	;; [unrolled: 1-line block ×6, first 2 shown]
	v_mul_f64 v[34:35], v[21:22], 0.5
	v_add_f64 v[1:2], -v[1:2], 1.0
	v_fma_f64 v[26:27], v[24:25], s[8:9], s[4:5]
	s_mov_b32 s4, 0x9037ab78
	s_mov_b32 s8, 0x46cc5e42
	;; [unrolled: 1-line block ×4, first 2 shown]
	v_mul_f64 v[30:31], v[24:25], 0.5
	v_fma_f64 v[28:29], v[24:25], s[8:9], s[4:5]
	s_mov_b32 s4, 0xa17f65f6
	s_mov_b32 s8, 0x19e83e5c
	;; [unrolled: 1-line block ×4, first 2 shown]
	v_mul_f64 v[36:37], v[19:20], -v[24:25]
	v_fma_f64 v[26:27], v[24:25], v[26:27], s[10:11]
	v_add_f64 v[32:33], -v[30:31], 1.0
	v_fma_f64 v[28:29], v[24:25], v[28:29], s[4:5]
	s_mov_b32 s4, 0x19f4ec90
	s_mov_b32 s5, 0x3efa01a0
	v_fma_f64 v[26:27], v[24:25], v[26:27], s[8:9]
	s_mov_b32 s8, 0x11110bb3
	s_mov_b32 s9, 0x3f811111
	v_add_f64 v[38:39], -v[32:33], 1.0
	v_fma_f64 v[28:29], v[24:25], v[28:29], s[4:5]
	s_mov_b32 s4, 0x16c16967
	s_mov_b32 s5, 0xbf56c16c
	v_fma_f64 v[26:27], v[24:25], v[26:27], s[8:9]
	v_add_f64 v[30:31], v[38:39], -v[30:31]
	v_fma_f64 v[28:29], v[24:25], v[28:29], s[4:5]
	s_mov_b32 s5, 0x3fa55555
	s_mov_b32 s4, 0x55555555
	v_fma_f64 v[26:27], v[36:37], v[26:27], v[34:35]
	v_mul_f64 v[34:35], v[24:25], v[24:25]
	v_fma_f64 v[30:31], v[19:20], -v[21:22], v[30:31]
	v_fma_f64 v[28:29], v[24:25], v[28:29], s[4:5]
	s_mov_b32 s5, 0xbfc55555
	v_fma_f64 v[21:22], v[24:25], v[26:27], -v[21:22]
	v_fma_f64 v[24:25], v[34:35], v[28:29], v[30:31]
	v_fma_f64 v[21:22], v[36:37], s[4:5], v[21:22]
	v_cmp_class_f64_e64 s4, v[17:18], 0x1f8
	v_lshlrev_b32_e32 v17, 30, v23
	v_add_f64 v[24:25], v[32:33], v[24:25]
	v_xor_b32_e32 v17, v17, v18
	v_and_b32_e32 v17, 0x80000000, v17
	v_add_f64 v[19:20], v[19:20], -v[21:22]
	v_and_b32_e32 v21, 1, v23
	v_cmp_eq_u32_e32 vcc_lo, 0, v21
	v_cndmask_b32_e32 v18, v25, v20, vcc_lo
	v_cndmask_b32_e32 v19, v24, v19, vcc_lo
	v_xor_b32_e32 v18, v18, v17
	v_cndmask_b32_e64 v17, 0, v19, s4
	v_cndmask_b32_e64 v18, 0x7ff80000, v18, s4
	s_mov_b32 s4, 0xc9be45de
	s_mov_b32 s5, 0xc023bd3c
	v_mul_f64 v[17:18], v[17:18], v[17:18]
	v_div_scale_f64 v[19:20], null, v[17:18], v[17:18], s[4:5]
	v_div_scale_f64 v[25:26], vcc_lo, s[4:5], v[17:18], s[4:5]
	v_rcp_f64_e32 v[21:22], v[19:20]
	v_fma_f64 v[23:24], -v[19:20], v[21:22], 1.0
	v_fma_f64 v[21:22], v[21:22], v[23:24], v[21:22]
	v_fma_f64 v[23:24], -v[19:20], v[21:22], 1.0
	v_fma_f64 v[21:22], v[21:22], v[23:24], v[21:22]
	v_mul_f64 v[23:24], v[25:26], v[21:22]
	v_fma_f64 v[19:20], -v[19:20], v[23:24], v[25:26]
	v_div_fmas_f64 v[19:20], v[19:20], v[21:22], v[23:24]
	v_div_fixup_f64 v[17:18], v[19:20], v[17:18], s[4:5]
	v_add_f64 v[19:20], v[17:18], 0
	v_mov_b32_e32 v17, 0
	v_mov_b32_e32 v18, 0xbff00000
.LBB45_21:
	s_or_b32 exec_lo, exec_lo, s7
	v_mov_b32_e32 v23, 0
	v_mov_b32_e32 v21, 0
	v_mov_b32_e32 v24, 0
	v_mov_b32_e32 v22, 0x3ff00000
	s_mov_b32 s7, exec_lo
	v_cmpx_gt_f64_e32 0.5, v[3:4]
	s_cbranch_execz .LBB45_27
; %bb.22:
	s_mov_b32 s5, 0x400921fb
	s_mov_b32 s4, 0x54442d18
	s_mov_b32 s8, exec_lo
	v_mul_f64 v[21:22], v[3:4], s[4:5]
                                        ; implicit-def: $vgpr27
                                        ; implicit-def: $vgpr23_vgpr24
                                        ; implicit-def: $vgpr25_vgpr26
	v_cmpx_ngt_f64_e64 0x41d00000, |v[21:22]|
	s_xor_b32 s8, exec_lo, s8
	s_cbranch_execz .LBB45_24
; %bb.23:
	v_ldexp_f64 v[23:24], |v[21:22]|, 0xffffff80
	v_cmp_le_f64_e64 vcc_lo, 0x7b000000, |v[21:22]|
	v_trig_preop_f64 v[25:26], |v[21:22]|, 0
	v_and_b32_e32 v27, 0x7fffffff, v22
	v_trig_preop_f64 v[37:38], |v[21:22]|, 2
	v_mov_b32_e32 v45, 0
	s_mov_b32 s5, 0x3ff921fb
	s_mov_b32 s10, 0x33145c07
	;; [unrolled: 1-line block ×3, first 2 shown]
	v_cndmask_b32_e32 v24, v27, v24, vcc_lo
	v_cndmask_b32_e32 v23, v21, v23, vcc_lo
	v_trig_preop_f64 v[27:28], |v[21:22]|, 1
	v_mul_f64 v[29:30], v[25:26], v[23:24]
	v_mul_f64 v[43:44], v[37:38], v[23:24]
	;; [unrolled: 1-line block ×3, first 2 shown]
	v_fma_f64 v[25:26], v[25:26], v[23:24], -v[29:30]
	v_fma_f64 v[27:28], v[27:28], v[23:24], -v[31:32]
	;; [unrolled: 1-line block ×3, first 2 shown]
	v_add_f64 v[33:34], v[31:32], v[25:26]
	v_add_f64 v[35:36], v[33:34], -v[31:32]
	v_add_f64 v[41:42], v[29:30], v[33:34]
	v_add_f64 v[39:40], v[33:34], -v[35:36]
	v_add_f64 v[25:26], v[25:26], -v[35:36]
	v_ldexp_f64 v[35:36], v[41:42], -2
	v_add_f64 v[29:30], v[41:42], -v[29:30]
	v_add_f64 v[31:32], v[31:32], -v[39:40]
	v_add_f64 v[39:40], v[43:44], v[27:28]
	v_cmp_neq_f64_e64 vcc_lo, 0x7ff00000, |v[35:36]|
	v_add_f64 v[29:30], v[33:34], -v[29:30]
	v_add_f64 v[25:26], v[25:26], v[31:32]
	v_fract_f64_e32 v[31:32], v[35:36]
	v_add_f64 v[33:34], v[39:40], v[25:26]
	v_ldexp_f64 v[31:32], v[31:32], 2
	v_add_f64 v[35:36], v[29:30], v[33:34]
	v_cndmask_b32_e32 v32, 0, v32, vcc_lo
	v_cndmask_b32_e32 v31, 0, v31, vcc_lo
	v_add_f64 v[41:42], v[35:36], v[31:32]
	v_add_f64 v[29:30], v[35:36], -v[29:30]
	v_cmp_gt_f64_e32 vcc_lo, 0, v[41:42]
	v_add_f64 v[41:42], v[39:40], -v[43:44]
	v_cndmask_b32_e64 v46, 0, 0x40100000, vcc_lo
	v_add_f64 v[50:51], v[39:40], -v[41:42]
	v_add_f64 v[27:28], v[27:28], -v[41:42]
	v_add_f64 v[31:32], v[31:32], v[45:46]
	v_add_f64 v[46:47], v[33:34], -v[39:40]
	v_add_f64 v[41:42], v[43:44], -v[50:51]
	v_add_f64 v[48:49], v[35:36], v[31:32]
	;; [unrolled: 3-line block ×3, first 2 shown]
	v_cvt_i32_f64_e32 v48, v[48:49]
	v_add_f64 v[39:40], v[39:40], -v[52:53]
	v_cvt_f64_i32_e32 v[46:47], v48
	v_add_f64 v[25:26], v[25:26], v[39:40]
	v_add_f64 v[31:32], v[31:32], -v[46:47]
	v_add_f64 v[25:26], v[27:28], v[25:26]
	v_add_f64 v[27:28], v[33:34], -v[29:30]
	v_add_f64 v[37:38], v[35:36], v[31:32]
	v_add_f64 v[23:24], v[23:24], v[25:26]
	v_add_f64 v[25:26], v[37:38], -v[31:32]
	v_cmp_le_f64_e32 vcc_lo, 0.5, v[37:38]
	v_add_f64 v[23:24], v[27:28], v[23:24]
	v_add_f64 v[25:26], v[35:36], -v[25:26]
	v_cndmask_b32_e64 v46, 0, 0x3ff00000, vcc_lo
	v_add_co_ci_u32_e64 v27, null, 0, v48, vcc_lo
	v_add_f64 v[23:24], v[23:24], v[25:26]
	v_add_f64 v[25:26], v[37:38], -v[45:46]
	v_add_f64 v[28:29], v[25:26], v[23:24]
	v_mul_f64 v[30:31], v[28:29], s[4:5]
	v_add_f64 v[25:26], v[28:29], -v[25:26]
	v_fma_f64 v[32:33], v[28:29], s[4:5], -v[30:31]
	v_add_f64 v[23:24], v[23:24], -v[25:26]
	v_fma_f64 v[25:26], v[28:29], s[10:11], v[32:33]
	v_fma_f64 v[25:26], v[23:24], s[4:5], v[25:26]
	v_add_f64 v[23:24], v[30:31], v[25:26]
	v_add_f64 v[28:29], v[23:24], -v[30:31]
	v_add_f64 v[25:26], v[25:26], -v[28:29]
.LBB45_24:
	s_andn2_saveexec_b32 s4, s8
	s_cbranch_execz .LBB45_26
; %bb.25:
	s_mov_b32 s8, 0x6dc9c883
	s_mov_b32 s9, 0x3fe45f30
	;; [unrolled: 1-line block ×3, first 2 shown]
	v_mul_f64 v[23:24], |v[21:22]|, s[8:9]
	s_mov_b32 s8, 0x54442d18
	s_mov_b32 s9, 0xbff921fb
	;; [unrolled: 1-line block ×3, first 2 shown]
	v_rndne_f64_e32 v[27:28], v[23:24]
	v_fma_f64 v[23:24], v[27:28], s[8:9], |v[21:22]|
	v_mul_f64 v[25:26], v[27:28], s[10:11]
	s_mov_b32 s8, 0x252049c0
	s_mov_b32 s9, 0xb97b839a
	v_fma_f64 v[31:32], v[27:28], s[10:11], v[23:24]
	v_add_f64 v[29:30], v[23:24], v[25:26]
	s_mov_b32 s11, 0x3c91a626
	v_add_f64 v[23:24], v[23:24], -v[29:30]
	v_add_f64 v[29:30], v[29:30], -v[31:32]
	v_add_f64 v[23:24], v[23:24], v[25:26]
	v_fma_f64 v[25:26], v[27:28], s[10:11], v[25:26]
	v_add_f64 v[23:24], v[29:30], v[23:24]
	v_add_f64 v[23:24], v[23:24], -v[25:26]
	v_fma_f64 v[25:26], v[27:28], s[8:9], v[23:24]
	v_cvt_i32_f64_e32 v27, v[27:28]
	v_add_f64 v[23:24], v[31:32], v[25:26]
	v_add_f64 v[29:30], v[23:24], -v[31:32]
	v_add_f64 v[25:26], v[25:26], -v[29:30]
.LBB45_26:
	s_or_b32 exec_lo, exec_lo, s4
	v_mul_f64 v[28:29], v[23:24], v[23:24]
	s_mov_b32 s4, 0xb42fdfa7
	s_mov_b32 s8, 0xf9a43bb8
	;; [unrolled: 1-line block ×6, first 2 shown]
	v_mul_f64 v[38:39], v[25:26], 0.5
	v_add_f64 v[3:4], -v[3:4], 1.0
	v_fma_f64 v[30:31], v[28:29], s[8:9], s[4:5]
	s_mov_b32 s4, 0x9037ab78
	s_mov_b32 s8, 0x46cc5e42
	;; [unrolled: 1-line block ×4, first 2 shown]
	v_mul_f64 v[34:35], v[28:29], 0.5
	v_fma_f64 v[32:33], v[28:29], s[8:9], s[4:5]
	s_mov_b32 s4, 0xa17f65f6
	s_mov_b32 s8, 0x19e83e5c
	;; [unrolled: 1-line block ×4, first 2 shown]
	v_mul_f64 v[40:41], v[23:24], -v[28:29]
	v_fma_f64 v[30:31], v[28:29], v[30:31], s[10:11]
	v_add_f64 v[36:37], -v[34:35], 1.0
	v_fma_f64 v[32:33], v[28:29], v[32:33], s[4:5]
	s_mov_b32 s4, 0x19f4ec90
	s_mov_b32 s5, 0x3efa01a0
	v_fma_f64 v[30:31], v[28:29], v[30:31], s[8:9]
	s_mov_b32 s8, 0x11110bb3
	s_mov_b32 s9, 0x3f811111
	v_add_f64 v[42:43], -v[36:37], 1.0
	v_fma_f64 v[32:33], v[28:29], v[32:33], s[4:5]
	s_mov_b32 s4, 0x16c16967
	s_mov_b32 s5, 0xbf56c16c
	v_fma_f64 v[30:31], v[28:29], v[30:31], s[8:9]
	v_add_f64 v[34:35], v[42:43], -v[34:35]
	v_fma_f64 v[32:33], v[28:29], v[32:33], s[4:5]
	s_mov_b32 s5, 0x3fa55555
	s_mov_b32 s4, 0x55555555
	v_fma_f64 v[30:31], v[40:41], v[30:31], v[38:39]
	v_mul_f64 v[38:39], v[28:29], v[28:29]
	v_fma_f64 v[34:35], v[23:24], -v[25:26], v[34:35]
	v_fma_f64 v[32:33], v[28:29], v[32:33], s[4:5]
	s_mov_b32 s5, 0xbfc55555
	v_fma_f64 v[25:26], v[28:29], v[30:31], -v[25:26]
	v_fma_f64 v[28:29], v[38:39], v[32:33], v[34:35]
	v_fma_f64 v[25:26], v[40:41], s[4:5], v[25:26]
	v_cmp_class_f64_e64 s4, v[21:22], 0x1f8
	v_lshlrev_b32_e32 v21, 30, v27
	v_add_f64 v[28:29], v[36:37], v[28:29]
	v_xor_b32_e32 v21, v21, v22
	v_and_b32_e32 v21, 0x80000000, v21
	v_add_f64 v[23:24], v[23:24], -v[25:26]
	v_and_b32_e32 v25, 1, v27
	v_cmp_eq_u32_e32 vcc_lo, 0, v25
	v_cndmask_b32_e32 v22, v29, v24, vcc_lo
	v_cndmask_b32_e32 v23, v28, v23, vcc_lo
	v_xor_b32_e32 v22, v22, v21
	v_cndmask_b32_e64 v21, 0, v23, s4
	v_cndmask_b32_e64 v22, 0x7ff80000, v22, s4
	s_mov_b32 s4, 0xc9be45de
	s_mov_b32 s5, 0xc023bd3c
	v_mul_f64 v[21:22], v[21:22], v[21:22]
	v_div_scale_f64 v[23:24], null, v[21:22], v[21:22], s[4:5]
	v_div_scale_f64 v[29:30], vcc_lo, s[4:5], v[21:22], s[4:5]
	v_rcp_f64_e32 v[25:26], v[23:24]
	v_fma_f64 v[27:28], -v[23:24], v[25:26], 1.0
	v_fma_f64 v[25:26], v[25:26], v[27:28], v[25:26]
	v_fma_f64 v[27:28], -v[23:24], v[25:26], 1.0
	v_fma_f64 v[25:26], v[25:26], v[27:28], v[25:26]
	v_mul_f64 v[27:28], v[29:30], v[25:26]
	v_fma_f64 v[23:24], -v[23:24], v[27:28], v[29:30]
	v_div_fmas_f64 v[23:24], v[23:24], v[25:26], v[27:28]
	v_div_fixup_f64 v[21:22], v[23:24], v[21:22], s[4:5]
	v_add_f64 v[23:24], v[21:22], 0
	v_mov_b32_e32 v21, 0
	v_mov_b32_e32 v22, 0xbff00000
.LBB45_27:
	s_or_b32 exec_lo, exec_lo, s7
	v_add_f64 v[27:28], v[1:2], 1.0
	v_mul_f64 v[35:36], v[1:2], v[1:2]
	v_add_f64 v[102:103], v[7:8], 1.0
	s_mov_b32 s20, 0x11111111
	s_mov_b32 s22, 0x18618618
	;; [unrolled: 1-line block ×6, first 2 shown]
	v_add_f64 v[134:135], v[5:6], 1.0
	v_add_f64 v[29:30], v[27:28], 1.0
	v_mul_f64 v[33:34], v[27:28], v[27:28]
	v_add_f64 v[37:38], v[29:30], 1.0
	v_mul_f64 v[31:32], v[29:30], v[29:30]
	v_div_scale_f64 v[92:93], s4, 1.0, v[33:34], 1.0
	v_add_f64 v[39:40], v[37:38], 1.0
	v_mul_f64 v[29:30], v[37:38], v[37:38]
	v_div_scale_f64 v[37:38], null, v[35:36], v[35:36], 1.0
	v_add_f64 v[41:42], v[39:40], 1.0
	v_mul_f64 v[27:28], v[39:40], v[39:40]
	v_div_scale_f64 v[39:40], null, v[33:34], v[33:34], 1.0
	v_div_scale_f64 v[43:44], null, v[29:30], v[29:30], 1.0
	v_rcp_f64_e32 v[57:58], v[37:38]
	v_add_f64 v[25:26], v[41:42], 1.0
	v_mul_f64 v[1:2], v[41:42], v[41:42]
	v_div_scale_f64 v[41:42], null, v[31:32], v[31:32], 1.0
	v_div_scale_f64 v[45:46], null, v[27:28], v[27:28], 1.0
	v_rcp_f64_e32 v[59:60], v[39:40]
	v_rcp_f64_e32 v[63:64], v[43:44]
	v_fma_f64 v[73:74], -v[37:38], v[57:58], 1.0
	v_add_f64 v[49:50], v[25:26], v[25:26]
	v_mul_f64 v[51:52], v[25:26], v[25:26]
	v_div_scale_f64 v[47:48], null, v[1:2], v[1:2], 1.0
	v_rcp_f64_e32 v[61:62], v[41:42]
	v_rcp_f64_e32 v[65:66], v[45:46]
	v_fma_f64 v[75:76], -v[39:40], v[59:60], 1.0
	v_fma_f64 v[79:80], -v[43:44], v[63:64], 1.0
	v_fma_f64 v[57:58], v[57:58], v[73:74], v[57:58]
	v_div_scale_f64 v[53:54], null, v[49:50], v[49:50], 1.0
	v_div_scale_f64 v[55:56], null, v[51:52], v[51:52], 1.0
	v_rcp_f64_e32 v[67:68], v[47:48]
	v_fma_f64 v[77:78], -v[41:42], v[61:62], 1.0
	v_fma_f64 v[81:82], -v[45:46], v[65:66], 1.0
	v_fma_f64 v[59:60], v[59:60], v[75:76], v[59:60]
	v_fma_f64 v[63:64], v[63:64], v[79:80], v[63:64]
	v_fma_f64 v[73:74], -v[37:38], v[57:58], 1.0
	v_rcp_f64_e32 v[69:70], v[53:54]
	v_rcp_f64_e32 v[71:72], v[55:56]
	v_fma_f64 v[83:84], -v[47:48], v[67:68], 1.0
	v_fma_f64 v[61:62], v[61:62], v[77:78], v[61:62]
	v_fma_f64 v[65:66], v[65:66], v[81:82], v[65:66]
	v_fma_f64 v[75:76], -v[39:40], v[59:60], 1.0
	v_fma_f64 v[79:80], -v[43:44], v[63:64], 1.0
	v_fma_f64 v[57:58], v[57:58], v[73:74], v[57:58]
	v_div_scale_f64 v[73:74], s5, 1.0, v[31:32], 1.0
	v_fma_f64 v[85:86], -v[53:54], v[69:70], 1.0
	v_fma_f64 v[87:88], -v[55:56], v[71:72], 1.0
	v_fma_f64 v[67:68], v[67:68], v[83:84], v[67:68]
	v_fma_f64 v[77:78], -v[41:42], v[61:62], 1.0
	v_fma_f64 v[81:82], -v[45:46], v[65:66], 1.0
	v_fma_f64 v[59:60], v[59:60], v[75:76], v[59:60]
	v_div_scale_f64 v[75:76], s7, 1.0, v[29:30], 1.0
	v_fma_f64 v[63:64], v[63:64], v[79:80], v[63:64]
	v_div_scale_f64 v[79:80], s9, 1.0, v[1:2], 1.0
	v_fma_f64 v[69:70], v[69:70], v[85:86], v[69:70]
	v_div_scale_f64 v[85:86], vcc_lo, 1.0, v[35:36], 1.0
	v_fma_f64 v[71:72], v[71:72], v[87:88], v[71:72]
	v_fma_f64 v[83:84], -v[47:48], v[67:68], 1.0
	v_fma_f64 v[61:62], v[61:62], v[77:78], v[61:62]
	v_div_scale_f64 v[77:78], s8, 1.0, v[27:28], 1.0
	v_fma_f64 v[65:66], v[65:66], v[81:82], v[65:66]
	v_div_scale_f64 v[81:82], s10, 1.0, v[49:50], 1.0
	v_mul_f64 v[96:97], v[75:76], v[63:64]
	v_fma_f64 v[87:88], -v[53:54], v[69:70], 1.0
	v_fma_f64 v[89:90], -v[55:56], v[71:72], 1.0
	v_fma_f64 v[67:68], v[67:68], v[83:84], v[67:68]
	v_div_scale_f64 v[83:84], s11, 1.0, v[51:52], 1.0
	v_mul_f64 v[94:95], v[73:74], v[61:62]
	v_mul_f64 v[98:99], v[77:78], v[65:66]
	v_fma_f64 v[69:70], v[69:70], v[87:88], v[69:70]
	v_mul_f64 v[87:88], v[85:86], v[57:58]
	v_fma_f64 v[71:72], v[71:72], v[89:90], v[71:72]
	v_mul_f64 v[89:90], v[92:93], v[59:60]
	v_mul_f64 v[100:101], v[79:80], v[67:68]
	v_fma_f64 v[41:42], -v[41:42], v[94:95], v[73:74]
	v_fma_f64 v[73:74], -v[43:44], v[96:97], v[75:76]
	;; [unrolled: 1-line block ×3, first 2 shown]
	v_mul_f64 v[104:105], v[81:82], v[69:70]
	v_fma_f64 v[37:38], -v[37:38], v[87:88], v[85:86]
	v_mul_f64 v[106:107], v[83:84], v[71:72]
	v_fma_f64 v[39:40], -v[39:40], v[89:90], v[92:93]
	v_fma_f64 v[77:78], -v[47:48], v[100:101], v[79:80]
	v_add_f64 v[79:80], v[102:103], 1.0
	v_fma_f64 v[53:54], -v[53:54], v[104:105], v[81:82]
	v_div_fmas_f64 v[47:48], v[37:38], v[57:58], v[87:88]
	s_mov_b32 vcc_lo, s4
	v_fma_f64 v[55:56], -v[55:56], v[106:107], v[83:84]
	v_div_fmas_f64 v[45:46], v[39:40], v[59:60], v[89:90]
	s_mov_b32 vcc_lo, s5
	v_mul_f64 v[59:60], v[102:103], v[102:103]
	v_div_fmas_f64 v[43:44], v[41:42], v[61:62], v[94:95]
	s_mov_b32 vcc_lo, s7
	v_mul_f64 v[61:62], v[7:8], v[7:8]
	v_div_fmas_f64 v[41:42], v[73:74], v[63:64], v[96:97]
	s_mov_b32 vcc_lo, s8
	v_add_f64 v[63:64], v[79:80], 1.0
	v_div_fmas_f64 v[39:40], v[75:76], v[65:66], v[98:99]
	s_mov_b32 vcc_lo, s9
	v_mul_f64 v[57:58], v[79:80], v[79:80]
	v_div_fmas_f64 v[37:38], v[77:78], v[67:68], v[100:101]
	s_mov_b32 vcc_lo, s10
	v_div_fmas_f64 v[53:54], v[53:54], v[69:70], v[104:105]
	s_mov_b32 vcc_lo, s11
	v_div_fixup_f64 v[35:36], v[47:48], v[35:36], 1.0
	v_div_fmas_f64 v[55:56], v[55:56], v[71:72], v[106:107]
	v_div_fixup_f64 v[33:34], v[45:46], v[33:34], 1.0
	v_div_fixup_f64 v[31:32], v[43:44], v[31:32], 1.0
	;; [unrolled: 1-line block ×3, first 2 shown]
	v_add_f64 v[65:66], v[63:64], 1.0
	v_div_fixup_f64 v[27:28], v[39:40], v[27:28], 1.0
	v_div_scale_f64 v[69:70], null, v[57:58], v[57:58], 1.0
	v_div_fixup_f64 v[1:2], v[37:38], v[1:2], 1.0
	v_div_fixup_f64 v[49:50], v[53:54], v[49:50], 1.0
	v_add_f64 v[19:20], v[19:20], v[35:36]
	v_div_fixup_f64 v[51:52], v[55:56], v[51:52], 1.0
	v_add_f64 v[67:68], v[65:66], 1.0
	v_rcp_f64_e32 v[92:93], v[69:70]
	v_add_f64 v[55:56], v[49:50], 1.0
	v_add_f64 v[19:20], v[19:20], v[33:34]
	v_fma_f64 v[53:54], v[51:52], s[22:23], s[20:21]
	v_add_f64 v[49:50], v[67:68], 1.0
	v_mul_f64 v[7:8], v[67:68], v[67:68]
	v_div_scale_f64 v[67:68], null, v[59:60], v[59:60], 1.0
	v_fma_f64 v[110:111], -v[69:70], v[92:93], 1.0
	v_add_f64 v[19:20], v[19:20], v[31:32]
	v_fma_f64 v[53:54], -v[51:52], v[53:54], s[24:25]
	v_add_f64 v[77:78], v[49:50], v[49:50]
	v_mul_f64 v[79:80], v[49:50], v[49:50]
	v_div_scale_f64 v[75:76], null, v[7:8], v[7:8], 1.0
	v_rcp_f64_e32 v[89:90], v[67:68]
	v_fma_f64 v[92:93], v[92:93], v[110:111], v[92:93]
	v_add_f64 v[19:20], v[19:20], v[29:30]
	v_fma_f64 v[51:52], v[51:52], v[53:54], v[55:56]
	v_mul_f64 v[55:56], v[63:64], v[63:64]
	v_mul_f64 v[53:54], v[65:66], v[65:66]
	v_div_scale_f64 v[65:66], null, v[61:62], v[61:62], 1.0
	v_div_scale_f64 v[81:82], null, v[77:78], v[77:78], 1.0
	v_div_scale_f64 v[83:84], null, v[79:80], v[79:80], 1.0
	v_rcp_f64_e32 v[98:99], v[75:76]
	v_fma_f64 v[110:111], -v[69:70], v[92:93], 1.0
	v_fma_f64 v[108:109], -v[67:68], v[89:90], 1.0
	v_add_f64 v[19:20], v[19:20], v[27:28]
	v_div_scale_f64 v[63:64], null, v[25:26], v[25:26], v[51:52]
	v_div_scale_f64 v[71:72], null, v[55:56], v[55:56], 1.0
	v_div_scale_f64 v[73:74], null, v[53:54], v[53:54], 1.0
	v_rcp_f64_e32 v[87:88], v[65:66]
	v_div_scale_f64 v[126:127], vcc_lo, v[51:52], v[25:26], v[51:52]
	v_rcp_f64_e32 v[100:101], v[81:82]
	v_rcp_f64_e32 v[102:103], v[83:84]
	v_fma_f64 v[92:93], v[92:93], v[110:111], v[92:93]
	v_fma_f64 v[116:117], -v[75:76], v[98:99], 1.0
	v_fma_f64 v[89:90], v[89:90], v[108:109], v[89:90]
	v_div_scale_f64 v[110:111], s10, 1.0, v[7:8], 1.0
	v_add_f64 v[1:2], v[19:20], v[1:2]
	v_rcp_f64_e32 v[85:86], v[63:64]
	v_rcp_f64_e32 v[94:95], v[71:72]
	;; [unrolled: 1-line block ×3, first 2 shown]
	v_fma_f64 v[106:107], -v[65:66], v[87:88], 1.0
	v_fma_f64 v[118:119], -v[81:82], v[100:101], 1.0
	;; [unrolled: 1-line block ×3, first 2 shown]
	v_fma_f64 v[98:99], v[98:99], v[116:117], v[98:99]
	v_fma_f64 v[108:109], -v[67:68], v[89:90], 1.0
	v_fma_f64 v[104:105], -v[63:64], v[85:86], 1.0
	;; [unrolled: 1-line block ×4, first 2 shown]
	v_fma_f64 v[87:88], v[87:88], v[106:107], v[87:88]
	v_fma_f64 v[100:101], v[100:101], v[118:119], v[100:101]
	v_div_scale_f64 v[118:119], s5, 1.0, v[59:60], 1.0
	v_fma_f64 v[102:103], v[102:103], v[120:121], v[102:103]
	v_fma_f64 v[120:121], -v[75:76], v[98:99], 1.0
	v_fma_f64 v[89:90], v[89:90], v[108:109], v[89:90]
	v_div_scale_f64 v[108:109], s9, 1.0, v[53:54], 1.0
	v_fma_f64 v[85:86], v[85:86], v[104:105], v[85:86]
	v_fma_f64 v[94:95], v[94:95], v[112:113], v[94:95]
	;; [unrolled: 1-line block ×3, first 2 shown]
	v_div_scale_f64 v[114:115], s4, 1.0, v[61:62], 1.0
	v_fma_f64 v[106:107], -v[65:66], v[87:88], 1.0
	v_fma_f64 v[122:123], -v[81:82], v[100:101], 1.0
	;; [unrolled: 1-line block ×3, first 2 shown]
	v_fma_f64 v[98:99], v[98:99], v[120:121], v[98:99]
	v_fma_f64 v[104:105], -v[63:64], v[85:86], 1.0
	v_fma_f64 v[112:113], -v[71:72], v[94:95], 1.0
	;; [unrolled: 1-line block ×3, first 2 shown]
	v_fma_f64 v[87:88], v[87:88], v[106:107], v[87:88]
	v_div_scale_f64 v[106:107], s8, 1.0, v[55:56], 1.0
	v_fma_f64 v[100:101], v[100:101], v[122:123], v[100:101]
	v_fma_f64 v[102:103], v[102:103], v[124:125], v[102:103]
	v_mul_f64 v[124:125], v[118:119], v[89:90]
	v_mul_f64 v[136:137], v[110:111], v[98:99]
	v_fma_f64 v[85:86], v[85:86], v[104:105], v[85:86]
	v_div_scale_f64 v[104:105], s7, 1.0, v[57:58], 1.0
	v_fma_f64 v[94:95], v[94:95], v[112:113], v[94:95]
	v_fma_f64 v[96:97], v[96:97], v[116:117], v[96:97]
	v_div_scale_f64 v[112:113], s11, 1.0, v[77:78], 1.0
	v_div_scale_f64 v[116:117], s12, 1.0, v[79:80], 1.0
	v_mul_f64 v[122:123], v[114:115], v[87:88]
	v_fma_f64 v[67:68], -v[67:68], v[124:125], v[118:119]
	v_fma_f64 v[110:111], -v[75:76], v[136:137], v[110:111]
	v_mul_f64 v[120:121], v[126:127], v[85:86]
	v_mul_f64 v[128:129], v[104:105], v[92:93]
	;; [unrolled: 1-line block ×6, first 2 shown]
	v_fma_f64 v[65:66], -v[65:66], v[122:123], v[114:115]
	v_fma_f64 v[63:64], -v[63:64], v[120:121], v[126:127]
	;; [unrolled: 1-line block ×6, first 2 shown]
	v_add_f64 v[108:109], v[134:135], 1.0
	v_fma_f64 v[83:84], -v[83:84], v[140:141], v[116:117]
	v_div_fmas_f64 v[63:64], v[63:64], v[85:86], v[120:121]
	s_mov_b32 vcc_lo, s4
	v_div_fmas_f64 v[75:76], v[65:66], v[87:88], v[122:123]
	s_mov_b32 vcc_lo, s5
	;; [unrolled: 2-line block ×8, first 2 shown]
	v_div_fixup_f64 v[19:20], v[63:64], v[25:26], v[51:52]
	v_div_fmas_f64 v[81:82], v[83:84], v[102:103], v[140:141]
	v_add_f64 v[83:84], v[108:109], 1.0
	v_div_fixup_f64 v[47:48], v[75:76], v[61:62], 1.0
	v_div_fixup_f64 v[35:36], v[73:74], v[59:60], 1.0
	;; [unrolled: 1-line block ×8, first 2 shown]
	v_mul_f64 v[81:82], v[5:6], v[5:6]
	v_mul_f64 v[79:80], v[134:135], v[134:135]
	;; [unrolled: 1-line block ×3, first 2 shown]
	v_add_f64 v[89:90], v[83:84], 1.0
	v_mul_f64 v[77:78], v[83:84], v[83:84]
	v_add_f64 v[15:16], v[15:16], v[47:48]
	v_add_f64 v[102:103], v[85:86], 1.0
	v_fma_f64 v[92:93], v[87:88], s[22:23], s[20:21]
	v_div_scale_f64 v[94:95], null, v[81:82], v[81:82], 1.0
	v_div_scale_f64 v[96:97], null, v[79:80], v[79:80], 1.0
	;; [unrolled: 1-line block ×3, first 2 shown]
	v_add_f64 v[100:101], v[89:90], 1.0
	v_mul_f64 v[83:84], v[89:90], v[89:90]
	v_div_scale_f64 v[110:111], null, v[77:78], v[77:78], 1.0
	v_div_scale_f64 v[142:143], s4, 1.0, v[81:82], 1.0
	v_div_scale_f64 v[144:145], s5, 1.0, v[79:80], 1.0
	;; [unrolled: 1-line block ×3, first 2 shown]
	v_add_f64 v[15:16], v[15:16], v[35:36]
	v_fma_f64 v[92:93], -v[87:88], v[92:93], s[24:25]
	v_rcp_f64_e32 v[104:105], v[94:95]
	v_rcp_f64_e32 v[106:107], v[96:97]
	;; [unrolled: 1-line block ×3, first 2 shown]
	v_add_f64 v[85:86], v[100:101], 1.0
	v_mul_f64 v[89:90], v[100:101], v[100:101]
	v_div_scale_f64 v[100:101], null, v[83:84], v[83:84], 1.0
	v_rcp_f64_e32 v[112:113], v[110:111]
	v_add_f64 v[15:16], v[15:16], v[33:34]
	v_fma_f64 v[87:88], v[87:88], v[92:93], v[102:103]
	v_fma_f64 v[92:93], -v[94:95], v[104:105], 1.0
	v_fma_f64 v[102:103], -v[96:97], v[106:107], 1.0
	;; [unrolled: 1-line block ×3, first 2 shown]
	v_add_f64 v[116:117], v[85:86], v[85:86]
	v_div_scale_f64 v[118:119], null, v[89:90], v[89:90], 1.0
	v_rcp_f64_e32 v[120:121], v[100:101]
	v_mul_f64 v[122:123], v[85:86], v[85:86]
	v_add_f64 v[15:16], v[15:16], v[31:32]
	v_div_scale_f64 v[124:125], null, v[49:50], v[49:50], v[87:88]
	v_fma_f64 v[92:93], v[104:105], v[92:93], v[104:105]
	v_fma_f64 v[102:103], v[106:107], v[102:103], v[106:107]
	v_fma_f64 v[106:107], -v[110:111], v[112:113], 1.0
	v_fma_f64 v[104:105], v[108:109], v[114:115], v[108:109]
	v_div_scale_f64 v[108:109], null, v[116:117], v[116:117], 1.0
	v_rcp_f64_e32 v[114:115], v[118:119]
	v_div_scale_f64 v[126:127], null, v[122:123], v[122:123], 1.0
	v_fma_f64 v[128:129], -v[100:101], v[120:121], 1.0
	v_add_f64 v[15:16], v[15:16], v[29:30]
	v_rcp_f64_e32 v[130:131], v[124:125]
	v_fma_f64 v[132:133], -v[94:95], v[92:93], 1.0
	v_fma_f64 v[134:135], -v[96:97], v[102:103], 1.0
	v_fma_f64 v[106:107], v[112:113], v[106:107], v[112:113]
	v_fma_f64 v[136:137], -v[98:99], v[104:105], 1.0
	v_rcp_f64_e32 v[112:113], v[108:109]
	v_rcp_f64_e32 v[138:139], v[126:127]
	v_fma_f64 v[120:121], v[120:121], v[128:129], v[120:121]
	v_fma_f64 v[128:129], -v[118:119], v[114:115], 1.0
	v_add_f64 v[7:8], v[15:16], v[7:8]
	v_fma_f64 v[140:141], -v[124:125], v[130:131], 1.0
	v_fma_f64 v[92:93], v[92:93], v[132:133], v[92:93]
	v_fma_f64 v[102:103], v[102:103], v[134:135], v[102:103]
	v_fma_f64 v[132:133], -v[110:111], v[106:107], 1.0
	v_fma_f64 v[104:105], v[104:105], v[136:137], v[104:105]
	v_fma_f64 v[134:135], -v[100:101], v[120:121], 1.0
	;; [unrolled: 2-line block ×3, first 2 shown]
	v_fma_f64 v[136:137], -v[126:127], v[138:139], 1.0
	v_fma_f64 v[130:131], v[130:131], v[140:141], v[130:131]
	v_div_scale_f64 v[140:141], s8, 1.0, v[77:78], 1.0
	v_mul_f64 v[148:149], v[142:143], v[92:93]
	v_mul_f64 v[150:151], v[144:145], v[102:103]
	v_fma_f64 v[106:107], v[106:107], v[132:133], v[106:107]
	v_div_scale_f64 v[132:133], s9, 1.0, v[83:84], 1.0
	v_mul_f64 v[152:153], v[146:147], v[104:105]
	v_fma_f64 v[120:121], v[120:121], v[134:135], v[120:121]
	v_fma_f64 v[134:135], -v[118:119], v[114:115], 1.0
	v_fma_f64 v[112:113], v[112:113], v[128:129], v[112:113]
	v_fma_f64 v[128:129], v[138:139], v[136:137], v[138:139]
	v_div_scale_f64 v[138:139], s10, 1.0, v[89:90], 1.0
	v_fma_f64 v[136:137], -v[124:125], v[130:131], 1.0
	v_fma_f64 v[94:95], -v[94:95], v[148:149], v[142:143]
	v_fma_f64 v[96:97], -v[96:97], v[150:151], v[144:145]
	v_mul_f64 v[142:143], v[140:141], v[106:107]
	v_fma_f64 v[98:99], -v[98:99], v[152:153], v[146:147]
	v_mul_f64 v[144:145], v[132:133], v[120:121]
	v_fma_f64 v[114:115], v[114:115], v[134:135], v[114:115]
	v_fma_f64 v[134:135], -v[108:109], v[112:113], 1.0
	v_fma_f64 v[146:147], -v[126:127], v[128:129], 1.0
	v_fma_f64 v[130:131], v[130:131], v[136:137], v[130:131]
	v_div_scale_f64 v[136:137], vcc_lo, v[87:88], v[49:50], v[87:88]
	v_fma_f64 v[110:111], -v[110:111], v[142:143], v[140:141]
	v_div_scale_f64 v[140:141], s11, 1.0, v[116:117], 1.0
	v_fma_f64 v[100:101], -v[100:101], v[144:145], v[132:133]
	v_mul_f64 v[132:133], v[138:139], v[114:115]
	v_fma_f64 v[112:113], v[112:113], v[134:135], v[112:113]
	v_fma_f64 v[128:129], v[128:129], v[146:147], v[128:129]
	v_div_scale_f64 v[146:147], s12, 1.0, v[122:123], 1.0
	v_mul_f64 v[134:135], v[136:137], v[130:131]
	v_fma_f64 v[118:119], -v[118:119], v[132:133], v[138:139]
	v_mul_f64 v[138:139], v[140:141], v[112:113]
	v_fma_f64 v[124:125], -v[124:125], v[134:135], v[136:137]
	;; [unrolled: 2-line block ×3, first 2 shown]
	v_div_fmas_f64 v[124:125], v[124:125], v[130:131], v[134:135]
	v_fma_f64 v[126:127], -v[126:127], v[136:137], v[146:147]
	s_mov_b32 vcc_lo, s4
	v_div_fmas_f64 v[92:93], v[94:95], v[92:93], v[148:149]
	s_mov_b32 vcc_lo, s5
	v_div_fmas_f64 v[94:95], v[96:97], v[102:103], v[150:151]
	;; [unrolled: 2-line block ×4, first 2 shown]
	s_mov_b32 vcc_lo, s9
	v_add_f64 v[110:111], v[3:4], 1.0
	v_div_fmas_f64 v[100:101], v[100:101], v[120:121], v[144:145]
	s_mov_b32 vcc_lo, s10
	v_mul_f64 v[3:4], v[3:4], v[3:4]
	v_div_fmas_f64 v[102:103], v[118:119], v[114:115], v[132:133]
	s_mov_b32 vcc_lo, s11
	v_div_fmas_f64 v[104:105], v[108:109], v[112:113], v[138:139]
	s_mov_b32 vcc_lo, s12
	v_div_fixup_f64 v[15:16], v[124:125], v[49:50], v[87:88]
	v_div_fmas_f64 v[106:107], v[126:127], v[128:129], v[136:137]
	v_div_fixup_f64 v[61:62], v[92:93], v[81:82], 1.0
	v_div_fixup_f64 v[45:46], v[94:95], v[79:80], 1.0
	;; [unrolled: 1-line block ×5, first 2 shown]
	v_div_scale_f64 v[112:113], null, v[3:4], v[3:4], 1.0
	v_div_fixup_f64 v[27:28], v[102:103], v[89:90], 1.0
	v_div_fixup_f64 v[104:105], v[104:105], v[116:117], 1.0
	v_add_f64 v[7:8], v[7:8], v[15:16]
	v_div_fixup_f64 v[106:107], v[106:107], v[122:123], 1.0
	v_add_f64 v[11:12], v[11:12], v[61:62]
	v_add_f64 v[15:16], v[1:2], v[19:20]
	v_rcp_f64_e32 v[120:121], v[112:113]
	v_add_f64 v[104:105], v[104:105], 1.0
	v_fma_f64 v[108:109], v[106:107], s[22:23], s[20:21]
	v_add_f64 v[11:12], v[11:12], v[45:46]
	v_fma_f64 v[132:133], -v[112:113], v[120:121], 1.0
	v_fma_f64 v[108:109], -v[106:107], v[108:109], s[24:25]
	v_add_f64 v[5:6], v[11:12], v[5:6]
	v_fma_f64 v[120:121], v[120:121], v[132:133], v[120:121]
	v_fma_f64 v[104:105], v[106:107], v[108:109], v[104:105]
	v_mul_f64 v[106:107], v[110:111], v[110:111]
	v_add_f64 v[108:109], v[110:111], 1.0
	v_add_f64 v[5:6], v[5:6], v[33:34]
	v_fma_f64 v[140:141], -v[112:113], v[120:121], 1.0
	v_div_scale_f64 v[110:111], null, v[85:86], v[85:86], v[104:105]
	v_div_scale_f64 v[114:115], null, v[106:107], v[106:107], 1.0
	v_mul_f64 v[116:117], v[108:109], v[108:109]
	v_add_f64 v[108:109], v[108:109], 1.0
	v_div_scale_f64 v[144:145], vcc_lo, v[104:105], v[85:86], v[104:105]
	v_add_f64 v[5:6], v[5:6], v[31:32]
	v_fma_f64 v[120:121], v[120:121], v[140:141], v[120:121]
	v_div_scale_f64 v[140:141], s5, 1.0, v[106:107], 1.0
	v_rcp_f64_e32 v[118:119], v[110:111]
	v_rcp_f64_e32 v[122:123], v[114:115]
	v_div_scale_f64 v[126:127], null, v[116:117], v[116:117], 1.0
	v_mul_f64 v[128:129], v[108:109], v[108:109]
	v_add_f64 v[108:109], v[108:109], 1.0
	v_add_f64 v[5:6], v[5:6], v[27:28]
	v_fma_f64 v[130:131], -v[110:111], v[118:119], 1.0
	v_rcp_f64_e32 v[134:135], v[126:127]
	v_fma_f64 v[136:137], -v[114:115], v[122:123], 1.0
	v_div_scale_f64 v[138:139], null, v[128:129], v[128:129], 1.0
	v_mul_f64 v[146:147], v[108:109], v[108:109]
	v_add_f64 v[108:109], v[108:109], 1.0
	v_fma_f64 v[118:119], v[118:119], v[130:131], v[118:119]
	v_fma_f64 v[122:123], v[122:123], v[136:137], v[122:123]
	v_rcp_f64_e32 v[130:131], v[138:139]
	v_fma_f64 v[132:133], -v[126:127], v[134:135], 1.0
	v_div_scale_f64 v[150:151], null, v[146:147], v[146:147], 1.0
	v_add_f64 v[154:155], v[108:109], 1.0
	v_mul_f64 v[108:109], v[108:109], v[108:109]
	v_fma_f64 v[136:137], -v[110:111], v[118:119], 1.0
	v_fma_f64 v[142:143], -v[114:115], v[122:123], 1.0
	v_fma_f64 v[132:133], v[134:135], v[132:133], v[134:135]
	v_fma_f64 v[134:135], -v[138:139], v[130:131], 1.0
	v_fma_f64 v[118:119], v[118:119], v[136:137], v[118:119]
	v_div_scale_f64 v[136:137], s4, 1.0, v[3:4], 1.0
	v_fma_f64 v[122:123], v[122:123], v[142:143], v[122:123]
	v_fma_f64 v[142:143], -v[126:127], v[132:133], 1.0
	v_fma_f64 v[130:131], v[130:131], v[134:135], v[130:131]
	v_mul_f64 v[134:135], v[144:145], v[118:119]
	v_mul_f64 v[148:149], v[136:137], v[120:121]
	;; [unrolled: 1-line block ×3, first 2 shown]
	v_fma_f64 v[132:133], v[132:133], v[142:143], v[132:133]
	v_fma_f64 v[142:143], -v[138:139], v[130:131], 1.0
	v_fma_f64 v[110:111], -v[110:111], v[134:135], v[144:145]
	v_div_scale_f64 v[144:145], s7, 1.0, v[116:117], 1.0
	v_fma_f64 v[112:113], -v[112:113], v[148:149], v[136:137]
	v_rcp_f64_e32 v[136:137], v[150:151]
	v_fma_f64 v[114:115], -v[114:115], v[152:153], v[140:141]
	v_div_scale_f64 v[140:141], s8, 1.0, v[128:129], 1.0
	v_fma_f64 v[130:131], v[130:131], v[142:143], v[130:131]
	v_mul_f64 v[142:143], v[154:155], v[154:155]
	v_div_fmas_f64 v[110:111], v[110:111], v[118:119], v[134:135]
	v_mul_f64 v[118:119], v[144:145], v[132:133]
	v_div_scale_f64 v[134:135], null, v[108:109], v[108:109], 1.0
	s_mov_b32 vcc_lo, s4
	v_div_fmas_f64 v[112:113], v[112:113], v[120:121], v[148:149]
	s_mov_b32 vcc_lo, s5
	v_add_f64 v[120:121], v[154:155], v[154:155]
	v_fma_f64 v[148:149], -v[150:151], v[136:137], 1.0
	v_div_fmas_f64 v[114:115], v[114:115], v[122:123], v[152:153]
	v_mul_f64 v[122:123], v[140:141], v[130:131]
	v_div_scale_f64 v[152:153], null, v[142:143], v[142:143], 1.0
	s_mov_b32 vcc_lo, s7
	v_fma_f64 v[126:127], -v[126:127], v[118:119], v[144:145]
	v_rcp_f64_e32 v[144:145], v[134:135]
	v_div_fixup_f64 v[3:4], v[112:113], v[3:4], 1.0
	v_fma_f64 v[136:137], v[136:137], v[148:149], v[136:137]
	v_div_scale_f64 v[148:149], null, v[120:121], v[120:121], 1.0
	v_fma_f64 v[138:139], -v[138:139], v[122:123], v[140:141]
	v_rcp_f64_e32 v[140:141], v[152:153]
	v_div_fixup_f64 v[47:48], v[114:115], v[106:107], 1.0
	v_div_fmas_f64 v[118:119], v[126:127], v[132:133], v[118:119]
	s_mov_b32 vcc_lo, s8
	v_fma_f64 v[126:127], -v[134:135], v[144:145], 1.0
	v_add_f64 v[3:4], v[23:24], v[3:4]
	v_rcp_f64_e32 v[132:133], v[148:149]
	v_div_fmas_f64 v[122:123], v[138:139], v[130:131], v[122:123]
	v_fma_f64 v[130:131], -v[150:151], v[136:137], 1.0
	v_fma_f64 v[138:139], -v[152:153], v[140:141], 1.0
	v_div_fixup_f64 v[35:36], v[118:119], v[116:117], 1.0
	v_fma_f64 v[126:127], v[144:145], v[126:127], v[144:145]
	v_div_scale_f64 v[144:145], vcc_lo, 1.0, v[146:147], 1.0
	v_add_f64 v[3:4], v[3:4], v[47:48]
	v_div_fixup_f64 v[11:12], v[122:123], v[128:129], 1.0
	v_fma_f64 v[130:131], v[136:137], v[130:131], v[136:137]
	v_fma_f64 v[136:137], -v[148:149], v[132:133], 1.0
	v_fma_f64 v[138:139], v[140:141], v[138:139], v[140:141]
	v_fma_f64 v[140:141], -v[134:135], v[126:127], 1.0
	v_add_f64 v[3:4], v[3:4], v[35:36]
	v_fma_f64 v[132:133], v[132:133], v[136:137], v[132:133]
	v_mul_f64 v[136:137], v[144:145], v[130:131]
	v_fma_f64 v[126:127], v[126:127], v[140:141], v[126:127]
	v_fma_f64 v[140:141], -v[152:153], v[138:139], 1.0
	v_add_f64 v[3:4], v[3:4], v[11:12]
	v_fma_f64 v[144:145], -v[150:151], v[136:137], v[144:145]
	v_fma_f64 v[150:151], -v[148:149], v[132:133], 1.0
	v_fma_f64 v[138:139], v[138:139], v[140:141], v[138:139]
	v_div_scale_f64 v[140:141], s4, 1.0, v[108:109], 1.0
	v_div_fmas_f64 v[130:131], v[144:145], v[130:131], v[136:137]
	v_fma_f64 v[132:133], v[132:133], v[150:151], v[132:133]
	v_div_scale_f64 v[144:145], s7, 1.0, v[120:121], 1.0
	s_mov_b32 vcc_lo, s4
	s_add_u32 s4, s16, s14
	v_mul_f64 v[150:151], v[140:141], v[126:127]
	v_div_fixup_f64 v[33:34], v[130:131], v[146:147], 1.0
	v_fma_f64 v[134:135], -v[134:135], v[150:151], v[140:141]
	v_div_scale_f64 v[140:141], s5, 1.0, v[142:143], 1.0
	v_add_f64 v[3:4], v[3:4], v[33:34]
	v_div_fmas_f64 v[126:127], v[134:135], v[126:127], v[150:151]
	v_mul_f64 v[136:137], v[140:141], v[138:139]
	s_mov_b32 vcc_lo, s5
	s_addc_u32 s5, s17, s15
	v_div_fixup_f64 v[29:30], v[126:127], v[108:109], 1.0
	v_fma_f64 v[140:141], -v[152:153], v[136:137], v[140:141]
	v_mul_f64 v[152:153], v[144:145], v[132:133]
	v_add_f64 v[3:4], v[3:4], v[29:30]
	v_div_fmas_f64 v[134:135], v[140:141], v[138:139], v[136:137]
	v_fma_f64 v[144:145], -v[148:149], v[152:153], v[144:145]
	s_mov_b32 vcc_lo, s7
	v_div_fixup_f64 v[134:135], v[134:135], v[142:143], 1.0
	v_div_fmas_f64 v[132:133], v[144:145], v[132:133], v[152:153]
	v_div_fixup_f64 v[120:121], v[132:133], v[120:121], 1.0
	v_fma_f64 v[132:133], v[134:135], s[22:23], s[20:21]
	v_add_f64 v[120:121], v[120:121], 1.0
	v_fma_f64 v[132:133], -v[134:135], v[132:133], s[24:25]
	v_fma_f64 v[120:121], v[134:135], v[132:133], v[120:121]
	v_div_scale_f64 v[132:133], null, v[154:155], v[154:155], v[120:121]
	v_div_scale_f64 v[43:44], vcc_lo, v[120:121], v[154:155], v[120:121]
	v_rcp_f64_e32 v[134:135], v[132:133]
	v_fma_f64 v[136:137], -v[132:133], v[134:135], 1.0
	v_fma_f64 v[75:76], v[134:135], v[136:137], v[134:135]
	v_fma_f64 v[23:24], -v[132:133], v[75:76], 1.0
	v_fma_f64 v[23:24], v[75:76], v[23:24], v[75:76]
	v_mul_f64 v[35:36], v[43:44], v[23:24]
	v_fma_f64 v[11:12], -v[132:133], v[35:36], v[43:44]
	v_div_fmas_f64 v[11:12], v[11:12], v[23:24], v[35:36]
	v_div_fixup_f64 v[23:24], v[110:111], v[85:86], v[104:105]
	v_div_fixup_f64 v[11:12], v[11:12], v[154:155], v[120:121]
	v_add_f64 v[5:6], v[5:6], v[23:24]
	v_add_f64 v[11:12], v[3:4], v[11:12]
	v_mul_f64 v[3:4], v[13:14], v[7:8]
	v_mul_f64 v[1:2], v[9:10], v[5:6]
	;; [unrolled: 1-line block ×3, first 2 shown]
	v_add_co_u32 v9, s7, s4, v91
	v_add_co_ci_u32_e64 v10, null, s5, 0, s7
	v_add_co_u32 v9, vcc_lo, 0x1000, v9
	v_add_co_ci_u32_e64 v10, null, 0, v10, vcc_lo
	v_mul_f64 v[7:8], v[21:22], v[11:12]
	global_store_dwordx4 v91, v[1:4], s[4:5]
	global_store_dwordx4 v[9:10], v[5:8], off
	s_branch .LBB45_2
.LBB45_28:
	v_mov_b32_e32 v31, v0
	v_mov_b32_e32 v0, s16
	;; [unrolled: 1-line block ×6, first 2 shown]
	s_getpc_b64 s[4:5]
	s_add_u32 s4, s4, _ZN2at6native25elementwise_kernel_helperILb0EZZZNS0_20trigamma_kernel_cudaERNS_18TensorIteratorBaseEENKUlvE_clEvENKUlvE_clEvEUldE_NS0_6memory8policies11unroll_baseILi256ESt5arrayIPcLm2EE23TrivialOffsetCalculatorILi1EjESE_NS7_15LoadWithoutCastENS7_16StoreWithoutCastELi4ELi1EEEEEvT0_T1_@rel32@lo+4
	s_addc_u32 s5, s5, _ZN2at6native25elementwise_kernel_helperILb0EZZZNS0_20trigamma_kernel_cudaERNS_18TensorIteratorBaseEENKUlvE_clEvENKUlvE_clEvEUldE_NS0_6memory8policies11unroll_baseILi256ESt5arrayIPcLm2EE23TrivialOffsetCalculatorILi1EjESE_NS7_15LoadWithoutCastENS7_16StoreWithoutCastELi4ELi1EEEEEvT0_T1_@rel32@hi+12
	s_mov_b32 s12, s6
	s_swappc_b64 s[30:31], s[4:5]
	s_endpgm
	.section	.rodata,"a",@progbits
	.p2align	6, 0x0
	.amdhsa_kernel _ZN2at6native29vectorized_elementwise_kernelILi2EZZZNS0_20trigamma_kernel_cudaERNS_18TensorIteratorBaseEENKUlvE_clEvENKUlvE_clEvEUldE_St5arrayIPcLm2EEEEviT0_T1_
		.amdhsa_group_segment_fixed_size 0
		.amdhsa_private_segment_fixed_size 0
		.amdhsa_kernarg_size 24
		.amdhsa_user_sgpr_count 6
		.amdhsa_user_sgpr_private_segment_buffer 1
		.amdhsa_user_sgpr_dispatch_ptr 0
		.amdhsa_user_sgpr_queue_ptr 0
		.amdhsa_user_sgpr_kernarg_segment_ptr 1
		.amdhsa_user_sgpr_dispatch_id 0
		.amdhsa_user_sgpr_flat_scratch_init 0
		.amdhsa_user_sgpr_private_segment_size 0
		.amdhsa_wavefront_size32 1
		.amdhsa_uses_dynamic_stack 0
		.amdhsa_system_sgpr_private_segment_wavefront_offset 0
		.amdhsa_system_sgpr_workgroup_id_x 1
		.amdhsa_system_sgpr_workgroup_id_y 0
		.amdhsa_system_sgpr_workgroup_id_z 0
		.amdhsa_system_sgpr_workgroup_info 0
		.amdhsa_system_vgpr_workitem_id 0
		.amdhsa_next_free_vgpr 156
		.amdhsa_next_free_sgpr 33
		.amdhsa_reserve_vcc 1
		.amdhsa_reserve_flat_scratch 0
		.amdhsa_float_round_mode_32 0
		.amdhsa_float_round_mode_16_64 0
		.amdhsa_float_denorm_mode_32 3
		.amdhsa_float_denorm_mode_16_64 3
		.amdhsa_dx10_clamp 1
		.amdhsa_ieee_mode 1
		.amdhsa_fp16_overflow 0
		.amdhsa_workgroup_processor_mode 1
		.amdhsa_memory_ordered 1
		.amdhsa_forward_progress 1
		.amdhsa_shared_vgpr_count 0
		.amdhsa_exception_fp_ieee_invalid_op 0
		.amdhsa_exception_fp_denorm_src 0
		.amdhsa_exception_fp_ieee_div_zero 0
		.amdhsa_exception_fp_ieee_overflow 0
		.amdhsa_exception_fp_ieee_underflow 0
		.amdhsa_exception_fp_ieee_inexact 0
		.amdhsa_exception_int_div_zero 0
	.end_amdhsa_kernel
	.section	.text._ZN2at6native29vectorized_elementwise_kernelILi2EZZZNS0_20trigamma_kernel_cudaERNS_18TensorIteratorBaseEENKUlvE_clEvENKUlvE_clEvEUldE_St5arrayIPcLm2EEEEviT0_T1_,"axG",@progbits,_ZN2at6native29vectorized_elementwise_kernelILi2EZZZNS0_20trigamma_kernel_cudaERNS_18TensorIteratorBaseEENKUlvE_clEvENKUlvE_clEvEUldE_St5arrayIPcLm2EEEEviT0_T1_,comdat
.Lfunc_end45:
	.size	_ZN2at6native29vectorized_elementwise_kernelILi2EZZZNS0_20trigamma_kernel_cudaERNS_18TensorIteratorBaseEENKUlvE_clEvENKUlvE_clEvEUldE_St5arrayIPcLm2EEEEviT0_T1_, .Lfunc_end45-_ZN2at6native29vectorized_elementwise_kernelILi2EZZZNS0_20trigamma_kernel_cudaERNS_18TensorIteratorBaseEENKUlvE_clEvENKUlvE_clEvEUldE_St5arrayIPcLm2EEEEviT0_T1_
                                        ; -- End function
	.set _ZN2at6native29vectorized_elementwise_kernelILi2EZZZNS0_20trigamma_kernel_cudaERNS_18TensorIteratorBaseEENKUlvE_clEvENKUlvE_clEvEUldE_St5arrayIPcLm2EEEEviT0_T1_.num_vgpr, max(156, .L_ZN2at6native25elementwise_kernel_helperILb0EZZZNS0_20trigamma_kernel_cudaERNS_18TensorIteratorBaseEENKUlvE_clEvENKUlvE_clEvEUldE_NS0_6memory8policies11unroll_baseILi256ESt5arrayIPcLm2EE23TrivialOffsetCalculatorILi1EjESE_NS7_15LoadWithoutCastENS7_16StoreWithoutCastELi4ELi1EEEEEvT0_T1_.num_vgpr)
	.set _ZN2at6native29vectorized_elementwise_kernelILi2EZZZNS0_20trigamma_kernel_cudaERNS_18TensorIteratorBaseEENKUlvE_clEvENKUlvE_clEvEUldE_St5arrayIPcLm2EEEEviT0_T1_.num_agpr, max(0, .L_ZN2at6native25elementwise_kernel_helperILb0EZZZNS0_20trigamma_kernel_cudaERNS_18TensorIteratorBaseEENKUlvE_clEvENKUlvE_clEvEUldE_NS0_6memory8policies11unroll_baseILi256ESt5arrayIPcLm2EE23TrivialOffsetCalculatorILi1EjESE_NS7_15LoadWithoutCastENS7_16StoreWithoutCastELi4ELi1EEEEEvT0_T1_.num_agpr)
	.set _ZN2at6native29vectorized_elementwise_kernelILi2EZZZNS0_20trigamma_kernel_cudaERNS_18TensorIteratorBaseEENKUlvE_clEvENKUlvE_clEvEUldE_St5arrayIPcLm2EEEEviT0_T1_.numbered_sgpr, max(33, .L_ZN2at6native25elementwise_kernel_helperILb0EZZZNS0_20trigamma_kernel_cudaERNS_18TensorIteratorBaseEENKUlvE_clEvENKUlvE_clEvEUldE_NS0_6memory8policies11unroll_baseILi256ESt5arrayIPcLm2EE23TrivialOffsetCalculatorILi1EjESE_NS7_15LoadWithoutCastENS7_16StoreWithoutCastELi4ELi1EEEEEvT0_T1_.numbered_sgpr)
	.set _ZN2at6native29vectorized_elementwise_kernelILi2EZZZNS0_20trigamma_kernel_cudaERNS_18TensorIteratorBaseEENKUlvE_clEvENKUlvE_clEvEUldE_St5arrayIPcLm2EEEEviT0_T1_.num_named_barrier, max(0, .L_ZN2at6native25elementwise_kernel_helperILb0EZZZNS0_20trigamma_kernel_cudaERNS_18TensorIteratorBaseEENKUlvE_clEvENKUlvE_clEvEUldE_NS0_6memory8policies11unroll_baseILi256ESt5arrayIPcLm2EE23TrivialOffsetCalculatorILi1EjESE_NS7_15LoadWithoutCastENS7_16StoreWithoutCastELi4ELi1EEEEEvT0_T1_.num_named_barrier)
	.set _ZN2at6native29vectorized_elementwise_kernelILi2EZZZNS0_20trigamma_kernel_cudaERNS_18TensorIteratorBaseEENKUlvE_clEvENKUlvE_clEvEUldE_St5arrayIPcLm2EEEEviT0_T1_.private_seg_size, 0+max(.L_ZN2at6native25elementwise_kernel_helperILb0EZZZNS0_20trigamma_kernel_cudaERNS_18TensorIteratorBaseEENKUlvE_clEvENKUlvE_clEvEUldE_NS0_6memory8policies11unroll_baseILi256ESt5arrayIPcLm2EE23TrivialOffsetCalculatorILi1EjESE_NS7_15LoadWithoutCastENS7_16StoreWithoutCastELi4ELi1EEEEEvT0_T1_.private_seg_size)
	.set _ZN2at6native29vectorized_elementwise_kernelILi2EZZZNS0_20trigamma_kernel_cudaERNS_18TensorIteratorBaseEENKUlvE_clEvENKUlvE_clEvEUldE_St5arrayIPcLm2EEEEviT0_T1_.uses_vcc, or(1, .L_ZN2at6native25elementwise_kernel_helperILb0EZZZNS0_20trigamma_kernel_cudaERNS_18TensorIteratorBaseEENKUlvE_clEvENKUlvE_clEvEUldE_NS0_6memory8policies11unroll_baseILi256ESt5arrayIPcLm2EE23TrivialOffsetCalculatorILi1EjESE_NS7_15LoadWithoutCastENS7_16StoreWithoutCastELi4ELi1EEEEEvT0_T1_.uses_vcc)
	.set _ZN2at6native29vectorized_elementwise_kernelILi2EZZZNS0_20trigamma_kernel_cudaERNS_18TensorIteratorBaseEENKUlvE_clEvENKUlvE_clEvEUldE_St5arrayIPcLm2EEEEviT0_T1_.uses_flat_scratch, or(0, .L_ZN2at6native25elementwise_kernel_helperILb0EZZZNS0_20trigamma_kernel_cudaERNS_18TensorIteratorBaseEENKUlvE_clEvENKUlvE_clEvEUldE_NS0_6memory8policies11unroll_baseILi256ESt5arrayIPcLm2EE23TrivialOffsetCalculatorILi1EjESE_NS7_15LoadWithoutCastENS7_16StoreWithoutCastELi4ELi1EEEEEvT0_T1_.uses_flat_scratch)
	.set _ZN2at6native29vectorized_elementwise_kernelILi2EZZZNS0_20trigamma_kernel_cudaERNS_18TensorIteratorBaseEENKUlvE_clEvENKUlvE_clEvEUldE_St5arrayIPcLm2EEEEviT0_T1_.has_dyn_sized_stack, or(0, .L_ZN2at6native25elementwise_kernel_helperILb0EZZZNS0_20trigamma_kernel_cudaERNS_18TensorIteratorBaseEENKUlvE_clEvENKUlvE_clEvEUldE_NS0_6memory8policies11unroll_baseILi256ESt5arrayIPcLm2EE23TrivialOffsetCalculatorILi1EjESE_NS7_15LoadWithoutCastENS7_16StoreWithoutCastELi4ELi1EEEEEvT0_T1_.has_dyn_sized_stack)
	.set _ZN2at6native29vectorized_elementwise_kernelILi2EZZZNS0_20trigamma_kernel_cudaERNS_18TensorIteratorBaseEENKUlvE_clEvENKUlvE_clEvEUldE_St5arrayIPcLm2EEEEviT0_T1_.has_recursion, or(0, .L_ZN2at6native25elementwise_kernel_helperILb0EZZZNS0_20trigamma_kernel_cudaERNS_18TensorIteratorBaseEENKUlvE_clEvENKUlvE_clEvEUldE_NS0_6memory8policies11unroll_baseILi256ESt5arrayIPcLm2EE23TrivialOffsetCalculatorILi1EjESE_NS7_15LoadWithoutCastENS7_16StoreWithoutCastELi4ELi1EEEEEvT0_T1_.has_recursion)
	.set _ZN2at6native29vectorized_elementwise_kernelILi2EZZZNS0_20trigamma_kernel_cudaERNS_18TensorIteratorBaseEENKUlvE_clEvENKUlvE_clEvEUldE_St5arrayIPcLm2EEEEviT0_T1_.has_indirect_call, or(0, .L_ZN2at6native25elementwise_kernel_helperILb0EZZZNS0_20trigamma_kernel_cudaERNS_18TensorIteratorBaseEENKUlvE_clEvENKUlvE_clEvEUldE_NS0_6memory8policies11unroll_baseILi256ESt5arrayIPcLm2EE23TrivialOffsetCalculatorILi1EjESE_NS7_15LoadWithoutCastENS7_16StoreWithoutCastELi4ELi1EEEEEvT0_T1_.has_indirect_call)
	.section	.AMDGPU.csdata,"",@progbits
; Kernel info:
; codeLenInByte = 10180
; TotalNumSgprs: 35
; NumVgprs: 156
; ScratchSize: 0
; MemoryBound: 0
; FloatMode: 240
; IeeeMode: 1
; LDSByteSize: 0 bytes/workgroup (compile time only)
; SGPRBlocks: 0
; VGPRBlocks: 19
; NumSGPRsForWavesPerEU: 35
; NumVGPRsForWavesPerEU: 156
; Occupancy: 6
; WaveLimiterHint : 1
; COMPUTE_PGM_RSRC2:SCRATCH_EN: 0
; COMPUTE_PGM_RSRC2:USER_SGPR: 6
; COMPUTE_PGM_RSRC2:TRAP_HANDLER: 0
; COMPUTE_PGM_RSRC2:TGID_X_EN: 1
; COMPUTE_PGM_RSRC2:TGID_Y_EN: 0
; COMPUTE_PGM_RSRC2:TGID_Z_EN: 0
; COMPUTE_PGM_RSRC2:TIDIG_COMP_CNT: 0
	.section	.text._ZN2at6native27unrolled_elementwise_kernelIZZZNS0_20trigamma_kernel_cudaERNS_18TensorIteratorBaseEENKUlvE_clEvENKUlvE_clEvEUldE_St5arrayIPcLm2EELi4E23TrivialOffsetCalculatorILi1EjESB_NS0_6memory15LoadWithoutCastENSC_16StoreWithoutCastEEEviT_T0_T2_T3_T4_T5_,"axG",@progbits,_ZN2at6native27unrolled_elementwise_kernelIZZZNS0_20trigamma_kernel_cudaERNS_18TensorIteratorBaseEENKUlvE_clEvENKUlvE_clEvEUldE_St5arrayIPcLm2EELi4E23TrivialOffsetCalculatorILi1EjESB_NS0_6memory15LoadWithoutCastENSC_16StoreWithoutCastEEEviT_T0_T2_T3_T4_T5_,comdat
	.globl	_ZN2at6native27unrolled_elementwise_kernelIZZZNS0_20trigamma_kernel_cudaERNS_18TensorIteratorBaseEENKUlvE_clEvENKUlvE_clEvEUldE_St5arrayIPcLm2EELi4E23TrivialOffsetCalculatorILi1EjESB_NS0_6memory15LoadWithoutCastENSC_16StoreWithoutCastEEEviT_T0_T2_T3_T4_T5_ ; -- Begin function _ZN2at6native27unrolled_elementwise_kernelIZZZNS0_20trigamma_kernel_cudaERNS_18TensorIteratorBaseEENKUlvE_clEvENKUlvE_clEvEUldE_St5arrayIPcLm2EELi4E23TrivialOffsetCalculatorILi1EjESB_NS0_6memory15LoadWithoutCastENSC_16StoreWithoutCastEEEviT_T0_T2_T3_T4_T5_
	.p2align	8
	.type	_ZN2at6native27unrolled_elementwise_kernelIZZZNS0_20trigamma_kernel_cudaERNS_18TensorIteratorBaseEENKUlvE_clEvENKUlvE_clEvEUldE_St5arrayIPcLm2EELi4E23TrivialOffsetCalculatorILi1EjESB_NS0_6memory15LoadWithoutCastENSC_16StoreWithoutCastEEEviT_T0_T2_T3_T4_T5_,@function
_ZN2at6native27unrolled_elementwise_kernelIZZZNS0_20trigamma_kernel_cudaERNS_18TensorIteratorBaseEENKUlvE_clEvENKUlvE_clEvEUldE_St5arrayIPcLm2EELi4E23TrivialOffsetCalculatorILi1EjESB_NS0_6memory15LoadWithoutCastENSC_16StoreWithoutCastEEEviT_T0_T2_T3_T4_T5_: ; @_ZN2at6native27unrolled_elementwise_kernelIZZZNS0_20trigamma_kernel_cudaERNS_18TensorIteratorBaseEENKUlvE_clEvENKUlvE_clEvEUldE_St5arrayIPcLm2EELi4E23TrivialOffsetCalculatorILi1EjESB_NS0_6memory15LoadWithoutCastENSC_16StoreWithoutCastEEEviT_T0_T2_T3_T4_T5_
; %bb.0:
	s_add_u32 s0, s0, s7
	s_clause 0x1
	s_load_dword s7, s[4:5], 0x0
	s_load_dwordx4 s[8:11], s[4:5], 0x8
	s_addc_u32 s1, s1, 0
	s_lshl_b32 s12, s6, 10
	s_getpc_b64 s[4:5]
	s_add_u32 s4, s4, _ZN2at6native25elementwise_kernel_helperILb0EZZZNS0_20trigamma_kernel_cudaERNS_18TensorIteratorBaseEENKUlvE_clEvENKUlvE_clEvEUldE_NS0_6memory8policies11unroll_baseILi256ESt5arrayIPcLm2EE23TrivialOffsetCalculatorILi1EjESE_NS7_15LoadWithoutCastENS7_16StoreWithoutCastELi4ELi1EEEEEvT0_T1_@rel32@lo+4
	s_addc_u32 s5, s5, _ZN2at6native25elementwise_kernel_helperILb0EZZZNS0_20trigamma_kernel_cudaERNS_18TensorIteratorBaseEENKUlvE_clEvENKUlvE_clEvEUldE_NS0_6memory8policies11unroll_baseILi256ESt5arrayIPcLm2EE23TrivialOffsetCalculatorILi1EjESE_NS7_15LoadWithoutCastENS7_16StoreWithoutCastELi4ELi1EEEEEvT0_T1_@rel32@hi+12
	v_mov_b32_e32 v31, v0
	s_mov_b32 s32, 0
	s_waitcnt lgkmcnt(0)
	s_sub_i32 s7, s7, s12
	v_mov_b32_e32 v0, s8
	v_mov_b32_e32 v1, s9
	;; [unrolled: 1-line block ×5, first 2 shown]
	s_mov_b32 s12, s6
	s_swappc_b64 s[30:31], s[4:5]
	s_endpgm
	.section	.rodata,"a",@progbits
	.p2align	6, 0x0
	.amdhsa_kernel _ZN2at6native27unrolled_elementwise_kernelIZZZNS0_20trigamma_kernel_cudaERNS_18TensorIteratorBaseEENKUlvE_clEvENKUlvE_clEvEUldE_St5arrayIPcLm2EELi4E23TrivialOffsetCalculatorILi1EjESB_NS0_6memory15LoadWithoutCastENSC_16StoreWithoutCastEEEviT_T0_T2_T3_T4_T5_
		.amdhsa_group_segment_fixed_size 0
		.amdhsa_private_segment_fixed_size 0
		.amdhsa_kernarg_size 28
		.amdhsa_user_sgpr_count 6
		.amdhsa_user_sgpr_private_segment_buffer 1
		.amdhsa_user_sgpr_dispatch_ptr 0
		.amdhsa_user_sgpr_queue_ptr 0
		.amdhsa_user_sgpr_kernarg_segment_ptr 1
		.amdhsa_user_sgpr_dispatch_id 0
		.amdhsa_user_sgpr_flat_scratch_init 0
		.amdhsa_user_sgpr_private_segment_size 0
		.amdhsa_wavefront_size32 1
		.amdhsa_uses_dynamic_stack 0
		.amdhsa_system_sgpr_private_segment_wavefront_offset 0
		.amdhsa_system_sgpr_workgroup_id_x 1
		.amdhsa_system_sgpr_workgroup_id_y 0
		.amdhsa_system_sgpr_workgroup_id_z 0
		.amdhsa_system_sgpr_workgroup_info 0
		.amdhsa_system_vgpr_workitem_id 0
		.amdhsa_next_free_vgpr 68
		.amdhsa_next_free_sgpr 33
		.amdhsa_reserve_vcc 1
		.amdhsa_reserve_flat_scratch 0
		.amdhsa_float_round_mode_32 0
		.amdhsa_float_round_mode_16_64 0
		.amdhsa_float_denorm_mode_32 3
		.amdhsa_float_denorm_mode_16_64 3
		.amdhsa_dx10_clamp 1
		.amdhsa_ieee_mode 1
		.amdhsa_fp16_overflow 0
		.amdhsa_workgroup_processor_mode 1
		.amdhsa_memory_ordered 1
		.amdhsa_forward_progress 1
		.amdhsa_shared_vgpr_count 0
		.amdhsa_exception_fp_ieee_invalid_op 0
		.amdhsa_exception_fp_denorm_src 0
		.amdhsa_exception_fp_ieee_div_zero 0
		.amdhsa_exception_fp_ieee_overflow 0
		.amdhsa_exception_fp_ieee_underflow 0
		.amdhsa_exception_fp_ieee_inexact 0
		.amdhsa_exception_int_div_zero 0
	.end_amdhsa_kernel
	.section	.text._ZN2at6native27unrolled_elementwise_kernelIZZZNS0_20trigamma_kernel_cudaERNS_18TensorIteratorBaseEENKUlvE_clEvENKUlvE_clEvEUldE_St5arrayIPcLm2EELi4E23TrivialOffsetCalculatorILi1EjESB_NS0_6memory15LoadWithoutCastENSC_16StoreWithoutCastEEEviT_T0_T2_T3_T4_T5_,"axG",@progbits,_ZN2at6native27unrolled_elementwise_kernelIZZZNS0_20trigamma_kernel_cudaERNS_18TensorIteratorBaseEENKUlvE_clEvENKUlvE_clEvEUldE_St5arrayIPcLm2EELi4E23TrivialOffsetCalculatorILi1EjESB_NS0_6memory15LoadWithoutCastENSC_16StoreWithoutCastEEEviT_T0_T2_T3_T4_T5_,comdat
.Lfunc_end46:
	.size	_ZN2at6native27unrolled_elementwise_kernelIZZZNS0_20trigamma_kernel_cudaERNS_18TensorIteratorBaseEENKUlvE_clEvENKUlvE_clEvEUldE_St5arrayIPcLm2EELi4E23TrivialOffsetCalculatorILi1EjESB_NS0_6memory15LoadWithoutCastENSC_16StoreWithoutCastEEEviT_T0_T2_T3_T4_T5_, .Lfunc_end46-_ZN2at6native27unrolled_elementwise_kernelIZZZNS0_20trigamma_kernel_cudaERNS_18TensorIteratorBaseEENKUlvE_clEvENKUlvE_clEvEUldE_St5arrayIPcLm2EELi4E23TrivialOffsetCalculatorILi1EjESB_NS0_6memory15LoadWithoutCastENSC_16StoreWithoutCastEEEviT_T0_T2_T3_T4_T5_
                                        ; -- End function
	.set _ZN2at6native27unrolled_elementwise_kernelIZZZNS0_20trigamma_kernel_cudaERNS_18TensorIteratorBaseEENKUlvE_clEvENKUlvE_clEvEUldE_St5arrayIPcLm2EELi4E23TrivialOffsetCalculatorILi1EjESB_NS0_6memory15LoadWithoutCastENSC_16StoreWithoutCastEEEviT_T0_T2_T3_T4_T5_.num_vgpr, max(32, .L_ZN2at6native25elementwise_kernel_helperILb0EZZZNS0_20trigamma_kernel_cudaERNS_18TensorIteratorBaseEENKUlvE_clEvENKUlvE_clEvEUldE_NS0_6memory8policies11unroll_baseILi256ESt5arrayIPcLm2EE23TrivialOffsetCalculatorILi1EjESE_NS7_15LoadWithoutCastENS7_16StoreWithoutCastELi4ELi1EEEEEvT0_T1_.num_vgpr)
	.set _ZN2at6native27unrolled_elementwise_kernelIZZZNS0_20trigamma_kernel_cudaERNS_18TensorIteratorBaseEENKUlvE_clEvENKUlvE_clEvEUldE_St5arrayIPcLm2EELi4E23TrivialOffsetCalculatorILi1EjESB_NS0_6memory15LoadWithoutCastENSC_16StoreWithoutCastEEEviT_T0_T2_T3_T4_T5_.num_agpr, max(0, .L_ZN2at6native25elementwise_kernel_helperILb0EZZZNS0_20trigamma_kernel_cudaERNS_18TensorIteratorBaseEENKUlvE_clEvENKUlvE_clEvEUldE_NS0_6memory8policies11unroll_baseILi256ESt5arrayIPcLm2EE23TrivialOffsetCalculatorILi1EjESE_NS7_15LoadWithoutCastENS7_16StoreWithoutCastELi4ELi1EEEEEvT0_T1_.num_agpr)
	.set _ZN2at6native27unrolled_elementwise_kernelIZZZNS0_20trigamma_kernel_cudaERNS_18TensorIteratorBaseEENKUlvE_clEvENKUlvE_clEvEUldE_St5arrayIPcLm2EELi4E23TrivialOffsetCalculatorILi1EjESB_NS0_6memory15LoadWithoutCastENSC_16StoreWithoutCastEEEviT_T0_T2_T3_T4_T5_.numbered_sgpr, max(33, .L_ZN2at6native25elementwise_kernel_helperILb0EZZZNS0_20trigamma_kernel_cudaERNS_18TensorIteratorBaseEENKUlvE_clEvENKUlvE_clEvEUldE_NS0_6memory8policies11unroll_baseILi256ESt5arrayIPcLm2EE23TrivialOffsetCalculatorILi1EjESE_NS7_15LoadWithoutCastENS7_16StoreWithoutCastELi4ELi1EEEEEvT0_T1_.numbered_sgpr)
	.set _ZN2at6native27unrolled_elementwise_kernelIZZZNS0_20trigamma_kernel_cudaERNS_18TensorIteratorBaseEENKUlvE_clEvENKUlvE_clEvEUldE_St5arrayIPcLm2EELi4E23TrivialOffsetCalculatorILi1EjESB_NS0_6memory15LoadWithoutCastENSC_16StoreWithoutCastEEEviT_T0_T2_T3_T4_T5_.num_named_barrier, max(0, .L_ZN2at6native25elementwise_kernel_helperILb0EZZZNS0_20trigamma_kernel_cudaERNS_18TensorIteratorBaseEENKUlvE_clEvENKUlvE_clEvEUldE_NS0_6memory8policies11unroll_baseILi256ESt5arrayIPcLm2EE23TrivialOffsetCalculatorILi1EjESE_NS7_15LoadWithoutCastENS7_16StoreWithoutCastELi4ELi1EEEEEvT0_T1_.num_named_barrier)
	.set _ZN2at6native27unrolled_elementwise_kernelIZZZNS0_20trigamma_kernel_cudaERNS_18TensorIteratorBaseEENKUlvE_clEvENKUlvE_clEvEUldE_St5arrayIPcLm2EELi4E23TrivialOffsetCalculatorILi1EjESB_NS0_6memory15LoadWithoutCastENSC_16StoreWithoutCastEEEviT_T0_T2_T3_T4_T5_.private_seg_size, 0+max(.L_ZN2at6native25elementwise_kernel_helperILb0EZZZNS0_20trigamma_kernel_cudaERNS_18TensorIteratorBaseEENKUlvE_clEvENKUlvE_clEvEUldE_NS0_6memory8policies11unroll_baseILi256ESt5arrayIPcLm2EE23TrivialOffsetCalculatorILi1EjESE_NS7_15LoadWithoutCastENS7_16StoreWithoutCastELi4ELi1EEEEEvT0_T1_.private_seg_size)
	.set _ZN2at6native27unrolled_elementwise_kernelIZZZNS0_20trigamma_kernel_cudaERNS_18TensorIteratorBaseEENKUlvE_clEvENKUlvE_clEvEUldE_St5arrayIPcLm2EELi4E23TrivialOffsetCalculatorILi1EjESB_NS0_6memory15LoadWithoutCastENSC_16StoreWithoutCastEEEviT_T0_T2_T3_T4_T5_.uses_vcc, or(1, .L_ZN2at6native25elementwise_kernel_helperILb0EZZZNS0_20trigamma_kernel_cudaERNS_18TensorIteratorBaseEENKUlvE_clEvENKUlvE_clEvEUldE_NS0_6memory8policies11unroll_baseILi256ESt5arrayIPcLm2EE23TrivialOffsetCalculatorILi1EjESE_NS7_15LoadWithoutCastENS7_16StoreWithoutCastELi4ELi1EEEEEvT0_T1_.uses_vcc)
	.set _ZN2at6native27unrolled_elementwise_kernelIZZZNS0_20trigamma_kernel_cudaERNS_18TensorIteratorBaseEENKUlvE_clEvENKUlvE_clEvEUldE_St5arrayIPcLm2EELi4E23TrivialOffsetCalculatorILi1EjESB_NS0_6memory15LoadWithoutCastENSC_16StoreWithoutCastEEEviT_T0_T2_T3_T4_T5_.uses_flat_scratch, or(0, .L_ZN2at6native25elementwise_kernel_helperILb0EZZZNS0_20trigamma_kernel_cudaERNS_18TensorIteratorBaseEENKUlvE_clEvENKUlvE_clEvEUldE_NS0_6memory8policies11unroll_baseILi256ESt5arrayIPcLm2EE23TrivialOffsetCalculatorILi1EjESE_NS7_15LoadWithoutCastENS7_16StoreWithoutCastELi4ELi1EEEEEvT0_T1_.uses_flat_scratch)
	.set _ZN2at6native27unrolled_elementwise_kernelIZZZNS0_20trigamma_kernel_cudaERNS_18TensorIteratorBaseEENKUlvE_clEvENKUlvE_clEvEUldE_St5arrayIPcLm2EELi4E23TrivialOffsetCalculatorILi1EjESB_NS0_6memory15LoadWithoutCastENSC_16StoreWithoutCastEEEviT_T0_T2_T3_T4_T5_.has_dyn_sized_stack, or(0, .L_ZN2at6native25elementwise_kernel_helperILb0EZZZNS0_20trigamma_kernel_cudaERNS_18TensorIteratorBaseEENKUlvE_clEvENKUlvE_clEvEUldE_NS0_6memory8policies11unroll_baseILi256ESt5arrayIPcLm2EE23TrivialOffsetCalculatorILi1EjESE_NS7_15LoadWithoutCastENS7_16StoreWithoutCastELi4ELi1EEEEEvT0_T1_.has_dyn_sized_stack)
	.set _ZN2at6native27unrolled_elementwise_kernelIZZZNS0_20trigamma_kernel_cudaERNS_18TensorIteratorBaseEENKUlvE_clEvENKUlvE_clEvEUldE_St5arrayIPcLm2EELi4E23TrivialOffsetCalculatorILi1EjESB_NS0_6memory15LoadWithoutCastENSC_16StoreWithoutCastEEEviT_T0_T2_T3_T4_T5_.has_recursion, or(0, .L_ZN2at6native25elementwise_kernel_helperILb0EZZZNS0_20trigamma_kernel_cudaERNS_18TensorIteratorBaseEENKUlvE_clEvENKUlvE_clEvEUldE_NS0_6memory8policies11unroll_baseILi256ESt5arrayIPcLm2EE23TrivialOffsetCalculatorILi1EjESE_NS7_15LoadWithoutCastENS7_16StoreWithoutCastELi4ELi1EEEEEvT0_T1_.has_recursion)
	.set _ZN2at6native27unrolled_elementwise_kernelIZZZNS0_20trigamma_kernel_cudaERNS_18TensorIteratorBaseEENKUlvE_clEvENKUlvE_clEvEUldE_St5arrayIPcLm2EELi4E23TrivialOffsetCalculatorILi1EjESB_NS0_6memory15LoadWithoutCastENSC_16StoreWithoutCastEEEviT_T0_T2_T3_T4_T5_.has_indirect_call, or(0, .L_ZN2at6native25elementwise_kernel_helperILb0EZZZNS0_20trigamma_kernel_cudaERNS_18TensorIteratorBaseEENKUlvE_clEvENKUlvE_clEvEUldE_NS0_6memory8policies11unroll_baseILi256ESt5arrayIPcLm2EE23TrivialOffsetCalculatorILi1EjESE_NS7_15LoadWithoutCastENS7_16StoreWithoutCastELi4ELi1EEEEEvT0_T1_.has_indirect_call)
	.section	.AMDGPU.csdata,"",@progbits
; Kernel info:
; codeLenInByte = 100
; TotalNumSgprs: 35
; NumVgprs: 68
; ScratchSize: 0
; MemoryBound: 0
; FloatMode: 240
; IeeeMode: 1
; LDSByteSize: 0 bytes/workgroup (compile time only)
; SGPRBlocks: 0
; VGPRBlocks: 8
; NumSGPRsForWavesPerEU: 35
; NumVGPRsForWavesPerEU: 68
; Occupancy: 12
; WaveLimiterHint : 0
; COMPUTE_PGM_RSRC2:SCRATCH_EN: 0
; COMPUTE_PGM_RSRC2:USER_SGPR: 6
; COMPUTE_PGM_RSRC2:TRAP_HANDLER: 0
; COMPUTE_PGM_RSRC2:TGID_X_EN: 1
; COMPUTE_PGM_RSRC2:TGID_Y_EN: 0
; COMPUTE_PGM_RSRC2:TGID_Z_EN: 0
; COMPUTE_PGM_RSRC2:TIDIG_COMP_CNT: 0
	.section	.text._ZN2at6native32elementwise_kernel_manual_unrollILi128ELi4EZNS0_22gpu_kernel_impl_nocastIZZZNS0_20trigamma_kernel_cudaERNS_18TensorIteratorBaseEENKUlvE_clEvENKUlvE_clEvEUldE_EEvS4_RKT_EUlibE_EEviT1_,"axG",@progbits,_ZN2at6native32elementwise_kernel_manual_unrollILi128ELi4EZNS0_22gpu_kernel_impl_nocastIZZZNS0_20trigamma_kernel_cudaERNS_18TensorIteratorBaseEENKUlvE_clEvENKUlvE_clEvEUldE_EEvS4_RKT_EUlibE_EEviT1_,comdat
	.globl	_ZN2at6native32elementwise_kernel_manual_unrollILi128ELi4EZNS0_22gpu_kernel_impl_nocastIZZZNS0_20trigamma_kernel_cudaERNS_18TensorIteratorBaseEENKUlvE_clEvENKUlvE_clEvEUldE_EEvS4_RKT_EUlibE_EEviT1_ ; -- Begin function _ZN2at6native32elementwise_kernel_manual_unrollILi128ELi4EZNS0_22gpu_kernel_impl_nocastIZZZNS0_20trigamma_kernel_cudaERNS_18TensorIteratorBaseEENKUlvE_clEvENKUlvE_clEvEUldE_EEvS4_RKT_EUlibE_EEviT1_
	.p2align	8
	.type	_ZN2at6native32elementwise_kernel_manual_unrollILi128ELi4EZNS0_22gpu_kernel_impl_nocastIZZZNS0_20trigamma_kernel_cudaERNS_18TensorIteratorBaseEENKUlvE_clEvENKUlvE_clEvEUldE_EEvS4_RKT_EUlibE_EEviT1_,@function
_ZN2at6native32elementwise_kernel_manual_unrollILi128ELi4EZNS0_22gpu_kernel_impl_nocastIZZZNS0_20trigamma_kernel_cudaERNS_18TensorIteratorBaseEENKUlvE_clEvENKUlvE_clEvEUldE_EEvS4_RKT_EUlibE_EEviT1_: ; @_ZN2at6native32elementwise_kernel_manual_unrollILi128ELi4EZNS0_22gpu_kernel_impl_nocastIZZZNS0_20trigamma_kernel_cudaERNS_18TensorIteratorBaseEENKUlvE_clEvENKUlvE_clEvEUldE_EEvS4_RKT_EUlibE_EEviT1_
; %bb.0:
	s_clause 0x1
	s_load_dword s7, s[4:5], 0x8
	s_load_dword s30, s[4:5], 0x0
	v_lshl_or_b32 v9, s6, 9, v0
	s_add_u32 s20, s4, 8
	s_addc_u32 s21, s5, 0
	s_mov_b32 s0, exec_lo
	v_or_b32_e32 v7, 0x180, v9
	s_waitcnt lgkmcnt(0)
	s_add_i32 s26, s7, -1
	s_cmp_gt_u32 s26, 1
	s_cselect_b32 s27, -1, 0
	v_cmpx_le_i32_e64 s30, v7
	s_xor_b32 s28, exec_lo, s0
	s_cbranch_execz .LBB47_7
; %bb.1:
	s_clause 0x3
	s_load_dwordx4 s[16:19], s[20:21], 0x4
	s_load_dwordx2 s[22:23], s[20:21], 0x14
	s_load_dwordx4 s[12:15], s[20:21], 0xc4
	s_load_dwordx4 s[8:11], s[20:21], 0x148
	s_cmp_lg_u32 s7, 0
	s_mov_b32 s34, exec_lo
	s_cselect_b32 s33, -1, 0
	s_add_u32 s24, s20, 0xc4
	s_addc_u32 s25, s21, 0
	s_min_u32 s31, s26, 15
	s_cmp_gt_u32 s7, 1
	s_cselect_b32 s29, -1, 0
	v_cmpx_gt_i32_e64 s30, v9
	s_cbranch_execz .LBB47_14
; %bb.2:
	s_andn2_b32 vcc_lo, exec_lo, s27
	s_cbranch_vccnz .LBB47_21
; %bb.3:
	s_andn2_b32 vcc_lo, exec_lo, s33
	s_cbranch_vccnz .LBB47_97
; %bb.4:
	s_add_i32 s5, s31, 1
	s_cmp_eq_u32 s26, 2
	s_cbranch_scc1 .LBB47_99
; %bb.5:
	v_mov_b32_e32 v2, 0
	v_mov_b32_e32 v0, 0
	;; [unrolled: 1-line block ×3, first 2 shown]
	s_and_b32 s4, s5, 28
	s_mov_b32 s6, 0
	s_mov_b64 s[0:1], s[20:21]
	s_mov_b64 s[2:3], s[24:25]
.LBB47_6:                               ; =>This Inner Loop Header: Depth=1
	s_clause 0x1
	s_load_dwordx8 s[36:43], s[0:1], 0x4
	s_load_dwordx4 s[52:55], s[0:1], 0x24
	s_load_dwordx8 s[44:51], s[2:3], 0x0
	s_add_u32 s0, s0, 48
	s_addc_u32 s1, s1, 0
	s_add_i32 s6, s6, 4
	s_add_u32 s2, s2, 32
	s_addc_u32 s3, s3, 0
	s_cmp_lg_u32 s4, s6
	s_waitcnt lgkmcnt(0)
	v_mul_hi_u32 v3, s37, v1
	v_add_nc_u32_e32 v3, v1, v3
	v_lshrrev_b32_e32 v3, s38, v3
	v_mul_hi_u32 v4, s40, v3
	v_mul_lo_u32 v6, v3, s36
	v_add_nc_u32_e32 v4, v3, v4
	v_sub_nc_u32_e32 v1, v1, v6
	v_lshrrev_b32_e32 v4, s41, v4
	v_mul_lo_u32 v6, v1, s44
	v_mul_lo_u32 v8, v1, s45
	v_mul_hi_u32 v5, s43, v4
	v_add_nc_u32_e32 v5, v4, v5
	v_lshrrev_b32_e32 v5, s52, v5
	v_mul_hi_u32 v7, s54, v5
	v_mul_lo_u32 v10, v5, s42
	v_add_nc_u32_e32 v1, v5, v7
	v_mul_lo_u32 v7, v4, s39
	v_sub_nc_u32_e32 v4, v4, v10
	v_lshrrev_b32_e32 v1, s55, v1
	v_mul_lo_u32 v10, v4, s48
	v_mul_lo_u32 v4, v4, s49
	v_sub_nc_u32_e32 v3, v3, v7
	v_mul_lo_u32 v11, v1, s53
	v_mul_lo_u32 v7, v3, s46
	;; [unrolled: 1-line block ×3, first 2 shown]
	v_sub_nc_u32_e32 v5, v5, v11
	v_add3_u32 v0, v6, v0, v7
	v_mul_lo_u32 v11, v5, s50
	v_mul_lo_u32 v5, v5, s51
	v_add3_u32 v2, v8, v2, v3
	v_add3_u32 v0, v10, v0, v11
	;; [unrolled: 1-line block ×3, first 2 shown]
	s_cbranch_scc1 .LBB47_6
	s_branch .LBB47_100
.LBB47_7:
	s_andn2_saveexec_b32 s0, s28
	s_cbranch_execz .LBB47_137
.LBB47_8:
	v_cndmask_b32_e64 v4, 0, 1, s27
	s_andn2_b32 vcc_lo, exec_lo, s27
	s_cbranch_vccnz .LBB47_20
; %bb.9:
	s_cmp_lg_u32 s7, 0
	s_mov_b32 s4, 0
	s_cbranch_scc0 .LBB47_23
; %bb.10:
	s_min_u32 s6, s26, 15
	s_add_i32 s6, s6, 1
	s_cmp_eq_u32 s26, 2
	s_cbranch_scc1 .LBB47_24
; %bb.11:
	v_mov_b32_e32 v5, 0
	v_mov_b32_e32 v0, 0
	;; [unrolled: 1-line block ×3, first 2 shown]
	s_and_b32 s5, s6, 28
	s_add_u32 s0, s20, 0xc4
	s_addc_u32 s1, s21, 0
	s_waitcnt lgkmcnt(0)
	s_mov_b32 s8, 0
	s_mov_b64 s[2:3], s[20:21]
.LBB47_12:                              ; =>This Inner Loop Header: Depth=1
	s_clause 0x1
	s_load_dwordx8 s[12:19], s[2:3], 0x4
	s_load_dwordx4 s[28:31], s[2:3], 0x24
	s_load_dwordx8 s[36:43], s[0:1], 0x0
	s_add_u32 s2, s2, 48
	s_addc_u32 s3, s3, 0
	s_add_i32 s8, s8, 4
	s_add_u32 s0, s0, 32
	s_addc_u32 s1, s1, 0
	s_cmp_lg_u32 s5, s8
	s_waitcnt lgkmcnt(0)
	v_mul_hi_u32 v2, s13, v1
	v_add_nc_u32_e32 v2, v1, v2
	v_lshrrev_b32_e32 v2, s14, v2
	v_mul_hi_u32 v3, s16, v2
	v_mul_lo_u32 v8, v2, s12
	v_add_nc_u32_e32 v3, v2, v3
	v_sub_nc_u32_e32 v1, v1, v8
	v_lshrrev_b32_e32 v3, s17, v3
	v_mul_lo_u32 v8, v1, s36
	v_mul_lo_u32 v11, v1, s37
	v_mul_hi_u32 v6, s19, v3
	v_add_nc_u32_e32 v6, v3, v6
	v_lshrrev_b32_e32 v6, s28, v6
	v_mul_hi_u32 v10, s30, v6
	v_mul_lo_u32 v12, v6, s18
	v_add_nc_u32_e32 v1, v6, v10
	v_mul_lo_u32 v10, v3, s15
	v_sub_nc_u32_e32 v3, v3, v12
	v_lshrrev_b32_e32 v1, s31, v1
	v_mul_lo_u32 v12, v3, s40
	v_mul_lo_u32 v3, v3, s41
	v_sub_nc_u32_e32 v2, v2, v10
	v_mul_lo_u32 v13, v1, s29
	v_mul_lo_u32 v10, v2, s38
	;; [unrolled: 1-line block ×3, first 2 shown]
	v_sub_nc_u32_e32 v6, v6, v13
	v_add3_u32 v0, v8, v0, v10
	v_mul_lo_u32 v13, v6, s42
	v_mul_lo_u32 v6, v6, s43
	v_add3_u32 v2, v11, v5, v2
	v_add3_u32 v0, v12, v0, v13
	;; [unrolled: 1-line block ×3, first 2 shown]
	s_cbranch_scc1 .LBB47_12
; %bb.13:
	s_and_b32 s6, s6, 3
	s_cmp_eq_u32 s6, 0
	s_cbranch_scc0 .LBB47_25
	s_branch .LBB47_27
.LBB47_14:
	s_or_b32 exec_lo, exec_lo, s34
	s_mov_b32 s34, exec_lo
	v_cmpx_gt_i32_e64 s30, v9
	s_cbranch_execz .LBB47_113
.LBB47_15:
	s_andn2_b32 vcc_lo, exec_lo, s27
	s_cbranch_vccnz .LBB47_22
; %bb.16:
	s_andn2_b32 vcc_lo, exec_lo, s33
	s_cbranch_vccnz .LBB47_98
; %bb.17:
	s_add_i32 s5, s31, 1
	s_cmp_eq_u32 s26, 2
	s_cbranch_scc1 .LBB47_121
; %bb.18:
	v_mov_b32_e32 v2, 0
	v_mov_b32_e32 v0, 0
	;; [unrolled: 1-line block ×3, first 2 shown]
	s_and_b32 s4, s5, 28
	s_mov_b32 s6, 0
	s_mov_b64 s[0:1], s[20:21]
	s_mov_b64 s[2:3], s[24:25]
.LBB47_19:                              ; =>This Inner Loop Header: Depth=1
	s_clause 0x1
	s_load_dwordx8 s[36:43], s[0:1], 0x4
	s_load_dwordx4 s[52:55], s[0:1], 0x24
	s_load_dwordx8 s[44:51], s[2:3], 0x0
	s_add_u32 s0, s0, 48
	s_addc_u32 s1, s1, 0
	s_add_i32 s6, s6, 4
	s_add_u32 s2, s2, 32
	s_addc_u32 s3, s3, 0
	s_cmp_eq_u32 s4, s6
	s_waitcnt lgkmcnt(0)
	v_mul_hi_u32 v3, s37, v1
	v_add_nc_u32_e32 v3, v1, v3
	v_lshrrev_b32_e32 v3, s38, v3
	v_mul_hi_u32 v4, s40, v3
	v_mul_lo_u32 v6, v3, s36
	v_add_nc_u32_e32 v4, v3, v4
	v_sub_nc_u32_e32 v1, v1, v6
	v_lshrrev_b32_e32 v4, s41, v4
	v_mul_lo_u32 v6, v1, s44
	v_mul_lo_u32 v8, v1, s45
	v_mul_hi_u32 v5, s43, v4
	v_add_nc_u32_e32 v5, v4, v5
	v_lshrrev_b32_e32 v5, s52, v5
	v_mul_hi_u32 v7, s54, v5
	v_mul_lo_u32 v10, v5, s42
	v_add_nc_u32_e32 v1, v5, v7
	v_mul_lo_u32 v7, v4, s39
	v_sub_nc_u32_e32 v4, v4, v10
	v_lshrrev_b32_e32 v1, s55, v1
	v_mul_lo_u32 v10, v4, s48
	v_mul_lo_u32 v4, v4, s49
	v_sub_nc_u32_e32 v3, v3, v7
	v_mul_lo_u32 v11, v1, s53
	v_mul_lo_u32 v7, v3, s46
	;; [unrolled: 1-line block ×3, first 2 shown]
	v_sub_nc_u32_e32 v5, v5, v11
	v_add3_u32 v0, v6, v0, v7
	v_mul_lo_u32 v11, v5, s50
	v_mul_lo_u32 v5, v5, s51
	v_add3_u32 v2, v8, v2, v3
	v_add3_u32 v0, v10, v0, v11
	;; [unrolled: 1-line block ×3, first 2 shown]
	s_cbranch_scc0 .LBB47_19
	s_branch .LBB47_122
.LBB47_20:
	s_mov_b32 s4, -1
                                        ; implicit-def: $vgpr0
                                        ; implicit-def: $vgpr5
	s_branch .LBB47_27
.LBB47_21:
                                        ; implicit-def: $vgpr0
                                        ; implicit-def: $vgpr2
	s_branch .LBB47_104
.LBB47_22:
                                        ; implicit-def: $vgpr0
                                        ; implicit-def: $vgpr2
	s_branch .LBB47_126
.LBB47_23:
	v_mov_b32_e32 v0, 0
	v_mov_b32_e32 v5, 0
	s_branch .LBB47_27
.LBB47_24:
	v_mov_b32_e32 v0, 0
	v_mov_b32_e32 v5, 0
	;; [unrolled: 1-line block ×3, first 2 shown]
	s_mov_b32 s5, 0
	s_and_b32 s6, s6, 3
	s_cmp_eq_u32 s6, 0
	s_cbranch_scc1 .LBB47_27
.LBB47_25:
	s_lshl_b32 s0, s5, 3
	s_mul_i32 s2, s5, 12
	s_add_u32 s0, s20, s0
	s_addc_u32 s1, s21, 0
	s_add_u32 s0, s0, 0xc4
	s_addc_u32 s1, s1, 0
	;; [unrolled: 2-line block ×3, first 2 shown]
	.p2align	6
.LBB47_26:                              ; =>This Inner Loop Header: Depth=1
	s_waitcnt lgkmcnt(0)
	s_clause 0x1
	s_load_dwordx2 s[8:9], s[2:3], 0x4
	s_load_dword s5, s[2:3], 0xc
	s_load_dwordx2 s[10:11], s[0:1], 0x0
	s_add_u32 s2, s2, 12
	s_addc_u32 s3, s3, 0
	s_add_u32 s0, s0, 8
	s_addc_u32 s1, s1, 0
	s_add_i32 s6, s6, -1
	s_cmp_lg_u32 s6, 0
	s_waitcnt lgkmcnt(0)
	v_mul_hi_u32 v2, s9, v1
	v_add_nc_u32_e32 v2, v1, v2
	v_lshrrev_b32_e32 v2, s5, v2
	v_mul_lo_u32 v3, v2, s8
	v_sub_nc_u32_e32 v3, v1, v3
	v_mad_u64_u32 v[0:1], null, v3, s10, v[0:1]
	v_mad_u64_u32 v[5:6], null, v3, s11, v[5:6]
	v_mov_b32_e32 v1, v2
	s_cbranch_scc1 .LBB47_26
.LBB47_27:
	s_andn2_b32 vcc_lo, exec_lo, s4
	s_cbranch_vccnz .LBB47_30
; %bb.28:
	s_clause 0x1
	s_load_dwordx4 s[0:3], s[20:21], 0x4
	s_load_dwordx2 s[4:5], s[20:21], 0xc4
	s_cmp_lt_u32 s7, 2
	s_waitcnt lgkmcnt(0)
	v_mul_hi_u32 v0, s1, v9
	v_add_nc_u32_e32 v0, v9, v0
	v_lshrrev_b32_e32 v1, s2, v0
	v_mul_lo_u32 v0, v1, s0
	v_sub_nc_u32_e32 v2, v9, v0
	v_mul_lo_u32 v0, v2, s4
	v_mul_lo_u32 v5, v2, s5
	s_cbranch_scc1 .LBB47_30
; %bb.29:
	s_clause 0x1
	s_load_dwordx4 s[0:3], s[20:21], 0x10
	s_load_dwordx2 s[4:5], s[20:21], 0xcc
	s_waitcnt lgkmcnt(0)
	v_mul_hi_u32 v2, s1, v1
	v_add_nc_u32_e32 v2, v1, v2
	v_lshrrev_b32_e32 v2, s2, v2
	v_mul_lo_u32 v2, v2, s0
	v_sub_nc_u32_e32 v2, v1, v2
	v_mad_u64_u32 v[0:1], null, v2, s4, v[0:1]
	v_mad_u64_u32 v[5:6], null, v2, s5, v[5:6]
.LBB47_30:
	v_cmp_ne_u32_e32 vcc_lo, 1, v4
	v_add_nc_u32_e32 v3, 0x80, v9
	s_cbranch_vccnz .LBB47_36
; %bb.31:
	s_cmp_lg_u32 s7, 0
	s_mov_b32 s4, 0
	s_cbranch_scc0 .LBB47_37
; %bb.32:
	s_min_u32 s6, s26, 15
	s_add_i32 s6, s6, 1
	s_cmp_eq_u32 s26, 2
	s_cbranch_scc1 .LBB47_38
; %bb.33:
	v_mov_b32_e32 v10, 0
	v_mov_b32_e32 v1, 0
	;; [unrolled: 1-line block ×3, first 2 shown]
	s_and_b32 s5, s6, 28
	s_add_u32 s0, s20, 0xc4
	s_addc_u32 s1, s21, 0
	s_waitcnt lgkmcnt(0)
	s_mov_b32 s8, 0
	s_mov_b64 s[2:3], s[20:21]
.LBB47_34:                              ; =>This Inner Loop Header: Depth=1
	s_clause 0x1
	s_load_dwordx8 s[12:19], s[2:3], 0x4
	s_load_dwordx4 s[28:31], s[2:3], 0x24
	s_load_dwordx8 s[36:43], s[0:1], 0x0
	s_add_u32 s2, s2, 48
	s_addc_u32 s3, s3, 0
	s_add_i32 s8, s8, 4
	s_add_u32 s0, s0, 32
	s_addc_u32 s1, s1, 0
	s_cmp_lg_u32 s5, s8
	s_waitcnt lgkmcnt(0)
	v_mul_hi_u32 v6, s13, v2
	v_add_nc_u32_e32 v6, v2, v6
	v_lshrrev_b32_e32 v6, s14, v6
	v_mul_hi_u32 v8, s16, v6
	v_mul_lo_u32 v12, v6, s12
	v_add_nc_u32_e32 v8, v6, v8
	v_sub_nc_u32_e32 v2, v2, v12
	v_lshrrev_b32_e32 v8, s17, v8
	v_mul_lo_u32 v12, v2, s36
	v_mul_lo_u32 v14, v2, s37
	v_mul_hi_u32 v11, s19, v8
	v_add_nc_u32_e32 v11, v8, v11
	v_lshrrev_b32_e32 v11, s28, v11
	v_mul_hi_u32 v13, s30, v11
	v_mul_lo_u32 v15, v11, s18
	v_add_nc_u32_e32 v2, v11, v13
	v_mul_lo_u32 v13, v8, s15
	v_sub_nc_u32_e32 v8, v8, v15
	v_lshrrev_b32_e32 v2, s31, v2
	v_mul_lo_u32 v15, v8, s40
	v_mul_lo_u32 v8, v8, s41
	v_sub_nc_u32_e32 v6, v6, v13
	v_mul_lo_u32 v16, v2, s29
	v_mul_lo_u32 v13, v6, s38
	;; [unrolled: 1-line block ×3, first 2 shown]
	v_sub_nc_u32_e32 v11, v11, v16
	v_add3_u32 v1, v12, v1, v13
	v_mul_lo_u32 v16, v11, s42
	v_mul_lo_u32 v11, v11, s43
	v_add3_u32 v6, v14, v10, v6
	v_add3_u32 v1, v15, v1, v16
	;; [unrolled: 1-line block ×3, first 2 shown]
	s_cbranch_scc1 .LBB47_34
; %bb.35:
	s_and_b32 s6, s6, 3
	s_cmp_eq_u32 s6, 0
	s_cbranch_scc0 .LBB47_39
	s_branch .LBB47_41
.LBB47_36:
	s_mov_b32 s4, -1
                                        ; implicit-def: $vgpr1
                                        ; implicit-def: $vgpr10
	s_branch .LBB47_41
.LBB47_37:
	v_mov_b32_e32 v1, 0
	v_mov_b32_e32 v10, 0
	s_branch .LBB47_41
.LBB47_38:
	v_mov_b32_e32 v1, 0
	v_mov_b32_e32 v10, 0
	;; [unrolled: 1-line block ×3, first 2 shown]
	s_mov_b32 s5, 0
	s_and_b32 s6, s6, 3
	s_cmp_eq_u32 s6, 0
	s_cbranch_scc1 .LBB47_41
.LBB47_39:
	s_lshl_b32 s0, s5, 3
	s_mul_i32 s2, s5, 12
	s_add_u32 s0, s20, s0
	s_addc_u32 s1, s21, 0
	s_add_u32 s0, s0, 0xc4
	s_addc_u32 s1, s1, 0
	;; [unrolled: 2-line block ×3, first 2 shown]
	.p2align	6
.LBB47_40:                              ; =>This Inner Loop Header: Depth=1
	s_waitcnt lgkmcnt(0)
	s_clause 0x1
	s_load_dwordx2 s[8:9], s[2:3], 0x4
	s_load_dword s5, s[2:3], 0xc
	s_load_dwordx2 s[10:11], s[0:1], 0x0
	s_add_u32 s2, s2, 12
	s_addc_u32 s3, s3, 0
	s_add_u32 s0, s0, 8
	s_addc_u32 s1, s1, 0
	s_add_i32 s6, s6, -1
	s_cmp_lg_u32 s6, 0
	s_waitcnt lgkmcnt(0)
	v_mul_hi_u32 v6, s9, v2
	v_add_nc_u32_e32 v6, v2, v6
	v_lshrrev_b32_e32 v6, s5, v6
	v_mul_lo_u32 v8, v6, s8
	v_sub_nc_u32_e32 v8, v2, v8
	v_mad_u64_u32 v[1:2], null, v8, s10, v[1:2]
	v_mad_u64_u32 v[10:11], null, v8, s11, v[10:11]
	v_mov_b32_e32 v2, v6
	s_cbranch_scc1 .LBB47_40
.LBB47_41:
	s_andn2_b32 vcc_lo, exec_lo, s4
	s_cbranch_vccnz .LBB47_44
; %bb.42:
	s_clause 0x1
	s_load_dwordx4 s[0:3], s[20:21], 0x4
	s_load_dwordx2 s[4:5], s[20:21], 0xc4
	s_cmp_lt_u32 s7, 2
	s_waitcnt lgkmcnt(0)
	v_mul_hi_u32 v1, s1, v3
	v_add_nc_u32_e32 v1, v3, v1
	v_lshrrev_b32_e32 v2, s2, v1
	v_mul_lo_u32 v1, v2, s0
	v_sub_nc_u32_e32 v3, v3, v1
	v_mul_lo_u32 v1, v3, s4
	v_mul_lo_u32 v10, v3, s5
	s_cbranch_scc1 .LBB47_44
; %bb.43:
	s_clause 0x1
	s_load_dwordx4 s[0:3], s[20:21], 0x10
	s_load_dwordx2 s[4:5], s[20:21], 0xcc
	s_waitcnt lgkmcnt(0)
	v_mul_hi_u32 v3, s1, v2
	v_add_nc_u32_e32 v3, v2, v3
	v_lshrrev_b32_e32 v3, s2, v3
	v_mul_lo_u32 v3, v3, s0
	v_sub_nc_u32_e32 v3, v2, v3
	v_mad_u64_u32 v[1:2], null, v3, s4, v[1:2]
	v_mad_u64_u32 v[10:11], null, v3, s5, v[10:11]
.LBB47_44:
	v_cmp_ne_u32_e32 vcc_lo, 1, v4
	v_add_nc_u32_e32 v6, 0x100, v9
	s_cbranch_vccnz .LBB47_50
; %bb.45:
	s_cmp_lg_u32 s7, 0
	s_mov_b32 s4, 0
	s_cbranch_scc0 .LBB47_51
; %bb.46:
	s_min_u32 s6, s26, 15
	s_add_i32 s6, s6, 1
	s_cmp_eq_u32 s26, 2
	s_cbranch_scc1 .LBB47_52
; %bb.47:
	v_mov_b32_e32 v14, 0
	v_mov_b32_e32 v2, 0
	;; [unrolled: 1-line block ×3, first 2 shown]
	s_and_b32 s5, s6, 28
	s_add_u32 s0, s20, 0xc4
	s_addc_u32 s1, s21, 0
	s_waitcnt lgkmcnt(0)
	s_mov_b32 s8, 0
	s_mov_b64 s[2:3], s[20:21]
.LBB47_48:                              ; =>This Inner Loop Header: Depth=1
	s_clause 0x1
	s_load_dwordx8 s[12:19], s[2:3], 0x4
	s_load_dwordx4 s[28:31], s[2:3], 0x24
	s_load_dwordx8 s[36:43], s[0:1], 0x0
	s_add_u32 s2, s2, 48
	s_addc_u32 s3, s3, 0
	s_add_i32 s8, s8, 4
	s_add_u32 s0, s0, 32
	s_addc_u32 s1, s1, 0
	s_cmp_lg_u32 s5, s8
	s_waitcnt lgkmcnt(0)
	v_mul_hi_u32 v8, s13, v3
	v_add_nc_u32_e32 v8, v3, v8
	v_lshrrev_b32_e32 v8, s14, v8
	v_mul_hi_u32 v9, s16, v8
	v_mul_lo_u32 v12, v8, s12
	v_add_nc_u32_e32 v9, v8, v9
	v_sub_nc_u32_e32 v3, v3, v12
	v_lshrrev_b32_e32 v9, s17, v9
	v_mul_lo_u32 v12, v3, s36
	v_mul_lo_u32 v15, v3, s37
	v_mul_hi_u32 v11, s19, v9
	v_add_nc_u32_e32 v11, v9, v11
	v_lshrrev_b32_e32 v11, s28, v11
	v_mul_hi_u32 v13, s30, v11
	v_mul_lo_u32 v16, v11, s18
	v_add_nc_u32_e32 v3, v11, v13
	v_mul_lo_u32 v13, v9, s15
	v_sub_nc_u32_e32 v9, v9, v16
	v_lshrrev_b32_e32 v3, s31, v3
	v_mul_lo_u32 v16, v9, s40
	v_mul_lo_u32 v9, v9, s41
	v_sub_nc_u32_e32 v8, v8, v13
	v_mul_lo_u32 v17, v3, s29
	v_mul_lo_u32 v13, v8, s38
	;; [unrolled: 1-line block ×3, first 2 shown]
	v_sub_nc_u32_e32 v11, v11, v17
	v_add3_u32 v2, v12, v2, v13
	v_mul_lo_u32 v17, v11, s42
	v_mul_lo_u32 v11, v11, s43
	v_add3_u32 v8, v15, v14, v8
	v_add3_u32 v2, v16, v2, v17
	;; [unrolled: 1-line block ×3, first 2 shown]
	s_cbranch_scc1 .LBB47_48
; %bb.49:
	s_and_b32 s6, s6, 3
	s_cmp_eq_u32 s6, 0
	s_cbranch_scc0 .LBB47_53
	s_branch .LBB47_55
.LBB47_50:
	s_mov_b32 s4, -1
                                        ; implicit-def: $vgpr2
                                        ; implicit-def: $vgpr14
	s_branch .LBB47_55
.LBB47_51:
	v_mov_b32_e32 v2, 0
	v_mov_b32_e32 v14, 0
	s_branch .LBB47_55
.LBB47_52:
	v_mov_b32_e32 v2, 0
	v_mov_b32_e32 v14, 0
	;; [unrolled: 1-line block ×3, first 2 shown]
	s_mov_b32 s5, 0
	s_and_b32 s6, s6, 3
	s_cmp_eq_u32 s6, 0
	s_cbranch_scc1 .LBB47_55
.LBB47_53:
	s_lshl_b32 s0, s5, 3
	s_mul_i32 s2, s5, 12
	s_add_u32 s0, s20, s0
	s_addc_u32 s1, s21, 0
	s_add_u32 s0, s0, 0xc4
	s_addc_u32 s1, s1, 0
	;; [unrolled: 2-line block ×3, first 2 shown]
	.p2align	6
.LBB47_54:                              ; =>This Inner Loop Header: Depth=1
	s_waitcnt lgkmcnt(0)
	s_clause 0x1
	s_load_dwordx2 s[8:9], s[2:3], 0x4
	s_load_dword s5, s[2:3], 0xc
	s_load_dwordx2 s[10:11], s[0:1], 0x0
	s_add_u32 s2, s2, 12
	s_addc_u32 s3, s3, 0
	s_add_u32 s0, s0, 8
	s_addc_u32 s1, s1, 0
	s_add_i32 s6, s6, -1
	s_cmp_lg_u32 s6, 0
	s_waitcnt lgkmcnt(0)
	v_mul_hi_u32 v8, s9, v3
	v_add_nc_u32_e32 v8, v3, v8
	v_lshrrev_b32_e32 v8, s5, v8
	v_mul_lo_u32 v9, v8, s8
	v_sub_nc_u32_e32 v9, v3, v9
	v_mad_u64_u32 v[2:3], null, v9, s10, v[2:3]
	v_mad_u64_u32 v[14:15], null, v9, s11, v[14:15]
	v_mov_b32_e32 v3, v8
	s_cbranch_scc1 .LBB47_54
.LBB47_55:
	s_andn2_b32 vcc_lo, exec_lo, s4
	s_cbranch_vccnz .LBB47_58
; %bb.56:
	s_clause 0x1
	s_load_dwordx4 s[0:3], s[20:21], 0x4
	s_load_dwordx2 s[4:5], s[20:21], 0xc4
	s_cmp_lt_u32 s7, 2
	s_waitcnt lgkmcnt(0)
	v_mul_hi_u32 v2, s1, v6
	v_add_nc_u32_e32 v2, v6, v2
	v_lshrrev_b32_e32 v3, s2, v2
	v_mul_lo_u32 v2, v3, s0
	v_sub_nc_u32_e32 v6, v6, v2
	v_mul_lo_u32 v2, v6, s4
	v_mul_lo_u32 v14, v6, s5
	s_cbranch_scc1 .LBB47_58
; %bb.57:
	s_clause 0x1
	s_load_dwordx4 s[0:3], s[20:21], 0x10
	s_load_dwordx2 s[4:5], s[20:21], 0xcc
	s_waitcnt lgkmcnt(0)
	v_mul_hi_u32 v6, s1, v3
	v_add_nc_u32_e32 v6, v3, v6
	v_lshrrev_b32_e32 v6, s2, v6
	v_mul_lo_u32 v6, v6, s0
	v_sub_nc_u32_e32 v6, v3, v6
	v_mad_u64_u32 v[2:3], null, v6, s4, v[2:3]
	v_mad_u64_u32 v[14:15], null, v6, s5, v[14:15]
.LBB47_58:
	v_cmp_ne_u32_e32 vcc_lo, 1, v4
	s_cbranch_vccnz .LBB47_64
; %bb.59:
	s_cmp_lg_u32 s7, 0
	s_mov_b32 s4, 0
	s_cbranch_scc0 .LBB47_65
; %bb.60:
	s_min_u32 s6, s26, 15
	s_add_i32 s6, s6, 1
	s_cmp_eq_u32 s26, 2
	s_cbranch_scc1 .LBB47_66
; %bb.61:
	v_mov_b32_e32 v20, 0
	v_mov_b32_e32 v3, 0
	;; [unrolled: 1-line block ×3, first 2 shown]
	s_and_b32 s5, s6, 28
	s_add_u32 s0, s20, 0xc4
	s_addc_u32 s1, s21, 0
	s_waitcnt lgkmcnt(0)
	s_mov_b32 s8, 0
	s_mov_b64 s[2:3], s[20:21]
.LBB47_62:                              ; =>This Inner Loop Header: Depth=1
	s_clause 0x1
	s_load_dwordx8 s[12:19], s[2:3], 0x4
	s_load_dwordx4 s[36:39], s[2:3], 0x24
	s_load_dwordx8 s[24:31], s[0:1], 0x0
	s_add_u32 s2, s2, 48
	s_addc_u32 s3, s3, 0
	s_add_i32 s8, s8, 4
	s_add_u32 s0, s0, 32
	s_addc_u32 s1, s1, 0
	s_cmp_lg_u32 s5, s8
	s_waitcnt lgkmcnt(0)
	v_mul_hi_u32 v6, s13, v4
	v_add_nc_u32_e32 v6, v4, v6
	v_lshrrev_b32_e32 v6, s14, v6
	v_mul_hi_u32 v8, s16, v6
	v_mul_lo_u32 v11, v6, s12
	v_add_nc_u32_e32 v8, v6, v8
	v_sub_nc_u32_e32 v4, v4, v11
	v_lshrrev_b32_e32 v8, s17, v8
	v_mul_lo_u32 v11, v4, s24
	v_mul_lo_u32 v13, v4, s25
	v_mul_hi_u32 v9, s19, v8
	v_add_nc_u32_e32 v9, v8, v9
	v_lshrrev_b32_e32 v9, s36, v9
	v_mul_hi_u32 v12, s38, v9
	v_mul_lo_u32 v15, v9, s18
	v_add_nc_u32_e32 v4, v9, v12
	v_mul_lo_u32 v12, v8, s15
	v_sub_nc_u32_e32 v8, v8, v15
	v_lshrrev_b32_e32 v4, s39, v4
	v_mul_lo_u32 v15, v8, s28
	v_mul_lo_u32 v8, v8, s29
	v_sub_nc_u32_e32 v6, v6, v12
	v_mul_lo_u32 v16, v4, s37
	v_mul_lo_u32 v12, v6, s26
	;; [unrolled: 1-line block ×3, first 2 shown]
	v_sub_nc_u32_e32 v9, v9, v16
	v_add3_u32 v3, v11, v3, v12
	v_mul_lo_u32 v16, v9, s30
	v_mul_lo_u32 v9, v9, s31
	v_add3_u32 v6, v13, v20, v6
	v_add3_u32 v3, v15, v3, v16
	;; [unrolled: 1-line block ×3, first 2 shown]
	s_cbranch_scc1 .LBB47_62
; %bb.63:
	s_and_b32 s6, s6, 3
	s_cmp_eq_u32 s6, 0
	s_cbranch_scc0 .LBB47_67
	s_branch .LBB47_69
.LBB47_64:
	s_mov_b32 s4, -1
                                        ; implicit-def: $vgpr3
                                        ; implicit-def: $vgpr20
	s_branch .LBB47_69
.LBB47_65:
	v_mov_b32_e32 v3, 0
	v_mov_b32_e32 v20, 0
	s_branch .LBB47_69
.LBB47_66:
	v_mov_b32_e32 v3, 0
	v_mov_b32_e32 v20, 0
	;; [unrolled: 1-line block ×3, first 2 shown]
	s_mov_b32 s5, 0
	s_and_b32 s6, s6, 3
	s_cmp_eq_u32 s6, 0
	s_cbranch_scc1 .LBB47_69
.LBB47_67:
	s_lshl_b32 s0, s5, 3
	s_mul_i32 s2, s5, 12
	s_add_u32 s0, s20, s0
	s_addc_u32 s1, s21, 0
	s_add_u32 s0, s0, 0xc4
	s_addc_u32 s1, s1, 0
	s_add_u32 s2, s20, s2
	s_addc_u32 s3, s21, 0
	.p2align	6
.LBB47_68:                              ; =>This Inner Loop Header: Depth=1
	s_waitcnt lgkmcnt(0)
	s_clause 0x1
	s_load_dwordx2 s[8:9], s[2:3], 0x4
	s_load_dword s5, s[2:3], 0xc
	s_load_dwordx2 s[10:11], s[0:1], 0x0
	s_add_u32 s2, s2, 12
	s_addc_u32 s3, s3, 0
	s_add_u32 s0, s0, 8
	s_addc_u32 s1, s1, 0
	s_add_i32 s6, s6, -1
	s_cmp_lg_u32 s6, 0
	s_waitcnt lgkmcnt(0)
	v_mul_hi_u32 v6, s9, v4
	v_add_nc_u32_e32 v6, v4, v6
	v_lshrrev_b32_e32 v6, s5, v6
	v_mul_lo_u32 v8, v6, s8
	v_sub_nc_u32_e32 v8, v4, v8
	v_mad_u64_u32 v[3:4], null, v8, s10, v[3:4]
	v_mad_u64_u32 v[20:21], null, v8, s11, v[20:21]
	v_mov_b32_e32 v4, v6
	s_cbranch_scc1 .LBB47_68
.LBB47_69:
	s_andn2_b32 vcc_lo, exec_lo, s4
	s_cbranch_vccnz .LBB47_72
; %bb.70:
	s_clause 0x1
	s_load_dwordx4 s[0:3], s[20:21], 0x4
	s_load_dwordx2 s[4:5], s[20:21], 0xc4
	s_cmp_lt_u32 s7, 2
	s_waitcnt lgkmcnt(0)
	v_mul_hi_u32 v3, s1, v7
	v_add_nc_u32_e32 v3, v7, v3
	v_lshrrev_b32_e32 v4, s2, v3
	v_mul_lo_u32 v3, v4, s0
	v_sub_nc_u32_e32 v6, v7, v3
	v_mul_lo_u32 v3, v6, s4
	v_mul_lo_u32 v20, v6, s5
	s_cbranch_scc1 .LBB47_72
; %bb.71:
	s_clause 0x1
	s_load_dwordx4 s[0:3], s[20:21], 0x10
	s_load_dwordx2 s[4:5], s[20:21], 0xcc
	s_waitcnt lgkmcnt(0)
	v_mul_hi_u32 v6, s1, v4
	v_add_nc_u32_e32 v6, v4, v6
	v_lshrrev_b32_e32 v6, s2, v6
	v_mul_lo_u32 v6, v6, s0
	v_sub_nc_u32_e32 v6, v4, v6
	v_mad_u64_u32 v[3:4], null, v6, s4, v[3:4]
	v_mad_u64_u32 v[20:21], null, v6, s5, v[20:21]
.LBB47_72:
	s_waitcnt lgkmcnt(0)
	s_load_dwordx4 s[8:11], s[20:21], 0x148
	v_mov_b32_e32 v6, 0
	v_mov_b32_e32 v7, 0
	s_mov_b32 s2, exec_lo
	s_waitcnt lgkmcnt(0)
	global_load_dwordx2 v[8:9], v5, s[10:11]
	v_mov_b32_e32 v4, 0
	v_mov_b32_e32 v5, 0x3ff00000
	s_waitcnt vmcnt(0)
	v_cmpx_gt_f64_e32 0.5, v[8:9]
	s_cbranch_execz .LBB47_78
; %bb.73:
	s_mov_b32 s1, 0x400921fb
	s_mov_b32 s0, 0x54442d18
	s_mov_b32 s3, exec_lo
	v_mul_f64 v[4:5], v[8:9], s[0:1]
                                        ; implicit-def: $vgpr13
                                        ; implicit-def: $vgpr6_vgpr7
                                        ; implicit-def: $vgpr11_vgpr12
	v_cmpx_ngt_f64_e64 0x41d00000, |v[4:5]|
	s_xor_b32 s3, exec_lo, s3
	s_cbranch_execz .LBB47_75
; %bb.74:
	v_ldexp_f64 v[6:7], |v[4:5]|, 0xffffff80
	v_cmp_le_f64_e64 vcc_lo, 0x7b000000, |v[4:5]|
	v_trig_preop_f64 v[11:12], |v[4:5]|, 0
	v_and_b32_e32 v13, 0x7fffffff, v5
	v_trig_preop_f64 v[15:16], |v[4:5]|, 1
	v_trig_preop_f64 v[27:28], |v[4:5]|, 2
	v_mov_b32_e32 v35, 0
	s_mov_b32 s1, 0x3ff921fb
	s_mov_b32 s4, 0x33145c07
	;; [unrolled: 1-line block ×3, first 2 shown]
	v_cndmask_b32_e32 v7, v13, v7, vcc_lo
	v_cndmask_b32_e32 v6, v4, v6, vcc_lo
	v_mul_f64 v[17:18], v[11:12], v[6:7]
	v_mul_f64 v[21:22], v[15:16], v[6:7]
	;; [unrolled: 1-line block ×3, first 2 shown]
	v_fma_f64 v[11:12], v[11:12], v[6:7], -v[17:18]
	v_fma_f64 v[15:16], v[15:16], v[6:7], -v[21:22]
	;; [unrolled: 1-line block ×3, first 2 shown]
	v_add_f64 v[23:24], v[21:22], v[11:12]
	v_add_f64 v[25:26], v[23:24], -v[21:22]
	v_add_f64 v[31:32], v[17:18], v[23:24]
	v_add_f64 v[29:30], v[23:24], -v[25:26]
	v_add_f64 v[11:12], v[11:12], -v[25:26]
	v_ldexp_f64 v[25:26], v[31:32], -2
	v_add_f64 v[17:18], v[31:32], -v[17:18]
	v_add_f64 v[21:22], v[21:22], -v[29:30]
	v_add_f64 v[29:30], v[33:34], v[15:16]
	v_cmp_neq_f64_e64 vcc_lo, 0x7ff00000, |v[25:26]|
	v_add_f64 v[17:18], v[23:24], -v[17:18]
	v_add_f64 v[11:12], v[11:12], v[21:22]
	v_fract_f64_e32 v[21:22], v[25:26]
	v_add_f64 v[23:24], v[29:30], v[11:12]
	v_ldexp_f64 v[21:22], v[21:22], 2
	v_add_f64 v[25:26], v[17:18], v[23:24]
	v_cndmask_b32_e32 v22, 0, v22, vcc_lo
	v_cndmask_b32_e32 v21, 0, v21, vcc_lo
	v_add_f64 v[31:32], v[25:26], v[21:22]
	v_add_f64 v[17:18], v[25:26], -v[17:18]
	v_cmp_gt_f64_e32 vcc_lo, 0, v[31:32]
	v_add_f64 v[31:32], v[29:30], -v[33:34]
	v_add_f64 v[17:18], v[23:24], -v[17:18]
	v_cndmask_b32_e64 v36, 0, 0x40100000, vcc_lo
	v_add_f64 v[40:41], v[29:30], -v[31:32]
	v_add_f64 v[15:16], v[15:16], -v[31:32]
	v_add_f64 v[21:22], v[21:22], v[35:36]
	v_add_f64 v[36:37], v[23:24], -v[29:30]
	v_add_f64 v[31:32], v[33:34], -v[40:41]
	v_add_f64 v[38:39], v[25:26], v[21:22]
	;; [unrolled: 3-line block ×3, first 2 shown]
	v_cvt_i32_f64_e32 v13, v[38:39]
	v_add_f64 v[29:30], v[29:30], -v[42:43]
	v_cvt_f64_i32_e32 v[36:37], v13
	v_add_f64 v[11:12], v[11:12], v[29:30]
	v_add_f64 v[21:22], v[21:22], -v[36:37]
	v_add_f64 v[11:12], v[15:16], v[11:12]
	v_add_f64 v[15:16], v[25:26], v[21:22]
	;; [unrolled: 1-line block ×3, first 2 shown]
	v_add_f64 v[11:12], v[15:16], -v[21:22]
	v_cmp_le_f64_e32 vcc_lo, 0.5, v[15:16]
	v_add_f64 v[6:7], v[17:18], v[6:7]
	v_add_f64 v[11:12], v[25:26], -v[11:12]
	v_cndmask_b32_e64 v36, 0, 0x3ff00000, vcc_lo
	v_add_co_ci_u32_e64 v13, null, 0, v13, vcc_lo
	v_add_f64 v[6:7], v[6:7], v[11:12]
	v_add_f64 v[11:12], v[15:16], -v[35:36]
	v_add_f64 v[15:16], v[11:12], v[6:7]
	v_mul_f64 v[17:18], v[15:16], s[0:1]
	v_add_f64 v[11:12], v[15:16], -v[11:12]
	v_fma_f64 v[21:22], v[15:16], s[0:1], -v[17:18]
	v_add_f64 v[6:7], v[6:7], -v[11:12]
	v_fma_f64 v[11:12], v[15:16], s[4:5], v[21:22]
	v_fma_f64 v[11:12], v[6:7], s[0:1], v[11:12]
	v_add_f64 v[6:7], v[17:18], v[11:12]
	v_add_f64 v[15:16], v[6:7], -v[17:18]
	v_add_f64 v[11:12], v[11:12], -v[15:16]
.LBB47_75:
	s_andn2_saveexec_b32 s0, s3
	s_cbranch_execz .LBB47_77
; %bb.76:
	s_mov_b32 s4, 0x6dc9c883
	s_mov_b32 s5, 0x3fe45f30
	;; [unrolled: 1-line block ×3, first 2 shown]
	v_mul_f64 v[6:7], |v[4:5]|, s[4:5]
	s_mov_b32 s4, 0x54442d18
	s_mov_b32 s5, 0xbff921fb
	;; [unrolled: 1-line block ×3, first 2 shown]
	v_rndne_f64_e32 v[15:16], v[6:7]
	v_fma_f64 v[6:7], v[15:16], s[4:5], |v[4:5]|
	v_mul_f64 v[11:12], v[15:16], s[6:7]
	s_mov_b32 s4, 0x252049c0
	s_mov_b32 s5, 0xb97b839a
	v_cvt_i32_f64_e32 v13, v[15:16]
	v_fma_f64 v[21:22], v[15:16], s[6:7], v[6:7]
	v_add_f64 v[17:18], v[6:7], v[11:12]
	s_mov_b32 s7, 0x3c91a626
	v_add_f64 v[6:7], v[6:7], -v[17:18]
	v_add_f64 v[17:18], v[17:18], -v[21:22]
	v_add_f64 v[6:7], v[6:7], v[11:12]
	v_fma_f64 v[11:12], v[15:16], s[6:7], v[11:12]
	v_add_f64 v[6:7], v[17:18], v[6:7]
	v_add_f64 v[6:7], v[6:7], -v[11:12]
	v_fma_f64 v[11:12], v[15:16], s[4:5], v[6:7]
	v_add_f64 v[6:7], v[21:22], v[11:12]
	v_add_f64 v[17:18], v[6:7], -v[21:22]
	v_add_f64 v[11:12], v[11:12], -v[17:18]
.LBB47_77:
	s_or_b32 exec_lo, exec_lo, s0
	v_mul_f64 v[15:16], v[6:7], v[6:7]
	s_mov_b32 s0, 0xb42fdfa7
	s_mov_b32 s4, 0xf9a43bb8
	;; [unrolled: 1-line block ×6, first 2 shown]
	v_mul_f64 v[27:28], v[11:12], 0.5
	v_add_f64 v[8:9], -v[8:9], 1.0
	v_fma_f64 v[17:18], v[15:16], s[4:5], s[0:1]
	s_mov_b32 s0, 0x9037ab78
	s_mov_b32 s4, 0x46cc5e42
	;; [unrolled: 1-line block ×4, first 2 shown]
	v_mul_f64 v[23:24], v[15:16], 0.5
	v_fma_f64 v[21:22], v[15:16], s[4:5], s[0:1]
	s_mov_b32 s0, 0xa17f65f6
	s_mov_b32 s4, 0x19e83e5c
	;; [unrolled: 1-line block ×4, first 2 shown]
	v_mul_f64 v[29:30], v[6:7], -v[15:16]
	v_fma_f64 v[17:18], v[15:16], v[17:18], s[6:7]
	v_add_f64 v[25:26], -v[23:24], 1.0
	v_fma_f64 v[21:22], v[15:16], v[21:22], s[0:1]
	s_mov_b32 s0, 0x19f4ec90
	s_mov_b32 s1, 0x3efa01a0
	v_fma_f64 v[17:18], v[15:16], v[17:18], s[4:5]
	s_mov_b32 s4, 0x11110bb3
	s_mov_b32 s5, 0x3f811111
	v_add_f64 v[31:32], -v[25:26], 1.0
	v_fma_f64 v[21:22], v[15:16], v[21:22], s[0:1]
	s_mov_b32 s0, 0x16c16967
	s_mov_b32 s1, 0xbf56c16c
	v_fma_f64 v[17:18], v[15:16], v[17:18], s[4:5]
	v_add_f64 v[23:24], v[31:32], -v[23:24]
	v_fma_f64 v[21:22], v[15:16], v[21:22], s[0:1]
	s_mov_b32 s1, 0x3fa55555
	s_mov_b32 s0, 0x55555555
	v_fma_f64 v[17:18], v[29:30], v[17:18], v[27:28]
	v_mul_f64 v[27:28], v[15:16], v[15:16]
	v_fma_f64 v[23:24], v[6:7], -v[11:12], v[23:24]
	v_fma_f64 v[21:22], v[15:16], v[21:22], s[0:1]
	s_mov_b32 s1, 0xbfc55555
	v_fma_f64 v[11:12], v[15:16], v[17:18], -v[11:12]
	v_fma_f64 v[15:16], v[27:28], v[21:22], v[23:24]
	v_fma_f64 v[11:12], v[29:30], s[0:1], v[11:12]
	v_cmp_class_f64_e64 s0, v[4:5], 0x1f8
	v_lshlrev_b32_e32 v4, 30, v13
	v_add_f64 v[15:16], v[25:26], v[15:16]
	v_xor_b32_e32 v4, v4, v5
	v_and_b32_e32 v4, 0x80000000, v4
	v_add_f64 v[6:7], v[6:7], -v[11:12]
	v_and_b32_e32 v11, 1, v13
	v_cmp_eq_u32_e32 vcc_lo, 0, v11
	v_cndmask_b32_e32 v5, v16, v7, vcc_lo
	v_cndmask_b32_e32 v6, v15, v6, vcc_lo
	v_xor_b32_e32 v5, v5, v4
	v_cndmask_b32_e64 v4, 0, v6, s0
	v_cndmask_b32_e64 v5, 0x7ff80000, v5, s0
	s_mov_b32 s0, 0xc9be45de
	s_mov_b32 s1, 0xc023bd3c
	v_mul_f64 v[4:5], v[4:5], v[4:5]
	v_div_scale_f64 v[6:7], null, v[4:5], v[4:5], s[0:1]
	v_div_scale_f64 v[17:18], vcc_lo, s[0:1], v[4:5], s[0:1]
	v_rcp_f64_e32 v[11:12], v[6:7]
	v_fma_f64 v[15:16], -v[6:7], v[11:12], 1.0
	v_fma_f64 v[11:12], v[11:12], v[15:16], v[11:12]
	v_fma_f64 v[15:16], -v[6:7], v[11:12], 1.0
	v_fma_f64 v[11:12], v[11:12], v[15:16], v[11:12]
	v_mul_f64 v[15:16], v[17:18], v[11:12]
	v_fma_f64 v[6:7], -v[6:7], v[15:16], v[17:18]
	v_div_fmas_f64 v[6:7], v[6:7], v[11:12], v[15:16]
	v_div_fixup_f64 v[4:5], v[6:7], v[4:5], s[0:1]
	v_add_f64 v[6:7], v[4:5], 0
	v_mov_b32_e32 v4, 0
	v_mov_b32_e32 v5, 0xbff00000
.LBB47_78:
	s_or_b32 exec_lo, exec_lo, s2
	global_load_dwordx2 v[18:19], v10, s[10:11]
	v_mov_b32_e32 v12, 0
	v_mov_b32_e32 v10, 0
	;; [unrolled: 1-line block ×4, first 2 shown]
	s_mov_b32 s2, exec_lo
	s_waitcnt vmcnt(0)
	v_cmpx_gt_f64_e32 0.5, v[18:19]
	s_cbranch_execz .LBB47_84
; %bb.79:
	s_mov_b32 s1, 0x400921fb
	s_mov_b32 s0, 0x54442d18
	s_mov_b32 s3, exec_lo
	v_mul_f64 v[10:11], v[18:19], s[0:1]
                                        ; implicit-def: $vgpr17
                                        ; implicit-def: $vgpr12_vgpr13
                                        ; implicit-def: $vgpr15_vgpr16
	v_cmpx_ngt_f64_e64 0x41d00000, |v[10:11]|
	s_xor_b32 s3, exec_lo, s3
	s_cbranch_execz .LBB47_81
; %bb.80:
	v_ldexp_f64 v[12:13], |v[10:11]|, 0xffffff80
	v_cmp_le_f64_e64 vcc_lo, 0x7b000000, |v[10:11]|
	v_trig_preop_f64 v[15:16], |v[10:11]|, 0
	v_and_b32_e32 v17, 0x7fffffff, v11
	v_trig_preop_f64 v[21:22], |v[10:11]|, 1
	v_trig_preop_f64 v[31:32], |v[10:11]|, 2
	v_mov_b32_e32 v39, 0
	s_mov_b32 s1, 0x3ff921fb
	s_mov_b32 s4, 0x33145c07
	;; [unrolled: 1-line block ×3, first 2 shown]
	v_cndmask_b32_e32 v13, v17, v13, vcc_lo
	v_cndmask_b32_e32 v12, v10, v12, vcc_lo
	v_mul_f64 v[23:24], v[15:16], v[12:13]
	v_mul_f64 v[25:26], v[21:22], v[12:13]
	;; [unrolled: 1-line block ×3, first 2 shown]
	v_fma_f64 v[15:16], v[15:16], v[12:13], -v[23:24]
	v_fma_f64 v[21:22], v[21:22], v[12:13], -v[25:26]
	;; [unrolled: 1-line block ×3, first 2 shown]
	v_add_f64 v[27:28], v[25:26], v[15:16]
	v_add_f64 v[29:30], v[27:28], -v[25:26]
	v_add_f64 v[35:36], v[23:24], v[27:28]
	v_add_f64 v[33:34], v[27:28], -v[29:30]
	v_add_f64 v[15:16], v[15:16], -v[29:30]
	v_ldexp_f64 v[29:30], v[35:36], -2
	v_add_f64 v[23:24], v[35:36], -v[23:24]
	v_add_f64 v[25:26], v[25:26], -v[33:34]
	v_add_f64 v[33:34], v[37:38], v[21:22]
	v_cmp_neq_f64_e64 vcc_lo, 0x7ff00000, |v[29:30]|
	v_add_f64 v[23:24], v[27:28], -v[23:24]
	v_add_f64 v[15:16], v[15:16], v[25:26]
	v_fract_f64_e32 v[25:26], v[29:30]
	v_add_f64 v[27:28], v[33:34], v[15:16]
	v_ldexp_f64 v[25:26], v[25:26], 2
	v_add_f64 v[29:30], v[23:24], v[27:28]
	v_cndmask_b32_e32 v26, 0, v26, vcc_lo
	v_cndmask_b32_e32 v25, 0, v25, vcc_lo
	v_add_f64 v[35:36], v[29:30], v[25:26]
	v_add_f64 v[23:24], v[29:30], -v[23:24]
	v_cmp_gt_f64_e32 vcc_lo, 0, v[35:36]
	v_add_f64 v[35:36], v[33:34], -v[37:38]
	v_add_f64 v[23:24], v[27:28], -v[23:24]
	v_cndmask_b32_e64 v40, 0, 0x40100000, vcc_lo
	v_add_f64 v[44:45], v[33:34], -v[35:36]
	v_add_f64 v[21:22], v[21:22], -v[35:36]
	v_add_f64 v[25:26], v[25:26], v[39:40]
	v_add_f64 v[40:41], v[27:28], -v[33:34]
	v_add_f64 v[35:36], v[37:38], -v[44:45]
	v_add_f64 v[42:43], v[29:30], v[25:26]
	;; [unrolled: 3-line block ×3, first 2 shown]
	v_cvt_i32_f64_e32 v17, v[42:43]
	v_add_f64 v[33:34], v[33:34], -v[46:47]
	v_cvt_f64_i32_e32 v[40:41], v17
	v_add_f64 v[15:16], v[15:16], v[33:34]
	v_add_f64 v[25:26], v[25:26], -v[40:41]
	v_add_f64 v[15:16], v[21:22], v[15:16]
	v_add_f64 v[21:22], v[29:30], v[25:26]
	;; [unrolled: 1-line block ×3, first 2 shown]
	v_add_f64 v[15:16], v[21:22], -v[25:26]
	v_cmp_le_f64_e32 vcc_lo, 0.5, v[21:22]
	v_add_f64 v[12:13], v[23:24], v[12:13]
	v_add_f64 v[15:16], v[29:30], -v[15:16]
	v_cndmask_b32_e64 v40, 0, 0x3ff00000, vcc_lo
	v_add_co_ci_u32_e64 v17, null, 0, v17, vcc_lo
	v_add_f64 v[12:13], v[12:13], v[15:16]
	v_add_f64 v[15:16], v[21:22], -v[39:40]
	v_add_f64 v[21:22], v[15:16], v[12:13]
	v_mul_f64 v[23:24], v[21:22], s[0:1]
	v_add_f64 v[15:16], v[21:22], -v[15:16]
	v_fma_f64 v[25:26], v[21:22], s[0:1], -v[23:24]
	v_add_f64 v[12:13], v[12:13], -v[15:16]
	v_fma_f64 v[15:16], v[21:22], s[4:5], v[25:26]
	v_fma_f64 v[15:16], v[12:13], s[0:1], v[15:16]
	v_add_f64 v[12:13], v[23:24], v[15:16]
	v_add_f64 v[21:22], v[12:13], -v[23:24]
	v_add_f64 v[15:16], v[15:16], -v[21:22]
.LBB47_81:
	s_andn2_saveexec_b32 s0, s3
	s_cbranch_execz .LBB47_83
; %bb.82:
	s_mov_b32 s4, 0x6dc9c883
	s_mov_b32 s5, 0x3fe45f30
	;; [unrolled: 1-line block ×3, first 2 shown]
	v_mul_f64 v[12:13], |v[10:11]|, s[4:5]
	s_mov_b32 s4, 0x54442d18
	s_mov_b32 s5, 0xbff921fb
	;; [unrolled: 1-line block ×3, first 2 shown]
	v_rndne_f64_e32 v[21:22], v[12:13]
	v_fma_f64 v[12:13], v[21:22], s[4:5], |v[10:11]|
	v_mul_f64 v[15:16], v[21:22], s[6:7]
	s_mov_b32 s4, 0x252049c0
	s_mov_b32 s5, 0xb97b839a
	v_cvt_i32_f64_e32 v17, v[21:22]
	v_fma_f64 v[25:26], v[21:22], s[6:7], v[12:13]
	v_add_f64 v[23:24], v[12:13], v[15:16]
	s_mov_b32 s7, 0x3c91a626
	v_add_f64 v[12:13], v[12:13], -v[23:24]
	v_add_f64 v[23:24], v[23:24], -v[25:26]
	v_add_f64 v[12:13], v[12:13], v[15:16]
	v_fma_f64 v[15:16], v[21:22], s[6:7], v[15:16]
	v_add_f64 v[12:13], v[23:24], v[12:13]
	v_add_f64 v[12:13], v[12:13], -v[15:16]
	v_fma_f64 v[15:16], v[21:22], s[4:5], v[12:13]
	v_add_f64 v[12:13], v[25:26], v[15:16]
	v_add_f64 v[23:24], v[12:13], -v[25:26]
	v_add_f64 v[15:16], v[15:16], -v[23:24]
.LBB47_83:
	s_or_b32 exec_lo, exec_lo, s0
	v_mul_f64 v[21:22], v[12:13], v[12:13]
	s_mov_b32 s0, 0xb42fdfa7
	s_mov_b32 s4, 0xf9a43bb8
	;; [unrolled: 1-line block ×6, first 2 shown]
	v_mul_f64 v[31:32], v[15:16], 0.5
	v_add_f64 v[18:19], -v[18:19], 1.0
	v_fma_f64 v[23:24], v[21:22], s[4:5], s[0:1]
	s_mov_b32 s0, 0x9037ab78
	s_mov_b32 s4, 0x46cc5e42
	;; [unrolled: 1-line block ×4, first 2 shown]
	v_mul_f64 v[27:28], v[21:22], 0.5
	v_fma_f64 v[25:26], v[21:22], s[4:5], s[0:1]
	s_mov_b32 s0, 0xa17f65f6
	s_mov_b32 s4, 0x19e83e5c
	;; [unrolled: 1-line block ×4, first 2 shown]
	v_mul_f64 v[33:34], v[12:13], -v[21:22]
	v_fma_f64 v[23:24], v[21:22], v[23:24], s[6:7]
	v_add_f64 v[29:30], -v[27:28], 1.0
	v_fma_f64 v[25:26], v[21:22], v[25:26], s[0:1]
	s_mov_b32 s0, 0x19f4ec90
	s_mov_b32 s1, 0x3efa01a0
	v_fma_f64 v[23:24], v[21:22], v[23:24], s[4:5]
	s_mov_b32 s4, 0x11110bb3
	s_mov_b32 s5, 0x3f811111
	v_add_f64 v[35:36], -v[29:30], 1.0
	v_fma_f64 v[25:26], v[21:22], v[25:26], s[0:1]
	s_mov_b32 s0, 0x16c16967
	s_mov_b32 s1, 0xbf56c16c
	v_fma_f64 v[23:24], v[21:22], v[23:24], s[4:5]
	v_add_f64 v[27:28], v[35:36], -v[27:28]
	v_fma_f64 v[25:26], v[21:22], v[25:26], s[0:1]
	s_mov_b32 s1, 0x3fa55555
	s_mov_b32 s0, 0x55555555
	v_fma_f64 v[23:24], v[33:34], v[23:24], v[31:32]
	v_mul_f64 v[31:32], v[21:22], v[21:22]
	v_fma_f64 v[27:28], v[12:13], -v[15:16], v[27:28]
	v_fma_f64 v[25:26], v[21:22], v[25:26], s[0:1]
	s_mov_b32 s1, 0xbfc55555
	v_fma_f64 v[15:16], v[21:22], v[23:24], -v[15:16]
	v_fma_f64 v[21:22], v[31:32], v[25:26], v[27:28]
	v_fma_f64 v[15:16], v[33:34], s[0:1], v[15:16]
	v_cmp_class_f64_e64 s0, v[10:11], 0x1f8
	v_lshlrev_b32_e32 v10, 30, v17
	v_add_f64 v[21:22], v[29:30], v[21:22]
	v_xor_b32_e32 v10, v10, v11
	v_and_b32_e32 v10, 0x80000000, v10
	v_add_f64 v[12:13], v[12:13], -v[15:16]
	v_and_b32_e32 v15, 1, v17
	v_cmp_eq_u32_e32 vcc_lo, 0, v15
	v_cndmask_b32_e32 v11, v22, v13, vcc_lo
	v_cndmask_b32_e32 v12, v21, v12, vcc_lo
	v_xor_b32_e32 v11, v11, v10
	v_cndmask_b32_e64 v10, 0, v12, s0
	v_cndmask_b32_e64 v11, 0x7ff80000, v11, s0
	s_mov_b32 s0, 0xc9be45de
	s_mov_b32 s1, 0xc023bd3c
	v_mul_f64 v[10:11], v[10:11], v[10:11]
	v_div_scale_f64 v[12:13], null, v[10:11], v[10:11], s[0:1]
	v_div_scale_f64 v[23:24], vcc_lo, s[0:1], v[10:11], s[0:1]
	v_rcp_f64_e32 v[15:16], v[12:13]
	v_fma_f64 v[21:22], -v[12:13], v[15:16], 1.0
	v_fma_f64 v[15:16], v[15:16], v[21:22], v[15:16]
	v_fma_f64 v[21:22], -v[12:13], v[15:16], 1.0
	v_fma_f64 v[15:16], v[15:16], v[21:22], v[15:16]
	v_mul_f64 v[21:22], v[23:24], v[15:16]
	v_fma_f64 v[12:13], -v[12:13], v[21:22], v[23:24]
	v_div_fmas_f64 v[12:13], v[12:13], v[15:16], v[21:22]
	v_div_fixup_f64 v[10:11], v[12:13], v[10:11], s[0:1]
	v_add_f64 v[12:13], v[10:11], 0
	v_mov_b32_e32 v10, 0
	v_mov_b32_e32 v11, 0xbff00000
.LBB47_84:
	s_or_b32 exec_lo, exec_lo, s2
	global_load_dwordx2 v[28:29], v14, s[10:11]
	v_mov_b32_e32 v16, 0
	v_mov_b32_e32 v14, 0
	v_mov_b32_e32 v17, 0
	v_mov_b32_e32 v15, 0x3ff00000
	s_mov_b32 s2, exec_lo
	s_waitcnt vmcnt(0)
	v_cmpx_gt_f64_e32 0.5, v[28:29]
	s_cbranch_execz .LBB47_90
; %bb.85:
	s_mov_b32 s1, 0x400921fb
	s_mov_b32 s0, 0x54442d18
	s_mov_b32 s3, exec_lo
	v_mul_f64 v[14:15], v[28:29], s[0:1]
                                        ; implicit-def: $vgpr23
                                        ; implicit-def: $vgpr16_vgpr17
                                        ; implicit-def: $vgpr21_vgpr22
	v_cmpx_ngt_f64_e64 0x41d00000, |v[14:15]|
	s_xor_b32 s3, exec_lo, s3
	s_cbranch_execz .LBB47_87
; %bb.86:
	v_ldexp_f64 v[16:17], |v[14:15]|, 0xffffff80
	v_cmp_le_f64_e64 vcc_lo, 0x7b000000, |v[14:15]|
	v_trig_preop_f64 v[21:22], |v[14:15]|, 0
	v_and_b32_e32 v23, 0x7fffffff, v15
	v_trig_preop_f64 v[36:37], |v[14:15]|, 2
	v_mov_b32_e32 v44, 0
	s_mov_b32 s1, 0x3ff921fb
	s_mov_b32 s4, 0x33145c07
	;; [unrolled: 1-line block ×3, first 2 shown]
	v_cndmask_b32_e32 v17, v23, v17, vcc_lo
	v_cndmask_b32_e32 v16, v14, v16, vcc_lo
	v_trig_preop_f64 v[23:24], |v[14:15]|, 1
	v_mul_f64 v[25:26], v[21:22], v[16:17]
	v_mul_f64 v[42:43], v[36:37], v[16:17]
	;; [unrolled: 1-line block ×3, first 2 shown]
	v_fma_f64 v[21:22], v[21:22], v[16:17], -v[25:26]
	v_fma_f64 v[23:24], v[23:24], v[16:17], -v[30:31]
	v_fma_f64 v[16:17], v[36:37], v[16:17], -v[42:43]
	v_add_f64 v[32:33], v[30:31], v[21:22]
	v_add_f64 v[34:35], v[32:33], -v[30:31]
	v_add_f64 v[40:41], v[25:26], v[32:33]
	v_add_f64 v[38:39], v[32:33], -v[34:35]
	v_add_f64 v[21:22], v[21:22], -v[34:35]
	v_ldexp_f64 v[34:35], v[40:41], -2
	v_add_f64 v[25:26], v[40:41], -v[25:26]
	v_add_f64 v[30:31], v[30:31], -v[38:39]
	v_add_f64 v[38:39], v[42:43], v[23:24]
	v_cmp_neq_f64_e64 vcc_lo, 0x7ff00000, |v[34:35]|
	v_add_f64 v[25:26], v[32:33], -v[25:26]
	v_add_f64 v[21:22], v[21:22], v[30:31]
	v_fract_f64_e32 v[30:31], v[34:35]
	v_add_f64 v[32:33], v[38:39], v[21:22]
	v_ldexp_f64 v[30:31], v[30:31], 2
	v_add_f64 v[34:35], v[25:26], v[32:33]
	v_cndmask_b32_e32 v31, 0, v31, vcc_lo
	v_cndmask_b32_e32 v30, 0, v30, vcc_lo
	v_add_f64 v[40:41], v[34:35], v[30:31]
	v_add_f64 v[25:26], v[34:35], -v[25:26]
	v_cmp_gt_f64_e32 vcc_lo, 0, v[40:41]
	v_add_f64 v[40:41], v[38:39], -v[42:43]
	v_cndmask_b32_e64 v45, 0, 0x40100000, vcc_lo
	v_add_f64 v[49:50], v[38:39], -v[40:41]
	v_add_f64 v[23:24], v[23:24], -v[40:41]
	v_add_f64 v[30:31], v[30:31], v[44:45]
	v_add_f64 v[45:46], v[32:33], -v[38:39]
	v_add_f64 v[40:41], v[42:43], -v[49:50]
	v_add_f64 v[47:48], v[34:35], v[30:31]
	;; [unrolled: 3-line block ×3, first 2 shown]
	v_cvt_i32_f64_e32 v27, v[47:48]
	v_add_f64 v[38:39], v[38:39], -v[51:52]
	v_cvt_f64_i32_e32 v[45:46], v27
	v_add_f64 v[21:22], v[21:22], v[38:39]
	v_add_f64 v[30:31], v[30:31], -v[45:46]
	v_add_f64 v[21:22], v[23:24], v[21:22]
	v_add_f64 v[23:24], v[32:33], -v[25:26]
	v_add_f64 v[36:37], v[34:35], v[30:31]
	v_add_f64 v[16:17], v[16:17], v[21:22]
	v_add_f64 v[21:22], v[36:37], -v[30:31]
	v_cmp_le_f64_e32 vcc_lo, 0.5, v[36:37]
	v_add_f64 v[16:17], v[23:24], v[16:17]
	v_add_f64 v[21:22], v[34:35], -v[21:22]
	v_cndmask_b32_e64 v45, 0, 0x3ff00000, vcc_lo
	v_add_co_ci_u32_e64 v23, null, 0, v27, vcc_lo
	v_add_f64 v[16:17], v[16:17], v[21:22]
	v_add_f64 v[21:22], v[36:37], -v[44:45]
	v_add_f64 v[24:25], v[21:22], v[16:17]
	v_mul_f64 v[26:27], v[24:25], s[0:1]
	v_add_f64 v[21:22], v[24:25], -v[21:22]
	v_fma_f64 v[30:31], v[24:25], s[0:1], -v[26:27]
	v_add_f64 v[16:17], v[16:17], -v[21:22]
	v_fma_f64 v[21:22], v[24:25], s[4:5], v[30:31]
	v_fma_f64 v[21:22], v[16:17], s[0:1], v[21:22]
	v_add_f64 v[16:17], v[26:27], v[21:22]
	v_add_f64 v[24:25], v[16:17], -v[26:27]
	v_add_f64 v[21:22], v[21:22], -v[24:25]
.LBB47_87:
	s_andn2_saveexec_b32 s0, s3
	s_cbranch_execz .LBB47_89
; %bb.88:
	s_mov_b32 s4, 0x6dc9c883
	s_mov_b32 s5, 0x3fe45f30
	;; [unrolled: 1-line block ×3, first 2 shown]
	v_mul_f64 v[16:17], |v[14:15]|, s[4:5]
	s_mov_b32 s4, 0x54442d18
	s_mov_b32 s5, 0xbff921fb
	;; [unrolled: 1-line block ×3, first 2 shown]
	v_rndne_f64_e32 v[23:24], v[16:17]
	v_fma_f64 v[16:17], v[23:24], s[4:5], |v[14:15]|
	v_mul_f64 v[21:22], v[23:24], s[6:7]
	s_mov_b32 s4, 0x252049c0
	s_mov_b32 s5, 0xb97b839a
	v_fma_f64 v[30:31], v[23:24], s[6:7], v[16:17]
	v_add_f64 v[25:26], v[16:17], v[21:22]
	s_mov_b32 s7, 0x3c91a626
	v_add_f64 v[16:17], v[16:17], -v[25:26]
	v_add_f64 v[25:26], v[25:26], -v[30:31]
	v_add_f64 v[16:17], v[16:17], v[21:22]
	v_fma_f64 v[21:22], v[23:24], s[6:7], v[21:22]
	v_add_f64 v[16:17], v[25:26], v[16:17]
	v_add_f64 v[16:17], v[16:17], -v[21:22]
	v_fma_f64 v[21:22], v[23:24], s[4:5], v[16:17]
	v_cvt_i32_f64_e32 v23, v[23:24]
	v_add_f64 v[16:17], v[30:31], v[21:22]
	v_add_f64 v[25:26], v[16:17], -v[30:31]
	v_add_f64 v[21:22], v[21:22], -v[25:26]
.LBB47_89:
	s_or_b32 exec_lo, exec_lo, s0
	v_mul_f64 v[24:25], v[16:17], v[16:17]
	s_mov_b32 s0, 0xb42fdfa7
	s_mov_b32 s4, 0xf9a43bb8
	;; [unrolled: 1-line block ×6, first 2 shown]
	v_mul_f64 v[36:37], v[21:22], 0.5
	v_add_f64 v[28:29], -v[28:29], 1.0
	v_fma_f64 v[26:27], v[24:25], s[4:5], s[0:1]
	s_mov_b32 s0, 0x9037ab78
	s_mov_b32 s4, 0x46cc5e42
	;; [unrolled: 1-line block ×4, first 2 shown]
	v_mul_f64 v[32:33], v[24:25], 0.5
	v_fma_f64 v[30:31], v[24:25], s[4:5], s[0:1]
	s_mov_b32 s0, 0xa17f65f6
	s_mov_b32 s4, 0x19e83e5c
	;; [unrolled: 1-line block ×4, first 2 shown]
	v_mul_f64 v[38:39], v[16:17], -v[24:25]
	v_fma_f64 v[26:27], v[24:25], v[26:27], s[6:7]
	v_add_f64 v[34:35], -v[32:33], 1.0
	v_fma_f64 v[30:31], v[24:25], v[30:31], s[0:1]
	s_mov_b32 s0, 0x19f4ec90
	s_mov_b32 s1, 0x3efa01a0
	v_fma_f64 v[26:27], v[24:25], v[26:27], s[4:5]
	s_mov_b32 s4, 0x11110bb3
	s_mov_b32 s5, 0x3f811111
	v_add_f64 v[40:41], -v[34:35], 1.0
	v_fma_f64 v[30:31], v[24:25], v[30:31], s[0:1]
	s_mov_b32 s0, 0x16c16967
	s_mov_b32 s1, 0xbf56c16c
	v_fma_f64 v[26:27], v[24:25], v[26:27], s[4:5]
	v_add_f64 v[32:33], v[40:41], -v[32:33]
	v_fma_f64 v[30:31], v[24:25], v[30:31], s[0:1]
	s_mov_b32 s1, 0x3fa55555
	s_mov_b32 s0, 0x55555555
	v_fma_f64 v[26:27], v[38:39], v[26:27], v[36:37]
	v_mul_f64 v[36:37], v[24:25], v[24:25]
	v_fma_f64 v[32:33], v[16:17], -v[21:22], v[32:33]
	v_fma_f64 v[30:31], v[24:25], v[30:31], s[0:1]
	s_mov_b32 s1, 0xbfc55555
	v_fma_f64 v[21:22], v[24:25], v[26:27], -v[21:22]
	v_fma_f64 v[24:25], v[36:37], v[30:31], v[32:33]
	v_fma_f64 v[21:22], v[38:39], s[0:1], v[21:22]
	v_cmp_class_f64_e64 s0, v[14:15], 0x1f8
	v_lshlrev_b32_e32 v14, 30, v23
	v_add_f64 v[24:25], v[34:35], v[24:25]
	v_xor_b32_e32 v14, v14, v15
	v_and_b32_e32 v14, 0x80000000, v14
	v_add_f64 v[16:17], v[16:17], -v[21:22]
	v_and_b32_e32 v21, 1, v23
	v_cmp_eq_u32_e32 vcc_lo, 0, v21
	v_cndmask_b32_e32 v15, v25, v17, vcc_lo
	v_cndmask_b32_e32 v16, v24, v16, vcc_lo
	v_xor_b32_e32 v15, v15, v14
	v_cndmask_b32_e64 v14, 0, v16, s0
	v_cndmask_b32_e64 v15, 0x7ff80000, v15, s0
	s_mov_b32 s0, 0xc9be45de
	s_mov_b32 s1, 0xc023bd3c
	v_mul_f64 v[14:15], v[14:15], v[14:15]
	v_div_scale_f64 v[16:17], null, v[14:15], v[14:15], s[0:1]
	v_div_scale_f64 v[25:26], vcc_lo, s[0:1], v[14:15], s[0:1]
	v_rcp_f64_e32 v[21:22], v[16:17]
	v_fma_f64 v[23:24], -v[16:17], v[21:22], 1.0
	v_fma_f64 v[21:22], v[21:22], v[23:24], v[21:22]
	v_fma_f64 v[23:24], -v[16:17], v[21:22], 1.0
	v_fma_f64 v[21:22], v[21:22], v[23:24], v[21:22]
	v_mul_f64 v[23:24], v[25:26], v[21:22]
	v_fma_f64 v[16:17], -v[16:17], v[23:24], v[25:26]
	v_div_fmas_f64 v[16:17], v[16:17], v[21:22], v[23:24]
	v_div_fixup_f64 v[14:15], v[16:17], v[14:15], s[0:1]
	v_add_f64 v[16:17], v[14:15], 0
	v_mov_b32_e32 v14, 0
	v_mov_b32_e32 v15, 0xbff00000
.LBB47_90:
	s_or_b32 exec_lo, exec_lo, s2
	global_load_dwordx2 v[20:21], v20, s[10:11]
	v_mov_b32_e32 v24, 0
	v_mov_b32_e32 v22, 0
	;; [unrolled: 1-line block ×4, first 2 shown]
	s_mov_b32 s2, exec_lo
	s_waitcnt vmcnt(0)
	v_cmpx_gt_f64_e32 0.5, v[20:21]
	s_cbranch_execz .LBB47_96
; %bb.91:
	s_mov_b32 s1, 0x400921fb
	s_mov_b32 s0, 0x54442d18
	s_mov_b32 s3, exec_lo
	v_mul_f64 v[22:23], v[20:21], s[0:1]
                                        ; implicit-def: $vgpr30
                                        ; implicit-def: $vgpr24_vgpr25
                                        ; implicit-def: $vgpr26_vgpr27
	v_cmpx_ngt_f64_e64 0x41d00000, |v[22:23]|
	s_xor_b32 s3, exec_lo, s3
	s_cbranch_execz .LBB47_93
; %bb.92:
	v_ldexp_f64 v[24:25], |v[22:23]|, 0xffffff80
	v_cmp_le_f64_e64 vcc_lo, 0x7b000000, |v[22:23]|
	v_trig_preop_f64 v[26:27], |v[22:23]|, 0
	v_and_b32_e32 v30, 0x7fffffff, v23
	v_trig_preop_f64 v[40:41], |v[22:23]|, 2
	v_mov_b32_e32 v48, 0
	s_mov_b32 s1, 0x3ff921fb
	s_mov_b32 s4, 0x33145c07
	;; [unrolled: 1-line block ×3, first 2 shown]
	v_cndmask_b32_e32 v25, v30, v25, vcc_lo
	v_cndmask_b32_e32 v24, v22, v24, vcc_lo
	v_trig_preop_f64 v[30:31], |v[22:23]|, 1
	v_mul_f64 v[32:33], v[26:27], v[24:25]
	v_mul_f64 v[46:47], v[40:41], v[24:25]
	;; [unrolled: 1-line block ×3, first 2 shown]
	v_fma_f64 v[26:27], v[26:27], v[24:25], -v[32:33]
	v_fma_f64 v[30:31], v[30:31], v[24:25], -v[34:35]
	v_fma_f64 v[24:25], v[40:41], v[24:25], -v[46:47]
	v_add_f64 v[36:37], v[34:35], v[26:27]
	v_add_f64 v[38:39], v[36:37], -v[34:35]
	v_add_f64 v[44:45], v[32:33], v[36:37]
	v_add_f64 v[42:43], v[36:37], -v[38:39]
	v_add_f64 v[26:27], v[26:27], -v[38:39]
	v_ldexp_f64 v[38:39], v[44:45], -2
	v_add_f64 v[32:33], v[44:45], -v[32:33]
	v_add_f64 v[34:35], v[34:35], -v[42:43]
	v_add_f64 v[42:43], v[46:47], v[30:31]
	v_cmp_neq_f64_e64 vcc_lo, 0x7ff00000, |v[38:39]|
	v_add_f64 v[32:33], v[36:37], -v[32:33]
	v_add_f64 v[26:27], v[26:27], v[34:35]
	v_fract_f64_e32 v[34:35], v[38:39]
	v_add_f64 v[36:37], v[42:43], v[26:27]
	v_ldexp_f64 v[34:35], v[34:35], 2
	v_add_f64 v[38:39], v[32:33], v[36:37]
	v_cndmask_b32_e32 v35, 0, v35, vcc_lo
	v_cndmask_b32_e32 v34, 0, v34, vcc_lo
	v_add_f64 v[44:45], v[38:39], v[34:35]
	v_add_f64 v[32:33], v[38:39], -v[32:33]
	v_cmp_gt_f64_e32 vcc_lo, 0, v[44:45]
	v_add_f64 v[44:45], v[42:43], -v[46:47]
	v_cndmask_b32_e64 v49, 0, 0x40100000, vcc_lo
	v_add_f64 v[53:54], v[42:43], -v[44:45]
	v_add_f64 v[30:31], v[30:31], -v[44:45]
	v_add_f64 v[34:35], v[34:35], v[48:49]
	v_add_f64 v[49:50], v[36:37], -v[42:43]
	v_add_f64 v[44:45], v[46:47], -v[53:54]
	v_add_f64 v[51:52], v[38:39], v[34:35]
	;; [unrolled: 3-line block ×3, first 2 shown]
	v_cvt_i32_f64_e32 v51, v[51:52]
	v_add_f64 v[42:43], v[42:43], -v[55:56]
	v_cvt_f64_i32_e32 v[49:50], v51
	v_add_f64 v[26:27], v[26:27], v[42:43]
	v_add_f64 v[34:35], v[34:35], -v[49:50]
	v_add_f64 v[26:27], v[30:31], v[26:27]
	v_add_f64 v[30:31], v[36:37], -v[32:33]
	v_add_f64 v[40:41], v[38:39], v[34:35]
	v_add_f64 v[24:25], v[24:25], v[26:27]
	v_add_f64 v[26:27], v[40:41], -v[34:35]
	v_cmp_le_f64_e32 vcc_lo, 0.5, v[40:41]
	v_add_f64 v[24:25], v[30:31], v[24:25]
	v_add_f64 v[26:27], v[38:39], -v[26:27]
	v_cndmask_b32_e64 v49, 0, 0x3ff00000, vcc_lo
	v_add_co_ci_u32_e64 v30, null, 0, v51, vcc_lo
	v_add_f64 v[24:25], v[24:25], v[26:27]
	v_add_f64 v[26:27], v[40:41], -v[48:49]
	v_add_f64 v[31:32], v[26:27], v[24:25]
	v_mul_f64 v[33:34], v[31:32], s[0:1]
	v_add_f64 v[26:27], v[31:32], -v[26:27]
	v_fma_f64 v[35:36], v[31:32], s[0:1], -v[33:34]
	v_add_f64 v[24:25], v[24:25], -v[26:27]
	v_fma_f64 v[26:27], v[31:32], s[4:5], v[35:36]
	v_fma_f64 v[26:27], v[24:25], s[0:1], v[26:27]
	v_add_f64 v[24:25], v[33:34], v[26:27]
	v_add_f64 v[31:32], v[24:25], -v[33:34]
	v_add_f64 v[26:27], v[26:27], -v[31:32]
.LBB47_93:
	s_andn2_saveexec_b32 s0, s3
	s_cbranch_execz .LBB47_95
; %bb.94:
	s_mov_b32 s4, 0x6dc9c883
	s_mov_b32 s5, 0x3fe45f30
	;; [unrolled: 1-line block ×3, first 2 shown]
	v_mul_f64 v[24:25], |v[22:23]|, s[4:5]
	s_mov_b32 s4, 0x54442d18
	s_mov_b32 s5, 0xbff921fb
	;; [unrolled: 1-line block ×3, first 2 shown]
	v_rndne_f64_e32 v[30:31], v[24:25]
	v_fma_f64 v[24:25], v[30:31], s[4:5], |v[22:23]|
	v_mul_f64 v[26:27], v[30:31], s[6:7]
	s_mov_b32 s4, 0x252049c0
	s_mov_b32 s5, 0xb97b839a
	v_fma_f64 v[34:35], v[30:31], s[6:7], v[24:25]
	v_add_f64 v[32:33], v[24:25], v[26:27]
	s_mov_b32 s7, 0x3c91a626
	v_add_f64 v[24:25], v[24:25], -v[32:33]
	v_add_f64 v[32:33], v[32:33], -v[34:35]
	v_add_f64 v[24:25], v[24:25], v[26:27]
	v_fma_f64 v[26:27], v[30:31], s[6:7], v[26:27]
	v_add_f64 v[24:25], v[32:33], v[24:25]
	v_add_f64 v[24:25], v[24:25], -v[26:27]
	v_fma_f64 v[26:27], v[30:31], s[4:5], v[24:25]
	v_cvt_i32_f64_e32 v30, v[30:31]
	v_add_f64 v[24:25], v[34:35], v[26:27]
	v_add_f64 v[32:33], v[24:25], -v[34:35]
	v_add_f64 v[26:27], v[26:27], -v[32:33]
.LBB47_95:
	s_or_b32 exec_lo, exec_lo, s0
	v_mul_f64 v[31:32], v[24:25], v[24:25]
	s_mov_b32 s0, 0xb42fdfa7
	s_mov_b32 s4, 0xf9a43bb8
	;; [unrolled: 1-line block ×6, first 2 shown]
	v_mul_f64 v[41:42], v[26:27], 0.5
	v_add_f64 v[20:21], -v[20:21], 1.0
	v_fma_f64 v[33:34], v[31:32], s[4:5], s[0:1]
	s_mov_b32 s0, 0x9037ab78
	s_mov_b32 s4, 0x46cc5e42
	;; [unrolled: 1-line block ×4, first 2 shown]
	v_mul_f64 v[37:38], v[31:32], 0.5
	v_fma_f64 v[35:36], v[31:32], s[4:5], s[0:1]
	s_mov_b32 s0, 0xa17f65f6
	s_mov_b32 s4, 0x19e83e5c
	;; [unrolled: 1-line block ×4, first 2 shown]
	v_mul_f64 v[43:44], v[24:25], -v[31:32]
	v_fma_f64 v[33:34], v[31:32], v[33:34], s[6:7]
	v_add_f64 v[39:40], -v[37:38], 1.0
	v_fma_f64 v[35:36], v[31:32], v[35:36], s[0:1]
	s_mov_b32 s0, 0x19f4ec90
	s_mov_b32 s1, 0x3efa01a0
	v_fma_f64 v[33:34], v[31:32], v[33:34], s[4:5]
	s_mov_b32 s4, 0x11110bb3
	s_mov_b32 s5, 0x3f811111
	v_add_f64 v[45:46], -v[39:40], 1.0
	v_fma_f64 v[35:36], v[31:32], v[35:36], s[0:1]
	s_mov_b32 s0, 0x16c16967
	s_mov_b32 s1, 0xbf56c16c
	v_fma_f64 v[33:34], v[31:32], v[33:34], s[4:5]
	v_add_f64 v[37:38], v[45:46], -v[37:38]
	v_fma_f64 v[35:36], v[31:32], v[35:36], s[0:1]
	s_mov_b32 s1, 0x3fa55555
	s_mov_b32 s0, 0x55555555
	v_fma_f64 v[33:34], v[43:44], v[33:34], v[41:42]
	v_mul_f64 v[41:42], v[31:32], v[31:32]
	v_fma_f64 v[37:38], v[24:25], -v[26:27], v[37:38]
	v_fma_f64 v[35:36], v[31:32], v[35:36], s[0:1]
	s_mov_b32 s1, 0xbfc55555
	v_fma_f64 v[26:27], v[31:32], v[33:34], -v[26:27]
	v_fma_f64 v[31:32], v[41:42], v[35:36], v[37:38]
	v_fma_f64 v[26:27], v[43:44], s[0:1], v[26:27]
	v_cmp_class_f64_e64 s0, v[22:23], 0x1f8
	v_lshlrev_b32_e32 v22, 30, v30
	v_add_f64 v[31:32], v[39:40], v[31:32]
	v_xor_b32_e32 v22, v22, v23
	v_and_b32_e32 v22, 0x80000000, v22
	v_add_f64 v[24:25], v[24:25], -v[26:27]
	v_and_b32_e32 v26, 1, v30
	v_cmp_eq_u32_e32 vcc_lo, 0, v26
	v_cndmask_b32_e32 v23, v32, v25, vcc_lo
	v_cndmask_b32_e32 v24, v31, v24, vcc_lo
	v_xor_b32_e32 v23, v23, v22
	v_cndmask_b32_e64 v22, 0, v24, s0
	v_cndmask_b32_e64 v23, 0x7ff80000, v23, s0
	s_mov_b32 s0, 0xc9be45de
	s_mov_b32 s1, 0xc023bd3c
	v_mul_f64 v[22:23], v[22:23], v[22:23]
	v_div_scale_f64 v[24:25], null, v[22:23], v[22:23], s[0:1]
	v_div_scale_f64 v[32:33], vcc_lo, s[0:1], v[22:23], s[0:1]
	v_rcp_f64_e32 v[26:27], v[24:25]
	v_fma_f64 v[30:31], -v[24:25], v[26:27], 1.0
	v_fma_f64 v[26:27], v[26:27], v[30:31], v[26:27]
	v_fma_f64 v[30:31], -v[24:25], v[26:27], 1.0
	v_fma_f64 v[26:27], v[26:27], v[30:31], v[26:27]
	v_mul_f64 v[30:31], v[32:33], v[26:27]
	v_fma_f64 v[24:25], -v[24:25], v[30:31], v[32:33]
	v_div_fmas_f64 v[24:25], v[24:25], v[26:27], v[30:31]
	v_div_fixup_f64 v[22:23], v[24:25], v[22:23], s[0:1]
	v_add_f64 v[24:25], v[22:23], 0
	v_mov_b32_e32 v22, 0
	v_mov_b32_e32 v23, 0xbff00000
.LBB47_96:
	s_or_b32 exec_lo, exec_lo, s2
	v_add_f64 v[30:31], v[28:29], 1.0
	v_mul_f64 v[38:39], v[28:29], v[28:29]
	s_mov_b32 s10, 0x11111111
	s_mov_b32 s12, 0x18618618
	;; [unrolled: 1-line block ×6, first 2 shown]
	v_add_f64 v[32:33], v[30:31], 1.0
	v_mul_f64 v[36:37], v[30:31], v[30:31]
	v_div_scale_f64 v[90:91], vcc_lo, 1.0, v[38:39], 1.0
	v_add_f64 v[40:41], v[32:33], 1.0
	v_mul_f64 v[34:35], v[32:33], v[32:33]
	v_add_f64 v[42:43], v[40:41], 1.0
	v_mul_f64 v[32:33], v[40:41], v[40:41]
	v_div_scale_f64 v[40:41], null, v[38:39], v[38:39], 1.0
	v_add_f64 v[44:45], v[42:43], 1.0
	v_mul_f64 v[30:31], v[42:43], v[42:43]
	v_div_scale_f64 v[42:43], null, v[36:37], v[36:37], 1.0
	v_div_scale_f64 v[46:47], null, v[32:33], v[32:33], 1.0
	v_rcp_f64_e32 v[58:59], v[40:41]
	v_add_f64 v[26:27], v[44:45], 1.0
	v_mul_f64 v[28:29], v[44:45], v[44:45]
	v_div_scale_f64 v[44:45], null, v[34:35], v[34:35], 1.0
	v_div_scale_f64 v[48:49], null, v[30:31], v[30:31], 1.0
	v_rcp_f64_e32 v[60:61], v[42:43]
	v_rcp_f64_e32 v[64:65], v[46:47]
	v_fma_f64 v[74:75], -v[40:41], v[58:59], 1.0
	v_mul_f64 v[52:53], v[26:27], v[26:27]
	v_div_scale_f64 v[50:51], null, v[28:29], v[28:29], 1.0
	v_add_f64 v[54:55], v[26:27], v[26:27]
	v_rcp_f64_e32 v[62:63], v[44:45]
	v_rcp_f64_e32 v[66:67], v[48:49]
	v_fma_f64 v[76:77], -v[42:43], v[60:61], 1.0
	v_fma_f64 v[80:81], -v[46:47], v[64:65], 1.0
	v_fma_f64 v[58:59], v[58:59], v[74:75], v[58:59]
	v_div_scale_f64 v[56:57], null, v[52:53], v[52:53], 1.0
	v_rcp_f64_e32 v[68:69], v[50:51]
	v_div_scale_f64 v[70:71], null, v[54:55], v[54:55], 1.0
	v_div_scale_f64 v[92:93], s5, 1.0, v[52:53], 1.0
	v_fma_f64 v[78:79], -v[44:45], v[62:63], 1.0
	v_fma_f64 v[82:83], -v[48:49], v[66:67], 1.0
	v_fma_f64 v[60:61], v[60:61], v[76:77], v[60:61]
	v_fma_f64 v[64:65], v[64:65], v[80:81], v[64:65]
	v_fma_f64 v[76:77], -v[40:41], v[58:59], 1.0
	v_div_scale_f64 v[102:103], s6, 1.0, v[54:55], 1.0
	v_rcp_f64_e32 v[72:73], v[56:57]
	v_rcp_f64_e32 v[84:85], v[70:71]
	v_fma_f64 v[86:87], -v[50:51], v[68:69], 1.0
	v_fma_f64 v[62:63], v[62:63], v[78:79], v[62:63]
	v_fma_f64 v[66:67], v[66:67], v[82:83], v[66:67]
	v_fma_f64 v[78:79], -v[42:43], v[60:61], 1.0
	v_fma_f64 v[82:83], -v[46:47], v[64:65], 1.0
	v_fma_f64 v[58:59], v[58:59], v[76:77], v[58:59]
	v_div_scale_f64 v[76:77], s0, 1.0, v[36:37], 1.0
	v_fma_f64 v[88:89], -v[56:57], v[72:73], 1.0
	v_fma_f64 v[68:69], v[68:69], v[86:87], v[68:69]
	v_fma_f64 v[74:75], -v[70:71], v[84:85], 1.0
	v_fma_f64 v[80:81], -v[44:45], v[62:63], 1.0
	;; [unrolled: 1-line block ×3, first 2 shown]
	v_fma_f64 v[60:61], v[60:61], v[78:79], v[60:61]
	v_div_scale_f64 v[78:79], s1, 1.0, v[34:35], 1.0
	v_fma_f64 v[64:65], v[64:65], v[82:83], v[64:65]
	v_div_scale_f64 v[82:83], s3, 1.0, v[30:31], 1.0
	v_fma_f64 v[72:73], v[72:73], v[88:89], v[72:73]
	v_fma_f64 v[88:89], -v[50:51], v[68:69], 1.0
	v_fma_f64 v[74:75], v[84:85], v[74:75], v[84:85]
	v_fma_f64 v[62:63], v[62:63], v[80:81], v[62:63]
	v_div_scale_f64 v[80:81], s2, 1.0, v[32:33], 1.0
	v_fma_f64 v[66:67], v[66:67], v[86:87], v[66:67]
	v_div_scale_f64 v[86:87], s4, 1.0, v[28:29], 1.0
	v_mul_f64 v[94:95], v[76:77], v[60:61]
	v_fma_f64 v[84:85], -v[56:57], v[72:73], 1.0
	v_fma_f64 v[68:69], v[68:69], v[88:89], v[68:69]
	v_fma_f64 v[88:89], -v[70:71], v[74:75], 1.0
	v_mul_f64 v[96:97], v[78:79], v[62:63]
	v_mul_f64 v[98:99], v[80:81], v[64:65]
	;; [unrolled: 1-line block ×3, first 2 shown]
	v_fma_f64 v[42:43], -v[42:43], v[94:95], v[76:77]
	v_fma_f64 v[72:73], v[72:73], v[84:85], v[72:73]
	v_mul_f64 v[84:85], v[90:91], v[58:59]
	v_mul_f64 v[104:105], v[86:87], v[68:69]
	v_fma_f64 v[74:75], v[74:75], v[88:89], v[74:75]
	v_add_f64 v[88:89], v[18:19], 1.0
	v_fma_f64 v[44:45], -v[44:45], v[96:97], v[78:79]
	v_fma_f64 v[76:77], -v[46:47], v[98:99], v[80:81]
	;; [unrolled: 1-line block ×3, first 2 shown]
	v_mul_f64 v[106:107], v[92:93], v[72:73]
	v_fma_f64 v[40:41], -v[40:41], v[84:85], v[90:91]
	v_fma_f64 v[80:81], -v[50:51], v[104:105], v[86:87]
	v_mul_f64 v[82:83], v[102:103], v[74:75]
	v_add_f64 v[86:87], v[88:89], 1.0
	v_fma_f64 v[56:57], -v[56:57], v[106:107], v[92:93]
	v_div_fmas_f64 v[50:51], v[40:41], v[58:59], v[84:85]
	s_mov_b32 vcc_lo, s0
	v_fma_f64 v[58:59], -v[70:71], v[82:83], v[102:103]
	v_div_fmas_f64 v[48:49], v[42:43], v[60:61], v[94:95]
	s_mov_b32 vcc_lo, s1
	v_mul_f64 v[60:61], v[86:87], v[86:87]
	v_div_fmas_f64 v[46:47], v[44:45], v[62:63], v[96:97]
	s_mov_b32 vcc_lo, s2
	v_mul_f64 v[62:63], v[88:89], v[88:89]
	;; [unrolled: 3-line block ×3, first 2 shown]
	v_div_fmas_f64 v[42:43], v[78:79], v[66:67], v[100:101]
	s_mov_b32 vcc_lo, s4
	v_add_f64 v[66:67], v[86:87], 1.0
	v_div_fmas_f64 v[40:41], v[80:81], v[68:69], v[104:105]
	s_mov_b32 vcc_lo, s5
	v_div_fmas_f64 v[56:57], v[56:57], v[72:73], v[106:107]
	s_mov_b32 vcc_lo, s6
	v_div_fixup_f64 v[38:39], v[50:51], v[38:39], 1.0
	v_div_fmas_f64 v[58:59], v[58:59], v[74:75], v[82:83]
	v_div_fixup_f64 v[36:37], v[48:49], v[36:37], 1.0
	v_div_scale_f64 v[74:75], null, v[60:61], v[60:61], 1.0
	v_div_scale_f64 v[134:135], s2, 1.0, v[60:61], 1.0
	v_div_scale_f64 v[72:73], null, v[62:63], v[62:63], 1.0
	v_div_scale_f64 v[124:125], s1, 1.0, v[62:63], 1.0
	v_div_fixup_f64 v[34:35], v[46:47], v[34:35], 1.0
	v_add_f64 v[68:69], v[66:67], 1.0
	v_div_fixup_f64 v[32:33], v[44:45], v[32:33], 1.0
	v_div_fixup_f64 v[30:31], v[42:43], v[30:31], 1.0
	;; [unrolled: 1-line block ×4, first 2 shown]
	v_add_f64 v[16:17], v[16:17], v[38:39]
	v_div_fixup_f64 v[52:53], v[58:59], v[54:55], 1.0
	v_rcp_f64_e32 v[94:95], v[74:75]
	v_rcp_f64_e32 v[92:93], v[72:73]
	v_add_f64 v[70:71], v[68:69], 1.0
	v_fma_f64 v[54:55], v[56:57], s[12:13], s[10:11]
	v_add_f64 v[16:17], v[16:17], v[36:37]
	v_add_f64 v[58:59], v[52:53], 1.0
	v_fma_f64 v[112:113], -v[74:75], v[94:95], 1.0
	v_fma_f64 v[110:111], -v[72:73], v[92:93], 1.0
	v_add_f64 v[52:53], v[70:71], 1.0
	v_mul_f64 v[18:19], v[70:71], v[70:71]
	v_div_scale_f64 v[70:71], null, v[64:65], v[64:65], 1.0
	v_fma_f64 v[54:55], -v[56:57], v[54:55], s[14:15]
	v_add_f64 v[16:17], v[16:17], v[34:35]
	v_fma_f64 v[94:95], v[94:95], v[112:113], v[94:95]
	v_fma_f64 v[92:93], v[92:93], v[110:111], v[92:93]
	v_mul_f64 v[88:89], v[52:53], v[52:53]
	v_add_f64 v[90:91], v[52:53], v[52:53]
	v_div_scale_f64 v[80:81], null, v[18:19], v[18:19], 1.0
	v_rcp_f64_e32 v[86:87], v[70:71]
	v_fma_f64 v[54:55], v[56:57], v[54:55], v[58:59]
	v_mul_f64 v[58:59], v[66:67], v[66:67]
	v_mul_f64 v[56:57], v[68:69], v[68:69]
	v_add_f64 v[16:17], v[16:17], v[32:33]
	v_fma_f64 v[112:113], -v[72:73], v[92:93], 1.0
	v_div_scale_f64 v[82:83], null, v[88:89], v[88:89], 1.0
	v_div_scale_f64 v[84:85], null, v[90:91], v[90:91], 1.0
	v_rcp_f64_e32 v[100:101], v[80:81]
	v_fma_f64 v[108:109], -v[70:71], v[86:87], 1.0
	v_div_scale_f64 v[66:67], null, v[26:27], v[26:27], v[54:55]
	v_div_scale_f64 v[76:77], null, v[58:59], v[58:59], 1.0
	v_div_scale_f64 v[78:79], null, v[56:57], v[56:57], 1.0
	v_div_scale_f64 v[132:133], vcc_lo, v[54:55], v[26:27], v[54:55]
	v_add_f64 v[16:17], v[16:17], v[30:31]
	v_fma_f64 v[92:93], v[92:93], v[112:113], v[92:93]
	v_div_scale_f64 v[112:113], s4, 1.0, v[56:57], 1.0
	v_rcp_f64_e32 v[102:103], v[82:83]
	v_rcp_f64_e32 v[104:105], v[84:85]
	v_fma_f64 v[118:119], -v[80:81], v[100:101], 1.0
	v_rcp_f64_e32 v[68:69], v[66:67]
	v_fma_f64 v[86:87], v[86:87], v[108:109], v[86:87]
	v_rcp_f64_e32 v[96:97], v[76:77]
	v_rcp_f64_e32 v[98:99], v[78:79]
	v_add_f64 v[16:17], v[16:17], v[28:29]
	v_fma_f64 v[120:121], -v[82:83], v[102:103], 1.0
	v_fma_f64 v[122:123], -v[84:85], v[104:105], 1.0
	v_fma_f64 v[100:101], v[100:101], v[118:119], v[100:101]
	v_fma_f64 v[110:111], -v[70:71], v[86:87], 1.0
	v_fma_f64 v[106:107], -v[66:67], v[68:69], 1.0
	v_fma_f64 v[114:115], -v[76:77], v[96:97], 1.0
	v_fma_f64 v[116:117], -v[78:79], v[98:99], 1.0
	v_fma_f64 v[102:103], v[102:103], v[120:121], v[102:103]
	v_fma_f64 v[104:105], v[104:105], v[122:123], v[104:105]
	v_fma_f64 v[126:127], -v[80:81], v[100:101], 1.0
	v_fma_f64 v[86:87], v[86:87], v[110:111], v[86:87]
	v_fma_f64 v[68:69], v[68:69], v[106:107], v[68:69]
	v_div_scale_f64 v[110:111], s3, 1.0, v[58:59], 1.0
	v_fma_f64 v[96:97], v[96:97], v[114:115], v[96:97]
	v_fma_f64 v[98:99], v[98:99], v[116:117], v[98:99]
	v_fma_f64 v[114:115], -v[74:75], v[94:95], 1.0
	v_div_scale_f64 v[116:117], s0, 1.0, v[64:65], 1.0
	v_add_f64 v[106:107], v[8:9], 1.0
	v_fma_f64 v[128:129], -v[82:83], v[102:103], 1.0
	v_fma_f64 v[130:131], -v[84:85], v[104:105], 1.0
	v_fma_f64 v[100:101], v[100:101], v[126:127], v[100:101]
	v_fma_f64 v[108:109], -v[66:67], v[68:69], 1.0
	v_fma_f64 v[118:119], -v[76:77], v[96:97], 1.0
	;; [unrolled: 1-line block ×3, first 2 shown]
	v_fma_f64 v[94:95], v[94:95], v[114:115], v[94:95]
	v_div_scale_f64 v[114:115], s5, 1.0, v[18:19], 1.0
	v_add_f64 v[120:121], v[106:107], 1.0
	v_fma_f64 v[102:103], v[102:103], v[128:129], v[102:103]
	v_mul_f64 v[128:129], v[116:117], v[86:87]
	v_fma_f64 v[104:105], v[104:105], v[130:131], v[104:105]
	v_mul_f64 v[130:131], v[124:125], v[92:93]
	v_fma_f64 v[108:109], v[68:69], v[108:109], v[68:69]
	v_mul_f64 v[68:69], v[8:9], v[8:9]
	v_mul_f64 v[8:9], v[106:107], v[106:107]
	v_fma_f64 v[96:97], v[96:97], v[118:119], v[96:97]
	v_fma_f64 v[98:99], v[98:99], v[122:123], v[98:99]
	v_div_scale_f64 v[118:119], s6, 1.0, v[88:89], 1.0
	v_div_scale_f64 v[122:123], s7, 1.0, v[90:91], 1.0
	v_mul_f64 v[136:137], v[134:135], v[94:95]
	v_mul_f64 v[142:143], v[114:115], v[100:101]
	v_add_f64 v[106:107], v[120:121], 1.0
	v_fma_f64 v[116:117], -v[70:71], v[128:129], v[116:117]
	v_fma_f64 v[124:125], -v[72:73], v[130:131], v[124:125]
	v_mul_f64 v[72:73], v[120:121], v[120:121]
	v_mul_f64 v[126:127], v[132:133], v[108:109]
	;; [unrolled: 1-line block ×6, first 2 shown]
	v_fma_f64 v[74:75], -v[74:75], v[136:137], v[134:135]
	v_fma_f64 v[80:81], -v[80:81], v[142:143], v[114:115]
	v_mul_f64 v[70:71], v[106:107], v[106:107]
	v_add_f64 v[106:107], v[106:107], 1.0
	v_fma_f64 v[66:67], -v[66:67], v[126:127], v[132:133]
	v_div_scale_f64 v[132:133], null, v[68:69], v[68:69], 1.0
	v_fma_f64 v[76:77], -v[76:77], v[138:139], v[110:111]
	v_fma_f64 v[112:113], -v[78:79], v[140:141], v[112:113]
	;; [unrolled: 1-line block ×3, first 2 shown]
	v_div_scale_f64 v[110:111], null, v[8:9], v[8:9], 1.0
	v_fma_f64 v[118:119], -v[84:85], v[146:147], v[122:123]
	v_div_fmas_f64 v[66:67], v[66:67], v[108:109], v[126:127]
	s_mov_b32 vcc_lo, s0
	v_div_fmas_f64 v[86:87], v[116:117], v[86:87], v[128:129]
	s_mov_b32 vcc_lo, s1
	;; [unrolled: 2-line block ×4, first 2 shown]
	v_rcp_f64_e32 v[94:95], v[132:133]
	v_div_fmas_f64 v[78:79], v[76:77], v[96:97], v[138:139]
	s_mov_b32 vcc_lo, s4
	v_div_scale_f64 v[96:97], null, v[72:73], v[72:73], 1.0
	v_div_fmas_f64 v[76:77], v[112:113], v[98:99], v[140:141]
	s_mov_b32 vcc_lo, s5
	v_rcp_f64_e32 v[98:99], v[110:111]
	v_div_fmas_f64 v[74:75], v[80:81], v[100:101], v[142:143]
	s_mov_b32 vcc_lo, s6
	v_mul_f64 v[80:81], v[106:107], v[106:107]
	v_div_fmas_f64 v[92:93], v[114:115], v[102:103], v[144:145]
	v_add_f64 v[100:101], v[106:107], 1.0
	v_div_scale_f64 v[102:103], null, v[70:71], v[70:71], 1.0
	s_mov_b32 vcc_lo, s7
	v_div_scale_f64 v[142:143], s2, 1.0, v[72:73], 1.0
	v_div_fmas_f64 v[104:105], v[118:119], v[104:105], v[146:147]
	v_div_scale_f64 v[144:145], s3, 1.0, v[70:71], 1.0
	v_div_fixup_f64 v[50:51], v[86:87], v[64:65], 1.0
	v_div_fixup_f64 v[38:39], v[84:85], v[62:63], 1.0
	;; [unrolled: 1-line block ×3, first 2 shown]
	v_fma_f64 v[106:107], -v[132:133], v[94:95], 1.0
	v_div_fixup_f64 v[34:35], v[78:79], v[58:59], 1.0
	v_div_fixup_f64 v[32:33], v[76:77], v[56:57], 1.0
	v_div_fixup_f64 v[18:19], v[74:75], v[18:19], 1.0
	v_fma_f64 v[108:109], -v[110:111], v[98:99], 1.0
	v_div_scale_f64 v[112:113], null, v[80:81], v[80:81], 1.0
	v_div_fixup_f64 v[88:89], v[92:93], v[88:89], 1.0
	v_add_f64 v[114:115], v[100:101], 1.0
	v_rcp_f64_e32 v[116:117], v[102:103]
	v_mul_f64 v[100:101], v[100:101], v[100:101]
	v_rcp_f64_e32 v[92:93], v[96:97]
	v_div_fixup_f64 v[90:91], v[104:105], v[90:91], 1.0
	v_add_f64 v[12:13], v[12:13], v[50:51]
	v_fma_f64 v[94:95], v[94:95], v[106:107], v[94:95]
	v_fma_f64 v[98:99], v[98:99], v[108:109], v[98:99]
	v_rcp_f64_e32 v[108:109], v[112:113]
	v_fma_f64 v[104:105], v[88:89], s[12:13], s[10:11]
	v_mul_f64 v[118:119], v[114:115], v[114:115]
	v_add_f64 v[124:125], v[114:115], v[114:115]
	v_div_scale_f64 v[120:121], null, v[100:101], v[100:101], 1.0
	v_fma_f64 v[122:123], -v[102:103], v[116:117], 1.0
	v_add_f64 v[90:91], v[90:91], 1.0
	v_fma_f64 v[106:107], -v[96:97], v[92:93], 1.0
	v_add_f64 v[12:13], v[12:13], v[38:39]
	v_fma_f64 v[126:127], -v[132:133], v[94:95], 1.0
	v_fma_f64 v[104:105], -v[88:89], v[104:105], s[14:15]
	v_div_scale_f64 v[128:129], null, v[118:119], v[118:119], 1.0
	v_rcp_f64_e32 v[130:131], v[120:121]
	v_div_scale_f64 v[134:135], null, v[124:125], v[124:125], 1.0
	v_fma_f64 v[116:117], v[116:117], v[122:123], v[116:117]
	v_fma_f64 v[122:123], -v[112:113], v[108:109], 1.0
	v_fma_f64 v[92:93], v[92:93], v[106:107], v[92:93]
	v_fma_f64 v[106:107], -v[110:111], v[98:99], 1.0
	v_add_f64 v[12:13], v[12:13], v[36:37]
	v_fma_f64 v[94:95], v[94:95], v[126:127], v[94:95]
	v_fma_f64 v[88:89], v[88:89], v[104:105], v[90:91]
	v_div_scale_f64 v[90:91], s0, 1.0, v[68:69], 1.0
	v_div_scale_f64 v[104:105], s1, 1.0, v[8:9], 1.0
	v_rcp_f64_e32 v[136:137], v[134:135]
	v_fma_f64 v[138:139], -v[120:121], v[130:131], 1.0
	v_fma_f64 v[108:109], v[108:109], v[122:123], v[108:109]
	v_rcp_f64_e32 v[122:123], v[128:129]
	v_fma_f64 v[126:127], -v[96:97], v[92:93], 1.0
	v_fma_f64 v[98:99], v[98:99], v[106:107], v[98:99]
	v_fma_f64 v[106:107], -v[102:103], v[116:117], 1.0
	v_add_f64 v[12:13], v[12:13], v[34:35]
	v_div_scale_f64 v[140:141], null, v[52:53], v[52:53], v[88:89]
	v_mul_f64 v[146:147], v[90:91], v[94:95]
	v_fma_f64 v[130:131], v[130:131], v[138:139], v[130:131]
	v_fma_f64 v[150:151], -v[134:135], v[136:137], 1.0
	v_fma_f64 v[92:93], v[92:93], v[126:127], v[92:93]
	v_mul_f64 v[126:127], v[104:105], v[98:99]
	v_fma_f64 v[106:107], v[116:117], v[106:107], v[116:117]
	v_fma_f64 v[116:117], -v[112:113], v[108:109], 1.0
	v_fma_f64 v[148:149], -v[128:129], v[122:123], 1.0
	v_add_f64 v[12:13], v[12:13], v[32:33]
	v_rcp_f64_e32 v[138:139], v[140:141]
	v_fma_f64 v[90:91], -v[132:133], v[146:147], v[90:91]
	v_fma_f64 v[136:137], v[136:137], v[150:151], v[136:137]
	v_mul_f64 v[132:133], v[142:143], v[92:93]
	v_fma_f64 v[104:105], -v[110:111], v[126:127], v[104:105]
	v_mul_f64 v[110:111], v[144:145], v[106:107]
	v_fma_f64 v[108:109], v[108:109], v[116:117], v[108:109]
	v_div_scale_f64 v[116:117], s4, 1.0, v[80:81], 1.0
	v_fma_f64 v[122:123], v[122:123], v[148:149], v[122:123]
	v_fma_f64 v[148:149], -v[120:121], v[130:131], 1.0
	v_add_f64 v[12:13], v[12:13], v[18:19]
	v_fma_f64 v[150:151], -v[140:141], v[138:139], 1.0
	v_fma_f64 v[96:97], -v[96:97], v[132:133], v[142:143]
	v_fma_f64 v[102:103], -v[102:103], v[110:111], v[144:145]
	v_div_scale_f64 v[144:145], s5, 1.0, v[100:101], 1.0
	v_mul_f64 v[142:143], v[116:117], v[108:109]
	v_fma_f64 v[130:131], v[130:131], v[148:149], v[130:131]
	v_fma_f64 v[148:149], -v[128:129], v[122:123], 1.0
	v_fma_f64 v[138:139], v[138:139], v[150:151], v[138:139]
	v_fma_f64 v[150:151], -v[134:135], v[136:137], 1.0
	v_fma_f64 v[112:113], -v[112:113], v[142:143], v[116:117]
	v_div_scale_f64 v[116:117], s6, 1.0, v[118:119], 1.0
	v_fma_f64 v[122:123], v[122:123], v[148:149], v[122:123]
	v_mul_f64 v[148:149], v[144:145], v[130:131]
	v_fma_f64 v[136:137], v[136:137], v[150:151], v[136:137]
	v_fma_f64 v[150:151], -v[140:141], v[138:139], 1.0
	v_fma_f64 v[120:121], -v[120:121], v[148:149], v[144:145]
	v_mul_f64 v[144:145], v[116:117], v[122:123]
	v_fma_f64 v[138:139], v[138:139], v[150:151], v[138:139]
	v_div_scale_f64 v[150:151], vcc_lo, v[88:89], v[52:53], v[88:89]
	v_fma_f64 v[116:117], -v[128:129], v[144:145], v[116:117]
	v_mul_f64 v[128:129], v[150:151], v[138:139]
	v_fma_f64 v[140:141], -v[140:141], v[128:129], v[150:151]
	v_div_scale_f64 v[150:151], s7, 1.0, v[124:125], 1.0
	v_div_fmas_f64 v[128:129], v[140:141], v[138:139], v[128:129]
	v_mul_f64 v[152:153], v[150:151], v[136:137]
	s_mov_b32 vcc_lo, s0
	v_div_fmas_f64 v[90:91], v[90:91], v[94:95], v[146:147]
	s_mov_b32 vcc_lo, s1
	v_div_fmas_f64 v[94:95], v[104:105], v[98:99], v[126:127]
	;; [unrolled: 2-line block ×4, first 2 shown]
	s_mov_b32 vcc_lo, s4
	v_add_f64 v[110:111], v[20:21], 1.0
	v_div_fmas_f64 v[98:99], v[112:113], v[108:109], v[142:143]
	s_mov_b32 vcc_lo, s5
	v_mul_f64 v[20:21], v[20:21], v[20:21]
	v_div_fmas_f64 v[102:103], v[120:121], v[130:131], v[148:149]
	s_mov_b32 vcc_lo, s6
	v_div_fmas_f64 v[104:105], v[116:117], v[122:123], v[144:145]
	v_fma_f64 v[134:135], -v[134:135], v[152:153], v[150:151]
	s_mov_b32 vcc_lo, s7
	v_div_fixup_f64 v[64:65], v[90:91], v[68:69], 1.0
	v_div_fixup_f64 v[8:9], v[94:95], v[8:9], 1.0
	;; [unrolled: 1-line block ×4, first 2 shown]
	v_mul_f64 v[112:113], v[110:111], v[110:111]
	v_add_f64 v[110:111], v[110:111], 1.0
	v_div_fixup_f64 v[34:35], v[98:99], v[80:81], 1.0
	v_div_fixup_f64 v[30:31], v[102:103], v[100:101], 1.0
	;; [unrolled: 1-line block ×3, first 2 shown]
	v_div_fmas_f64 v[106:107], v[134:135], v[136:137], v[152:153]
	v_div_scale_f64 v[118:119], null, v[20:21], v[20:21], 1.0
	v_add_f64 v[6:7], v[6:7], v[64:65]
	v_div_scale_f64 v[120:121], null, v[112:113], v[112:113], 1.0
	v_mul_f64 v[122:123], v[110:111], v[110:111]
	v_add_f64 v[110:111], v[110:111], 1.0
	v_fma_f64 v[108:109], v[104:105], s[12:13], s[10:11]
	v_div_fixup_f64 v[106:107], v[106:107], v[124:125], 1.0
	v_add_f64 v[6:7], v[6:7], v[8:9]
	v_rcp_f64_e32 v[124:125], v[120:121]
	v_div_scale_f64 v[130:131], null, v[122:123], v[122:123], 1.0
	v_mul_f64 v[134:135], v[110:111], v[110:111]
	v_add_f64 v[110:111], v[110:111], 1.0
	v_fma_f64 v[108:109], -v[104:105], v[108:109], s[14:15]
	v_add_f64 v[106:107], v[106:107], 1.0
	v_add_f64 v[6:7], v[6:7], v[38:39]
	v_div_scale_f64 v[138:139], null, v[134:135], v[134:135], 1.0
	v_mul_f64 v[140:141], v[110:111], v[110:111]
	v_add_f64 v[110:111], v[110:111], 1.0
	v_fma_f64 v[104:105], v[104:105], v[108:109], v[106:107]
	v_add_f64 v[6:7], v[6:7], v[36:37]
	v_div_scale_f64 v[148:149], null, v[140:141], v[140:141], 1.0
	v_div_scale_f64 v[106:107], null, v[114:115], v[114:115], v[104:105]
	v_div_scale_f64 v[136:137], vcc_lo, v[104:105], v[114:115], v[104:105]
	v_add_f64 v[6:7], v[6:7], v[34:35]
	v_rcp_f64_e32 v[108:109], v[106:107]
	v_add_f64 v[6:7], v[6:7], v[30:31]
	v_fma_f64 v[116:117], -v[106:107], v[108:109], 1.0
	v_fma_f64 v[108:109], v[108:109], v[116:117], v[108:109]
	v_rcp_f64_e32 v[116:117], v[118:119]
	v_fma_f64 v[126:127], -v[106:107], v[108:109], 1.0
	v_fma_f64 v[132:133], -v[118:119], v[116:117], 1.0
	v_fma_f64 v[108:109], v[108:109], v[126:127], v[108:109]
	v_rcp_f64_e32 v[126:127], v[130:131]
	v_fma_f64 v[116:117], v[116:117], v[132:133], v[116:117]
	v_fma_f64 v[132:133], -v[120:121], v[124:125], 1.0
	v_mul_f64 v[142:143], v[136:137], v[108:109]
	v_fma_f64 v[146:147], -v[130:131], v[126:127], 1.0
	v_fma_f64 v[124:125], v[124:125], v[132:133], v[124:125]
	v_rcp_f64_e32 v[132:133], v[138:139]
	v_fma_f64 v[144:145], -v[118:119], v[116:117], 1.0
	v_fma_f64 v[106:107], -v[106:107], v[142:143], v[136:137]
	v_div_scale_f64 v[136:137], s0, 1.0, v[20:21], 1.0
	v_fma_f64 v[126:127], v[126:127], v[146:147], v[126:127]
	v_rcp_f64_e32 v[146:147], v[148:149]
	v_fma_f64 v[116:117], v[116:117], v[144:145], v[116:117]
	v_fma_f64 v[144:145], -v[120:121], v[124:125], 1.0
	v_fma_f64 v[150:151], -v[138:139], v[132:133], 1.0
	v_div_fmas_f64 v[106:107], v[106:107], v[108:109], v[142:143]
	v_div_scale_f64 v[108:109], s1, 1.0, v[112:113], 1.0
	s_mov_b32 vcc_lo, s0
	v_mul_f64 v[142:143], v[136:137], v[116:117]
	v_fma_f64 v[124:125], v[124:125], v[144:145], v[124:125]
	v_fma_f64 v[144:145], -v[130:131], v[126:127], 1.0
	v_fma_f64 v[132:133], v[132:133], v[150:151], v[132:133]
	v_fma_f64 v[150:151], -v[148:149], v[146:147], 1.0
	v_div_fixup_f64 v[18:19], v[106:107], v[114:115], v[104:105]
	v_fma_f64 v[118:119], -v[118:119], v[142:143], v[136:137]
	v_mul_f64 v[136:137], v[108:109], v[124:125]
	v_fma_f64 v[126:127], v[126:127], v[144:145], v[126:127]
	v_div_scale_f64 v[144:145], s2, 1.0, v[122:123], 1.0
	v_fma_f64 v[146:147], v[146:147], v[150:151], v[146:147]
	v_mul_f64 v[150:151], v[110:111], v[110:111]
	v_add_f64 v[110:111], v[110:111], 1.0
	v_add_f64 v[6:7], v[6:7], v[18:19]
	v_div_fmas_f64 v[116:117], v[118:119], v[116:117], v[142:143]
	v_fma_f64 v[108:109], -v[120:121], v[136:137], v[108:109]
	v_fma_f64 v[120:121], -v[138:139], v[132:133], 1.0
	v_mul_f64 v[118:119], v[144:145], v[126:127]
	s_mov_b32 vcc_lo, s1
	v_div_scale_f64 v[142:143], null, v[150:151], v[150:151], 1.0
	v_mul_f64 v[4:5], v[4:5], v[6:7]
	v_div_fixup_f64 v[20:21], v[116:117], v[20:21], 1.0
	v_div_fmas_f64 v[108:109], v[108:109], v[124:125], v[136:137]
	v_fma_f64 v[120:121], v[132:133], v[120:121], v[132:133]
	v_div_scale_f64 v[132:133], s0, 1.0, v[134:135], 1.0
	v_fma_f64 v[130:131], -v[130:131], v[118:119], v[144:145]
	v_rcp_f64_e32 v[144:145], v[142:143]
	v_mul_f64 v[136:137], v[110:111], v[110:111]
	s_mov_b32 vcc_lo, s2
	v_add_f64 v[20:21], v[24:25], v[20:21]
	v_div_fixup_f64 v[48:49], v[108:109], v[112:113], 1.0
	v_mul_f64 v[124:125], v[132:133], v[120:121]
	v_div_fmas_f64 v[118:119], v[130:131], v[126:127], v[118:119]
	v_fma_f64 v[130:131], -v[148:149], v[146:147], 1.0
	s_mov_b32 vcc_lo, s0
	v_fma_f64 v[126:127], -v[142:143], v[144:145], 1.0
	v_add_f64 v[20:21], v[20:21], v[48:49]
	v_fma_f64 v[132:133], -v[138:139], v[124:125], v[132:133]
	v_div_scale_f64 v[138:139], null, v[136:137], v[136:137], 1.0
	v_fma_f64 v[130:131], v[146:147], v[130:131], v[146:147]
	v_div_fixup_f64 v[8:9], v[118:119], v[122:123], 1.0
	v_fma_f64 v[126:127], v[144:145], v[126:127], v[144:145]
	v_div_scale_f64 v[144:145], s1, 1.0, v[140:141], 1.0
	v_div_fmas_f64 v[120:121], v[132:133], v[120:121], v[124:125]
	v_rcp_f64_e32 v[146:147], v[138:139]
	s_mov_b32 vcc_lo, s1
	v_add_f64 v[8:9], v[20:21], v[8:9]
	v_fma_f64 v[124:125], -v[142:143], v[126:127], 1.0
	v_mul_f64 v[132:133], v[144:145], v[130:131]
	v_div_fixup_f64 v[38:39], v[120:121], v[134:135], 1.0
	v_fma_f64 v[124:125], v[126:127], v[124:125], v[126:127]
	v_fma_f64 v[126:127], -v[138:139], v[146:147], 1.0
	v_fma_f64 v[144:145], -v[148:149], v[132:133], v[144:145]
	v_div_scale_f64 v[148:149], s0, 1.0, v[150:151], 1.0
	v_add_f64 v[8:9], v[8:9], v[38:39]
	v_fma_f64 v[126:127], v[146:147], v[126:127], v[146:147]
	v_add_f64 v[146:147], v[110:111], v[110:111]
	v_div_fmas_f64 v[130:131], v[144:145], v[130:131], v[132:133]
	v_mul_f64 v[132:133], v[148:149], v[124:125]
	s_mov_b32 vcc_lo, s0
	v_div_scale_f64 v[144:145], null, v[146:147], v[146:147], 1.0
	v_fma_f64 v[142:143], -v[142:143], v[132:133], v[148:149]
	v_div_fixup_f64 v[36:37], v[130:131], v[140:141], 1.0
	v_rcp_f64_e32 v[148:149], v[144:145]
	v_div_fmas_f64 v[124:125], v[142:143], v[124:125], v[132:133]
	v_fma_f64 v[132:133], -v[138:139], v[126:127], 1.0
	v_add_f64 v[8:9], v[8:9], v[36:37]
	v_fma_f64 v[152:153], -v[144:145], v[148:149], 1.0
	v_fma_f64 v[126:127], v[126:127], v[132:133], v[126:127]
	v_div_scale_f64 v[132:133], vcc_lo, 1.0, v[136:137], 1.0
	v_div_fixup_f64 v[32:33], v[124:125], v[150:151], 1.0
	v_fma_f64 v[148:149], v[148:149], v[152:153], v[148:149]
	v_add_f64 v[8:9], v[8:9], v[32:33]
	v_fma_f64 v[142:143], -v[144:145], v[148:149], 1.0
	v_fma_f64 v[142:143], v[148:149], v[142:143], v[148:149]
	v_mul_f64 v[148:149], v[132:133], v[126:127]
	v_fma_f64 v[132:133], -v[138:139], v[148:149], v[132:133]
	v_div_scale_f64 v[138:139], s0, 1.0, v[146:147], 1.0
	v_div_fmas_f64 v[126:127], v[132:133], v[126:127], v[148:149]
	v_mul_f64 v[152:153], v[138:139], v[142:143]
	s_mov_b32 vcc_lo, s0
	v_div_fixup_f64 v[126:127], v[126:127], v[136:137], 1.0
	v_fma_f64 v[138:139], -v[144:145], v[152:153], v[138:139]
	v_fma_f64 v[136:137], v[126:127], s[12:13], s[10:11]
	v_div_fmas_f64 v[132:133], v[138:139], v[142:143], v[152:153]
	v_fma_f64 v[136:137], -v[126:127], v[136:137], s[14:15]
	v_div_fixup_f64 v[132:133], v[132:133], v[146:147], 1.0
	v_add_f64 v[132:133], v[132:133], 1.0
	v_fma_f64 v[126:127], v[126:127], v[136:137], v[132:133]
	v_div_scale_f64 v[132:133], null, v[110:111], v[110:111], v[126:127]
	v_div_scale_f64 v[46:47], vcc_lo, v[126:127], v[110:111], v[126:127]
	v_rcp_f64_e32 v[136:137], v[132:133]
	v_fma_f64 v[138:139], -v[132:133], v[136:137], 1.0
	v_fma_f64 v[68:69], v[136:137], v[138:139], v[136:137]
	v_fma_f64 v[24:25], -v[132:133], v[68:69], 1.0
	v_fma_f64 v[24:25], v[68:69], v[24:25], v[68:69]
	v_mul_f64 v[20:21], v[46:47], v[24:25]
	v_fma_f64 v[38:39], -v[132:133], v[20:21], v[46:47]
	v_div_fmas_f64 v[20:21], v[38:39], v[24:25], v[20:21]
	v_div_fixup_f64 v[24:25], v[66:67], v[26:27], v[54:55]
	v_div_fixup_f64 v[26:27], v[128:129], v[52:53], v[88:89]
	;; [unrolled: 1-line block ×3, first 2 shown]
	v_add_f64 v[16:17], v[16:17], v[24:25]
	v_add_f64 v[12:13], v[12:13], v[26:27]
	;; [unrolled: 1-line block ×3, first 2 shown]
	v_mul_f64 v[6:7], v[10:11], v[12:13]
	v_mul_f64 v[10:11], v[14:15], v[16:17]
	;; [unrolled: 1-line block ×3, first 2 shown]
	global_store_dwordx2 v0, v[4:5], s[8:9]
	global_store_dwordx2 v1, v[6:7], s[8:9]
	;; [unrolled: 1-line block ×4, first 2 shown]
	s_endpgm
.LBB47_97:
	v_mov_b32_e32 v0, 0
	v_mov_b32_e32 v2, 0
	s_branch .LBB47_103
.LBB47_98:
	v_mov_b32_e32 v0, 0
	v_mov_b32_e32 v2, 0
	s_branch .LBB47_125
.LBB47_99:
	v_mov_b32_e32 v0, 0
	v_mov_b32_e32 v2, 0
	;; [unrolled: 1-line block ×3, first 2 shown]
	s_mov_b32 s4, 0
.LBB47_100:
	s_and_b32 s5, s5, 3
	s_cmp_eq_u32 s5, 0
	s_cbranch_scc1 .LBB47_103
; %bb.101:
	s_lshl_b32 s0, s4, 3
	s_mul_i32 s2, s4, 12
	s_add_u32 s0, s20, s0
	s_addc_u32 s1, s21, 0
	s_add_u32 s0, s0, 0xc4
	s_addc_u32 s1, s1, 0
	;; [unrolled: 2-line block ×3, first 2 shown]
	.p2align	6
.LBB47_102:                             ; =>This Inner Loop Header: Depth=1
	s_clause 0x1
	s_load_dwordx2 s[36:37], s[2:3], 0x4
	s_load_dword s4, s[2:3], 0xc
	s_load_dwordx2 s[38:39], s[0:1], 0x0
	s_add_u32 s2, s2, 12
	s_addc_u32 s3, s3, 0
	s_add_u32 s0, s0, 8
	s_addc_u32 s1, s1, 0
	s_add_i32 s5, s5, -1
	s_cmp_lg_u32 s5, 0
	s_waitcnt lgkmcnt(0)
	v_mul_hi_u32 v3, s37, v1
	v_add_nc_u32_e32 v3, v1, v3
	v_lshrrev_b32_e32 v4, s4, v3
	v_mul_lo_u32 v3, v4, s36
	v_sub_nc_u32_e32 v3, v1, v3
	v_mad_u64_u32 v[0:1], null, v3, s38, v[0:1]
	v_mad_u64_u32 v[2:3], null, v3, s39, v[2:3]
	v_mov_b32_e32 v1, v4
	s_cbranch_scc1 .LBB47_102
.LBB47_103:
	s_cbranch_execnz .LBB47_106
.LBB47_104:
	s_waitcnt lgkmcnt(0)
	v_mul_hi_u32 v0, s17, v9
	s_andn2_b32 vcc_lo, exec_lo, s29
	v_add_nc_u32_e32 v0, v9, v0
	v_lshrrev_b32_e32 v1, s18, v0
	v_mul_lo_u32 v0, v1, s16
	v_sub_nc_u32_e32 v2, v9, v0
	v_mul_lo_u32 v0, v2, s12
	v_mul_lo_u32 v2, v2, s13
	s_cbranch_vccnz .LBB47_106
; %bb.105:
	v_mul_hi_u32 v3, s22, v1
	v_add_nc_u32_e32 v3, v1, v3
	v_lshrrev_b32_e32 v3, s23, v3
	v_mul_lo_u32 v3, v3, s19
	v_sub_nc_u32_e32 v3, v1, v3
	v_mad_u64_u32 v[0:1], null, v3, s14, v[0:1]
	v_mad_u64_u32 v[2:3], null, v3, s15, v[2:3]
.LBB47_106:
	s_waitcnt lgkmcnt(0)
	global_load_dwordx2 v[1:2], v2, s[10:11]
	v_mov_b32_e32 v5, 0
	v_mov_b32_e32 v3, 0
	;; [unrolled: 1-line block ×4, first 2 shown]
	s_mov_b32 s2, exec_lo
	s_waitcnt vmcnt(0)
	v_cmpx_gt_f64_e32 0.5, v[1:2]
	s_cbranch_execz .LBB47_112
; %bb.107:
	s_mov_b32 s1, 0x400921fb
	s_mov_b32 s0, 0x54442d18
	s_mov_b32 s3, exec_lo
	v_mul_f64 v[3:4], v[1:2], s[0:1]
                                        ; implicit-def: $vgpr10
                                        ; implicit-def: $vgpr5_vgpr6
                                        ; implicit-def: $vgpr7_vgpr8
	v_cmpx_ngt_f64_e64 0x41d00000, |v[3:4]|
	s_xor_b32 s3, exec_lo, s3
	s_cbranch_execz .LBB47_109
; %bb.108:
	v_ldexp_f64 v[5:6], |v[3:4]|, 0xffffff80
	v_cmp_le_f64_e64 vcc_lo, 0x7b000000, |v[3:4]|
	v_trig_preop_f64 v[7:8], |v[3:4]|, 0
	v_and_b32_e32 v10, 0x7fffffff, v4
	v_trig_preop_f64 v[20:21], |v[3:4]|, 2
	v_mov_b32_e32 v28, 0
	s_mov_b32 s1, 0x3ff921fb
	s_mov_b32 s4, 0x33145c07
	;; [unrolled: 1-line block ×3, first 2 shown]
	v_cndmask_b32_e32 v6, v10, v6, vcc_lo
	v_cndmask_b32_e32 v5, v3, v5, vcc_lo
	v_trig_preop_f64 v[10:11], |v[3:4]|, 1
	v_mul_f64 v[12:13], v[7:8], v[5:6]
	v_mul_f64 v[26:27], v[20:21], v[5:6]
	;; [unrolled: 1-line block ×3, first 2 shown]
	v_fma_f64 v[7:8], v[7:8], v[5:6], -v[12:13]
	v_fma_f64 v[10:11], v[10:11], v[5:6], -v[14:15]
	;; [unrolled: 1-line block ×3, first 2 shown]
	v_add_f64 v[16:17], v[14:15], v[7:8]
	v_add_f64 v[18:19], v[16:17], -v[14:15]
	v_add_f64 v[24:25], v[12:13], v[16:17]
	v_add_f64 v[22:23], v[16:17], -v[18:19]
	v_add_f64 v[7:8], v[7:8], -v[18:19]
	v_ldexp_f64 v[18:19], v[24:25], -2
	v_add_f64 v[12:13], v[24:25], -v[12:13]
	v_add_f64 v[14:15], v[14:15], -v[22:23]
	v_add_f64 v[22:23], v[26:27], v[10:11]
	v_cmp_neq_f64_e64 vcc_lo, 0x7ff00000, |v[18:19]|
	v_add_f64 v[12:13], v[16:17], -v[12:13]
	v_add_f64 v[7:8], v[7:8], v[14:15]
	v_fract_f64_e32 v[14:15], v[18:19]
	v_add_f64 v[16:17], v[22:23], v[7:8]
	v_ldexp_f64 v[14:15], v[14:15], 2
	v_add_f64 v[18:19], v[12:13], v[16:17]
	v_cndmask_b32_e32 v15, 0, v15, vcc_lo
	v_cndmask_b32_e32 v14, 0, v14, vcc_lo
	v_add_f64 v[24:25], v[18:19], v[14:15]
	v_add_f64 v[12:13], v[18:19], -v[12:13]
	v_cmp_gt_f64_e32 vcc_lo, 0, v[24:25]
	v_add_f64 v[24:25], v[22:23], -v[26:27]
	v_cndmask_b32_e64 v29, 0, 0x40100000, vcc_lo
	v_add_f64 v[33:34], v[22:23], -v[24:25]
	v_add_f64 v[10:11], v[10:11], -v[24:25]
	v_add_f64 v[14:15], v[14:15], v[28:29]
	v_add_f64 v[29:30], v[16:17], -v[22:23]
	v_add_f64 v[24:25], v[26:27], -v[33:34]
	v_add_f64 v[31:32], v[18:19], v[14:15]
	;; [unrolled: 3-line block ×3, first 2 shown]
	v_cvt_i32_f64_e32 v31, v[31:32]
	v_add_f64 v[22:23], v[22:23], -v[35:36]
	v_cvt_f64_i32_e32 v[29:30], v31
	v_add_f64 v[7:8], v[7:8], v[22:23]
	v_add_f64 v[14:15], v[14:15], -v[29:30]
	v_add_f64 v[7:8], v[10:11], v[7:8]
	v_add_f64 v[10:11], v[16:17], -v[12:13]
	v_add_f64 v[20:21], v[18:19], v[14:15]
	v_add_f64 v[5:6], v[5:6], v[7:8]
	v_add_f64 v[7:8], v[20:21], -v[14:15]
	v_cmp_le_f64_e32 vcc_lo, 0.5, v[20:21]
	v_add_f64 v[5:6], v[10:11], v[5:6]
	v_add_f64 v[7:8], v[18:19], -v[7:8]
	v_cndmask_b32_e64 v29, 0, 0x3ff00000, vcc_lo
	v_add_co_ci_u32_e64 v10, null, 0, v31, vcc_lo
	v_add_f64 v[5:6], v[5:6], v[7:8]
	v_add_f64 v[7:8], v[20:21], -v[28:29]
	v_add_f64 v[11:12], v[7:8], v[5:6]
	v_mul_f64 v[13:14], v[11:12], s[0:1]
	v_add_f64 v[7:8], v[11:12], -v[7:8]
	v_fma_f64 v[15:16], v[11:12], s[0:1], -v[13:14]
	v_add_f64 v[5:6], v[5:6], -v[7:8]
	v_fma_f64 v[7:8], v[11:12], s[4:5], v[15:16]
	v_fma_f64 v[7:8], v[5:6], s[0:1], v[7:8]
	v_add_f64 v[5:6], v[13:14], v[7:8]
	v_add_f64 v[11:12], v[5:6], -v[13:14]
	v_add_f64 v[7:8], v[7:8], -v[11:12]
.LBB47_109:
	s_andn2_saveexec_b32 s0, s3
	s_cbranch_execz .LBB47_111
; %bb.110:
	s_mov_b32 s4, 0x6dc9c883
	s_mov_b32 s5, 0x3fe45f30
	;; [unrolled: 1-line block ×3, first 2 shown]
	v_mul_f64 v[5:6], |v[3:4]|, s[4:5]
	s_mov_b32 s4, 0x54442d18
	s_mov_b32 s5, 0xbff921fb
	;; [unrolled: 1-line block ×3, first 2 shown]
	v_rndne_f64_e32 v[10:11], v[5:6]
	v_fma_f64 v[5:6], v[10:11], s[4:5], |v[3:4]|
	v_mul_f64 v[7:8], v[10:11], s[36:37]
	s_mov_b32 s4, 0x252049c0
	s_mov_b32 s5, 0xb97b839a
	v_fma_f64 v[14:15], v[10:11], s[36:37], v[5:6]
	v_add_f64 v[12:13], v[5:6], v[7:8]
	s_mov_b32 s37, 0x3c91a626
	v_add_f64 v[5:6], v[5:6], -v[12:13]
	v_add_f64 v[12:13], v[12:13], -v[14:15]
	v_add_f64 v[5:6], v[5:6], v[7:8]
	v_fma_f64 v[7:8], v[10:11], s[36:37], v[7:8]
	v_add_f64 v[5:6], v[12:13], v[5:6]
	v_add_f64 v[5:6], v[5:6], -v[7:8]
	v_fma_f64 v[7:8], v[10:11], s[4:5], v[5:6]
	v_cvt_i32_f64_e32 v10, v[10:11]
	v_add_f64 v[5:6], v[14:15], v[7:8]
	v_add_f64 v[12:13], v[5:6], -v[14:15]
	v_add_f64 v[7:8], v[7:8], -v[12:13]
.LBB47_111:
	s_or_b32 exec_lo, exec_lo, s0
	v_mul_f64 v[11:12], v[5:6], v[5:6]
	s_mov_b32 s0, 0xb42fdfa7
	s_mov_b32 s4, 0xf9a43bb8
	;; [unrolled: 1-line block ×6, first 2 shown]
	v_mul_f64 v[21:22], v[7:8], 0.5
	v_add_f64 v[1:2], -v[1:2], 1.0
	v_fma_f64 v[13:14], v[11:12], s[4:5], s[0:1]
	s_mov_b32 s0, 0x9037ab78
	s_mov_b32 s4, 0x46cc5e42
	;; [unrolled: 1-line block ×4, first 2 shown]
	v_mul_f64 v[17:18], v[11:12], 0.5
	v_fma_f64 v[15:16], v[11:12], s[4:5], s[0:1]
	s_mov_b32 s0, 0xa17f65f6
	s_mov_b32 s4, 0x19e83e5c
	;; [unrolled: 1-line block ×4, first 2 shown]
	v_mul_f64 v[23:24], v[5:6], -v[11:12]
	v_fma_f64 v[13:14], v[11:12], v[13:14], s[36:37]
	v_add_f64 v[19:20], -v[17:18], 1.0
	v_fma_f64 v[15:16], v[11:12], v[15:16], s[0:1]
	s_mov_b32 s0, 0x19f4ec90
	s_mov_b32 s1, 0x3efa01a0
	v_fma_f64 v[13:14], v[11:12], v[13:14], s[4:5]
	s_mov_b32 s4, 0x11110bb3
	s_mov_b32 s5, 0x3f811111
	v_add_f64 v[25:26], -v[19:20], 1.0
	v_fma_f64 v[15:16], v[11:12], v[15:16], s[0:1]
	s_mov_b32 s0, 0x16c16967
	s_mov_b32 s1, 0xbf56c16c
	v_fma_f64 v[13:14], v[11:12], v[13:14], s[4:5]
	v_add_f64 v[17:18], v[25:26], -v[17:18]
	v_fma_f64 v[15:16], v[11:12], v[15:16], s[0:1]
	s_mov_b32 s1, 0x3fa55555
	s_mov_b32 s0, 0x55555555
	v_fma_f64 v[13:14], v[23:24], v[13:14], v[21:22]
	v_mul_f64 v[21:22], v[11:12], v[11:12]
	v_fma_f64 v[17:18], v[5:6], -v[7:8], v[17:18]
	v_fma_f64 v[15:16], v[11:12], v[15:16], s[0:1]
	s_mov_b32 s1, 0xbfc55555
	v_fma_f64 v[7:8], v[11:12], v[13:14], -v[7:8]
	v_fma_f64 v[11:12], v[21:22], v[15:16], v[17:18]
	v_fma_f64 v[7:8], v[23:24], s[0:1], v[7:8]
	v_cmp_class_f64_e64 s0, v[3:4], 0x1f8
	v_lshlrev_b32_e32 v3, 30, v10
	v_add_f64 v[11:12], v[19:20], v[11:12]
	v_xor_b32_e32 v3, v3, v4
	v_and_b32_e32 v3, 0x80000000, v3
	v_add_f64 v[5:6], v[5:6], -v[7:8]
	v_and_b32_e32 v7, 1, v10
	v_cmp_eq_u32_e32 vcc_lo, 0, v7
	v_cndmask_b32_e32 v4, v12, v6, vcc_lo
	v_cndmask_b32_e32 v5, v11, v5, vcc_lo
	v_xor_b32_e32 v4, v4, v3
	v_cndmask_b32_e64 v3, 0, v5, s0
	v_cndmask_b32_e64 v4, 0x7ff80000, v4, s0
	s_mov_b32 s0, 0xc9be45de
	s_mov_b32 s1, 0xc023bd3c
	v_mul_f64 v[3:4], v[3:4], v[3:4]
	v_div_scale_f64 v[5:6], null, v[3:4], v[3:4], s[0:1]
	v_div_scale_f64 v[12:13], vcc_lo, s[0:1], v[3:4], s[0:1]
	v_rcp_f64_e32 v[7:8], v[5:6]
	v_fma_f64 v[10:11], -v[5:6], v[7:8], 1.0
	v_fma_f64 v[7:8], v[7:8], v[10:11], v[7:8]
	v_fma_f64 v[10:11], -v[5:6], v[7:8], 1.0
	v_fma_f64 v[7:8], v[7:8], v[10:11], v[7:8]
	v_mul_f64 v[10:11], v[12:13], v[7:8]
	v_fma_f64 v[5:6], -v[5:6], v[10:11], v[12:13]
	v_div_fmas_f64 v[5:6], v[5:6], v[7:8], v[10:11]
	v_div_fixup_f64 v[3:4], v[5:6], v[3:4], s[0:1]
	v_add_f64 v[5:6], v[3:4], 0
	v_mov_b32_e32 v3, 0
	v_mov_b32_e32 v4, 0xbff00000
.LBB47_112:
	s_or_b32 exec_lo, exec_lo, s2
	v_add_f64 v[7:8], v[1:2], 1.0
	v_mul_f64 v[1:2], v[1:2], v[1:2]
	v_add_nc_u32_e32 v9, 0x80, v9
	v_add_f64 v[10:11], v[7:8], 1.0
	v_mul_f64 v[7:8], v[7:8], v[7:8]
	v_div_scale_f64 v[22:23], null, v[1:2], v[1:2], 1.0
	v_div_scale_f64 v[70:71], vcc_lo, 1.0, v[1:2], 1.0
	v_add_f64 v[12:13], v[10:11], 1.0
	v_mul_f64 v[10:11], v[10:11], v[10:11]
	v_div_scale_f64 v[24:25], null, v[7:8], v[7:8], 1.0
	v_rcp_f64_e32 v[38:39], v[22:23]
	v_add_f64 v[14:15], v[12:13], 1.0
	v_mul_f64 v[12:13], v[12:13], v[12:13]
	v_div_scale_f64 v[26:27], null, v[10:11], v[10:11], 1.0
	v_rcp_f64_e32 v[40:41], v[24:25]
	v_fma_f64 v[54:55], -v[22:23], v[38:39], 1.0
	v_add_f64 v[16:17], v[14:15], 1.0
	v_mul_f64 v[14:15], v[14:15], v[14:15]
	v_div_scale_f64 v[28:29], null, v[12:13], v[12:13], 1.0
	v_rcp_f64_e32 v[42:43], v[26:27]
	v_fma_f64 v[56:57], -v[24:25], v[40:41], 1.0
	v_fma_f64 v[38:39], v[38:39], v[54:55], v[38:39]
	v_add_f64 v[18:19], v[16:17], 1.0
	v_mul_f64 v[16:17], v[16:17], v[16:17]
	v_div_scale_f64 v[30:31], null, v[14:15], v[14:15], 1.0
	v_rcp_f64_e32 v[44:45], v[28:29]
	v_fma_f64 v[58:59], -v[26:27], v[42:43], 1.0
	v_fma_f64 v[40:41], v[40:41], v[56:57], v[40:41]
	v_fma_f64 v[56:57], -v[22:23], v[38:39], 1.0
	v_mul_f64 v[20:21], v[18:19], v[18:19]
	v_div_scale_f64 v[32:33], null, v[16:17], v[16:17], 1.0
	v_add_f64 v[34:35], v[18:19], v[18:19]
	v_rcp_f64_e32 v[46:47], v[30:31]
	v_fma_f64 v[60:61], -v[28:29], v[44:45], 1.0
	v_fma_f64 v[42:43], v[42:43], v[58:59], v[42:43]
	v_fma_f64 v[58:59], -v[24:25], v[40:41], 1.0
	v_fma_f64 v[38:39], v[38:39], v[56:57], v[38:39]
	v_div_scale_f64 v[56:57], s0, 1.0, v[7:8], 1.0
	v_div_scale_f64 v[36:37], null, v[20:21], v[20:21], 1.0
	v_rcp_f64_e32 v[48:49], v[32:33]
	v_div_scale_f64 v[50:51], null, v[34:35], v[34:35], 1.0
	v_div_scale_f64 v[72:73], s5, 1.0, v[20:21], 1.0
	v_fma_f64 v[62:63], -v[30:31], v[46:47], 1.0
	v_fma_f64 v[44:45], v[44:45], v[60:61], v[44:45]
	v_fma_f64 v[60:61], -v[26:27], v[42:43], 1.0
	v_fma_f64 v[40:41], v[40:41], v[58:59], v[40:41]
	v_div_scale_f64 v[58:59], s1, 1.0, v[10:11], 1.0
	v_div_scale_f64 v[82:83], s6, 1.0, v[34:35], 1.0
	v_rcp_f64_e32 v[52:53], v[36:37]
	v_rcp_f64_e32 v[64:65], v[50:51]
	v_fma_f64 v[66:67], -v[32:33], v[48:49], 1.0
	v_fma_f64 v[46:47], v[46:47], v[62:63], v[46:47]
	v_fma_f64 v[62:63], -v[28:29], v[44:45], 1.0
	v_fma_f64 v[42:43], v[42:43], v[60:61], v[42:43]
	v_div_scale_f64 v[60:61], s2, 1.0, v[12:13], 1.0
	v_mul_f64 v[74:75], v[56:57], v[40:41]
	v_fma_f64 v[68:69], -v[36:37], v[52:53], 1.0
	v_fma_f64 v[48:49], v[48:49], v[66:67], v[48:49]
	v_fma_f64 v[54:55], -v[50:51], v[64:65], 1.0
	v_fma_f64 v[66:67], -v[30:31], v[46:47], 1.0
	v_fma_f64 v[44:45], v[44:45], v[62:63], v[44:45]
	v_div_scale_f64 v[62:63], s3, 1.0, v[14:15], 1.0
	v_mul_f64 v[76:77], v[58:59], v[42:43]
	v_fma_f64 v[24:25], -v[24:25], v[74:75], v[56:57]
	v_fma_f64 v[52:53], v[52:53], v[68:69], v[52:53]
	v_fma_f64 v[68:69], -v[32:33], v[48:49], 1.0
	v_fma_f64 v[54:55], v[64:65], v[54:55], v[64:65]
	v_fma_f64 v[46:47], v[46:47], v[66:67], v[46:47]
	v_div_scale_f64 v[66:67], s4, 1.0, v[16:17], 1.0
	v_mul_f64 v[78:79], v[60:61], v[44:45]
	v_fma_f64 v[26:27], -v[26:27], v[76:77], v[58:59]
	v_fma_f64 v[64:65], -v[36:37], v[52:53], 1.0
	v_fma_f64 v[48:49], v[48:49], v[68:69], v[48:49]
	v_fma_f64 v[68:69], -v[50:51], v[54:55], 1.0
	v_mul_f64 v[80:81], v[62:63], v[46:47]
	v_fma_f64 v[28:29], -v[28:29], v[78:79], v[60:61]
	v_fma_f64 v[52:53], v[52:53], v[64:65], v[52:53]
	v_mul_f64 v[64:65], v[70:71], v[38:39]
	v_mul_f64 v[84:85], v[66:67], v[48:49]
	v_fma_f64 v[54:55], v[54:55], v[68:69], v[54:55]
	v_fma_f64 v[30:31], -v[30:31], v[80:81], v[62:63]
	v_mul_f64 v[68:69], v[72:73], v[52:53]
	v_fma_f64 v[22:23], -v[22:23], v[64:65], v[70:71]
	v_fma_f64 v[32:33], -v[32:33], v[84:85], v[66:67]
	v_mul_f64 v[56:57], v[82:83], v[54:55]
	v_fma_f64 v[36:37], -v[36:37], v[68:69], v[72:73]
	v_div_fmas_f64 v[22:23], v[22:23], v[38:39], v[64:65]
	s_mov_b32 vcc_lo, s0
	v_fma_f64 v[38:39], -v[50:51], v[56:57], v[82:83]
	v_div_fmas_f64 v[24:25], v[24:25], v[40:41], v[74:75]
	s_mov_b32 vcc_lo, s1
	s_mov_b32 s0, 0x11111111
	v_div_fmas_f64 v[26:27], v[26:27], v[42:43], v[76:77]
	s_mov_b32 vcc_lo, s2
	s_mov_b32 s1, 0x3fa11111
	;; [unrolled: 3-line block ×4, first 2 shown]
	v_div_fmas_f64 v[32:33], v[32:33], v[48:49], v[84:85]
	s_mov_b32 vcc_lo, s5
	v_div_fmas_f64 v[36:37], v[36:37], v[52:53], v[68:69]
	s_mov_b32 vcc_lo, s6
	v_div_fixup_f64 v[1:2], v[22:23], v[1:2], 1.0
	v_div_fmas_f64 v[38:39], v[38:39], v[54:55], v[56:57]
	v_div_fixup_f64 v[20:21], v[36:37], v[20:21], 1.0
	v_add_f64 v[1:2], v[5:6], v[1:2]
	v_div_fixup_f64 v[34:35], v[38:39], v[34:35], 1.0
	v_div_fixup_f64 v[5:6], v[24:25], v[7:8], 1.0
	v_fma_f64 v[36:37], v[20:21], s[2:3], s[0:1]
	s_mov_b32 s0, 0x55555555
	s_mov_b32 s1, 0x3fc55555
	v_add_f64 v[34:35], v[34:35], 1.0
	v_add_f64 v[1:2], v[1:2], v[5:6]
	v_div_fixup_f64 v[5:6], v[26:27], v[10:11], 1.0
	v_fma_f64 v[36:37], -v[20:21], v[36:37], s[0:1]
	v_add_f64 v[1:2], v[1:2], v[5:6]
	v_div_fixup_f64 v[5:6], v[28:29], v[12:13], 1.0
	v_fma_f64 v[20:21], v[20:21], v[36:37], v[34:35]
	v_add_f64 v[1:2], v[1:2], v[5:6]
	v_div_fixup_f64 v[5:6], v[30:31], v[14:15], 1.0
	v_div_scale_f64 v[34:35], null, v[18:19], v[18:19], v[20:21]
	v_div_scale_f64 v[10:11], vcc_lo, v[20:21], v[18:19], v[20:21]
	v_add_f64 v[1:2], v[1:2], v[5:6]
	v_div_fixup_f64 v[5:6], v[32:33], v[16:17], 1.0
	v_rcp_f64_e32 v[36:37], v[34:35]
	v_add_f64 v[1:2], v[1:2], v[5:6]
	v_fma_f64 v[38:39], -v[34:35], v[36:37], 1.0
	v_fma_f64 v[22:23], v[36:37], v[38:39], v[36:37]
	v_fma_f64 v[7:8], -v[34:35], v[22:23], 1.0
	v_fma_f64 v[7:8], v[22:23], v[7:8], v[22:23]
	v_mul_f64 v[12:13], v[10:11], v[7:8]
	v_fma_f64 v[10:11], -v[34:35], v[12:13], v[10:11]
	v_div_fmas_f64 v[7:8], v[10:11], v[7:8], v[12:13]
	v_div_fixup_f64 v[5:6], v[7:8], v[18:19], v[20:21]
	v_add_f64 v[1:2], v[1:2], v[5:6]
	v_mul_f64 v[1:2], v[3:4], v[1:2]
	global_store_dwordx2 v0, v[1:2], s[8:9]
	s_or_b32 exec_lo, exec_lo, s34
	s_mov_b32 s34, exec_lo
	v_cmpx_gt_i32_e64 s30, v9
	s_cbranch_execnz .LBB47_15
.LBB47_113:
	s_or_b32 exec_lo, exec_lo, s34
	s_mov_b32 s34, exec_lo
	v_cmpx_gt_i32_e64 s30, v9
	s_cbranch_execz .LBB47_135
.LBB47_114:
	s_andn2_b32 vcc_lo, exec_lo, s27
	s_cbranch_vccnz .LBB47_119
; %bb.115:
	s_andn2_b32 vcc_lo, exec_lo, s33
	s_cbranch_vccnz .LBB47_120
; %bb.116:
	s_add_i32 s5, s31, 1
	s_cmp_eq_u32 s26, 2
	s_cbranch_scc1 .LBB47_138
; %bb.117:
	v_mov_b32_e32 v2, 0
	v_mov_b32_e32 v0, 0
	;; [unrolled: 1-line block ×3, first 2 shown]
	s_and_b32 s4, s5, 28
	s_mov_b32 s6, 0
	s_mov_b64 s[0:1], s[20:21]
	s_mov_b64 s[2:3], s[24:25]
.LBB47_118:                             ; =>This Inner Loop Header: Depth=1
	s_clause 0x1
	s_load_dwordx8 s[36:43], s[0:1], 0x4
	s_load_dwordx4 s[52:55], s[0:1], 0x24
	s_load_dwordx8 s[44:51], s[2:3], 0x0
	s_add_u32 s0, s0, 48
	s_addc_u32 s1, s1, 0
	s_add_i32 s6, s6, 4
	s_add_u32 s2, s2, 32
	s_addc_u32 s3, s3, 0
	s_cmp_eq_u32 s4, s6
	s_waitcnt lgkmcnt(0)
	v_mul_hi_u32 v3, s37, v1
	v_add_nc_u32_e32 v3, v1, v3
	v_lshrrev_b32_e32 v3, s38, v3
	v_mul_hi_u32 v4, s40, v3
	v_mul_lo_u32 v6, v3, s36
	v_add_nc_u32_e32 v4, v3, v4
	v_sub_nc_u32_e32 v1, v1, v6
	v_lshrrev_b32_e32 v4, s41, v4
	v_mul_lo_u32 v6, v1, s44
	v_mul_lo_u32 v8, v1, s45
	v_mul_hi_u32 v5, s43, v4
	v_add_nc_u32_e32 v5, v4, v5
	v_lshrrev_b32_e32 v5, s52, v5
	v_mul_hi_u32 v7, s54, v5
	v_mul_lo_u32 v10, v5, s42
	v_add_nc_u32_e32 v1, v5, v7
	v_mul_lo_u32 v7, v4, s39
	v_sub_nc_u32_e32 v4, v4, v10
	v_lshrrev_b32_e32 v1, s55, v1
	v_mul_lo_u32 v10, v4, s48
	v_mul_lo_u32 v4, v4, s49
	v_sub_nc_u32_e32 v3, v3, v7
	v_mul_lo_u32 v11, v1, s53
	v_mul_lo_u32 v7, v3, s46
	;; [unrolled: 1-line block ×3, first 2 shown]
	v_sub_nc_u32_e32 v5, v5, v11
	v_add3_u32 v0, v6, v0, v7
	v_mul_lo_u32 v11, v5, s50
	v_mul_lo_u32 v5, v5, s51
	v_add3_u32 v2, v8, v2, v3
	v_add3_u32 v0, v10, v0, v11
	;; [unrolled: 1-line block ×3, first 2 shown]
	s_cbranch_scc0 .LBB47_118
	s_branch .LBB47_139
.LBB47_119:
                                        ; implicit-def: $vgpr0
                                        ; implicit-def: $vgpr2
	s_branch .LBB47_143
.LBB47_120:
	v_mov_b32_e32 v0, 0
	v_mov_b32_e32 v2, 0
	s_branch .LBB47_142
.LBB47_121:
	v_mov_b32_e32 v0, 0
	v_mov_b32_e32 v2, 0
	;; [unrolled: 1-line block ×3, first 2 shown]
	s_mov_b32 s4, 0
.LBB47_122:
	s_and_b32 s5, s5, 3
	s_cmp_eq_u32 s5, 0
	s_cbranch_scc1 .LBB47_125
; %bb.123:
	s_lshl_b32 s0, s4, 3
	s_mul_i32 s2, s4, 12
	s_add_u32 s0, s20, s0
	s_addc_u32 s1, s21, 0
	s_add_u32 s0, s0, 0xc4
	s_addc_u32 s1, s1, 0
	;; [unrolled: 2-line block ×3, first 2 shown]
	.p2align	6
.LBB47_124:                             ; =>This Inner Loop Header: Depth=1
	s_clause 0x1
	s_load_dwordx2 s[36:37], s[2:3], 0x4
	s_load_dword s4, s[2:3], 0xc
	s_load_dwordx2 s[38:39], s[0:1], 0x0
	s_add_u32 s2, s2, 12
	s_addc_u32 s3, s3, 0
	s_add_u32 s0, s0, 8
	s_addc_u32 s1, s1, 0
	s_add_i32 s5, s5, -1
	s_cmp_lg_u32 s5, 0
	s_waitcnt lgkmcnt(0)
	v_mul_hi_u32 v3, s37, v1
	v_add_nc_u32_e32 v3, v1, v3
	v_lshrrev_b32_e32 v4, s4, v3
	v_mul_lo_u32 v3, v4, s36
	v_sub_nc_u32_e32 v3, v1, v3
	v_mad_u64_u32 v[0:1], null, v3, s38, v[0:1]
	v_mad_u64_u32 v[2:3], null, v3, s39, v[2:3]
	v_mov_b32_e32 v1, v4
	s_cbranch_scc1 .LBB47_124
.LBB47_125:
	s_cbranch_execnz .LBB47_128
.LBB47_126:
	s_waitcnt lgkmcnt(0)
	v_mul_hi_u32 v0, s17, v9
	s_andn2_b32 vcc_lo, exec_lo, s29
	v_add_nc_u32_e32 v0, v9, v0
	v_lshrrev_b32_e32 v1, s18, v0
	v_mul_lo_u32 v0, v1, s16
	v_sub_nc_u32_e32 v2, v9, v0
	v_mul_lo_u32 v0, v2, s12
	v_mul_lo_u32 v2, v2, s13
	s_cbranch_vccnz .LBB47_128
; %bb.127:
	v_mul_hi_u32 v3, s22, v1
	v_add_nc_u32_e32 v3, v1, v3
	v_lshrrev_b32_e32 v3, s23, v3
	v_mul_lo_u32 v3, v3, s19
	v_sub_nc_u32_e32 v3, v1, v3
	v_mad_u64_u32 v[0:1], null, v3, s14, v[0:1]
	v_mad_u64_u32 v[2:3], null, v3, s15, v[2:3]
.LBB47_128:
	s_waitcnt lgkmcnt(0)
	global_load_dwordx2 v[1:2], v2, s[10:11]
	v_mov_b32_e32 v5, 0
	v_mov_b32_e32 v3, 0
	v_mov_b32_e32 v6, 0
	v_mov_b32_e32 v4, 0x3ff00000
	s_mov_b32 s2, exec_lo
	s_waitcnt vmcnt(0)
	v_cmpx_gt_f64_e32 0.5, v[1:2]
	s_cbranch_execz .LBB47_134
; %bb.129:
	s_mov_b32 s1, 0x400921fb
	s_mov_b32 s0, 0x54442d18
	s_mov_b32 s3, exec_lo
	v_mul_f64 v[3:4], v[1:2], s[0:1]
                                        ; implicit-def: $vgpr10
                                        ; implicit-def: $vgpr5_vgpr6
                                        ; implicit-def: $vgpr7_vgpr8
	v_cmpx_ngt_f64_e64 0x41d00000, |v[3:4]|
	s_xor_b32 s3, exec_lo, s3
	s_cbranch_execz .LBB47_131
; %bb.130:
	v_ldexp_f64 v[5:6], |v[3:4]|, 0xffffff80
	v_cmp_le_f64_e64 vcc_lo, 0x7b000000, |v[3:4]|
	v_trig_preop_f64 v[7:8], |v[3:4]|, 0
	v_and_b32_e32 v10, 0x7fffffff, v4
	v_trig_preop_f64 v[20:21], |v[3:4]|, 2
	v_mov_b32_e32 v28, 0
	s_mov_b32 s1, 0x3ff921fb
	s_mov_b32 s4, 0x33145c07
	;; [unrolled: 1-line block ×3, first 2 shown]
	v_cndmask_b32_e32 v6, v10, v6, vcc_lo
	v_cndmask_b32_e32 v5, v3, v5, vcc_lo
	v_trig_preop_f64 v[10:11], |v[3:4]|, 1
	v_mul_f64 v[12:13], v[7:8], v[5:6]
	v_mul_f64 v[26:27], v[20:21], v[5:6]
	;; [unrolled: 1-line block ×3, first 2 shown]
	v_fma_f64 v[7:8], v[7:8], v[5:6], -v[12:13]
	v_fma_f64 v[10:11], v[10:11], v[5:6], -v[14:15]
	;; [unrolled: 1-line block ×3, first 2 shown]
	v_add_f64 v[16:17], v[14:15], v[7:8]
	v_add_f64 v[18:19], v[16:17], -v[14:15]
	v_add_f64 v[24:25], v[12:13], v[16:17]
	v_add_f64 v[22:23], v[16:17], -v[18:19]
	v_add_f64 v[7:8], v[7:8], -v[18:19]
	v_ldexp_f64 v[18:19], v[24:25], -2
	v_add_f64 v[12:13], v[24:25], -v[12:13]
	v_add_f64 v[14:15], v[14:15], -v[22:23]
	v_add_f64 v[22:23], v[26:27], v[10:11]
	v_cmp_neq_f64_e64 vcc_lo, 0x7ff00000, |v[18:19]|
	v_add_f64 v[12:13], v[16:17], -v[12:13]
	v_add_f64 v[7:8], v[7:8], v[14:15]
	v_fract_f64_e32 v[14:15], v[18:19]
	v_add_f64 v[16:17], v[22:23], v[7:8]
	v_ldexp_f64 v[14:15], v[14:15], 2
	v_add_f64 v[18:19], v[12:13], v[16:17]
	v_cndmask_b32_e32 v15, 0, v15, vcc_lo
	v_cndmask_b32_e32 v14, 0, v14, vcc_lo
	v_add_f64 v[24:25], v[18:19], v[14:15]
	v_add_f64 v[12:13], v[18:19], -v[12:13]
	v_cmp_gt_f64_e32 vcc_lo, 0, v[24:25]
	v_add_f64 v[24:25], v[22:23], -v[26:27]
	v_cndmask_b32_e64 v29, 0, 0x40100000, vcc_lo
	v_add_f64 v[33:34], v[22:23], -v[24:25]
	v_add_f64 v[10:11], v[10:11], -v[24:25]
	v_add_f64 v[14:15], v[14:15], v[28:29]
	v_add_f64 v[29:30], v[16:17], -v[22:23]
	v_add_f64 v[24:25], v[26:27], -v[33:34]
	v_add_f64 v[31:32], v[18:19], v[14:15]
	;; [unrolled: 3-line block ×3, first 2 shown]
	v_cvt_i32_f64_e32 v31, v[31:32]
	v_add_f64 v[22:23], v[22:23], -v[35:36]
	v_cvt_f64_i32_e32 v[29:30], v31
	v_add_f64 v[7:8], v[7:8], v[22:23]
	v_add_f64 v[14:15], v[14:15], -v[29:30]
	v_add_f64 v[7:8], v[10:11], v[7:8]
	v_add_f64 v[10:11], v[16:17], -v[12:13]
	v_add_f64 v[20:21], v[18:19], v[14:15]
	v_add_f64 v[5:6], v[5:6], v[7:8]
	v_add_f64 v[7:8], v[20:21], -v[14:15]
	v_cmp_le_f64_e32 vcc_lo, 0.5, v[20:21]
	v_add_f64 v[5:6], v[10:11], v[5:6]
	v_add_f64 v[7:8], v[18:19], -v[7:8]
	v_cndmask_b32_e64 v29, 0, 0x3ff00000, vcc_lo
	v_add_co_ci_u32_e64 v10, null, 0, v31, vcc_lo
	v_add_f64 v[5:6], v[5:6], v[7:8]
	v_add_f64 v[7:8], v[20:21], -v[28:29]
	v_add_f64 v[11:12], v[7:8], v[5:6]
	v_mul_f64 v[13:14], v[11:12], s[0:1]
	v_add_f64 v[7:8], v[11:12], -v[7:8]
	v_fma_f64 v[15:16], v[11:12], s[0:1], -v[13:14]
	v_add_f64 v[5:6], v[5:6], -v[7:8]
	v_fma_f64 v[7:8], v[11:12], s[4:5], v[15:16]
	v_fma_f64 v[7:8], v[5:6], s[0:1], v[7:8]
	v_add_f64 v[5:6], v[13:14], v[7:8]
	v_add_f64 v[11:12], v[5:6], -v[13:14]
	v_add_f64 v[7:8], v[7:8], -v[11:12]
.LBB47_131:
	s_andn2_saveexec_b32 s0, s3
	s_cbranch_execz .LBB47_133
; %bb.132:
	s_mov_b32 s4, 0x6dc9c883
	s_mov_b32 s5, 0x3fe45f30
	;; [unrolled: 1-line block ×3, first 2 shown]
	v_mul_f64 v[5:6], |v[3:4]|, s[4:5]
	s_mov_b32 s4, 0x54442d18
	s_mov_b32 s5, 0xbff921fb
	;; [unrolled: 1-line block ×3, first 2 shown]
	v_rndne_f64_e32 v[10:11], v[5:6]
	v_fma_f64 v[5:6], v[10:11], s[4:5], |v[3:4]|
	v_mul_f64 v[7:8], v[10:11], s[36:37]
	s_mov_b32 s4, 0x252049c0
	s_mov_b32 s5, 0xb97b839a
	v_fma_f64 v[14:15], v[10:11], s[36:37], v[5:6]
	v_add_f64 v[12:13], v[5:6], v[7:8]
	s_mov_b32 s37, 0x3c91a626
	v_add_f64 v[5:6], v[5:6], -v[12:13]
	v_add_f64 v[12:13], v[12:13], -v[14:15]
	v_add_f64 v[5:6], v[5:6], v[7:8]
	v_fma_f64 v[7:8], v[10:11], s[36:37], v[7:8]
	v_add_f64 v[5:6], v[12:13], v[5:6]
	v_add_f64 v[5:6], v[5:6], -v[7:8]
	v_fma_f64 v[7:8], v[10:11], s[4:5], v[5:6]
	v_cvt_i32_f64_e32 v10, v[10:11]
	v_add_f64 v[5:6], v[14:15], v[7:8]
	v_add_f64 v[12:13], v[5:6], -v[14:15]
	v_add_f64 v[7:8], v[7:8], -v[12:13]
.LBB47_133:
	s_or_b32 exec_lo, exec_lo, s0
	v_mul_f64 v[11:12], v[5:6], v[5:6]
	s_mov_b32 s0, 0xb42fdfa7
	s_mov_b32 s4, 0xf9a43bb8
	;; [unrolled: 1-line block ×6, first 2 shown]
	v_mul_f64 v[21:22], v[7:8], 0.5
	v_add_f64 v[1:2], -v[1:2], 1.0
	v_fma_f64 v[13:14], v[11:12], s[4:5], s[0:1]
	s_mov_b32 s0, 0x9037ab78
	s_mov_b32 s4, 0x46cc5e42
	;; [unrolled: 1-line block ×4, first 2 shown]
	v_mul_f64 v[17:18], v[11:12], 0.5
	v_fma_f64 v[15:16], v[11:12], s[4:5], s[0:1]
	s_mov_b32 s0, 0xa17f65f6
	s_mov_b32 s4, 0x19e83e5c
	;; [unrolled: 1-line block ×4, first 2 shown]
	v_mul_f64 v[23:24], v[5:6], -v[11:12]
	v_fma_f64 v[13:14], v[11:12], v[13:14], s[36:37]
	v_add_f64 v[19:20], -v[17:18], 1.0
	v_fma_f64 v[15:16], v[11:12], v[15:16], s[0:1]
	s_mov_b32 s0, 0x19f4ec90
	s_mov_b32 s1, 0x3efa01a0
	v_fma_f64 v[13:14], v[11:12], v[13:14], s[4:5]
	s_mov_b32 s4, 0x11110bb3
	s_mov_b32 s5, 0x3f811111
	v_add_f64 v[25:26], -v[19:20], 1.0
	v_fma_f64 v[15:16], v[11:12], v[15:16], s[0:1]
	s_mov_b32 s0, 0x16c16967
	s_mov_b32 s1, 0xbf56c16c
	v_fma_f64 v[13:14], v[11:12], v[13:14], s[4:5]
	v_add_f64 v[17:18], v[25:26], -v[17:18]
	v_fma_f64 v[15:16], v[11:12], v[15:16], s[0:1]
	s_mov_b32 s1, 0x3fa55555
	s_mov_b32 s0, 0x55555555
	v_fma_f64 v[13:14], v[23:24], v[13:14], v[21:22]
	v_mul_f64 v[21:22], v[11:12], v[11:12]
	v_fma_f64 v[17:18], v[5:6], -v[7:8], v[17:18]
	v_fma_f64 v[15:16], v[11:12], v[15:16], s[0:1]
	s_mov_b32 s1, 0xbfc55555
	v_fma_f64 v[7:8], v[11:12], v[13:14], -v[7:8]
	v_fma_f64 v[11:12], v[21:22], v[15:16], v[17:18]
	v_fma_f64 v[7:8], v[23:24], s[0:1], v[7:8]
	v_cmp_class_f64_e64 s0, v[3:4], 0x1f8
	v_lshlrev_b32_e32 v3, 30, v10
	v_add_f64 v[11:12], v[19:20], v[11:12]
	v_xor_b32_e32 v3, v3, v4
	v_and_b32_e32 v3, 0x80000000, v3
	v_add_f64 v[5:6], v[5:6], -v[7:8]
	v_and_b32_e32 v7, 1, v10
	v_cmp_eq_u32_e32 vcc_lo, 0, v7
	v_cndmask_b32_e32 v4, v12, v6, vcc_lo
	v_cndmask_b32_e32 v5, v11, v5, vcc_lo
	v_xor_b32_e32 v4, v4, v3
	v_cndmask_b32_e64 v3, 0, v5, s0
	v_cndmask_b32_e64 v4, 0x7ff80000, v4, s0
	s_mov_b32 s0, 0xc9be45de
	s_mov_b32 s1, 0xc023bd3c
	v_mul_f64 v[3:4], v[3:4], v[3:4]
	v_div_scale_f64 v[5:6], null, v[3:4], v[3:4], s[0:1]
	v_div_scale_f64 v[12:13], vcc_lo, s[0:1], v[3:4], s[0:1]
	v_rcp_f64_e32 v[7:8], v[5:6]
	v_fma_f64 v[10:11], -v[5:6], v[7:8], 1.0
	v_fma_f64 v[7:8], v[7:8], v[10:11], v[7:8]
	v_fma_f64 v[10:11], -v[5:6], v[7:8], 1.0
	v_fma_f64 v[7:8], v[7:8], v[10:11], v[7:8]
	v_mul_f64 v[10:11], v[12:13], v[7:8]
	v_fma_f64 v[5:6], -v[5:6], v[10:11], v[12:13]
	v_div_fmas_f64 v[5:6], v[5:6], v[7:8], v[10:11]
	v_div_fixup_f64 v[3:4], v[5:6], v[3:4], s[0:1]
	v_add_f64 v[5:6], v[3:4], 0
	v_mov_b32_e32 v3, 0
	v_mov_b32_e32 v4, 0xbff00000
.LBB47_134:
	s_or_b32 exec_lo, exec_lo, s2
	v_add_f64 v[7:8], v[1:2], 1.0
	v_mul_f64 v[1:2], v[1:2], v[1:2]
	v_add_nc_u32_e32 v9, 0x80, v9
	v_add_f64 v[10:11], v[7:8], 1.0
	v_mul_f64 v[7:8], v[7:8], v[7:8]
	v_div_scale_f64 v[22:23], null, v[1:2], v[1:2], 1.0
	v_div_scale_f64 v[70:71], vcc_lo, 1.0, v[1:2], 1.0
	v_add_f64 v[12:13], v[10:11], 1.0
	v_mul_f64 v[10:11], v[10:11], v[10:11]
	v_div_scale_f64 v[24:25], null, v[7:8], v[7:8], 1.0
	v_rcp_f64_e32 v[38:39], v[22:23]
	v_add_f64 v[14:15], v[12:13], 1.0
	v_mul_f64 v[12:13], v[12:13], v[12:13]
	v_div_scale_f64 v[26:27], null, v[10:11], v[10:11], 1.0
	v_rcp_f64_e32 v[40:41], v[24:25]
	v_fma_f64 v[54:55], -v[22:23], v[38:39], 1.0
	v_add_f64 v[16:17], v[14:15], 1.0
	v_mul_f64 v[14:15], v[14:15], v[14:15]
	v_div_scale_f64 v[28:29], null, v[12:13], v[12:13], 1.0
	v_rcp_f64_e32 v[42:43], v[26:27]
	v_fma_f64 v[56:57], -v[24:25], v[40:41], 1.0
	v_fma_f64 v[38:39], v[38:39], v[54:55], v[38:39]
	v_add_f64 v[18:19], v[16:17], 1.0
	v_mul_f64 v[16:17], v[16:17], v[16:17]
	v_div_scale_f64 v[30:31], null, v[14:15], v[14:15], 1.0
	v_rcp_f64_e32 v[44:45], v[28:29]
	v_fma_f64 v[58:59], -v[26:27], v[42:43], 1.0
	v_fma_f64 v[40:41], v[40:41], v[56:57], v[40:41]
	v_fma_f64 v[56:57], -v[22:23], v[38:39], 1.0
	v_mul_f64 v[20:21], v[18:19], v[18:19]
	v_div_scale_f64 v[32:33], null, v[16:17], v[16:17], 1.0
	v_add_f64 v[34:35], v[18:19], v[18:19]
	v_rcp_f64_e32 v[46:47], v[30:31]
	v_fma_f64 v[60:61], -v[28:29], v[44:45], 1.0
	v_fma_f64 v[42:43], v[42:43], v[58:59], v[42:43]
	v_fma_f64 v[58:59], -v[24:25], v[40:41], 1.0
	v_fma_f64 v[38:39], v[38:39], v[56:57], v[38:39]
	v_div_scale_f64 v[56:57], s0, 1.0, v[7:8], 1.0
	v_div_scale_f64 v[36:37], null, v[20:21], v[20:21], 1.0
	v_rcp_f64_e32 v[48:49], v[32:33]
	v_div_scale_f64 v[50:51], null, v[34:35], v[34:35], 1.0
	v_div_scale_f64 v[72:73], s5, 1.0, v[20:21], 1.0
	v_fma_f64 v[62:63], -v[30:31], v[46:47], 1.0
	v_fma_f64 v[44:45], v[44:45], v[60:61], v[44:45]
	v_fma_f64 v[60:61], -v[26:27], v[42:43], 1.0
	v_fma_f64 v[40:41], v[40:41], v[58:59], v[40:41]
	v_div_scale_f64 v[58:59], s1, 1.0, v[10:11], 1.0
	v_div_scale_f64 v[82:83], s6, 1.0, v[34:35], 1.0
	v_rcp_f64_e32 v[52:53], v[36:37]
	v_rcp_f64_e32 v[64:65], v[50:51]
	v_fma_f64 v[66:67], -v[32:33], v[48:49], 1.0
	v_fma_f64 v[46:47], v[46:47], v[62:63], v[46:47]
	v_fma_f64 v[62:63], -v[28:29], v[44:45], 1.0
	v_fma_f64 v[42:43], v[42:43], v[60:61], v[42:43]
	v_div_scale_f64 v[60:61], s2, 1.0, v[12:13], 1.0
	v_mul_f64 v[74:75], v[56:57], v[40:41]
	v_fma_f64 v[68:69], -v[36:37], v[52:53], 1.0
	v_fma_f64 v[48:49], v[48:49], v[66:67], v[48:49]
	v_fma_f64 v[54:55], -v[50:51], v[64:65], 1.0
	v_fma_f64 v[66:67], -v[30:31], v[46:47], 1.0
	v_fma_f64 v[44:45], v[44:45], v[62:63], v[44:45]
	v_div_scale_f64 v[62:63], s3, 1.0, v[14:15], 1.0
	v_mul_f64 v[76:77], v[58:59], v[42:43]
	v_fma_f64 v[24:25], -v[24:25], v[74:75], v[56:57]
	v_fma_f64 v[52:53], v[52:53], v[68:69], v[52:53]
	v_fma_f64 v[68:69], -v[32:33], v[48:49], 1.0
	v_fma_f64 v[54:55], v[64:65], v[54:55], v[64:65]
	v_fma_f64 v[46:47], v[46:47], v[66:67], v[46:47]
	v_div_scale_f64 v[66:67], s4, 1.0, v[16:17], 1.0
	v_mul_f64 v[78:79], v[60:61], v[44:45]
	v_fma_f64 v[26:27], -v[26:27], v[76:77], v[58:59]
	v_fma_f64 v[64:65], -v[36:37], v[52:53], 1.0
	v_fma_f64 v[48:49], v[48:49], v[68:69], v[48:49]
	v_fma_f64 v[68:69], -v[50:51], v[54:55], 1.0
	v_mul_f64 v[80:81], v[62:63], v[46:47]
	v_fma_f64 v[28:29], -v[28:29], v[78:79], v[60:61]
	v_fma_f64 v[52:53], v[52:53], v[64:65], v[52:53]
	v_mul_f64 v[64:65], v[70:71], v[38:39]
	v_mul_f64 v[84:85], v[66:67], v[48:49]
	v_fma_f64 v[54:55], v[54:55], v[68:69], v[54:55]
	v_fma_f64 v[30:31], -v[30:31], v[80:81], v[62:63]
	v_mul_f64 v[68:69], v[72:73], v[52:53]
	v_fma_f64 v[22:23], -v[22:23], v[64:65], v[70:71]
	v_fma_f64 v[32:33], -v[32:33], v[84:85], v[66:67]
	v_mul_f64 v[56:57], v[82:83], v[54:55]
	v_fma_f64 v[36:37], -v[36:37], v[68:69], v[72:73]
	v_div_fmas_f64 v[22:23], v[22:23], v[38:39], v[64:65]
	s_mov_b32 vcc_lo, s0
	v_fma_f64 v[38:39], -v[50:51], v[56:57], v[82:83]
	v_div_fmas_f64 v[24:25], v[24:25], v[40:41], v[74:75]
	s_mov_b32 vcc_lo, s1
	s_mov_b32 s0, 0x11111111
	v_div_fmas_f64 v[26:27], v[26:27], v[42:43], v[76:77]
	s_mov_b32 vcc_lo, s2
	s_mov_b32 s1, 0x3fa11111
	;; [unrolled: 3-line block ×4, first 2 shown]
	v_div_fmas_f64 v[32:33], v[32:33], v[48:49], v[84:85]
	s_mov_b32 vcc_lo, s5
	v_div_fmas_f64 v[36:37], v[36:37], v[52:53], v[68:69]
	s_mov_b32 vcc_lo, s6
	v_div_fixup_f64 v[1:2], v[22:23], v[1:2], 1.0
	v_div_fmas_f64 v[38:39], v[38:39], v[54:55], v[56:57]
	v_div_fixup_f64 v[20:21], v[36:37], v[20:21], 1.0
	v_add_f64 v[1:2], v[5:6], v[1:2]
	v_div_fixup_f64 v[34:35], v[38:39], v[34:35], 1.0
	v_div_fixup_f64 v[5:6], v[24:25], v[7:8], 1.0
	v_fma_f64 v[36:37], v[20:21], s[2:3], s[0:1]
	s_mov_b32 s0, 0x55555555
	s_mov_b32 s1, 0x3fc55555
	v_add_f64 v[34:35], v[34:35], 1.0
	v_add_f64 v[1:2], v[1:2], v[5:6]
	v_div_fixup_f64 v[5:6], v[26:27], v[10:11], 1.0
	v_fma_f64 v[36:37], -v[20:21], v[36:37], s[0:1]
	v_add_f64 v[1:2], v[1:2], v[5:6]
	v_div_fixup_f64 v[5:6], v[28:29], v[12:13], 1.0
	v_fma_f64 v[20:21], v[20:21], v[36:37], v[34:35]
	v_add_f64 v[1:2], v[1:2], v[5:6]
	v_div_fixup_f64 v[5:6], v[30:31], v[14:15], 1.0
	v_div_scale_f64 v[34:35], null, v[18:19], v[18:19], v[20:21]
	v_div_scale_f64 v[10:11], vcc_lo, v[20:21], v[18:19], v[20:21]
	v_add_f64 v[1:2], v[1:2], v[5:6]
	v_div_fixup_f64 v[5:6], v[32:33], v[16:17], 1.0
	v_rcp_f64_e32 v[36:37], v[34:35]
	v_add_f64 v[1:2], v[1:2], v[5:6]
	v_fma_f64 v[38:39], -v[34:35], v[36:37], 1.0
	v_fma_f64 v[22:23], v[36:37], v[38:39], v[36:37]
	v_fma_f64 v[7:8], -v[34:35], v[22:23], 1.0
	v_fma_f64 v[7:8], v[22:23], v[7:8], v[22:23]
	v_mul_f64 v[12:13], v[10:11], v[7:8]
	v_fma_f64 v[10:11], -v[34:35], v[12:13], v[10:11]
	v_div_fmas_f64 v[7:8], v[10:11], v[7:8], v[12:13]
	v_div_fixup_f64 v[5:6], v[7:8], v[18:19], v[20:21]
	v_add_f64 v[1:2], v[1:2], v[5:6]
	v_mul_f64 v[1:2], v[3:4], v[1:2]
	global_store_dwordx2 v0, v[1:2], s[8:9]
	s_or_b32 exec_lo, exec_lo, s34
	s_mov_b32 s34, exec_lo
	v_cmpx_gt_i32_e64 s30, v9
	s_cbranch_execnz .LBB47_114
.LBB47_135:
	s_or_b32 exec_lo, exec_lo, s34
	v_cmp_gt_i32_e32 vcc_lo, s30, v9
	s_and_saveexec_b32 s30, vcc_lo
	s_cbranch_execnz .LBB47_152
.LBB47_136:
	s_or_b32 exec_lo, exec_lo, s30
                                        ; implicit-def: $vgpr7
                                        ; implicit-def: $vgpr9
	s_andn2_saveexec_b32 s0, s28
	s_cbranch_execnz .LBB47_8
.LBB47_137:
	s_endpgm
.LBB47_138:
	v_mov_b32_e32 v0, 0
	v_mov_b32_e32 v2, 0
	;; [unrolled: 1-line block ×3, first 2 shown]
	s_mov_b32 s4, 0
.LBB47_139:
	s_and_b32 s5, s5, 3
	s_cmp_eq_u32 s5, 0
	s_cbranch_scc1 .LBB47_142
; %bb.140:
	s_lshl_b32 s0, s4, 3
	s_mul_i32 s2, s4, 12
	s_add_u32 s0, s20, s0
	s_addc_u32 s1, s21, 0
	s_add_u32 s0, s0, 0xc4
	s_addc_u32 s1, s1, 0
	s_add_u32 s2, s20, s2
	s_addc_u32 s3, s21, 0
	.p2align	6
.LBB47_141:                             ; =>This Inner Loop Header: Depth=1
	s_clause 0x1
	s_load_dwordx2 s[36:37], s[2:3], 0x4
	s_load_dword s4, s[2:3], 0xc
	s_load_dwordx2 s[38:39], s[0:1], 0x0
	s_add_u32 s2, s2, 12
	s_addc_u32 s3, s3, 0
	s_add_u32 s0, s0, 8
	s_addc_u32 s1, s1, 0
	s_add_i32 s5, s5, -1
	s_cmp_lg_u32 s5, 0
	s_waitcnt lgkmcnt(0)
	v_mul_hi_u32 v3, s37, v1
	v_add_nc_u32_e32 v3, v1, v3
	v_lshrrev_b32_e32 v4, s4, v3
	v_mul_lo_u32 v3, v4, s36
	v_sub_nc_u32_e32 v3, v1, v3
	v_mad_u64_u32 v[0:1], null, v3, s38, v[0:1]
	v_mad_u64_u32 v[2:3], null, v3, s39, v[2:3]
	v_mov_b32_e32 v1, v4
	s_cbranch_scc1 .LBB47_141
.LBB47_142:
	s_cbranch_execnz .LBB47_145
.LBB47_143:
	s_waitcnt lgkmcnt(0)
	v_mul_hi_u32 v0, s17, v9
	s_andn2_b32 vcc_lo, exec_lo, s29
	v_add_nc_u32_e32 v0, v9, v0
	v_lshrrev_b32_e32 v1, s18, v0
	v_mul_lo_u32 v0, v1, s16
	v_sub_nc_u32_e32 v2, v9, v0
	v_mul_lo_u32 v0, v2, s12
	v_mul_lo_u32 v2, v2, s13
	s_cbranch_vccnz .LBB47_145
; %bb.144:
	v_mul_hi_u32 v3, s22, v1
	v_add_nc_u32_e32 v3, v1, v3
	v_lshrrev_b32_e32 v3, s23, v3
	v_mul_lo_u32 v3, v3, s19
	v_sub_nc_u32_e32 v3, v1, v3
	v_mad_u64_u32 v[0:1], null, v3, s14, v[0:1]
	v_mad_u64_u32 v[2:3], null, v3, s15, v[2:3]
.LBB47_145:
	s_waitcnt lgkmcnt(0)
	global_load_dwordx2 v[1:2], v2, s[10:11]
	v_mov_b32_e32 v5, 0
	v_mov_b32_e32 v3, 0
	;; [unrolled: 1-line block ×4, first 2 shown]
	s_mov_b32 s2, exec_lo
	s_waitcnt vmcnt(0)
	v_cmpx_gt_f64_e32 0.5, v[1:2]
	s_cbranch_execz .LBB47_151
; %bb.146:
	s_mov_b32 s1, 0x400921fb
	s_mov_b32 s0, 0x54442d18
	s_mov_b32 s3, exec_lo
	v_mul_f64 v[3:4], v[1:2], s[0:1]
                                        ; implicit-def: $vgpr10
                                        ; implicit-def: $vgpr5_vgpr6
                                        ; implicit-def: $vgpr7_vgpr8
	v_cmpx_ngt_f64_e64 0x41d00000, |v[3:4]|
	s_xor_b32 s3, exec_lo, s3
	s_cbranch_execz .LBB47_148
; %bb.147:
	v_ldexp_f64 v[5:6], |v[3:4]|, 0xffffff80
	v_cmp_le_f64_e64 vcc_lo, 0x7b000000, |v[3:4]|
	v_trig_preop_f64 v[7:8], |v[3:4]|, 0
	v_and_b32_e32 v10, 0x7fffffff, v4
	v_trig_preop_f64 v[20:21], |v[3:4]|, 2
	v_mov_b32_e32 v28, 0
	s_mov_b32 s1, 0x3ff921fb
	s_mov_b32 s4, 0x33145c07
	;; [unrolled: 1-line block ×3, first 2 shown]
	v_cndmask_b32_e32 v6, v10, v6, vcc_lo
	v_cndmask_b32_e32 v5, v3, v5, vcc_lo
	v_trig_preop_f64 v[10:11], |v[3:4]|, 1
	v_mul_f64 v[12:13], v[7:8], v[5:6]
	v_mul_f64 v[26:27], v[20:21], v[5:6]
	;; [unrolled: 1-line block ×3, first 2 shown]
	v_fma_f64 v[7:8], v[7:8], v[5:6], -v[12:13]
	v_fma_f64 v[10:11], v[10:11], v[5:6], -v[14:15]
	;; [unrolled: 1-line block ×3, first 2 shown]
	v_add_f64 v[16:17], v[14:15], v[7:8]
	v_add_f64 v[18:19], v[16:17], -v[14:15]
	v_add_f64 v[24:25], v[12:13], v[16:17]
	v_add_f64 v[22:23], v[16:17], -v[18:19]
	v_add_f64 v[7:8], v[7:8], -v[18:19]
	v_ldexp_f64 v[18:19], v[24:25], -2
	v_add_f64 v[12:13], v[24:25], -v[12:13]
	v_add_f64 v[14:15], v[14:15], -v[22:23]
	v_add_f64 v[22:23], v[26:27], v[10:11]
	v_cmp_neq_f64_e64 vcc_lo, 0x7ff00000, |v[18:19]|
	v_add_f64 v[12:13], v[16:17], -v[12:13]
	v_add_f64 v[7:8], v[7:8], v[14:15]
	v_fract_f64_e32 v[14:15], v[18:19]
	v_add_f64 v[16:17], v[22:23], v[7:8]
	v_ldexp_f64 v[14:15], v[14:15], 2
	v_add_f64 v[18:19], v[12:13], v[16:17]
	v_cndmask_b32_e32 v15, 0, v15, vcc_lo
	v_cndmask_b32_e32 v14, 0, v14, vcc_lo
	v_add_f64 v[24:25], v[18:19], v[14:15]
	v_add_f64 v[12:13], v[18:19], -v[12:13]
	v_cmp_gt_f64_e32 vcc_lo, 0, v[24:25]
	v_add_f64 v[24:25], v[22:23], -v[26:27]
	v_cndmask_b32_e64 v29, 0, 0x40100000, vcc_lo
	v_add_f64 v[33:34], v[22:23], -v[24:25]
	v_add_f64 v[10:11], v[10:11], -v[24:25]
	v_add_f64 v[14:15], v[14:15], v[28:29]
	v_add_f64 v[29:30], v[16:17], -v[22:23]
	v_add_f64 v[24:25], v[26:27], -v[33:34]
	v_add_f64 v[31:32], v[18:19], v[14:15]
	;; [unrolled: 3-line block ×3, first 2 shown]
	v_cvt_i32_f64_e32 v31, v[31:32]
	v_add_f64 v[22:23], v[22:23], -v[35:36]
	v_cvt_f64_i32_e32 v[29:30], v31
	v_add_f64 v[7:8], v[7:8], v[22:23]
	v_add_f64 v[14:15], v[14:15], -v[29:30]
	v_add_f64 v[7:8], v[10:11], v[7:8]
	v_add_f64 v[10:11], v[16:17], -v[12:13]
	v_add_f64 v[20:21], v[18:19], v[14:15]
	v_add_f64 v[5:6], v[5:6], v[7:8]
	v_add_f64 v[7:8], v[20:21], -v[14:15]
	v_cmp_le_f64_e32 vcc_lo, 0.5, v[20:21]
	v_add_f64 v[5:6], v[10:11], v[5:6]
	v_add_f64 v[7:8], v[18:19], -v[7:8]
	v_cndmask_b32_e64 v29, 0, 0x3ff00000, vcc_lo
	v_add_co_ci_u32_e64 v10, null, 0, v31, vcc_lo
	v_add_f64 v[5:6], v[5:6], v[7:8]
	v_add_f64 v[7:8], v[20:21], -v[28:29]
	v_add_f64 v[11:12], v[7:8], v[5:6]
	v_mul_f64 v[13:14], v[11:12], s[0:1]
	v_add_f64 v[7:8], v[11:12], -v[7:8]
	v_fma_f64 v[15:16], v[11:12], s[0:1], -v[13:14]
	v_add_f64 v[5:6], v[5:6], -v[7:8]
	v_fma_f64 v[7:8], v[11:12], s[4:5], v[15:16]
	v_fma_f64 v[7:8], v[5:6], s[0:1], v[7:8]
	v_add_f64 v[5:6], v[13:14], v[7:8]
	v_add_f64 v[11:12], v[5:6], -v[13:14]
	v_add_f64 v[7:8], v[7:8], -v[11:12]
.LBB47_148:
	s_andn2_saveexec_b32 s0, s3
	s_cbranch_execz .LBB47_150
; %bb.149:
	s_mov_b32 s4, 0x6dc9c883
	s_mov_b32 s5, 0x3fe45f30
	;; [unrolled: 1-line block ×3, first 2 shown]
	v_mul_f64 v[5:6], |v[3:4]|, s[4:5]
	s_mov_b32 s4, 0x54442d18
	s_mov_b32 s5, 0xbff921fb
	;; [unrolled: 1-line block ×3, first 2 shown]
	v_rndne_f64_e32 v[10:11], v[5:6]
	v_fma_f64 v[5:6], v[10:11], s[4:5], |v[3:4]|
	v_mul_f64 v[7:8], v[10:11], s[36:37]
	s_mov_b32 s4, 0x252049c0
	s_mov_b32 s5, 0xb97b839a
	v_fma_f64 v[14:15], v[10:11], s[36:37], v[5:6]
	v_add_f64 v[12:13], v[5:6], v[7:8]
	s_mov_b32 s37, 0x3c91a626
	v_add_f64 v[5:6], v[5:6], -v[12:13]
	v_add_f64 v[12:13], v[12:13], -v[14:15]
	v_add_f64 v[5:6], v[5:6], v[7:8]
	v_fma_f64 v[7:8], v[10:11], s[36:37], v[7:8]
	v_add_f64 v[5:6], v[12:13], v[5:6]
	v_add_f64 v[5:6], v[5:6], -v[7:8]
	v_fma_f64 v[7:8], v[10:11], s[4:5], v[5:6]
	v_cvt_i32_f64_e32 v10, v[10:11]
	v_add_f64 v[5:6], v[14:15], v[7:8]
	v_add_f64 v[12:13], v[5:6], -v[14:15]
	v_add_f64 v[7:8], v[7:8], -v[12:13]
.LBB47_150:
	s_or_b32 exec_lo, exec_lo, s0
	v_mul_f64 v[11:12], v[5:6], v[5:6]
	s_mov_b32 s0, 0xb42fdfa7
	s_mov_b32 s4, 0xf9a43bb8
	;; [unrolled: 1-line block ×6, first 2 shown]
	v_mul_f64 v[21:22], v[7:8], 0.5
	v_add_f64 v[1:2], -v[1:2], 1.0
	v_fma_f64 v[13:14], v[11:12], s[4:5], s[0:1]
	s_mov_b32 s0, 0x9037ab78
	s_mov_b32 s4, 0x46cc5e42
	;; [unrolled: 1-line block ×4, first 2 shown]
	v_mul_f64 v[17:18], v[11:12], 0.5
	v_fma_f64 v[15:16], v[11:12], s[4:5], s[0:1]
	s_mov_b32 s0, 0xa17f65f6
	s_mov_b32 s4, 0x19e83e5c
	;; [unrolled: 1-line block ×4, first 2 shown]
	v_mul_f64 v[23:24], v[5:6], -v[11:12]
	v_fma_f64 v[13:14], v[11:12], v[13:14], s[36:37]
	v_add_f64 v[19:20], -v[17:18], 1.0
	v_fma_f64 v[15:16], v[11:12], v[15:16], s[0:1]
	s_mov_b32 s0, 0x19f4ec90
	s_mov_b32 s1, 0x3efa01a0
	v_fma_f64 v[13:14], v[11:12], v[13:14], s[4:5]
	s_mov_b32 s4, 0x11110bb3
	s_mov_b32 s5, 0x3f811111
	v_add_f64 v[25:26], -v[19:20], 1.0
	v_fma_f64 v[15:16], v[11:12], v[15:16], s[0:1]
	s_mov_b32 s0, 0x16c16967
	s_mov_b32 s1, 0xbf56c16c
	v_fma_f64 v[13:14], v[11:12], v[13:14], s[4:5]
	v_add_f64 v[17:18], v[25:26], -v[17:18]
	v_fma_f64 v[15:16], v[11:12], v[15:16], s[0:1]
	s_mov_b32 s1, 0x3fa55555
	s_mov_b32 s0, 0x55555555
	v_fma_f64 v[13:14], v[23:24], v[13:14], v[21:22]
	v_mul_f64 v[21:22], v[11:12], v[11:12]
	v_fma_f64 v[17:18], v[5:6], -v[7:8], v[17:18]
	v_fma_f64 v[15:16], v[11:12], v[15:16], s[0:1]
	s_mov_b32 s1, 0xbfc55555
	v_fma_f64 v[7:8], v[11:12], v[13:14], -v[7:8]
	v_fma_f64 v[11:12], v[21:22], v[15:16], v[17:18]
	v_fma_f64 v[7:8], v[23:24], s[0:1], v[7:8]
	v_cmp_class_f64_e64 s0, v[3:4], 0x1f8
	v_lshlrev_b32_e32 v3, 30, v10
	v_add_f64 v[11:12], v[19:20], v[11:12]
	v_xor_b32_e32 v3, v3, v4
	v_and_b32_e32 v3, 0x80000000, v3
	v_add_f64 v[5:6], v[5:6], -v[7:8]
	v_and_b32_e32 v7, 1, v10
	v_cmp_eq_u32_e32 vcc_lo, 0, v7
	v_cndmask_b32_e32 v4, v12, v6, vcc_lo
	v_cndmask_b32_e32 v5, v11, v5, vcc_lo
	v_xor_b32_e32 v4, v4, v3
	v_cndmask_b32_e64 v3, 0, v5, s0
	v_cndmask_b32_e64 v4, 0x7ff80000, v4, s0
	s_mov_b32 s0, 0xc9be45de
	s_mov_b32 s1, 0xc023bd3c
	v_mul_f64 v[3:4], v[3:4], v[3:4]
	v_div_scale_f64 v[5:6], null, v[3:4], v[3:4], s[0:1]
	v_div_scale_f64 v[12:13], vcc_lo, s[0:1], v[3:4], s[0:1]
	v_rcp_f64_e32 v[7:8], v[5:6]
	v_fma_f64 v[10:11], -v[5:6], v[7:8], 1.0
	v_fma_f64 v[7:8], v[7:8], v[10:11], v[7:8]
	v_fma_f64 v[10:11], -v[5:6], v[7:8], 1.0
	v_fma_f64 v[7:8], v[7:8], v[10:11], v[7:8]
	v_mul_f64 v[10:11], v[12:13], v[7:8]
	v_fma_f64 v[5:6], -v[5:6], v[10:11], v[12:13]
	v_div_fmas_f64 v[5:6], v[5:6], v[7:8], v[10:11]
	v_div_fixup_f64 v[3:4], v[5:6], v[3:4], s[0:1]
	v_add_f64 v[5:6], v[3:4], 0
	v_mov_b32_e32 v3, 0
	v_mov_b32_e32 v4, 0xbff00000
.LBB47_151:
	s_or_b32 exec_lo, exec_lo, s2
	v_add_f64 v[7:8], v[1:2], 1.0
	v_mul_f64 v[1:2], v[1:2], v[1:2]
	v_add_nc_u32_e32 v9, 0x80, v9
	v_add_f64 v[10:11], v[7:8], 1.0
	v_mul_f64 v[7:8], v[7:8], v[7:8]
	v_div_scale_f64 v[22:23], null, v[1:2], v[1:2], 1.0
	v_div_scale_f64 v[70:71], vcc_lo, 1.0, v[1:2], 1.0
	v_add_f64 v[12:13], v[10:11], 1.0
	v_mul_f64 v[10:11], v[10:11], v[10:11]
	v_div_scale_f64 v[24:25], null, v[7:8], v[7:8], 1.0
	v_rcp_f64_e32 v[38:39], v[22:23]
	v_add_f64 v[14:15], v[12:13], 1.0
	v_mul_f64 v[12:13], v[12:13], v[12:13]
	v_div_scale_f64 v[26:27], null, v[10:11], v[10:11], 1.0
	v_rcp_f64_e32 v[40:41], v[24:25]
	v_fma_f64 v[54:55], -v[22:23], v[38:39], 1.0
	v_add_f64 v[16:17], v[14:15], 1.0
	v_mul_f64 v[14:15], v[14:15], v[14:15]
	v_div_scale_f64 v[28:29], null, v[12:13], v[12:13], 1.0
	v_rcp_f64_e32 v[42:43], v[26:27]
	v_fma_f64 v[56:57], -v[24:25], v[40:41], 1.0
	v_fma_f64 v[38:39], v[38:39], v[54:55], v[38:39]
	v_add_f64 v[18:19], v[16:17], 1.0
	v_mul_f64 v[16:17], v[16:17], v[16:17]
	v_div_scale_f64 v[30:31], null, v[14:15], v[14:15], 1.0
	v_rcp_f64_e32 v[44:45], v[28:29]
	v_fma_f64 v[58:59], -v[26:27], v[42:43], 1.0
	v_fma_f64 v[40:41], v[40:41], v[56:57], v[40:41]
	v_fma_f64 v[56:57], -v[22:23], v[38:39], 1.0
	v_mul_f64 v[20:21], v[18:19], v[18:19]
	v_div_scale_f64 v[32:33], null, v[16:17], v[16:17], 1.0
	v_add_f64 v[34:35], v[18:19], v[18:19]
	v_rcp_f64_e32 v[46:47], v[30:31]
	v_fma_f64 v[60:61], -v[28:29], v[44:45], 1.0
	v_fma_f64 v[42:43], v[42:43], v[58:59], v[42:43]
	v_fma_f64 v[58:59], -v[24:25], v[40:41], 1.0
	v_fma_f64 v[38:39], v[38:39], v[56:57], v[38:39]
	v_div_scale_f64 v[56:57], s0, 1.0, v[7:8], 1.0
	v_div_scale_f64 v[36:37], null, v[20:21], v[20:21], 1.0
	v_rcp_f64_e32 v[48:49], v[32:33]
	v_div_scale_f64 v[50:51], null, v[34:35], v[34:35], 1.0
	v_div_scale_f64 v[72:73], s5, 1.0, v[20:21], 1.0
	v_fma_f64 v[62:63], -v[30:31], v[46:47], 1.0
	v_fma_f64 v[44:45], v[44:45], v[60:61], v[44:45]
	v_fma_f64 v[60:61], -v[26:27], v[42:43], 1.0
	v_fma_f64 v[40:41], v[40:41], v[58:59], v[40:41]
	v_div_scale_f64 v[58:59], s1, 1.0, v[10:11], 1.0
	v_div_scale_f64 v[82:83], s6, 1.0, v[34:35], 1.0
	v_rcp_f64_e32 v[52:53], v[36:37]
	v_rcp_f64_e32 v[64:65], v[50:51]
	v_fma_f64 v[66:67], -v[32:33], v[48:49], 1.0
	v_fma_f64 v[46:47], v[46:47], v[62:63], v[46:47]
	v_fma_f64 v[62:63], -v[28:29], v[44:45], 1.0
	v_fma_f64 v[42:43], v[42:43], v[60:61], v[42:43]
	v_div_scale_f64 v[60:61], s2, 1.0, v[12:13], 1.0
	v_mul_f64 v[74:75], v[56:57], v[40:41]
	v_fma_f64 v[68:69], -v[36:37], v[52:53], 1.0
	v_fma_f64 v[48:49], v[48:49], v[66:67], v[48:49]
	v_fma_f64 v[54:55], -v[50:51], v[64:65], 1.0
	v_fma_f64 v[66:67], -v[30:31], v[46:47], 1.0
	v_fma_f64 v[44:45], v[44:45], v[62:63], v[44:45]
	v_div_scale_f64 v[62:63], s3, 1.0, v[14:15], 1.0
	v_mul_f64 v[76:77], v[58:59], v[42:43]
	v_fma_f64 v[24:25], -v[24:25], v[74:75], v[56:57]
	v_fma_f64 v[52:53], v[52:53], v[68:69], v[52:53]
	v_fma_f64 v[68:69], -v[32:33], v[48:49], 1.0
	v_fma_f64 v[54:55], v[64:65], v[54:55], v[64:65]
	v_fma_f64 v[46:47], v[46:47], v[66:67], v[46:47]
	v_div_scale_f64 v[66:67], s4, 1.0, v[16:17], 1.0
	v_mul_f64 v[78:79], v[60:61], v[44:45]
	v_fma_f64 v[26:27], -v[26:27], v[76:77], v[58:59]
	v_fma_f64 v[64:65], -v[36:37], v[52:53], 1.0
	v_fma_f64 v[48:49], v[48:49], v[68:69], v[48:49]
	v_fma_f64 v[68:69], -v[50:51], v[54:55], 1.0
	v_mul_f64 v[80:81], v[62:63], v[46:47]
	v_fma_f64 v[28:29], -v[28:29], v[78:79], v[60:61]
	v_fma_f64 v[52:53], v[52:53], v[64:65], v[52:53]
	v_mul_f64 v[64:65], v[70:71], v[38:39]
	v_mul_f64 v[84:85], v[66:67], v[48:49]
	v_fma_f64 v[54:55], v[54:55], v[68:69], v[54:55]
	v_fma_f64 v[30:31], -v[30:31], v[80:81], v[62:63]
	v_mul_f64 v[68:69], v[72:73], v[52:53]
	v_fma_f64 v[22:23], -v[22:23], v[64:65], v[70:71]
	v_fma_f64 v[32:33], -v[32:33], v[84:85], v[66:67]
	v_mul_f64 v[56:57], v[82:83], v[54:55]
	v_fma_f64 v[36:37], -v[36:37], v[68:69], v[72:73]
	v_div_fmas_f64 v[22:23], v[22:23], v[38:39], v[64:65]
	s_mov_b32 vcc_lo, s0
	v_fma_f64 v[38:39], -v[50:51], v[56:57], v[82:83]
	v_div_fmas_f64 v[24:25], v[24:25], v[40:41], v[74:75]
	s_mov_b32 vcc_lo, s1
	s_mov_b32 s0, 0x11111111
	v_div_fmas_f64 v[26:27], v[26:27], v[42:43], v[76:77]
	s_mov_b32 vcc_lo, s2
	s_mov_b32 s1, 0x3fa11111
	;; [unrolled: 3-line block ×4, first 2 shown]
	v_div_fmas_f64 v[32:33], v[32:33], v[48:49], v[84:85]
	s_mov_b32 vcc_lo, s5
	v_div_fmas_f64 v[36:37], v[36:37], v[52:53], v[68:69]
	s_mov_b32 vcc_lo, s6
	v_div_fixup_f64 v[1:2], v[22:23], v[1:2], 1.0
	v_div_fmas_f64 v[38:39], v[38:39], v[54:55], v[56:57]
	v_div_fixup_f64 v[20:21], v[36:37], v[20:21], 1.0
	v_add_f64 v[1:2], v[5:6], v[1:2]
	v_div_fixup_f64 v[34:35], v[38:39], v[34:35], 1.0
	v_div_fixup_f64 v[5:6], v[24:25], v[7:8], 1.0
	v_fma_f64 v[36:37], v[20:21], s[2:3], s[0:1]
	s_mov_b32 s0, 0x55555555
	s_mov_b32 s1, 0x3fc55555
	v_add_f64 v[34:35], v[34:35], 1.0
	v_add_f64 v[1:2], v[1:2], v[5:6]
	v_div_fixup_f64 v[5:6], v[26:27], v[10:11], 1.0
	v_fma_f64 v[36:37], -v[20:21], v[36:37], s[0:1]
	v_add_f64 v[1:2], v[1:2], v[5:6]
	v_div_fixup_f64 v[5:6], v[28:29], v[12:13], 1.0
	v_fma_f64 v[20:21], v[20:21], v[36:37], v[34:35]
	v_add_f64 v[1:2], v[1:2], v[5:6]
	v_div_fixup_f64 v[5:6], v[30:31], v[14:15], 1.0
	v_div_scale_f64 v[34:35], null, v[18:19], v[18:19], v[20:21]
	v_div_scale_f64 v[10:11], vcc_lo, v[20:21], v[18:19], v[20:21]
	v_add_f64 v[1:2], v[1:2], v[5:6]
	v_div_fixup_f64 v[5:6], v[32:33], v[16:17], 1.0
	v_rcp_f64_e32 v[36:37], v[34:35]
	v_add_f64 v[1:2], v[1:2], v[5:6]
	v_fma_f64 v[38:39], -v[34:35], v[36:37], 1.0
	v_fma_f64 v[22:23], v[36:37], v[38:39], v[36:37]
	v_fma_f64 v[7:8], -v[34:35], v[22:23], 1.0
	v_fma_f64 v[7:8], v[22:23], v[7:8], v[22:23]
	v_mul_f64 v[12:13], v[10:11], v[7:8]
	v_fma_f64 v[10:11], -v[34:35], v[12:13], v[10:11]
	v_div_fmas_f64 v[7:8], v[10:11], v[7:8], v[12:13]
	v_div_fixup_f64 v[5:6], v[7:8], v[18:19], v[20:21]
	v_add_f64 v[1:2], v[1:2], v[5:6]
	v_mul_f64 v[1:2], v[3:4], v[1:2]
	global_store_dwordx2 v0, v[1:2], s[8:9]
	s_or_b32 exec_lo, exec_lo, s34
	v_cmp_gt_i32_e32 vcc_lo, s30, v9
	s_and_saveexec_b32 s30, vcc_lo
	s_cbranch_execz .LBB47_136
.LBB47_152:
	s_andn2_b32 vcc_lo, exec_lo, s27
	s_cbranch_vccnz .LBB47_157
; %bb.153:
	s_andn2_b32 vcc_lo, exec_lo, s33
	s_cbranch_vccnz .LBB47_158
; %bb.154:
	s_add_i32 s31, s31, 1
	s_cmp_eq_u32 s26, 2
	s_cbranch_scc1 .LBB47_159
; %bb.155:
	v_mov_b32_e32 v2, 0
	v_mov_b32_e32 v0, 0
	;; [unrolled: 1-line block ×3, first 2 shown]
	s_and_b32 s2, s31, 28
	s_mov_b32 s3, 0
	s_mov_b64 s[0:1], s[20:21]
.LBB47_156:                             ; =>This Inner Loop Header: Depth=1
	s_clause 0x1
	s_load_dwordx8 s[36:43], s[0:1], 0x4
	s_load_dwordx4 s[52:55], s[0:1], 0x24
	s_load_dwordx8 s[44:51], s[24:25], 0x0
	s_add_u32 s0, s0, 48
	s_addc_u32 s1, s1, 0
	s_add_i32 s3, s3, 4
	s_add_u32 s24, s24, 32
	s_addc_u32 s25, s25, 0
	s_cmp_eq_u32 s2, s3
	s_waitcnt lgkmcnt(0)
	v_mul_hi_u32 v3, s37, v1
	v_add_nc_u32_e32 v3, v1, v3
	v_lshrrev_b32_e32 v3, s38, v3
	v_mul_hi_u32 v4, s40, v3
	v_mul_lo_u32 v6, v3, s36
	v_add_nc_u32_e32 v4, v3, v4
	v_sub_nc_u32_e32 v1, v1, v6
	v_lshrrev_b32_e32 v4, s41, v4
	v_mul_lo_u32 v6, v1, s44
	v_mul_lo_u32 v8, v1, s45
	v_mul_hi_u32 v5, s43, v4
	v_add_nc_u32_e32 v5, v4, v5
	v_lshrrev_b32_e32 v5, s52, v5
	v_mul_hi_u32 v7, s54, v5
	v_mul_lo_u32 v10, v5, s42
	v_add_nc_u32_e32 v1, v5, v7
	v_mul_lo_u32 v7, v4, s39
	v_sub_nc_u32_e32 v4, v4, v10
	v_lshrrev_b32_e32 v1, s55, v1
	v_mul_lo_u32 v10, v4, s48
	v_mul_lo_u32 v4, v4, s49
	v_sub_nc_u32_e32 v3, v3, v7
	v_mul_lo_u32 v11, v1, s53
	v_mul_lo_u32 v7, v3, s46
	;; [unrolled: 1-line block ×3, first 2 shown]
	v_sub_nc_u32_e32 v5, v5, v11
	v_add3_u32 v0, v6, v0, v7
	v_mul_lo_u32 v11, v5, s50
	v_mul_lo_u32 v5, v5, s51
	v_add3_u32 v2, v8, v2, v3
	v_add3_u32 v0, v10, v0, v11
	;; [unrolled: 1-line block ×3, first 2 shown]
	s_cbranch_scc0 .LBB47_156
	s_branch .LBB47_160
.LBB47_157:
                                        ; implicit-def: $vgpr0
                                        ; implicit-def: $vgpr2
	s_branch .LBB47_164
.LBB47_158:
	v_mov_b32_e32 v0, 0
	v_mov_b32_e32 v2, 0
	s_branch .LBB47_163
.LBB47_159:
	v_mov_b32_e32 v0, 0
	v_mov_b32_e32 v2, 0
	v_mov_b32_e32 v1, v9
	s_mov_b32 s2, 0
.LBB47_160:
	s_and_b32 s4, s31, 3
	s_cmp_eq_u32 s4, 0
	s_cbranch_scc1 .LBB47_163
; %bb.161:
	s_lshl_b32 s0, s2, 3
	s_mul_i32 s2, s2, 12
	s_add_u32 s0, s20, s0
	s_addc_u32 s1, s21, 0
	s_add_u32 s0, s0, 0xc4
	s_addc_u32 s1, s1, 0
	;; [unrolled: 2-line block ×3, first 2 shown]
	.p2align	6
.LBB47_162:                             ; =>This Inner Loop Header: Depth=1
	s_clause 0x1
	s_load_dwordx2 s[24:25], s[2:3], 0x4
	s_load_dword s5, s[2:3], 0xc
	s_load_dwordx2 s[34:35], s[0:1], 0x0
	s_add_u32 s2, s2, 12
	s_addc_u32 s3, s3, 0
	s_add_u32 s0, s0, 8
	s_addc_u32 s1, s1, 0
	s_add_i32 s4, s4, -1
	s_cmp_lg_u32 s4, 0
	s_waitcnt lgkmcnt(0)
	v_mul_hi_u32 v3, s25, v1
	v_add_nc_u32_e32 v3, v1, v3
	v_lshrrev_b32_e32 v4, s5, v3
	v_mul_lo_u32 v3, v4, s24
	v_sub_nc_u32_e32 v3, v1, v3
	v_mad_u64_u32 v[0:1], null, v3, s34, v[0:1]
	v_mad_u64_u32 v[2:3], null, v3, s35, v[2:3]
	v_mov_b32_e32 v1, v4
	s_cbranch_scc1 .LBB47_162
.LBB47_163:
	s_cbranch_execnz .LBB47_166
.LBB47_164:
	s_waitcnt lgkmcnt(0)
	v_mul_hi_u32 v0, s17, v9
	s_andn2_b32 vcc_lo, exec_lo, s29
	v_add_nc_u32_e32 v0, v9, v0
	v_lshrrev_b32_e32 v1, s18, v0
	v_mul_lo_u32 v0, v1, s16
	v_sub_nc_u32_e32 v2, v9, v0
	v_mul_lo_u32 v0, v2, s12
	v_mul_lo_u32 v2, v2, s13
	s_cbranch_vccnz .LBB47_166
; %bb.165:
	v_mul_hi_u32 v3, s22, v1
	v_add_nc_u32_e32 v3, v1, v3
	v_lshrrev_b32_e32 v3, s23, v3
	v_mul_lo_u32 v3, v3, s19
	v_sub_nc_u32_e32 v3, v1, v3
	v_mad_u64_u32 v[0:1], null, v3, s14, v[0:1]
	v_mad_u64_u32 v[2:3], null, v3, s15, v[2:3]
.LBB47_166:
	s_waitcnt lgkmcnt(0)
	global_load_dwordx2 v[1:2], v2, s[10:11]
	v_mov_b32_e32 v5, 0
	v_mov_b32_e32 v3, 0
	;; [unrolled: 1-line block ×4, first 2 shown]
	s_mov_b32 s2, exec_lo
	s_waitcnt vmcnt(0)
	v_cmpx_gt_f64_e32 0.5, v[1:2]
	s_cbranch_execz .LBB47_172
; %bb.167:
	s_mov_b32 s1, 0x400921fb
	s_mov_b32 s0, 0x54442d18
	s_mov_b32 s3, exec_lo
	v_mul_f64 v[3:4], v[1:2], s[0:1]
                                        ; implicit-def: $vgpr9
                                        ; implicit-def: $vgpr5_vgpr6
                                        ; implicit-def: $vgpr7_vgpr8
	v_cmpx_ngt_f64_e64 0x41d00000, |v[3:4]|
	s_xor_b32 s3, exec_lo, s3
	s_cbranch_execz .LBB47_169
; %bb.168:
	v_ldexp_f64 v[5:6], |v[3:4]|, 0xffffff80
	v_cmp_le_f64_e64 vcc_lo, 0x7b000000, |v[3:4]|
	v_trig_preop_f64 v[7:8], |v[3:4]|, 0
	v_and_b32_e32 v9, 0x7fffffff, v4
	v_trig_preop_f64 v[19:20], |v[3:4]|, 2
	v_mov_b32_e32 v27, 0
	s_mov_b32 s1, 0x3ff921fb
	s_mov_b32 s4, 0x33145c07
	;; [unrolled: 1-line block ×3, first 2 shown]
	v_cndmask_b32_e32 v6, v9, v6, vcc_lo
	v_cndmask_b32_e32 v5, v3, v5, vcc_lo
	v_trig_preop_f64 v[9:10], |v[3:4]|, 1
	v_mul_f64 v[11:12], v[7:8], v[5:6]
	v_mul_f64 v[25:26], v[19:20], v[5:6]
	;; [unrolled: 1-line block ×3, first 2 shown]
	v_fma_f64 v[7:8], v[7:8], v[5:6], -v[11:12]
	v_fma_f64 v[9:10], v[9:10], v[5:6], -v[13:14]
	;; [unrolled: 1-line block ×3, first 2 shown]
	v_add_f64 v[15:16], v[13:14], v[7:8]
	v_add_f64 v[17:18], v[15:16], -v[13:14]
	v_add_f64 v[23:24], v[11:12], v[15:16]
	v_add_f64 v[21:22], v[15:16], -v[17:18]
	v_add_f64 v[7:8], v[7:8], -v[17:18]
	v_ldexp_f64 v[17:18], v[23:24], -2
	v_add_f64 v[11:12], v[23:24], -v[11:12]
	v_add_f64 v[13:14], v[13:14], -v[21:22]
	v_add_f64 v[21:22], v[25:26], v[9:10]
	v_cmp_neq_f64_e64 vcc_lo, 0x7ff00000, |v[17:18]|
	v_add_f64 v[11:12], v[15:16], -v[11:12]
	v_add_f64 v[7:8], v[7:8], v[13:14]
	v_fract_f64_e32 v[13:14], v[17:18]
	v_add_f64 v[15:16], v[21:22], v[7:8]
	v_ldexp_f64 v[13:14], v[13:14], 2
	v_add_f64 v[17:18], v[11:12], v[15:16]
	v_cndmask_b32_e32 v14, 0, v14, vcc_lo
	v_cndmask_b32_e32 v13, 0, v13, vcc_lo
	v_add_f64 v[23:24], v[17:18], v[13:14]
	v_add_f64 v[11:12], v[17:18], -v[11:12]
	v_cmp_gt_f64_e32 vcc_lo, 0, v[23:24]
	v_add_f64 v[23:24], v[21:22], -v[25:26]
	v_cndmask_b32_e64 v28, 0, 0x40100000, vcc_lo
	v_add_f64 v[32:33], v[21:22], -v[23:24]
	v_add_f64 v[9:10], v[9:10], -v[23:24]
	v_add_f64 v[13:14], v[13:14], v[27:28]
	v_add_f64 v[28:29], v[15:16], -v[21:22]
	v_add_f64 v[23:24], v[25:26], -v[32:33]
	v_add_f64 v[30:31], v[17:18], v[13:14]
	v_add_f64 v[34:35], v[15:16], -v[28:29]
	v_add_f64 v[7:8], v[7:8], -v[28:29]
	v_add_f64 v[9:10], v[9:10], v[23:24]
	v_cvt_i32_f64_e32 v30, v[30:31]
	v_add_f64 v[21:22], v[21:22], -v[34:35]
	v_cvt_f64_i32_e32 v[28:29], v30
	v_add_f64 v[7:8], v[7:8], v[21:22]
	v_add_f64 v[13:14], v[13:14], -v[28:29]
	v_add_f64 v[7:8], v[9:10], v[7:8]
	v_add_f64 v[9:10], v[15:16], -v[11:12]
	v_add_f64 v[19:20], v[17:18], v[13:14]
	v_add_f64 v[5:6], v[5:6], v[7:8]
	v_add_f64 v[7:8], v[19:20], -v[13:14]
	v_cmp_le_f64_e32 vcc_lo, 0.5, v[19:20]
	v_add_f64 v[5:6], v[9:10], v[5:6]
	v_add_f64 v[7:8], v[17:18], -v[7:8]
	v_cndmask_b32_e64 v28, 0, 0x3ff00000, vcc_lo
	v_add_co_ci_u32_e64 v9, null, 0, v30, vcc_lo
	v_add_f64 v[5:6], v[5:6], v[7:8]
	v_add_f64 v[7:8], v[19:20], -v[27:28]
	v_add_f64 v[10:11], v[7:8], v[5:6]
	v_mul_f64 v[12:13], v[10:11], s[0:1]
	v_add_f64 v[7:8], v[10:11], -v[7:8]
	v_fma_f64 v[14:15], v[10:11], s[0:1], -v[12:13]
	v_add_f64 v[5:6], v[5:6], -v[7:8]
	v_fma_f64 v[7:8], v[10:11], s[4:5], v[14:15]
	v_fma_f64 v[7:8], v[5:6], s[0:1], v[7:8]
	v_add_f64 v[5:6], v[12:13], v[7:8]
	v_add_f64 v[10:11], v[5:6], -v[12:13]
	v_add_f64 v[7:8], v[7:8], -v[10:11]
.LBB47_169:
	s_andn2_saveexec_b32 s0, s3
	s_cbranch_execz .LBB47_171
; %bb.170:
	s_mov_b32 s4, 0x6dc9c883
	s_mov_b32 s5, 0x3fe45f30
	s_mov_b32 s11, 0xbc91a626
	v_mul_f64 v[5:6], |v[3:4]|, s[4:5]
	s_mov_b32 s4, 0x54442d18
	s_mov_b32 s5, 0xbff921fb
	;; [unrolled: 1-line block ×3, first 2 shown]
	v_rndne_f64_e32 v[9:10], v[5:6]
	v_fma_f64 v[5:6], v[9:10], s[4:5], |v[3:4]|
	v_mul_f64 v[7:8], v[9:10], s[10:11]
	s_mov_b32 s4, 0x252049c0
	s_mov_b32 s5, 0xb97b839a
	v_fma_f64 v[13:14], v[9:10], s[10:11], v[5:6]
	v_add_f64 v[11:12], v[5:6], v[7:8]
	s_mov_b32 s11, 0x3c91a626
	v_add_f64 v[5:6], v[5:6], -v[11:12]
	v_add_f64 v[11:12], v[11:12], -v[13:14]
	v_add_f64 v[5:6], v[5:6], v[7:8]
	v_fma_f64 v[7:8], v[9:10], s[10:11], v[7:8]
	v_add_f64 v[5:6], v[11:12], v[5:6]
	v_add_f64 v[5:6], v[5:6], -v[7:8]
	v_fma_f64 v[7:8], v[9:10], s[4:5], v[5:6]
	v_cvt_i32_f64_e32 v9, v[9:10]
	v_add_f64 v[5:6], v[13:14], v[7:8]
	v_add_f64 v[11:12], v[5:6], -v[13:14]
	v_add_f64 v[7:8], v[7:8], -v[11:12]
.LBB47_171:
	s_or_b32 exec_lo, exec_lo, s0
	v_mul_f64 v[10:11], v[5:6], v[5:6]
	s_mov_b32 s0, 0xb42fdfa7
	s_mov_b32 s4, 0xf9a43bb8
	;; [unrolled: 1-line block ×6, first 2 shown]
	v_mul_f64 v[20:21], v[7:8], 0.5
	v_add_f64 v[1:2], -v[1:2], 1.0
	v_fma_f64 v[12:13], v[10:11], s[4:5], s[0:1]
	s_mov_b32 s0, 0x9037ab78
	s_mov_b32 s4, 0x46cc5e42
	;; [unrolled: 1-line block ×4, first 2 shown]
	v_mul_f64 v[16:17], v[10:11], 0.5
	v_fma_f64 v[14:15], v[10:11], s[4:5], s[0:1]
	s_mov_b32 s0, 0xa17f65f6
	s_mov_b32 s4, 0x19e83e5c
	;; [unrolled: 1-line block ×4, first 2 shown]
	v_mul_f64 v[22:23], v[5:6], -v[10:11]
	v_fma_f64 v[12:13], v[10:11], v[12:13], s[10:11]
	v_add_f64 v[18:19], -v[16:17], 1.0
	v_fma_f64 v[14:15], v[10:11], v[14:15], s[0:1]
	s_mov_b32 s0, 0x19f4ec90
	s_mov_b32 s1, 0x3efa01a0
	v_fma_f64 v[12:13], v[10:11], v[12:13], s[4:5]
	s_mov_b32 s4, 0x11110bb3
	s_mov_b32 s5, 0x3f811111
	v_add_f64 v[24:25], -v[18:19], 1.0
	v_fma_f64 v[14:15], v[10:11], v[14:15], s[0:1]
	s_mov_b32 s0, 0x16c16967
	s_mov_b32 s1, 0xbf56c16c
	v_fma_f64 v[12:13], v[10:11], v[12:13], s[4:5]
	v_add_f64 v[16:17], v[24:25], -v[16:17]
	v_fma_f64 v[14:15], v[10:11], v[14:15], s[0:1]
	s_mov_b32 s1, 0x3fa55555
	s_mov_b32 s0, 0x55555555
	v_fma_f64 v[12:13], v[22:23], v[12:13], v[20:21]
	v_mul_f64 v[20:21], v[10:11], v[10:11]
	v_fma_f64 v[16:17], v[5:6], -v[7:8], v[16:17]
	v_fma_f64 v[14:15], v[10:11], v[14:15], s[0:1]
	s_mov_b32 s1, 0xbfc55555
	v_fma_f64 v[7:8], v[10:11], v[12:13], -v[7:8]
	v_fma_f64 v[10:11], v[20:21], v[14:15], v[16:17]
	v_fma_f64 v[7:8], v[22:23], s[0:1], v[7:8]
	v_cmp_class_f64_e64 s0, v[3:4], 0x1f8
	v_lshlrev_b32_e32 v3, 30, v9
	v_add_f64 v[10:11], v[18:19], v[10:11]
	v_xor_b32_e32 v3, v3, v4
	v_and_b32_e32 v3, 0x80000000, v3
	v_add_f64 v[5:6], v[5:6], -v[7:8]
	v_and_b32_e32 v7, 1, v9
	v_cmp_eq_u32_e32 vcc_lo, 0, v7
	v_cndmask_b32_e32 v4, v11, v6, vcc_lo
	v_cndmask_b32_e32 v5, v10, v5, vcc_lo
	v_xor_b32_e32 v4, v4, v3
	v_cndmask_b32_e64 v3, 0, v5, s0
	v_cndmask_b32_e64 v4, 0x7ff80000, v4, s0
	s_mov_b32 s0, 0xc9be45de
	s_mov_b32 s1, 0xc023bd3c
	v_mul_f64 v[3:4], v[3:4], v[3:4]
	v_div_scale_f64 v[5:6], null, v[3:4], v[3:4], s[0:1]
	v_div_scale_f64 v[11:12], vcc_lo, s[0:1], v[3:4], s[0:1]
	v_rcp_f64_e32 v[7:8], v[5:6]
	v_fma_f64 v[9:10], -v[5:6], v[7:8], 1.0
	v_fma_f64 v[7:8], v[7:8], v[9:10], v[7:8]
	v_fma_f64 v[9:10], -v[5:6], v[7:8], 1.0
	v_fma_f64 v[7:8], v[7:8], v[9:10], v[7:8]
	v_mul_f64 v[9:10], v[11:12], v[7:8]
	v_fma_f64 v[5:6], -v[5:6], v[9:10], v[11:12]
	v_div_fmas_f64 v[5:6], v[5:6], v[7:8], v[9:10]
	v_div_fixup_f64 v[3:4], v[5:6], v[3:4], s[0:1]
	v_add_f64 v[5:6], v[3:4], 0
	v_mov_b32_e32 v3, 0
	v_mov_b32_e32 v4, 0xbff00000
.LBB47_172:
	s_or_b32 exec_lo, exec_lo, s2
	v_add_f64 v[7:8], v[1:2], 1.0
	v_mul_f64 v[1:2], v[1:2], v[1:2]
	v_add_f64 v[9:10], v[7:8], 1.0
	v_mul_f64 v[7:8], v[7:8], v[7:8]
	v_div_scale_f64 v[21:22], null, v[1:2], v[1:2], 1.0
	v_div_scale_f64 v[69:70], vcc_lo, 1.0, v[1:2], 1.0
	v_add_f64 v[11:12], v[9:10], 1.0
	v_mul_f64 v[9:10], v[9:10], v[9:10]
	v_div_scale_f64 v[23:24], null, v[7:8], v[7:8], 1.0
	v_rcp_f64_e32 v[37:38], v[21:22]
	v_add_f64 v[13:14], v[11:12], 1.0
	v_mul_f64 v[11:12], v[11:12], v[11:12]
	v_div_scale_f64 v[25:26], null, v[9:10], v[9:10], 1.0
	v_rcp_f64_e32 v[39:40], v[23:24]
	v_fma_f64 v[53:54], -v[21:22], v[37:38], 1.0
	v_add_f64 v[15:16], v[13:14], 1.0
	v_mul_f64 v[13:14], v[13:14], v[13:14]
	v_div_scale_f64 v[27:28], null, v[11:12], v[11:12], 1.0
	v_rcp_f64_e32 v[41:42], v[25:26]
	v_fma_f64 v[55:56], -v[23:24], v[39:40], 1.0
	v_fma_f64 v[37:38], v[37:38], v[53:54], v[37:38]
	v_add_f64 v[17:18], v[15:16], 1.0
	v_mul_f64 v[15:16], v[15:16], v[15:16]
	v_div_scale_f64 v[29:30], null, v[13:14], v[13:14], 1.0
	v_rcp_f64_e32 v[43:44], v[27:28]
	v_fma_f64 v[57:58], -v[25:26], v[41:42], 1.0
	v_fma_f64 v[39:40], v[39:40], v[55:56], v[39:40]
	v_fma_f64 v[55:56], -v[21:22], v[37:38], 1.0
	v_mul_f64 v[19:20], v[17:18], v[17:18]
	v_div_scale_f64 v[31:32], null, v[15:16], v[15:16], 1.0
	v_add_f64 v[33:34], v[17:18], v[17:18]
	v_rcp_f64_e32 v[45:46], v[29:30]
	v_fma_f64 v[59:60], -v[27:28], v[43:44], 1.0
	v_fma_f64 v[41:42], v[41:42], v[57:58], v[41:42]
	v_fma_f64 v[57:58], -v[23:24], v[39:40], 1.0
	v_fma_f64 v[37:38], v[37:38], v[55:56], v[37:38]
	v_div_scale_f64 v[55:56], s0, 1.0, v[7:8], 1.0
	v_div_scale_f64 v[35:36], null, v[19:20], v[19:20], 1.0
	v_rcp_f64_e32 v[47:48], v[31:32]
	v_div_scale_f64 v[49:50], null, v[33:34], v[33:34], 1.0
	v_div_scale_f64 v[71:72], s5, 1.0, v[19:20], 1.0
	v_fma_f64 v[61:62], -v[29:30], v[45:46], 1.0
	v_fma_f64 v[43:44], v[43:44], v[59:60], v[43:44]
	v_fma_f64 v[59:60], -v[25:26], v[41:42], 1.0
	v_fma_f64 v[39:40], v[39:40], v[57:58], v[39:40]
	v_div_scale_f64 v[57:58], s1, 1.0, v[9:10], 1.0
	v_div_scale_f64 v[81:82], s6, 1.0, v[33:34], 1.0
	v_rcp_f64_e32 v[51:52], v[35:36]
	v_rcp_f64_e32 v[63:64], v[49:50]
	v_fma_f64 v[65:66], -v[31:32], v[47:48], 1.0
	v_fma_f64 v[45:46], v[45:46], v[61:62], v[45:46]
	v_fma_f64 v[61:62], -v[27:28], v[43:44], 1.0
	v_fma_f64 v[41:42], v[41:42], v[59:60], v[41:42]
	v_div_scale_f64 v[59:60], s2, 1.0, v[11:12], 1.0
	v_mul_f64 v[73:74], v[55:56], v[39:40]
	v_fma_f64 v[67:68], -v[35:36], v[51:52], 1.0
	v_fma_f64 v[47:48], v[47:48], v[65:66], v[47:48]
	v_fma_f64 v[53:54], -v[49:50], v[63:64], 1.0
	v_fma_f64 v[65:66], -v[29:30], v[45:46], 1.0
	v_fma_f64 v[43:44], v[43:44], v[61:62], v[43:44]
	v_div_scale_f64 v[61:62], s3, 1.0, v[13:14], 1.0
	v_mul_f64 v[75:76], v[57:58], v[41:42]
	v_fma_f64 v[23:24], -v[23:24], v[73:74], v[55:56]
	v_fma_f64 v[51:52], v[51:52], v[67:68], v[51:52]
	v_fma_f64 v[67:68], -v[31:32], v[47:48], 1.0
	v_fma_f64 v[53:54], v[63:64], v[53:54], v[63:64]
	v_fma_f64 v[45:46], v[45:46], v[65:66], v[45:46]
	v_div_scale_f64 v[65:66], s4, 1.0, v[15:16], 1.0
	v_mul_f64 v[77:78], v[59:60], v[43:44]
	v_fma_f64 v[25:26], -v[25:26], v[75:76], v[57:58]
	v_fma_f64 v[63:64], -v[35:36], v[51:52], 1.0
	v_fma_f64 v[47:48], v[47:48], v[67:68], v[47:48]
	v_fma_f64 v[67:68], -v[49:50], v[53:54], 1.0
	v_mul_f64 v[79:80], v[61:62], v[45:46]
	v_fma_f64 v[27:28], -v[27:28], v[77:78], v[59:60]
	v_fma_f64 v[51:52], v[51:52], v[63:64], v[51:52]
	v_mul_f64 v[63:64], v[69:70], v[37:38]
	v_mul_f64 v[83:84], v[65:66], v[47:48]
	v_fma_f64 v[53:54], v[53:54], v[67:68], v[53:54]
	v_fma_f64 v[29:30], -v[29:30], v[79:80], v[61:62]
	v_mul_f64 v[67:68], v[71:72], v[51:52]
	v_fma_f64 v[21:22], -v[21:22], v[63:64], v[69:70]
	v_fma_f64 v[31:32], -v[31:32], v[83:84], v[65:66]
	v_mul_f64 v[55:56], v[81:82], v[53:54]
	v_fma_f64 v[35:36], -v[35:36], v[67:68], v[71:72]
	v_div_fmas_f64 v[21:22], v[21:22], v[37:38], v[63:64]
	s_mov_b32 vcc_lo, s0
	v_fma_f64 v[37:38], -v[49:50], v[55:56], v[81:82]
	v_div_fmas_f64 v[23:24], v[23:24], v[39:40], v[73:74]
	s_mov_b32 vcc_lo, s1
	s_mov_b32 s0, 0x11111111
	v_div_fmas_f64 v[25:26], v[25:26], v[41:42], v[75:76]
	s_mov_b32 vcc_lo, s2
	s_mov_b32 s1, 0x3fa11111
	;; [unrolled: 3-line block ×4, first 2 shown]
	v_div_fmas_f64 v[31:32], v[31:32], v[47:48], v[83:84]
	s_mov_b32 vcc_lo, s5
	v_div_fmas_f64 v[35:36], v[35:36], v[51:52], v[67:68]
	s_mov_b32 vcc_lo, s6
	v_div_fixup_f64 v[1:2], v[21:22], v[1:2], 1.0
	v_div_fmas_f64 v[37:38], v[37:38], v[53:54], v[55:56]
	v_div_fixup_f64 v[19:20], v[35:36], v[19:20], 1.0
	v_add_f64 v[1:2], v[5:6], v[1:2]
	v_div_fixup_f64 v[33:34], v[37:38], v[33:34], 1.0
	v_div_fixup_f64 v[5:6], v[23:24], v[7:8], 1.0
	v_fma_f64 v[35:36], v[19:20], s[2:3], s[0:1]
	s_mov_b32 s0, 0x55555555
	s_mov_b32 s1, 0x3fc55555
	v_add_f64 v[33:34], v[33:34], 1.0
	v_add_f64 v[1:2], v[1:2], v[5:6]
	v_div_fixup_f64 v[5:6], v[25:26], v[9:10], 1.0
	v_fma_f64 v[35:36], -v[19:20], v[35:36], s[0:1]
	v_add_f64 v[1:2], v[1:2], v[5:6]
	v_div_fixup_f64 v[5:6], v[27:28], v[11:12], 1.0
	v_fma_f64 v[19:20], v[19:20], v[35:36], v[33:34]
	v_add_f64 v[1:2], v[1:2], v[5:6]
	v_div_fixup_f64 v[5:6], v[29:30], v[13:14], 1.0
	v_div_scale_f64 v[33:34], null, v[17:18], v[17:18], v[19:20]
	v_div_scale_f64 v[9:10], vcc_lo, v[19:20], v[17:18], v[19:20]
	v_add_f64 v[1:2], v[1:2], v[5:6]
	v_div_fixup_f64 v[5:6], v[31:32], v[15:16], 1.0
	v_rcp_f64_e32 v[35:36], v[33:34]
	v_add_f64 v[1:2], v[1:2], v[5:6]
	v_fma_f64 v[37:38], -v[33:34], v[35:36], 1.0
	v_fma_f64 v[21:22], v[35:36], v[37:38], v[35:36]
	v_fma_f64 v[7:8], -v[33:34], v[21:22], 1.0
	v_fma_f64 v[7:8], v[21:22], v[7:8], v[21:22]
	v_mul_f64 v[11:12], v[9:10], v[7:8]
	v_fma_f64 v[9:10], -v[33:34], v[11:12], v[9:10]
	v_div_fmas_f64 v[7:8], v[9:10], v[7:8], v[11:12]
	v_div_fixup_f64 v[5:6], v[7:8], v[17:18], v[19:20]
	v_add_f64 v[1:2], v[1:2], v[5:6]
	v_mul_f64 v[1:2], v[3:4], v[1:2]
	global_store_dwordx2 v0, v[1:2], s[8:9]
	s_or_b32 exec_lo, exec_lo, s30
                                        ; implicit-def: $vgpr7
                                        ; implicit-def: $vgpr9
	s_andn2_saveexec_b32 s0, s28
	s_cbranch_execz .LBB47_137
	s_branch .LBB47_8
	.section	.rodata,"a",@progbits
	.p2align	6, 0x0
	.amdhsa_kernel _ZN2at6native32elementwise_kernel_manual_unrollILi128ELi4EZNS0_22gpu_kernel_impl_nocastIZZZNS0_20trigamma_kernel_cudaERNS_18TensorIteratorBaseEENKUlvE_clEvENKUlvE_clEvEUldE_EEvS4_RKT_EUlibE_EEviT1_
		.amdhsa_group_segment_fixed_size 0
		.amdhsa_private_segment_fixed_size 0
		.amdhsa_kernarg_size 360
		.amdhsa_user_sgpr_count 6
		.amdhsa_user_sgpr_private_segment_buffer 1
		.amdhsa_user_sgpr_dispatch_ptr 0
		.amdhsa_user_sgpr_queue_ptr 0
		.amdhsa_user_sgpr_kernarg_segment_ptr 1
		.amdhsa_user_sgpr_dispatch_id 0
		.amdhsa_user_sgpr_flat_scratch_init 0
		.amdhsa_user_sgpr_private_segment_size 0
		.amdhsa_wavefront_size32 1
		.amdhsa_uses_dynamic_stack 0
		.amdhsa_system_sgpr_private_segment_wavefront_offset 0
		.amdhsa_system_sgpr_workgroup_id_x 1
		.amdhsa_system_sgpr_workgroup_id_y 0
		.amdhsa_system_sgpr_workgroup_id_z 0
		.amdhsa_system_sgpr_workgroup_info 0
		.amdhsa_system_vgpr_workitem_id 0
		.amdhsa_next_free_vgpr 154
		.amdhsa_next_free_sgpr 56
		.amdhsa_reserve_vcc 1
		.amdhsa_reserve_flat_scratch 0
		.amdhsa_float_round_mode_32 0
		.amdhsa_float_round_mode_16_64 0
		.amdhsa_float_denorm_mode_32 3
		.amdhsa_float_denorm_mode_16_64 3
		.amdhsa_dx10_clamp 1
		.amdhsa_ieee_mode 1
		.amdhsa_fp16_overflow 0
		.amdhsa_workgroup_processor_mode 1
		.amdhsa_memory_ordered 1
		.amdhsa_forward_progress 1
		.amdhsa_shared_vgpr_count 0
		.amdhsa_exception_fp_ieee_invalid_op 0
		.amdhsa_exception_fp_denorm_src 0
		.amdhsa_exception_fp_ieee_div_zero 0
		.amdhsa_exception_fp_ieee_overflow 0
		.amdhsa_exception_fp_ieee_underflow 0
		.amdhsa_exception_fp_ieee_inexact 0
		.amdhsa_exception_int_div_zero 0
	.end_amdhsa_kernel
	.section	.text._ZN2at6native32elementwise_kernel_manual_unrollILi128ELi4EZNS0_22gpu_kernel_impl_nocastIZZZNS0_20trigamma_kernel_cudaERNS_18TensorIteratorBaseEENKUlvE_clEvENKUlvE_clEvEUldE_EEvS4_RKT_EUlibE_EEviT1_,"axG",@progbits,_ZN2at6native32elementwise_kernel_manual_unrollILi128ELi4EZNS0_22gpu_kernel_impl_nocastIZZZNS0_20trigamma_kernel_cudaERNS_18TensorIteratorBaseEENKUlvE_clEvENKUlvE_clEvEUldE_EEvS4_RKT_EUlibE_EEviT1_,comdat
.Lfunc_end47:
	.size	_ZN2at6native32elementwise_kernel_manual_unrollILi128ELi4EZNS0_22gpu_kernel_impl_nocastIZZZNS0_20trigamma_kernel_cudaERNS_18TensorIteratorBaseEENKUlvE_clEvENKUlvE_clEvEUldE_EEvS4_RKT_EUlibE_EEviT1_, .Lfunc_end47-_ZN2at6native32elementwise_kernel_manual_unrollILi128ELi4EZNS0_22gpu_kernel_impl_nocastIZZZNS0_20trigamma_kernel_cudaERNS_18TensorIteratorBaseEENKUlvE_clEvENKUlvE_clEvEUldE_EEvS4_RKT_EUlibE_EEviT1_
                                        ; -- End function
	.set _ZN2at6native32elementwise_kernel_manual_unrollILi128ELi4EZNS0_22gpu_kernel_impl_nocastIZZZNS0_20trigamma_kernel_cudaERNS_18TensorIteratorBaseEENKUlvE_clEvENKUlvE_clEvEUldE_EEvS4_RKT_EUlibE_EEviT1_.num_vgpr, 154
	.set _ZN2at6native32elementwise_kernel_manual_unrollILi128ELi4EZNS0_22gpu_kernel_impl_nocastIZZZNS0_20trigamma_kernel_cudaERNS_18TensorIteratorBaseEENKUlvE_clEvENKUlvE_clEvEUldE_EEvS4_RKT_EUlibE_EEviT1_.num_agpr, 0
	.set _ZN2at6native32elementwise_kernel_manual_unrollILi128ELi4EZNS0_22gpu_kernel_impl_nocastIZZZNS0_20trigamma_kernel_cudaERNS_18TensorIteratorBaseEENKUlvE_clEvENKUlvE_clEvEUldE_EEvS4_RKT_EUlibE_EEviT1_.numbered_sgpr, 56
	.set _ZN2at6native32elementwise_kernel_manual_unrollILi128ELi4EZNS0_22gpu_kernel_impl_nocastIZZZNS0_20trigamma_kernel_cudaERNS_18TensorIteratorBaseEENKUlvE_clEvENKUlvE_clEvEUldE_EEvS4_RKT_EUlibE_EEviT1_.num_named_barrier, 0
	.set _ZN2at6native32elementwise_kernel_manual_unrollILi128ELi4EZNS0_22gpu_kernel_impl_nocastIZZZNS0_20trigamma_kernel_cudaERNS_18TensorIteratorBaseEENKUlvE_clEvENKUlvE_clEvEUldE_EEvS4_RKT_EUlibE_EEviT1_.private_seg_size, 0
	.set _ZN2at6native32elementwise_kernel_manual_unrollILi128ELi4EZNS0_22gpu_kernel_impl_nocastIZZZNS0_20trigamma_kernel_cudaERNS_18TensorIteratorBaseEENKUlvE_clEvENKUlvE_clEvEUldE_EEvS4_RKT_EUlibE_EEviT1_.uses_vcc, 1
	.set _ZN2at6native32elementwise_kernel_manual_unrollILi128ELi4EZNS0_22gpu_kernel_impl_nocastIZZZNS0_20trigamma_kernel_cudaERNS_18TensorIteratorBaseEENKUlvE_clEvENKUlvE_clEvEUldE_EEvS4_RKT_EUlibE_EEviT1_.uses_flat_scratch, 0
	.set _ZN2at6native32elementwise_kernel_manual_unrollILi128ELi4EZNS0_22gpu_kernel_impl_nocastIZZZNS0_20trigamma_kernel_cudaERNS_18TensorIteratorBaseEENKUlvE_clEvENKUlvE_clEvEUldE_EEvS4_RKT_EUlibE_EEviT1_.has_dyn_sized_stack, 0
	.set _ZN2at6native32elementwise_kernel_manual_unrollILi128ELi4EZNS0_22gpu_kernel_impl_nocastIZZZNS0_20trigamma_kernel_cudaERNS_18TensorIteratorBaseEENKUlvE_clEvENKUlvE_clEvEUldE_EEvS4_RKT_EUlibE_EEviT1_.has_recursion, 0
	.set _ZN2at6native32elementwise_kernel_manual_unrollILi128ELi4EZNS0_22gpu_kernel_impl_nocastIZZZNS0_20trigamma_kernel_cudaERNS_18TensorIteratorBaseEENKUlvE_clEvENKUlvE_clEvEUldE_EEvS4_RKT_EUlibE_EEviT1_.has_indirect_call, 0
	.section	.AMDGPU.csdata,"",@progbits
; Kernel info:
; codeLenInByte = 26124
; TotalNumSgprs: 58
; NumVgprs: 154
; ScratchSize: 0
; MemoryBound: 0
; FloatMode: 240
; IeeeMode: 1
; LDSByteSize: 0 bytes/workgroup (compile time only)
; SGPRBlocks: 0
; VGPRBlocks: 19
; NumSGPRsForWavesPerEU: 58
; NumVGPRsForWavesPerEU: 154
; Occupancy: 6
; WaveLimiterHint : 1
; COMPUTE_PGM_RSRC2:SCRATCH_EN: 0
; COMPUTE_PGM_RSRC2:USER_SGPR: 6
; COMPUTE_PGM_RSRC2:TRAP_HANDLER: 0
; COMPUTE_PGM_RSRC2:TGID_X_EN: 1
; COMPUTE_PGM_RSRC2:TGID_Y_EN: 0
; COMPUTE_PGM_RSRC2:TGID_Z_EN: 0
; COMPUTE_PGM_RSRC2:TIDIG_COMP_CNT: 0
	.section	.text._ZN2at6native32elementwise_kernel_manual_unrollILi128ELi4EZNS0_15gpu_kernel_implIZZZNS0_20trigamma_kernel_cudaERNS_18TensorIteratorBaseEENKUlvE_clEvENKUlvE_clEvEUldE_EEvS4_RKT_EUlibE_EEviT1_,"axG",@progbits,_ZN2at6native32elementwise_kernel_manual_unrollILi128ELi4EZNS0_15gpu_kernel_implIZZZNS0_20trigamma_kernel_cudaERNS_18TensorIteratorBaseEENKUlvE_clEvENKUlvE_clEvEUldE_EEvS4_RKT_EUlibE_EEviT1_,comdat
	.globl	_ZN2at6native32elementwise_kernel_manual_unrollILi128ELi4EZNS0_15gpu_kernel_implIZZZNS0_20trigamma_kernel_cudaERNS_18TensorIteratorBaseEENKUlvE_clEvENKUlvE_clEvEUldE_EEvS4_RKT_EUlibE_EEviT1_ ; -- Begin function _ZN2at6native32elementwise_kernel_manual_unrollILi128ELi4EZNS0_15gpu_kernel_implIZZZNS0_20trigamma_kernel_cudaERNS_18TensorIteratorBaseEENKUlvE_clEvENKUlvE_clEvEUldE_EEvS4_RKT_EUlibE_EEviT1_
	.p2align	8
	.type	_ZN2at6native32elementwise_kernel_manual_unrollILi128ELi4EZNS0_15gpu_kernel_implIZZZNS0_20trigamma_kernel_cudaERNS_18TensorIteratorBaseEENKUlvE_clEvENKUlvE_clEvEUldE_EEvS4_RKT_EUlibE_EEviT1_,@function
_ZN2at6native32elementwise_kernel_manual_unrollILi128ELi4EZNS0_15gpu_kernel_implIZZZNS0_20trigamma_kernel_cudaERNS_18TensorIteratorBaseEENKUlvE_clEvENKUlvE_clEvEUldE_EEvS4_RKT_EUlibE_EEviT1_: ; @_ZN2at6native32elementwise_kernel_manual_unrollILi128ELi4EZNS0_15gpu_kernel_implIZZZNS0_20trigamma_kernel_cudaERNS_18TensorIteratorBaseEENKUlvE_clEvENKUlvE_clEvEUldE_EEvS4_RKT_EUlibE_EEviT1_
; %bb.0:
	v_mov_b32_e32 v1, 0
	s_clause 0x2
	s_load_dword s18, s[4:5], 0x0
	s_load_dwordx2 s[12:13], s[4:5], 0x18
	s_load_dwordx4 s[8:11], s[4:5], 0x8
	v_lshl_or_b32 v26, s6, 9, v0
	s_mov_b32 s14, 0
	s_mov_b32 s17, 0
	global_load_ushort v1, v1, s[4:5] offset:33
	v_or_b32_e32 v0, 0x180, v26
	s_waitcnt vmcnt(0)
	v_readfirstlane_b32 s7, v1
	s_and_b32 s0, 0xffff, s7
	s_lshr_b32 s15, s0, 8
	s_mov_b32 s0, exec_lo
	s_waitcnt lgkmcnt(0)
	v_cmpx_le_i32_e64 s18, v0
	s_xor_b32 s16, exec_lo, s0
	s_cbranch_execz .LBB48_1055
; %bb.1:
	s_mov_b32 s1, -1
	s_mov_b32 s21, 0
	s_mov_b32 s19, 0
	s_mov_b32 s20, exec_lo
	v_cmpx_gt_i32_e64 s18, v26
	s_cbranch_execz .LBB48_258
; %bb.2:
	v_mul_lo_u32 v0, v26, s13
	s_and_b32 s0, 0xffff, s15
	s_cmp_lt_i32 s0, 11
	v_ashrrev_i32_e32 v1, 31, v0
	v_add_co_u32 v2, vcc_lo, s10, v0
	v_add_co_ci_u32_e64 v3, null, s11, v1, vcc_lo
	s_cbranch_scc1 .LBB48_9
; %bb.3:
	s_cmp_gt_i32 s0, 25
	s_cbranch_scc0 .LBB48_24
; %bb.4:
	s_cmp_gt_i32 s0, 28
	s_cbranch_scc0 .LBB48_27
	;; [unrolled: 3-line block ×4, first 2 shown]
; %bb.7:
	s_cmp_eq_u32 s0, 46
	s_mov_b32 s2, 0
	s_cbranch_scc0 .LBB48_33
; %bb.8:
	global_load_dword v0, v[2:3], off
	s_waitcnt vmcnt(0)
	v_lshlrev_b32_e32 v0, 16, v0
	v_cvt_f64_f32_e32 v[0:1], v0
	s_branch .LBB48_35
.LBB48_9:
	s_mov_b32 s1, 0
                                        ; implicit-def: $vgpr0_vgpr1
	s_cbranch_execnz .LBB48_208
.LBB48_10:
	s_andn2_b32 vcc_lo, exec_lo, s1
	s_cbranch_vccnz .LBB48_255
.LBB48_11:
	v_mov_b32_e32 v4, 0
	v_mov_b32_e32 v2, 0
	;; [unrolled: 1-line block ×4, first 2 shown]
	s_mov_b32 s2, exec_lo
	s_waitcnt vmcnt(0)
	v_cmpx_gt_f64_e32 0.5, v[0:1]
	s_cbranch_execz .LBB48_17
; %bb.12:
	s_mov_b32 s1, 0x400921fb
	s_mov_b32 s0, 0x54442d18
	s_mov_b32 s3, exec_lo
	v_mul_f64 v[2:3], v[0:1], s[0:1]
                                        ; implicit-def: $vgpr8
                                        ; implicit-def: $vgpr4_vgpr5
                                        ; implicit-def: $vgpr6_vgpr7
	v_cmpx_ngt_f64_e64 0x41d00000, |v[2:3]|
	s_xor_b32 s3, exec_lo, s3
	s_cbranch_execz .LBB48_14
; %bb.13:
	v_ldexp_f64 v[4:5], |v[2:3]|, 0xffffff80
	v_cmp_le_f64_e64 vcc_lo, 0x7b000000, |v[2:3]|
	v_trig_preop_f64 v[6:7], |v[2:3]|, 0
	v_and_b32_e32 v8, 0x7fffffff, v3
	v_trig_preop_f64 v[18:19], |v[2:3]|, 2
	v_mov_b32_e32 v27, 0
	s_mov_b32 s1, 0x3ff921fb
	s_mov_b32 s4, 0x33145c07
	;; [unrolled: 1-line block ×3, first 2 shown]
	v_cndmask_b32_e32 v5, v8, v5, vcc_lo
	v_cndmask_b32_e32 v4, v2, v4, vcc_lo
	v_trig_preop_f64 v[8:9], |v[2:3]|, 1
	v_mul_f64 v[10:11], v[6:7], v[4:5]
	v_mul_f64 v[24:25], v[18:19], v[4:5]
	;; [unrolled: 1-line block ×3, first 2 shown]
	v_fma_f64 v[6:7], v[6:7], v[4:5], -v[10:11]
	v_fma_f64 v[8:9], v[8:9], v[4:5], -v[12:13]
	v_fma_f64 v[4:5], v[18:19], v[4:5], -v[24:25]
	v_add_f64 v[14:15], v[12:13], v[6:7]
	v_add_f64 v[16:17], v[14:15], -v[12:13]
	v_add_f64 v[22:23], v[10:11], v[14:15]
	v_add_f64 v[20:21], v[14:15], -v[16:17]
	v_add_f64 v[6:7], v[6:7], -v[16:17]
	v_ldexp_f64 v[16:17], v[22:23], -2
	v_add_f64 v[10:11], v[22:23], -v[10:11]
	v_add_f64 v[12:13], v[12:13], -v[20:21]
	v_add_f64 v[20:21], v[24:25], v[8:9]
	v_cmp_neq_f64_e64 vcc_lo, 0x7ff00000, |v[16:17]|
	v_add_f64 v[10:11], v[14:15], -v[10:11]
	v_add_f64 v[6:7], v[6:7], v[12:13]
	v_fract_f64_e32 v[12:13], v[16:17]
	v_add_f64 v[14:15], v[20:21], v[6:7]
	v_ldexp_f64 v[12:13], v[12:13], 2
	v_add_f64 v[16:17], v[10:11], v[14:15]
	v_cndmask_b32_e32 v13, 0, v13, vcc_lo
	v_cndmask_b32_e32 v12, 0, v12, vcc_lo
	v_add_f64 v[22:23], v[16:17], v[12:13]
	v_add_f64 v[10:11], v[16:17], -v[10:11]
	v_cmp_gt_f64_e32 vcc_lo, 0, v[22:23]
	v_add_f64 v[22:23], v[20:21], -v[24:25]
	v_cndmask_b32_e64 v28, 0, 0x40100000, vcc_lo
	v_add_f64 v[32:33], v[20:21], -v[22:23]
	v_add_f64 v[8:9], v[8:9], -v[22:23]
	v_add_f64 v[12:13], v[12:13], v[27:28]
	v_add_f64 v[28:29], v[14:15], -v[20:21]
	v_add_f64 v[22:23], v[24:25], -v[32:33]
	v_add_f64 v[30:31], v[16:17], v[12:13]
	;; [unrolled: 3-line block ×3, first 2 shown]
	v_cvt_i32_f64_e32 v30, v[30:31]
	v_add_f64 v[20:21], v[20:21], -v[34:35]
	v_cvt_f64_i32_e32 v[28:29], v30
	v_add_f64 v[6:7], v[6:7], v[20:21]
	v_add_f64 v[12:13], v[12:13], -v[28:29]
	v_add_f64 v[6:7], v[8:9], v[6:7]
	v_add_f64 v[8:9], v[14:15], -v[10:11]
	v_add_f64 v[18:19], v[16:17], v[12:13]
	v_add_f64 v[4:5], v[4:5], v[6:7]
	v_add_f64 v[6:7], v[18:19], -v[12:13]
	v_cmp_le_f64_e32 vcc_lo, 0.5, v[18:19]
	v_add_f64 v[4:5], v[8:9], v[4:5]
	v_add_f64 v[6:7], v[16:17], -v[6:7]
	v_cndmask_b32_e64 v28, 0, 0x3ff00000, vcc_lo
	v_add_co_ci_u32_e64 v8, null, 0, v30, vcc_lo
	v_add_f64 v[4:5], v[4:5], v[6:7]
	v_add_f64 v[6:7], v[18:19], -v[27:28]
	v_add_f64 v[9:10], v[6:7], v[4:5]
	v_mul_f64 v[11:12], v[9:10], s[0:1]
	v_add_f64 v[6:7], v[9:10], -v[6:7]
	v_fma_f64 v[13:14], v[9:10], s[0:1], -v[11:12]
	v_add_f64 v[4:5], v[4:5], -v[6:7]
	v_fma_f64 v[6:7], v[9:10], s[4:5], v[13:14]
	v_fma_f64 v[6:7], v[4:5], s[0:1], v[6:7]
	v_add_f64 v[4:5], v[11:12], v[6:7]
	v_add_f64 v[9:10], v[4:5], -v[11:12]
	v_add_f64 v[6:7], v[6:7], -v[9:10]
.LBB48_14:
	s_andn2_saveexec_b32 s0, s3
	s_cbranch_execz .LBB48_16
; %bb.15:
	s_mov_b32 s4, 0x6dc9c883
	s_mov_b32 s5, 0x3fe45f30
	;; [unrolled: 1-line block ×3, first 2 shown]
	v_mul_f64 v[4:5], |v[2:3]|, s[4:5]
	s_mov_b32 s4, 0x54442d18
	s_mov_b32 s5, 0xbff921fb
	;; [unrolled: 1-line block ×3, first 2 shown]
	v_rndne_f64_e32 v[8:9], v[4:5]
	v_fma_f64 v[4:5], v[8:9], s[4:5], |v[2:3]|
	v_mul_f64 v[6:7], v[8:9], s[22:23]
	s_mov_b32 s4, 0x252049c0
	s_mov_b32 s5, 0xb97b839a
	v_fma_f64 v[12:13], v[8:9], s[22:23], v[4:5]
	v_add_f64 v[10:11], v[4:5], v[6:7]
	s_mov_b32 s23, 0x3c91a626
	v_add_f64 v[4:5], v[4:5], -v[10:11]
	v_add_f64 v[10:11], v[10:11], -v[12:13]
	v_add_f64 v[4:5], v[4:5], v[6:7]
	v_fma_f64 v[6:7], v[8:9], s[22:23], v[6:7]
	v_add_f64 v[4:5], v[10:11], v[4:5]
	v_add_f64 v[4:5], v[4:5], -v[6:7]
	v_fma_f64 v[6:7], v[8:9], s[4:5], v[4:5]
	v_cvt_i32_f64_e32 v8, v[8:9]
	v_add_f64 v[4:5], v[12:13], v[6:7]
	v_add_f64 v[10:11], v[4:5], -v[12:13]
	v_add_f64 v[6:7], v[6:7], -v[10:11]
.LBB48_16:
	s_or_b32 exec_lo, exec_lo, s0
	v_mul_f64 v[9:10], v[4:5], v[4:5]
	s_mov_b32 s0, 0xb42fdfa7
	s_mov_b32 s4, 0xf9a43bb8
	;; [unrolled: 1-line block ×6, first 2 shown]
	v_mul_f64 v[19:20], v[6:7], 0.5
	v_add_f64 v[0:1], -v[0:1], 1.0
	v_fma_f64 v[11:12], v[9:10], s[4:5], s[0:1]
	s_mov_b32 s0, 0x9037ab78
	s_mov_b32 s4, 0x46cc5e42
	;; [unrolled: 1-line block ×4, first 2 shown]
	v_mul_f64 v[15:16], v[9:10], 0.5
	v_fma_f64 v[13:14], v[9:10], s[4:5], s[0:1]
	s_mov_b32 s0, 0xa17f65f6
	s_mov_b32 s4, 0x19e83e5c
	;; [unrolled: 1-line block ×4, first 2 shown]
	v_mul_f64 v[21:22], v[4:5], -v[9:10]
	v_fma_f64 v[11:12], v[9:10], v[11:12], s[22:23]
	v_add_f64 v[17:18], -v[15:16], 1.0
	v_fma_f64 v[13:14], v[9:10], v[13:14], s[0:1]
	s_mov_b32 s0, 0x19f4ec90
	s_mov_b32 s1, 0x3efa01a0
	v_fma_f64 v[11:12], v[9:10], v[11:12], s[4:5]
	s_mov_b32 s4, 0x11110bb3
	s_mov_b32 s5, 0x3f811111
	v_add_f64 v[23:24], -v[17:18], 1.0
	v_fma_f64 v[13:14], v[9:10], v[13:14], s[0:1]
	s_mov_b32 s0, 0x16c16967
	s_mov_b32 s1, 0xbf56c16c
	v_fma_f64 v[11:12], v[9:10], v[11:12], s[4:5]
	v_add_f64 v[15:16], v[23:24], -v[15:16]
	v_fma_f64 v[13:14], v[9:10], v[13:14], s[0:1]
	s_mov_b32 s1, 0x3fa55555
	s_mov_b32 s0, 0x55555555
	v_fma_f64 v[11:12], v[21:22], v[11:12], v[19:20]
	v_mul_f64 v[19:20], v[9:10], v[9:10]
	v_fma_f64 v[15:16], v[4:5], -v[6:7], v[15:16]
	v_fma_f64 v[13:14], v[9:10], v[13:14], s[0:1]
	s_mov_b32 s1, 0xbfc55555
	v_fma_f64 v[6:7], v[9:10], v[11:12], -v[6:7]
	v_fma_f64 v[9:10], v[19:20], v[13:14], v[15:16]
	v_fma_f64 v[6:7], v[21:22], s[0:1], v[6:7]
	v_cmp_class_f64_e64 s0, v[2:3], 0x1f8
	v_lshlrev_b32_e32 v2, 30, v8
	v_add_f64 v[9:10], v[17:18], v[9:10]
	v_xor_b32_e32 v2, v2, v3
	v_and_b32_e32 v2, 0x80000000, v2
	v_add_f64 v[4:5], v[4:5], -v[6:7]
	v_and_b32_e32 v6, 1, v8
	v_cmp_eq_u32_e32 vcc_lo, 0, v6
	v_cndmask_b32_e32 v3, v10, v5, vcc_lo
	v_cndmask_b32_e32 v4, v9, v4, vcc_lo
	v_xor_b32_e32 v3, v3, v2
	v_cndmask_b32_e64 v2, 0, v4, s0
	v_cndmask_b32_e64 v3, 0x7ff80000, v3, s0
	s_mov_b32 s0, 0xc9be45de
	s_mov_b32 s1, 0xc023bd3c
	v_mul_f64 v[2:3], v[2:3], v[2:3]
	v_div_scale_f64 v[4:5], null, v[2:3], v[2:3], s[0:1]
	v_div_scale_f64 v[10:11], vcc_lo, s[0:1], v[2:3], s[0:1]
	v_rcp_f64_e32 v[6:7], v[4:5]
	v_fma_f64 v[8:9], -v[4:5], v[6:7], 1.0
	v_fma_f64 v[6:7], v[6:7], v[8:9], v[6:7]
	v_fma_f64 v[8:9], -v[4:5], v[6:7], 1.0
	v_fma_f64 v[6:7], v[6:7], v[8:9], v[6:7]
	v_mul_f64 v[8:9], v[10:11], v[6:7]
	v_fma_f64 v[4:5], -v[4:5], v[8:9], v[10:11]
	v_div_fmas_f64 v[4:5], v[4:5], v[6:7], v[8:9]
	v_div_fixup_f64 v[2:3], v[4:5], v[2:3], s[0:1]
	v_add_f64 v[4:5], v[2:3], 0
	v_mov_b32_e32 v2, 0
	v_mov_b32_e32 v3, 0xbff00000
.LBB48_17:
	s_or_b32 exec_lo, exec_lo, s2
	v_add_f64 v[6:7], v[0:1], 1.0
	v_mul_f64 v[0:1], v[0:1], v[0:1]
	v_add_f64 v[8:9], v[6:7], 1.0
	v_mul_f64 v[6:7], v[6:7], v[6:7]
	v_div_scale_f64 v[20:21], null, v[0:1], v[0:1], 1.0
	v_div_scale_f64 v[69:70], vcc_lo, 1.0, v[0:1], 1.0
	v_add_f64 v[10:11], v[8:9], 1.0
	v_mul_f64 v[8:9], v[8:9], v[8:9]
	v_div_scale_f64 v[22:23], null, v[6:7], v[6:7], 1.0
	v_rcp_f64_e32 v[37:38], v[20:21]
	v_add_f64 v[12:13], v[10:11], 1.0
	v_mul_f64 v[10:11], v[10:11], v[10:11]
	v_div_scale_f64 v[24:25], null, v[8:9], v[8:9], 1.0
	v_rcp_f64_e32 v[39:40], v[22:23]
	v_fma_f64 v[53:54], -v[20:21], v[37:38], 1.0
	v_add_f64 v[14:15], v[12:13], 1.0
	v_mul_f64 v[12:13], v[12:13], v[12:13]
	v_div_scale_f64 v[27:28], null, v[10:11], v[10:11], 1.0
	v_rcp_f64_e32 v[41:42], v[24:25]
	v_fma_f64 v[55:56], -v[22:23], v[39:40], 1.0
	v_fma_f64 v[37:38], v[37:38], v[53:54], v[37:38]
	v_add_f64 v[16:17], v[14:15], 1.0
	v_mul_f64 v[14:15], v[14:15], v[14:15]
	v_div_scale_f64 v[29:30], null, v[12:13], v[12:13], 1.0
	v_rcp_f64_e32 v[43:44], v[27:28]
	v_fma_f64 v[57:58], -v[24:25], v[41:42], 1.0
	v_fma_f64 v[39:40], v[39:40], v[55:56], v[39:40]
	v_fma_f64 v[55:56], -v[20:21], v[37:38], 1.0
	v_mul_f64 v[18:19], v[16:17], v[16:17]
	v_div_scale_f64 v[31:32], null, v[14:15], v[14:15], 1.0
	v_add_f64 v[33:34], v[16:17], v[16:17]
	v_rcp_f64_e32 v[45:46], v[29:30]
	v_fma_f64 v[59:60], -v[27:28], v[43:44], 1.0
	v_fma_f64 v[41:42], v[41:42], v[57:58], v[41:42]
	v_fma_f64 v[57:58], -v[22:23], v[39:40], 1.0
	v_fma_f64 v[37:38], v[37:38], v[55:56], v[37:38]
	v_div_scale_f64 v[55:56], s0, 1.0, v[6:7], 1.0
	v_div_scale_f64 v[35:36], null, v[18:19], v[18:19], 1.0
	v_rcp_f64_e32 v[47:48], v[31:32]
	v_div_scale_f64 v[49:50], null, v[33:34], v[33:34], 1.0
	v_div_scale_f64 v[71:72], s5, 1.0, v[18:19], 1.0
	v_fma_f64 v[61:62], -v[29:30], v[45:46], 1.0
	v_fma_f64 v[43:44], v[43:44], v[59:60], v[43:44]
	v_fma_f64 v[59:60], -v[24:25], v[41:42], 1.0
	v_fma_f64 v[39:40], v[39:40], v[57:58], v[39:40]
	v_div_scale_f64 v[57:58], s1, 1.0, v[8:9], 1.0
	v_div_scale_f64 v[81:82], s6, 1.0, v[33:34], 1.0
	v_rcp_f64_e32 v[51:52], v[35:36]
	v_rcp_f64_e32 v[63:64], v[49:50]
	v_fma_f64 v[65:66], -v[31:32], v[47:48], 1.0
	v_fma_f64 v[45:46], v[45:46], v[61:62], v[45:46]
	v_fma_f64 v[61:62], -v[27:28], v[43:44], 1.0
	v_fma_f64 v[41:42], v[41:42], v[59:60], v[41:42]
	v_div_scale_f64 v[59:60], s2, 1.0, v[10:11], 1.0
	v_mul_f64 v[73:74], v[55:56], v[39:40]
	v_fma_f64 v[67:68], -v[35:36], v[51:52], 1.0
	v_fma_f64 v[47:48], v[47:48], v[65:66], v[47:48]
	v_fma_f64 v[53:54], -v[49:50], v[63:64], 1.0
	v_fma_f64 v[65:66], -v[29:30], v[45:46], 1.0
	v_fma_f64 v[43:44], v[43:44], v[61:62], v[43:44]
	v_div_scale_f64 v[61:62], s3, 1.0, v[12:13], 1.0
	v_mul_f64 v[75:76], v[57:58], v[41:42]
	v_fma_f64 v[22:23], -v[22:23], v[73:74], v[55:56]
	v_fma_f64 v[51:52], v[51:52], v[67:68], v[51:52]
	v_fma_f64 v[67:68], -v[31:32], v[47:48], 1.0
	v_fma_f64 v[53:54], v[63:64], v[53:54], v[63:64]
	v_fma_f64 v[45:46], v[45:46], v[65:66], v[45:46]
	v_div_scale_f64 v[65:66], s4, 1.0, v[14:15], 1.0
	v_mul_f64 v[77:78], v[59:60], v[43:44]
	v_fma_f64 v[24:25], -v[24:25], v[75:76], v[57:58]
	v_fma_f64 v[63:64], -v[35:36], v[51:52], 1.0
	v_fma_f64 v[47:48], v[47:48], v[67:68], v[47:48]
	v_fma_f64 v[67:68], -v[49:50], v[53:54], 1.0
	v_mul_f64 v[79:80], v[61:62], v[45:46]
	v_fma_f64 v[27:28], -v[27:28], v[77:78], v[59:60]
	v_fma_f64 v[51:52], v[51:52], v[63:64], v[51:52]
	v_mul_f64 v[63:64], v[69:70], v[37:38]
	v_mul_f64 v[83:84], v[65:66], v[47:48]
	v_fma_f64 v[53:54], v[53:54], v[67:68], v[53:54]
	v_fma_f64 v[29:30], -v[29:30], v[79:80], v[61:62]
	v_mul_f64 v[67:68], v[71:72], v[51:52]
	v_fma_f64 v[20:21], -v[20:21], v[63:64], v[69:70]
	v_fma_f64 v[31:32], -v[31:32], v[83:84], v[65:66]
	v_mul_f64 v[55:56], v[81:82], v[53:54]
	v_fma_f64 v[35:36], -v[35:36], v[67:68], v[71:72]
	v_div_fmas_f64 v[20:21], v[20:21], v[37:38], v[63:64]
	s_mov_b32 vcc_lo, s0
	v_fma_f64 v[37:38], -v[49:50], v[55:56], v[81:82]
	v_div_fmas_f64 v[22:23], v[22:23], v[39:40], v[73:74]
	s_mov_b32 vcc_lo, s1
	s_mov_b32 s0, 0x11111111
	v_div_fmas_f64 v[24:25], v[24:25], v[41:42], v[75:76]
	s_mov_b32 vcc_lo, s2
	s_mov_b32 s1, 0x3fa11111
	;; [unrolled: 3-line block ×4, first 2 shown]
	v_div_fmas_f64 v[31:32], v[31:32], v[47:48], v[83:84]
	s_mov_b32 vcc_lo, s5
	v_div_fmas_f64 v[35:36], v[35:36], v[51:52], v[67:68]
	s_mov_b32 vcc_lo, s6
	v_div_fixup_f64 v[0:1], v[20:21], v[0:1], 1.0
	v_div_fmas_f64 v[37:38], v[37:38], v[53:54], v[55:56]
	v_div_fixup_f64 v[18:19], v[35:36], v[18:19], 1.0
	v_add_f64 v[0:1], v[4:5], v[0:1]
	v_div_fixup_f64 v[33:34], v[37:38], v[33:34], 1.0
	v_div_fixup_f64 v[4:5], v[22:23], v[6:7], 1.0
	v_fma_f64 v[35:36], v[18:19], s[2:3], s[0:1]
	s_mov_b32 s0, 0x55555555
	s_mov_b32 s1, 0x3fc55555
	v_add_f64 v[33:34], v[33:34], 1.0
	v_add_f64 v[0:1], v[0:1], v[4:5]
	v_div_fixup_f64 v[4:5], v[24:25], v[8:9], 1.0
	v_fma_f64 v[35:36], -v[18:19], v[35:36], s[0:1]
	s_and_b32 s1, s7, 0xff
	s_cmp_lt_i32 s1, 11
	v_add_f64 v[0:1], v[0:1], v[4:5]
	v_div_fixup_f64 v[4:5], v[27:28], v[10:11], 1.0
	v_fma_f64 v[18:19], v[18:19], v[35:36], v[33:34]
	v_add_f64 v[0:1], v[0:1], v[4:5]
	v_div_fixup_f64 v[4:5], v[29:30], v[12:13], 1.0
	v_div_scale_f64 v[33:34], null, v[16:17], v[16:17], v[18:19]
	v_div_scale_f64 v[8:9], vcc_lo, v[18:19], v[16:17], v[18:19]
	v_add_f64 v[0:1], v[0:1], v[4:5]
	v_div_fixup_f64 v[4:5], v[31:32], v[14:15], 1.0
	v_rcp_f64_e32 v[35:36], v[33:34]
	v_add_f64 v[0:1], v[0:1], v[4:5]
	v_fma_f64 v[37:38], -v[33:34], v[35:36], 1.0
	v_fma_f64 v[20:21], v[35:36], v[37:38], v[35:36]
	v_fma_f64 v[6:7], -v[33:34], v[20:21], 1.0
	v_fma_f64 v[6:7], v[20:21], v[6:7], v[20:21]
	v_mul_f64 v[10:11], v[8:9], v[6:7]
	v_fma_f64 v[8:9], -v[33:34], v[10:11], v[8:9]
	v_div_fmas_f64 v[6:7], v[8:9], v[6:7], v[10:11]
	v_div_fixup_f64 v[4:5], v[6:7], v[16:17], v[18:19]
	v_add_f64 v[0:1], v[0:1], v[4:5]
	v_mul_f64 v[0:1], v[2:3], v[0:1]
	v_mul_lo_u32 v2, v26, s12
	v_ashrrev_i32_e32 v3, 31, v2
	v_add_co_u32 v4, vcc_lo, s8, v2
	v_add_co_ci_u32_e64 v5, null, s9, v3, vcc_lo
	s_cbranch_scc1 .LBB48_25
; %bb.18:
	s_and_b32 s2, 0xffff, s1
	s_cmp_gt_i32 s2, 25
	s_cbranch_scc0 .LBB48_28
; %bb.19:
	s_cmp_gt_i32 s2, 28
	s_cbranch_scc0 .LBB48_30
; %bb.20:
	;; [unrolled: 3-line block ×4, first 2 shown]
	s_mov_b32 s4, 0
	s_mov_b32 s0, -1
	s_cmp_eq_u32 s2, 46
	s_mov_b32 s3, 0
	s_cbranch_scc0 .LBB48_39
; %bb.23:
	v_cvt_f32_f64_e32 v2, v[0:1]
	s_mov_b32 s3, -1
	s_mov_b32 s0, 0
	v_bfe_u32 v3, v2, 16, 1
	v_cmp_o_f32_e32 vcc_lo, v2, v2
	v_add3_u32 v2, v2, v3, 0x7fff
	v_mov_b32_e32 v3, 0x7fc0
	v_cndmask_b32_sdwa v2, v3, v2, vcc_lo dst_sel:DWORD dst_unused:UNUSED_PAD src0_sel:DWORD src1_sel:WORD_1
	global_store_dword v[4:5], v2, off
	s_branch .LBB48_39
.LBB48_24:
	s_mov_b32 s1, 0
                                        ; implicit-def: $vgpr0_vgpr1
	s_cbranch_execnz .LBB48_175
	s_branch .LBB48_207
.LBB48_25:
	s_mov_b32 s0, 0
	s_mov_b32 s3, 0
	s_cbranch_execnz .LBB48_108
.LBB48_26:
	s_andn2_b32 vcc_lo, exec_lo, s3
	s_cbranch_vccnz .LBB48_256
	s_branch .LBB48_146
.LBB48_27:
	s_mov_b32 s2, -1
	s_mov_b32 s1, 0
                                        ; implicit-def: $vgpr0_vgpr1
	s_branch .LBB48_154
.LBB48_28:
	s_mov_b32 s4, -1
	s_mov_b32 s0, 0
	s_mov_b32 s3, 0
	s_branch .LBB48_66
.LBB48_29:
	s_mov_b32 s2, -1
	s_mov_b32 s1, 0
                                        ; implicit-def: $vgpr0_vgpr1
	s_branch .LBB48_149
.LBB48_30:
	s_mov_b32 s4, -1
	s_mov_b32 s0, 0
	s_mov_b32 s3, 0
	s_branch .LBB48_49
.LBB48_31:
	s_mov_b32 s2, -1
	s_branch .LBB48_34
.LBB48_32:
	s_mov_b32 s4, -1
	s_mov_b32 s0, 0
	s_mov_b32 s3, 0
	s_branch .LBB48_45
.LBB48_33:
	s_mov_b32 s19, -1
.LBB48_34:
	s_mov_b32 s1, 0
                                        ; implicit-def: $vgpr0_vgpr1
.LBB48_35:
	s_and_b32 vcc_lo, exec_lo, s2
	s_cbranch_vccz .LBB48_148
; %bb.36:
	s_cmp_eq_u32 s0, 44
	s_cbranch_scc0 .LBB48_147
; %bb.37:
	global_load_ubyte v4, v[2:3], off
	s_mov_b32 s19, 0
	s_mov_b32 s1, -1
	s_waitcnt vmcnt(0)
	v_lshlrev_b32_e32 v0, 23, v4
	v_cmp_ne_u32_e32 vcc_lo, 0xff, v4
	v_cvt_f64_f32_e32 v[0:1], v0
	v_cndmask_b32_e32 v0, 0x20000000, v0, vcc_lo
	v_cndmask_b32_e32 v1, 0x7ff80000, v1, vcc_lo
	v_cmp_ne_u32_e32 vcc_lo, 0, v4
	v_cndmask_b32_e32 v1, 0x38000000, v1, vcc_lo
	v_cndmask_b32_e32 v0, 0, v0, vcc_lo
	s_branch .LBB48_148
.LBB48_38:
	s_mov_b32 s4, -1
	s_mov_b32 s0, 0
	s_mov_b32 s3, 0
.LBB48_39:
	s_and_b32 vcc_lo, exec_lo, s4
	s_cbranch_vccz .LBB48_44
; %bb.40:
	s_cmp_eq_u32 s2, 44
	s_mov_b32 s0, -1
	s_cbranch_scc0 .LBB48_44
; %bb.41:
	v_cvt_f32_f64_e32 v2, v[0:1]
	v_mov_b32_e32 v3, 0xff
	s_mov_b32 s3, exec_lo
	v_bfe_u32 v6, v2, 23, 8
	v_cmpx_ne_u32_e32 0xff, v6
	s_cbranch_execz .LBB48_43
; %bb.42:
	v_and_b32_e32 v3, 0x400000, v2
	v_and_or_b32 v6, 0x3fffff, v2, v6
	v_lshrrev_b32_e32 v2, 23, v2
	v_cmp_ne_u32_e32 vcc_lo, 0, v3
	v_cmp_ne_u32_e64 s0, 0, v6
	s_and_b32 s0, vcc_lo, s0
	v_cndmask_b32_e64 v3, 0, 1, s0
	v_add_nc_u32_e32 v3, v2, v3
.LBB48_43:
	s_or_b32 exec_lo, exec_lo, s3
	s_mov_b32 s3, -1
	s_mov_b32 s0, 0
	global_store_byte v[4:5], v3, off
.LBB48_44:
	s_mov_b32 s4, 0
.LBB48_45:
	s_and_b32 vcc_lo, exec_lo, s4
	s_cbranch_vccz .LBB48_48
; %bb.46:
	s_cmp_eq_u32 s2, 29
	s_mov_b32 s0, -1
	s_cbranch_scc0 .LBB48_48
; %bb.47:
	v_trunc_f64_e32 v[2:3], v[0:1]
	s_mov_b32 s3, -1
	s_mov_b32 s0, 0
	s_mov_b32 s4, 0
	v_ldexp_f64 v[6:7], v[2:3], 0xffffffe0
	v_floor_f64_e32 v[6:7], v[6:7]
	v_fma_f64 v[2:3], 0xc1f00000, v[6:7], v[2:3]
	v_cvt_u32_f64_e32 v7, v[6:7]
	v_cvt_u32_f64_e32 v6, v[2:3]
	global_store_dwordx2 v[4:5], v[6:7], off
	s_branch .LBB48_49
.LBB48_48:
	s_mov_b32 s4, 0
.LBB48_49:
	s_and_b32 vcc_lo, exec_lo, s4
	s_cbranch_vccz .LBB48_65
; %bb.50:
	s_cmp_lt_i32 s2, 27
	s_mov_b32 s3, -1
	s_cbranch_scc1 .LBB48_56
; %bb.51:
	v_cvt_u32_f64_e32 v2, v[0:1]
	s_cmp_gt_i32 s2, 27
	s_cbranch_scc0 .LBB48_53
; %bb.52:
	s_mov_b32 s3, 0
	global_store_dword v[4:5], v2, off
.LBB48_53:
	s_andn2_b32 vcc_lo, exec_lo, s3
	s_cbranch_vccnz .LBB48_55
; %bb.54:
	global_store_short v[4:5], v2, off
.LBB48_55:
	s_mov_b32 s3, 0
.LBB48_56:
	s_andn2_b32 vcc_lo, exec_lo, s3
	s_cbranch_vccnz .LBB48_64
; %bb.57:
	v_cvt_f32_f64_e32 v2, v[0:1]
	v_mov_b32_e32 v6, 0x80
	s_mov_b32 s3, exec_lo
	v_and_b32_e32 v3, 0x7fffffff, v2
	v_cmpx_gt_u32_e32 0x43800000, v3
	s_cbranch_execz .LBB48_63
; %bb.58:
	v_cmp_lt_u32_e32 vcc_lo, 0x3bffffff, v3
	s_mov_b32 s4, 0
                                        ; implicit-def: $vgpr3
	s_and_saveexec_b32 s5, vcc_lo
	s_xor_b32 s5, exec_lo, s5
	s_cbranch_execz .LBB48_291
; %bb.59:
	v_bfe_u32 v3, v2, 20, 1
	s_mov_b32 s4, exec_lo
	v_add3_u32 v3, v2, v3, 0x487ffff
	v_lshrrev_b32_e32 v3, 20, v3
	s_andn2_saveexec_b32 s5, s5
	s_cbranch_execnz .LBB48_292
.LBB48_60:
	s_or_b32 exec_lo, exec_lo, s5
	v_mov_b32_e32 v6, 0
	s_and_saveexec_b32 s5, s4
.LBB48_61:
	v_lshrrev_b32_e32 v2, 24, v2
	v_and_or_b32 v6, 0x80, v2, v3
.LBB48_62:
	s_or_b32 exec_lo, exec_lo, s5
.LBB48_63:
	s_or_b32 exec_lo, exec_lo, s3
	global_store_byte v[4:5], v6, off
.LBB48_64:
	s_mov_b32 s3, -1
.LBB48_65:
	s_mov_b32 s4, 0
.LBB48_66:
	s_and_b32 vcc_lo, exec_lo, s4
	s_cbranch_vccz .LBB48_107
; %bb.67:
	s_cmp_gt_i32 s2, 22
	s_mov_b32 s4, -1
	s_cbranch_scc0 .LBB48_99
; %bb.68:
	s_cmp_lt_i32 s2, 24
	s_mov_b32 s3, -1
	s_cbranch_scc1 .LBB48_88
; %bb.69:
	s_cmp_gt_i32 s2, 24
	s_cbranch_scc0 .LBB48_77
; %bb.70:
	v_cvt_f32_f64_e32 v2, v[0:1]
	v_mov_b32_e32 v6, 0x80
	s_mov_b32 s3, exec_lo
	v_and_b32_e32 v3, 0x7fffffff, v2
	v_cmpx_gt_u32_e32 0x47800000, v3
	s_cbranch_execz .LBB48_76
; %bb.71:
	v_cmp_lt_u32_e32 vcc_lo, 0x37ffffff, v3
	s_mov_b32 s4, 0
                                        ; implicit-def: $vgpr3
	s_and_saveexec_b32 s5, vcc_lo
	s_xor_b32 s5, exec_lo, s5
	s_cbranch_execz .LBB48_295
; %bb.72:
	v_bfe_u32 v3, v2, 21, 1
	s_mov_b32 s4, exec_lo
	v_add3_u32 v3, v2, v3, 0x88fffff
	v_lshrrev_b32_e32 v3, 21, v3
	s_andn2_saveexec_b32 s5, s5
	s_cbranch_execnz .LBB48_296
.LBB48_73:
	s_or_b32 exec_lo, exec_lo, s5
	v_mov_b32_e32 v6, 0
	s_and_saveexec_b32 s5, s4
.LBB48_74:
	v_lshrrev_b32_e32 v2, 24, v2
	v_and_or_b32 v6, 0x80, v2, v3
.LBB48_75:
	s_or_b32 exec_lo, exec_lo, s5
.LBB48_76:
	s_or_b32 exec_lo, exec_lo, s3
	s_mov_b32 s3, 0
	global_store_byte v[4:5], v6, off
.LBB48_77:
	s_and_b32 vcc_lo, exec_lo, s3
	s_cbranch_vccz .LBB48_87
; %bb.78:
	v_cvt_f32_f64_e32 v2, v[0:1]
	s_mov_b32 s3, exec_lo
                                        ; implicit-def: $vgpr3
	v_and_b32_e32 v6, 0x7fffffff, v2
	v_cmpx_gt_u32_e32 0x43f00000, v6
	s_xor_b32 s3, exec_lo, s3
	s_cbranch_execz .LBB48_84
; %bb.79:
	s_mov_b32 s4, exec_lo
                                        ; implicit-def: $vgpr3
	v_cmpx_lt_u32_e32 0x3c7fffff, v6
	s_xor_b32 s4, exec_lo, s4
; %bb.80:
	v_bfe_u32 v3, v2, 20, 1
	v_add3_u32 v3, v2, v3, 0x407ffff
	v_and_b32_e32 v6, 0xff00000, v3
	v_lshrrev_b32_e32 v3, 20, v3
	v_cmp_ne_u32_e32 vcc_lo, 0x7f00000, v6
	v_cndmask_b32_e32 v3, 0x7e, v3, vcc_lo
; %bb.81:
	s_andn2_saveexec_b32 s4, s4
; %bb.82:
	v_add_f32_e64 v3, 0x46800000, |v2|
; %bb.83:
	s_or_b32 exec_lo, exec_lo, s4
                                        ; implicit-def: $vgpr6
.LBB48_84:
	s_andn2_saveexec_b32 s3, s3
; %bb.85:
	v_mov_b32_e32 v3, 0x7f
	v_cmp_lt_u32_e32 vcc_lo, 0x7f800000, v6
	v_cndmask_b32_e32 v3, 0x7e, v3, vcc_lo
; %bb.86:
	s_or_b32 exec_lo, exec_lo, s3
	v_lshrrev_b32_e32 v2, 24, v2
	v_and_or_b32 v2, 0x80, v2, v3
	global_store_byte v[4:5], v2, off
.LBB48_87:
	s_mov_b32 s3, 0
.LBB48_88:
	s_andn2_b32 vcc_lo, exec_lo, s3
	s_cbranch_vccnz .LBB48_98
; %bb.89:
	v_cvt_f32_f64_e32 v2, v[0:1]
	s_mov_b32 s3, exec_lo
                                        ; implicit-def: $vgpr3
	v_and_b32_e32 v6, 0x7fffffff, v2
	v_cmpx_gt_u32_e32 0x47800000, v6
	s_xor_b32 s3, exec_lo, s3
	s_cbranch_execz .LBB48_95
; %bb.90:
	s_mov_b32 s4, exec_lo
                                        ; implicit-def: $vgpr3
	v_cmpx_lt_u32_e32 0x387fffff, v6
	s_xor_b32 s4, exec_lo, s4
; %bb.91:
	v_bfe_u32 v3, v2, 21, 1
	v_add3_u32 v3, v2, v3, 0x80fffff
	v_lshrrev_b32_e32 v3, 21, v3
; %bb.92:
	s_andn2_saveexec_b32 s4, s4
; %bb.93:
	v_add_f32_e64 v3, 0x43000000, |v2|
; %bb.94:
	s_or_b32 exec_lo, exec_lo, s4
                                        ; implicit-def: $vgpr6
.LBB48_95:
	s_andn2_saveexec_b32 s3, s3
; %bb.96:
	v_mov_b32_e32 v3, 0x7f
	v_cmp_lt_u32_e32 vcc_lo, 0x7f800000, v6
	v_cndmask_b32_e32 v3, 0x7c, v3, vcc_lo
; %bb.97:
	s_or_b32 exec_lo, exec_lo, s3
	v_lshrrev_b32_e32 v2, 24, v2
	v_and_or_b32 v2, 0x80, v2, v3
	global_store_byte v[4:5], v2, off
.LBB48_98:
	s_mov_b32 s4, 0
	s_mov_b32 s3, -1
.LBB48_99:
	s_andn2_b32 vcc_lo, exec_lo, s4
	s_cbranch_vccnz .LBB48_107
; %bb.100:
	s_cmp_gt_i32 s2, 14
	s_mov_b32 s4, -1
	s_cbranch_scc0 .LBB48_104
; %bb.101:
	s_cmp_eq_u32 s2, 15
	s_mov_b32 s0, -1
	s_cbranch_scc0 .LBB48_103
; %bb.102:
	v_cvt_f32_f64_e32 v2, v[0:1]
	s_mov_b32 s3, -1
	s_mov_b32 s0, 0
	v_bfe_u32 v3, v2, 16, 1
	v_cmp_o_f32_e32 vcc_lo, v2, v2
	v_add3_u32 v2, v2, v3, 0x7fff
	v_mov_b32_e32 v3, 0x7fc0
	v_cndmask_b32_sdwa v2, v3, v2, vcc_lo dst_sel:DWORD dst_unused:UNUSED_PAD src0_sel:DWORD src1_sel:WORD_1
	global_store_short v[4:5], v2, off
.LBB48_103:
	s_mov_b32 s4, 0
.LBB48_104:
	s_and_b32 vcc_lo, exec_lo, s4
	s_cbranch_vccz .LBB48_107
; %bb.105:
	s_cmp_eq_u32 s2, 11
	s_mov_b32 s0, -1
	s_cbranch_scc0 .LBB48_107
; %bb.106:
	v_cmp_neq_f64_e32 vcc_lo, 0, v[0:1]
	s_mov_b32 s3, -1
	s_mov_b32 s0, 0
	v_cndmask_b32_e64 v2, 0, 1, vcc_lo
	global_store_byte v[4:5], v2, off
.LBB48_107:
	s_branch .LBB48_26
.LBB48_108:
	s_and_b32 s1, 0xffff, s1
	s_mov_b32 s2, -1
	s_cmp_lt_i32 s1, 5
	s_cbranch_scc1 .LBB48_129
; %bb.109:
	s_cmp_lt_i32 s1, 8
	s_cbranch_scc1 .LBB48_119
; %bb.110:
	;; [unrolled: 3-line block ×3, first 2 shown]
	s_cmp_gt_i32 s1, 9
	s_cbranch_scc0 .LBB48_113
; %bb.112:
	v_mov_b32_e32 v2, 0
	s_mov_b32 s2, 0
	v_mov_b32_e32 v3, v2
	global_store_dwordx4 v[4:5], v[0:3], off
.LBB48_113:
	s_andn2_b32 vcc_lo, exec_lo, s2
	s_cbranch_vccnz .LBB48_115
; %bb.114:
	v_cvt_f32_f64_e32 v2, v[0:1]
	v_mov_b32_e32 v3, 0
	global_store_dwordx2 v[4:5], v[2:3], off
.LBB48_115:
	s_mov_b32 s2, 0
.LBB48_116:
	s_andn2_b32 vcc_lo, exec_lo, s2
	s_cbranch_vccnz .LBB48_118
; %bb.117:
	v_and_or_b32 v2, 0x1ff, v1, v0
	v_lshrrev_b32_e32 v3, 8, v1
	v_bfe_u32 v6, v1, 20, 11
	v_cmp_ne_u32_e32 vcc_lo, 0, v2
	v_sub_nc_u32_e32 v7, 0x3f1, v6
	v_add_nc_u32_e32 v6, 0xfffffc10, v6
	v_cndmask_b32_e64 v2, 0, 1, vcc_lo
	v_and_or_b32 v2, 0xffe, v3, v2
	v_med3_i32 v3, v7, 0, 13
	v_or_b32_e32 v7, 0x1000, v2
	v_lshrrev_b32_e32 v8, v3, v7
	v_lshlrev_b32_e32 v3, v3, v8
	v_cmp_ne_u32_e32 vcc_lo, v3, v7
	v_lshl_or_b32 v7, v6, 12, v2
	v_cndmask_b32_e64 v3, 0, 1, vcc_lo
	v_cmp_gt_i32_e32 vcc_lo, 1, v6
	v_or_b32_e32 v3, v8, v3
	v_cndmask_b32_e32 v3, v7, v3, vcc_lo
	v_and_b32_e32 v7, 7, v3
	v_lshrrev_b32_e32 v3, 2, v3
	v_cmp_lt_i32_e32 vcc_lo, 5, v7
	v_cndmask_b32_e64 v8, 0, 1, vcc_lo
	v_cmp_eq_u32_e32 vcc_lo, 3, v7
	v_cndmask_b32_e64 v7, 0, 1, vcc_lo
	v_cmp_ne_u32_e32 vcc_lo, 0, v2
	v_or_b32_e32 v7, v7, v8
	v_mov_b32_e32 v8, 0x7e00
	v_add_nc_u32_e32 v3, v3, v7
	v_cndmask_b32_e32 v2, 0x7c00, v8, vcc_lo
	v_cmp_gt_i32_e32 vcc_lo, 31, v6
	v_cndmask_b32_e32 v3, 0x7c00, v3, vcc_lo
	v_cmp_eq_u32_e32 vcc_lo, 0x40f, v6
	v_cndmask_b32_e32 v2, v3, v2, vcc_lo
	v_lshrrev_b32_e32 v3, 16, v1
	v_and_or_b32 v2, 0x8000, v3, v2
	v_and_b32_e32 v2, 0xffff, v2
	global_store_dword v[4:5], v2, off
.LBB48_118:
	s_mov_b32 s2, 0
.LBB48_119:
	s_andn2_b32 vcc_lo, exec_lo, s2
	s_cbranch_vccnz .LBB48_128
; %bb.120:
	s_cmp_lt_i32 s1, 6
	s_mov_b32 s2, -1
	s_cbranch_scc1 .LBB48_126
; %bb.121:
	s_cmp_gt_i32 s1, 6
	s_cbranch_scc0 .LBB48_123
; %bb.122:
	s_mov_b32 s2, 0
	global_store_dwordx2 v[4:5], v[0:1], off
.LBB48_123:
	s_andn2_b32 vcc_lo, exec_lo, s2
	s_cbranch_vccnz .LBB48_125
; %bb.124:
	v_cvt_f32_f64_e32 v2, v[0:1]
	global_store_dword v[4:5], v2, off
.LBB48_125:
	s_mov_b32 s2, 0
.LBB48_126:
	s_andn2_b32 vcc_lo, exec_lo, s2
	s_cbranch_vccnz .LBB48_128
; %bb.127:
	v_and_or_b32 v2, 0x1ff, v1, v0
	v_lshrrev_b32_e32 v3, 8, v1
	v_bfe_u32 v6, v1, 20, 11
	v_cmp_ne_u32_e32 vcc_lo, 0, v2
	v_sub_nc_u32_e32 v7, 0x3f1, v6
	v_add_nc_u32_e32 v6, 0xfffffc10, v6
	v_cndmask_b32_e64 v2, 0, 1, vcc_lo
	v_and_or_b32 v2, 0xffe, v3, v2
	v_med3_i32 v3, v7, 0, 13
	v_or_b32_e32 v7, 0x1000, v2
	v_lshrrev_b32_e32 v8, v3, v7
	v_lshlrev_b32_e32 v3, v3, v8
	v_cmp_ne_u32_e32 vcc_lo, v3, v7
	v_lshl_or_b32 v7, v6, 12, v2
	v_cndmask_b32_e64 v3, 0, 1, vcc_lo
	v_cmp_gt_i32_e32 vcc_lo, 1, v6
	v_or_b32_e32 v3, v8, v3
	v_cndmask_b32_e32 v3, v7, v3, vcc_lo
	v_and_b32_e32 v7, 7, v3
	v_lshrrev_b32_e32 v3, 2, v3
	v_cmp_lt_i32_e32 vcc_lo, 5, v7
	v_cndmask_b32_e64 v8, 0, 1, vcc_lo
	v_cmp_eq_u32_e32 vcc_lo, 3, v7
	v_cndmask_b32_e64 v7, 0, 1, vcc_lo
	v_cmp_ne_u32_e32 vcc_lo, 0, v2
	v_or_b32_e32 v7, v7, v8
	v_mov_b32_e32 v8, 0x7e00
	v_add_nc_u32_e32 v3, v3, v7
	v_cndmask_b32_e32 v2, 0x7c00, v8, vcc_lo
	v_cmp_gt_i32_e32 vcc_lo, 31, v6
	v_cndmask_b32_e32 v3, 0x7c00, v3, vcc_lo
	v_cmp_eq_u32_e32 vcc_lo, 0x40f, v6
	v_cndmask_b32_e32 v2, v3, v2, vcc_lo
	v_lshrrev_b32_e32 v3, 16, v1
	v_and_or_b32 v2, 0x8000, v3, v2
	global_store_short v[4:5], v2, off
.LBB48_128:
	s_mov_b32 s2, 0
.LBB48_129:
	s_andn2_b32 vcc_lo, exec_lo, s2
	s_cbranch_vccnz .LBB48_145
; %bb.130:
	s_cmp_lt_i32 s1, 2
	s_mov_b32 s2, -1
	s_cbranch_scc1 .LBB48_140
; %bb.131:
	s_cmp_lt_i32 s1, 3
	s_cbranch_scc1 .LBB48_137
; %bb.132:
	s_cmp_gt_i32 s1, 3
	s_cbranch_scc0 .LBB48_134
; %bb.133:
	v_trunc_f64_e32 v[2:3], v[0:1]
	s_mov_b32 s2, 0
	v_ldexp_f64 v[6:7], v[2:3], 0xffffffe0
	v_floor_f64_e32 v[6:7], v[6:7]
	v_fma_f64 v[2:3], 0xc1f00000, v[6:7], v[2:3]
	v_cvt_i32_f64_e32 v7, v[6:7]
	v_cvt_u32_f64_e32 v6, v[2:3]
	global_store_dwordx2 v[4:5], v[6:7], off
.LBB48_134:
	s_andn2_b32 vcc_lo, exec_lo, s2
	s_cbranch_vccnz .LBB48_136
; %bb.135:
	v_cvt_i32_f64_e32 v2, v[0:1]
	global_store_dword v[4:5], v2, off
.LBB48_136:
	s_mov_b32 s2, 0
.LBB48_137:
	s_andn2_b32 vcc_lo, exec_lo, s2
	s_cbranch_vccnz .LBB48_139
; %bb.138:
	v_cvt_i32_f64_e32 v2, v[0:1]
	global_store_short v[4:5], v2, off
.LBB48_139:
	s_mov_b32 s2, 0
.LBB48_140:
	s_andn2_b32 vcc_lo, exec_lo, s2
	s_cbranch_vccnz .LBB48_145
; %bb.141:
	s_cmp_gt_i32 s1, 0
	s_mov_b32 s1, -1
	s_cbranch_scc0 .LBB48_143
; %bb.142:
	v_cvt_i32_f64_e32 v2, v[0:1]
	s_mov_b32 s1, 0
	global_store_byte v[4:5], v2, off
.LBB48_143:
	s_andn2_b32 vcc_lo, exec_lo, s1
	s_cbranch_vccnz .LBB48_145
; %bb.144:
	v_trunc_f64_e32 v[0:1], v[0:1]
	v_ldexp_f64 v[2:3], v[0:1], 0xffffffe0
	v_floor_f64_e32 v[2:3], v[2:3]
	v_fma_f64 v[0:1], 0xc1f00000, v[2:3], v[0:1]
	v_cvt_u32_f64_e32 v0, v[0:1]
	global_store_byte v[4:5], v0, off
.LBB48_145:
.LBB48_146:
	v_add_nc_u32_e32 v26, 0x80, v26
	s_mov_b32 s1, -1
	s_branch .LBB48_257
.LBB48_147:
	s_mov_b32 s19, -1
                                        ; implicit-def: $vgpr0_vgpr1
.LBB48_148:
	s_mov_b32 s2, 0
.LBB48_149:
	s_and_b32 vcc_lo, exec_lo, s2
	s_cbranch_vccz .LBB48_153
; %bb.150:
	s_cmp_eq_u32 s0, 29
	s_cbranch_scc0 .LBB48_152
; %bb.151:
	global_load_dwordx2 v[0:1], v[2:3], off
	s_mov_b32 s1, -1
	s_mov_b32 s19, 0
	s_mov_b32 s2, 0
	s_waitcnt vmcnt(0)
	v_cvt_f64_u32_e32 v[4:5], v1
	v_cvt_f64_u32_e32 v[0:1], v0
	v_ldexp_f64 v[4:5], v[4:5], 32
	v_add_f64 v[0:1], v[4:5], v[0:1]
	s_branch .LBB48_154
.LBB48_152:
	s_mov_b32 s19, -1
                                        ; implicit-def: $vgpr0_vgpr1
.LBB48_153:
	s_mov_b32 s2, 0
.LBB48_154:
	s_and_b32 vcc_lo, exec_lo, s2
	s_cbranch_vccz .LBB48_174
; %bb.155:
	s_cmp_lt_i32 s0, 27
	s_cbranch_scc1 .LBB48_158
; %bb.156:
	s_cmp_gt_i32 s0, 27
	s_cbranch_scc0 .LBB48_159
; %bb.157:
	global_load_dword v0, v[2:3], off
	s_mov_b32 s1, 0
	s_waitcnt vmcnt(0)
	v_cvt_f64_u32_e32 v[0:1], v0
	s_branch .LBB48_160
.LBB48_158:
	s_mov_b32 s1, -1
                                        ; implicit-def: $vgpr0_vgpr1
	s_branch .LBB48_163
.LBB48_159:
	s_mov_b32 s1, -1
                                        ; implicit-def: $vgpr0_vgpr1
.LBB48_160:
	s_andn2_b32 vcc_lo, exec_lo, s1
	s_cbranch_vccnz .LBB48_162
; %bb.161:
	global_load_ushort v0, v[2:3], off
	s_waitcnt vmcnt(0)
	v_cvt_f64_u32_e32 v[0:1], v0
.LBB48_162:
	s_mov_b32 s1, 0
.LBB48_163:
	s_andn2_b32 vcc_lo, exec_lo, s1
	s_cbranch_vccnz .LBB48_173
; %bb.164:
	global_load_ubyte v4, v[2:3], off
	s_mov_b32 s1, 0
	s_mov_b32 s2, exec_lo
	s_waitcnt vmcnt(0)
	v_cmpx_lt_i16_e32 0x7f, v4
	s_xor_b32 s2, exec_lo, s2
	s_cbranch_execz .LBB48_168
; %bb.165:
	s_mov_b32 s1, -1
	s_mov_b32 s3, exec_lo
	v_cmpx_eq_u16_e32 0x80, v4
; %bb.166:
	s_xor_b32 s1, exec_lo, -1
; %bb.167:
	s_or_b32 exec_lo, exec_lo, s3
	s_and_b32 s1, s1, exec_lo
.LBB48_168:
	s_or_saveexec_b32 s2, s2
	v_bfrev_b32_e32 v0, 4
	v_mov_b32_e32 v1, 0x7ff80000
	s_xor_b32 exec_lo, exec_lo, s2
; %bb.169:
	v_cmp_ne_u16_e32 vcc_lo, 0, v4
	v_mov_b32_e32 v0, 0
	v_mov_b32_e32 v1, 0
	s_andn2_b32 s1, s1, exec_lo
	s_and_b32 s3, vcc_lo, exec_lo
	s_or_b32 s1, s1, s3
; %bb.170:
	s_or_b32 exec_lo, exec_lo, s2
	s_and_saveexec_b32 s2, s1
	s_cbranch_execz .LBB48_172
; %bb.171:
	v_and_b32_e32 v0, 0xffff, v4
	v_lshlrev_b32_e32 v4, 24, v4
	v_and_b32_e32 v1, 7, v0
	v_bfe_u32 v7, v0, 3, 4
	v_ffbh_u32_e32 v5, v1
	v_cmp_eq_u32_e32 vcc_lo, 0, v7
	v_min_u32_e32 v5, 32, v5
	v_subrev_nc_u32_e32 v6, 28, v5
	v_sub_nc_u32_e32 v5, 29, v5
	v_lshlrev_b32_e32 v0, v6, v0
	v_cndmask_b32_e32 v5, v7, v5, vcc_lo
	v_and_b32_e32 v0, 7, v0
	v_cndmask_b32_e32 v0, v1, v0, vcc_lo
	v_and_b32_e32 v1, 0x80000000, v4
	v_lshl_add_u32 v4, v5, 23, 0x3b800000
	v_lshlrev_b32_e32 v0, 20, v0
	v_or3_b32 v0, v1, v4, v0
	v_cvt_f64_f32_e32 v[0:1], v0
.LBB48_172:
	s_or_b32 exec_lo, exec_lo, s2
.LBB48_173:
	s_mov_b32 s1, -1
.LBB48_174:
	s_branch .LBB48_207
.LBB48_175:
	s_cmp_gt_i32 s0, 22
	s_cbranch_scc0 .LBB48_187
; %bb.176:
	s_cmp_lt_i32 s0, 24
	s_cbranch_scc1 .LBB48_188
; %bb.177:
	s_cmp_gt_i32 s0, 24
	s_cbranch_scc0 .LBB48_189
; %bb.178:
	global_load_ubyte v4, v[2:3], off
	s_mov_b32 s1, 0
	s_mov_b32 s2, exec_lo
	s_waitcnt vmcnt(0)
	v_cmpx_lt_i16_e32 0x7f, v4
	s_xor_b32 s2, exec_lo, s2
	s_cbranch_execz .LBB48_182
; %bb.179:
	s_mov_b32 s1, -1
	s_mov_b32 s3, exec_lo
	v_cmpx_eq_u16_e32 0x80, v4
; %bb.180:
	s_xor_b32 s1, exec_lo, -1
; %bb.181:
	s_or_b32 exec_lo, exec_lo, s3
	s_and_b32 s1, s1, exec_lo
.LBB48_182:
	s_or_saveexec_b32 s2, s2
	v_bfrev_b32_e32 v0, 4
	v_mov_b32_e32 v1, 0x7ff80000
	s_xor_b32 exec_lo, exec_lo, s2
; %bb.183:
	v_cmp_ne_u16_e32 vcc_lo, 0, v4
	v_mov_b32_e32 v0, 0
	v_mov_b32_e32 v1, 0
	s_andn2_b32 s1, s1, exec_lo
	s_and_b32 s3, vcc_lo, exec_lo
	s_or_b32 s1, s1, s3
; %bb.184:
	s_or_b32 exec_lo, exec_lo, s2
	s_and_saveexec_b32 s2, s1
	s_cbranch_execz .LBB48_186
; %bb.185:
	v_and_b32_e32 v0, 0xffff, v4
	v_lshlrev_b32_e32 v4, 24, v4
	v_and_b32_e32 v1, 3, v0
	v_bfe_u32 v7, v0, 2, 5
	v_ffbh_u32_e32 v5, v1
	v_cmp_eq_u32_e32 vcc_lo, 0, v7
	v_min_u32_e32 v5, 32, v5
	v_subrev_nc_u32_e32 v6, 29, v5
	v_sub_nc_u32_e32 v5, 30, v5
	v_lshlrev_b32_e32 v0, v6, v0
	v_cndmask_b32_e32 v5, v7, v5, vcc_lo
	v_and_b32_e32 v0, 3, v0
	v_cndmask_b32_e32 v0, v1, v0, vcc_lo
	v_and_b32_e32 v1, 0x80000000, v4
	v_lshl_add_u32 v4, v5, 23, 0x37800000
	v_lshlrev_b32_e32 v0, 21, v0
	v_or3_b32 v0, v1, v4, v0
	v_cvt_f64_f32_e32 v[0:1], v0
.LBB48_186:
	s_or_b32 exec_lo, exec_lo, s2
	s_mov_b32 s1, 0
	s_branch .LBB48_190
.LBB48_187:
	s_mov_b32 s2, -1
                                        ; implicit-def: $vgpr0_vgpr1
	s_branch .LBB48_196
.LBB48_188:
	s_mov_b32 s1, -1
                                        ; implicit-def: $vgpr0_vgpr1
	s_branch .LBB48_193
.LBB48_189:
	s_mov_b32 s1, -1
                                        ; implicit-def: $vgpr0_vgpr1
.LBB48_190:
	s_and_b32 vcc_lo, exec_lo, s1
	s_cbranch_vccz .LBB48_192
; %bb.191:
	global_load_ubyte v0, v[2:3], off
	s_waitcnt vmcnt(0)
	v_lshlrev_b32_e32 v0, 24, v0
	v_and_b32_e32 v1, 0x7f000000, v0
	v_ffbh_u32_e32 v4, v1
	v_add_nc_u32_e32 v6, 0x1000000, v1
	v_cmp_ne_u32_e32 vcc_lo, 0, v1
	v_min_u32_e32 v4, 32, v4
	v_sub_nc_u32_e64 v4, v4, 4 clamp
	v_lshlrev_b32_e32 v5, v4, v1
	v_lshlrev_b32_e32 v4, 23, v4
	v_lshrrev_b32_e32 v5, 4, v5
	v_sub_nc_u32_e32 v4, v5, v4
	v_ashrrev_i32_e32 v5, 8, v6
	v_add_nc_u32_e32 v4, 0x3c000000, v4
	v_and_or_b32 v4, 0x7f800000, v5, v4
	v_cndmask_b32_e32 v1, 0, v4, vcc_lo
	v_and_or_b32 v0, 0x80000000, v0, v1
	v_cvt_f64_f32_e32 v[0:1], v0
.LBB48_192:
	s_mov_b32 s1, 0
.LBB48_193:
	s_andn2_b32 vcc_lo, exec_lo, s1
	s_cbranch_vccnz .LBB48_195
; %bb.194:
	global_load_ubyte v0, v[2:3], off
	s_waitcnt vmcnt(0)
	v_lshlrev_b32_e32 v1, 25, v0
	v_lshlrev_b16 v0, 8, v0
	v_lshrrev_b32_e32 v4, 4, v1
	v_and_or_b32 v5, 0x7f00, v0, 0.5
	v_cmp_gt_u32_e32 vcc_lo, 0x8000000, v1
	v_bfe_i32 v0, v0, 0, 16
	v_or_b32_e32 v4, 0x70000000, v4
	v_add_f32_e32 v5, -0.5, v5
	v_mul_f32_e32 v4, 0x7800000, v4
	v_cndmask_b32_e32 v1, v4, v5, vcc_lo
	v_and_or_b32 v0, 0x80000000, v0, v1
	v_cvt_f64_f32_e32 v[0:1], v0
.LBB48_195:
	s_mov_b32 s2, 0
	s_mov_b32 s1, -1
.LBB48_196:
	s_andn2_b32 vcc_lo, exec_lo, s2
	s_cbranch_vccnz .LBB48_207
; %bb.197:
	s_cmp_gt_i32 s0, 14
	s_cbranch_scc0 .LBB48_200
; %bb.198:
	s_cmp_eq_u32 s0, 15
	s_cbranch_scc0 .LBB48_201
; %bb.199:
	global_load_ushort v0, v[2:3], off
	s_mov_b32 s1, -1
	s_mov_b32 s19, 0
	s_waitcnt vmcnt(0)
	v_lshlrev_b32_e32 v0, 16, v0
	v_cvt_f64_f32_e32 v[0:1], v0
	s_branch .LBB48_202
.LBB48_200:
	s_mov_b32 s2, -1
                                        ; implicit-def: $vgpr0_vgpr1
	s_branch .LBB48_203
.LBB48_201:
	s_mov_b32 s19, -1
                                        ; implicit-def: $vgpr0_vgpr1
.LBB48_202:
	s_mov_b32 s2, 0
.LBB48_203:
	s_and_b32 vcc_lo, exec_lo, s2
	s_cbranch_vccz .LBB48_207
; %bb.204:
	s_cmp_eq_u32 s0, 11
	s_cbranch_scc0 .LBB48_206
; %bb.205:
	global_load_ubyte v0, v[2:3], off
	s_mov_b32 s19, 0
	s_mov_b32 s1, -1
	s_waitcnt vmcnt(0)
	v_cmp_ne_u16_e32 vcc_lo, 0, v0
	v_mov_b32_e32 v0, 0
	v_cndmask_b32_e64 v1, 0, 0x3ff00000, vcc_lo
	s_branch .LBB48_207
.LBB48_206:
	s_mov_b32 s19, -1
                                        ; implicit-def: $vgpr0_vgpr1
.LBB48_207:
	s_branch .LBB48_10
.LBB48_208:
	s_cmp_lt_i32 s0, 5
	s_cbranch_scc1 .LBB48_213
; %bb.209:
	s_cmp_lt_i32 s0, 8
	s_cbranch_scc1 .LBB48_214
; %bb.210:
	;; [unrolled: 3-line block ×3, first 2 shown]
	s_cmp_gt_i32 s0, 9
	s_cbranch_scc0 .LBB48_216
; %bb.212:
	global_load_dwordx2 v[0:1], v[2:3], off
	s_mov_b32 s1, 0
	s_branch .LBB48_217
.LBB48_213:
                                        ; implicit-def: $vgpr0_vgpr1
	s_branch .LBB48_235
.LBB48_214:
	s_mov_b32 s1, -1
                                        ; implicit-def: $vgpr0_vgpr1
	s_branch .LBB48_223
.LBB48_215:
	s_mov_b32 s1, -1
                                        ; implicit-def: $vgpr0_vgpr1
	s_branch .LBB48_220
.LBB48_216:
	s_mov_b32 s1, -1
                                        ; implicit-def: $vgpr0_vgpr1
.LBB48_217:
	s_andn2_b32 vcc_lo, exec_lo, s1
	s_cbranch_vccnz .LBB48_219
; %bb.218:
	global_load_dword v0, v[2:3], off
	s_waitcnt vmcnt(0)
	v_cvt_f64_f32_e32 v[0:1], v0
.LBB48_219:
	s_mov_b32 s1, 0
.LBB48_220:
	s_andn2_b32 vcc_lo, exec_lo, s1
	s_cbranch_vccnz .LBB48_222
; %bb.221:
	global_load_dword v0, v[2:3], off
	s_waitcnt vmcnt(0)
	v_cvt_f32_f16_e32 v0, v0
	v_cvt_f64_f32_e32 v[0:1], v0
.LBB48_222:
	s_mov_b32 s1, 0
.LBB48_223:
	s_andn2_b32 vcc_lo, exec_lo, s1
	s_cbranch_vccnz .LBB48_234
; %bb.224:
	s_cmp_lt_i32 s0, 6
	s_cbranch_scc1 .LBB48_227
; %bb.225:
	s_cmp_gt_i32 s0, 6
	s_cbranch_scc0 .LBB48_228
; %bb.226:
	global_load_dwordx2 v[0:1], v[2:3], off
	s_mov_b32 s1, 0
	s_branch .LBB48_229
.LBB48_227:
	s_mov_b32 s1, -1
                                        ; implicit-def: $vgpr0_vgpr1
	s_branch .LBB48_232
.LBB48_228:
	s_mov_b32 s1, -1
                                        ; implicit-def: $vgpr0_vgpr1
.LBB48_229:
	s_andn2_b32 vcc_lo, exec_lo, s1
	s_cbranch_vccnz .LBB48_231
; %bb.230:
	global_load_dword v0, v[2:3], off
	s_waitcnt vmcnt(0)
	v_cvt_f64_f32_e32 v[0:1], v0
.LBB48_231:
	s_mov_b32 s1, 0
.LBB48_232:
	s_andn2_b32 vcc_lo, exec_lo, s1
	s_cbranch_vccnz .LBB48_234
; %bb.233:
	global_load_ushort v0, v[2:3], off
	s_waitcnt vmcnt(0)
	v_cvt_f32_f16_e32 v0, v0
	v_cvt_f64_f32_e32 v[0:1], v0
.LBB48_234:
	s_cbranch_execnz .LBB48_254
.LBB48_235:
	s_cmp_lt_i32 s0, 2
	s_cbranch_scc1 .LBB48_239
; %bb.236:
	s_cmp_lt_i32 s0, 3
	s_cbranch_scc1 .LBB48_240
; %bb.237:
	s_cmp_gt_i32 s0, 3
	s_cbranch_scc0 .LBB48_241
; %bb.238:
	global_load_dwordx2 v[0:1], v[2:3], off
	s_mov_b32 s1, 0
	s_waitcnt vmcnt(0)
	v_cvt_f64_i32_e32 v[4:5], v1
	v_cvt_f64_u32_e32 v[0:1], v0
	v_ldexp_f64 v[4:5], v[4:5], 32
	v_add_f64 v[0:1], v[4:5], v[0:1]
	s_branch .LBB48_242
.LBB48_239:
	s_mov_b32 s1, -1
                                        ; implicit-def: $vgpr0_vgpr1
	s_branch .LBB48_248
.LBB48_240:
	s_mov_b32 s1, -1
                                        ; implicit-def: $vgpr0_vgpr1
	s_branch .LBB48_245
.LBB48_241:
	s_mov_b32 s1, -1
                                        ; implicit-def: $vgpr0_vgpr1
.LBB48_242:
	s_andn2_b32 vcc_lo, exec_lo, s1
	s_cbranch_vccnz .LBB48_244
; %bb.243:
	global_load_dword v0, v[2:3], off
	s_waitcnt vmcnt(0)
	v_cvt_f64_i32_e32 v[0:1], v0
.LBB48_244:
	s_mov_b32 s1, 0
.LBB48_245:
	s_andn2_b32 vcc_lo, exec_lo, s1
	s_cbranch_vccnz .LBB48_247
; %bb.246:
	global_load_sshort v0, v[2:3], off
	s_waitcnt vmcnt(0)
	v_cvt_f64_i32_e32 v[0:1], v0
.LBB48_247:
	s_mov_b32 s1, 0
.LBB48_248:
	s_andn2_b32 vcc_lo, exec_lo, s1
	s_cbranch_vccnz .LBB48_254
; %bb.249:
	s_cmp_gt_i32 s0, 0
	s_mov_b32 s0, 0
	s_cbranch_scc0 .LBB48_251
; %bb.250:
	global_load_sbyte v0, v[2:3], off
	s_waitcnt vmcnt(0)
	v_cvt_f64_i32_e32 v[0:1], v0
	s_branch .LBB48_252
.LBB48_251:
	s_mov_b32 s0, -1
                                        ; implicit-def: $vgpr0_vgpr1
.LBB48_252:
	s_andn2_b32 vcc_lo, exec_lo, s0
	s_cbranch_vccnz .LBB48_254
; %bb.253:
	global_load_ubyte v0, v[2:3], off
	s_waitcnt vmcnt(0)
	v_cvt_f64_u32_e32 v[0:1], v0
.LBB48_254:
	s_branch .LBB48_11
.LBB48_255:
	s_mov_b32 s0, 0
.LBB48_256:
	s_mov_b32 s1, 0
                                        ; implicit-def: $vgpr26
.LBB48_257:
	s_and_b32 s17, s0, exec_lo
	s_and_b32 s19, s19, exec_lo
	s_orn2_b32 s1, s1, exec_lo
.LBB48_258:
	s_or_b32 exec_lo, exec_lo, s20
	s_mov_b32 s2, 0
	s_mov_b32 s0, 0
                                        ; implicit-def: $vgpr0_vgpr1
                                        ; implicit-def: $vgpr2_vgpr3
	s_and_saveexec_b32 s20, s1
	s_cbranch_execz .LBB48_267
; %bb.259:
	s_mov_b32 s0, -1
	s_mov_b32 s21, s19
	s_mov_b32 s22, s17
	s_mov_b32 s23, exec_lo
	v_cmpx_gt_i32_e64 s18, v26
	s_cbranch_execz .LBB48_527
; %bb.260:
	s_waitcnt vmcnt(0)
	v_mul_lo_u32 v0, v26, s13
	s_and_b32 s0, 0xffff, s15
	s_cmp_lt_i32 s0, 11
	v_ashrrev_i32_e32 v1, 31, v0
	v_add_co_u32 v2, vcc_lo, s10, v0
	v_add_co_ci_u32_e64 v3, null, s11, v1, vcc_lo
	s_cbranch_scc1 .LBB48_270
; %bb.261:
	s_cmp_gt_i32 s0, 25
	s_cbranch_scc0 .LBB48_285
; %bb.262:
	s_cmp_gt_i32 s0, 28
	s_cbranch_scc0 .LBB48_287
; %bb.263:
	s_cmp_gt_i32 s0, 43
	s_cbranch_scc0 .LBB48_289
; %bb.264:
	s_cmp_gt_i32 s0, 45
	s_cbranch_scc0 .LBB48_293
; %bb.265:
	s_cmp_eq_u32 s0, 46
	s_cbranch_scc0 .LBB48_297
; %bb.266:
	global_load_dword v0, v[2:3], off
	s_mov_b32 s1, -1
	s_mov_b32 s21, 0
	s_waitcnt vmcnt(0)
	v_lshlrev_b32_e32 v0, 16, v0
	v_cvt_f64_f32_e32 v[0:1], v0
	s_branch .LBB48_299
.LBB48_267:
	s_or_b32 exec_lo, exec_lo, s20
	s_mov_b32 s18, 0
	s_and_saveexec_b32 s1, s19
	s_cbranch_execnz .LBB48_881
.LBB48_268:
	s_or_b32 exec_lo, exec_lo, s1
	s_and_saveexec_b32 s1, s21
	s_xor_b32 s1, exec_lo, s1
	s_cbranch_execz .LBB48_882
.LBB48_269:
	s_waitcnt vmcnt(0)
	global_load_ubyte v2, v[0:1], off
	s_or_b32 s0, s0, exec_lo
	s_waitcnt vmcnt(0)
	v_cmp_ne_u16_e32 vcc_lo, 0, v2
	v_mov_b32_e32 v2, 0
	v_cndmask_b32_e64 v3, 0, 0x3ff00000, vcc_lo
	s_or_b32 exec_lo, exec_lo, s1
	s_and_saveexec_b32 s1, s2
	s_cbranch_execz .LBB48_928
	s_branch .LBB48_883
.LBB48_270:
	s_mov_b32 s1, 0
	s_mov_b32 s21, s19
                                        ; implicit-def: $vgpr0_vgpr1
	s_cbranch_execnz .LBB48_476
.LBB48_271:
	s_andn2_b32 vcc_lo, exec_lo, s1
	s_cbranch_vccnz .LBB48_524
.LBB48_272:
	v_mov_b32_e32 v4, 0
	v_mov_b32_e32 v2, 0
	;; [unrolled: 1-line block ×4, first 2 shown]
	s_mov_b32 s2, exec_lo
	s_waitcnt vmcnt(0)
	v_cmpx_gt_f64_e32 0.5, v[0:1]
	s_cbranch_execz .LBB48_278
; %bb.273:
	s_mov_b32 s1, 0x400921fb
	s_mov_b32 s0, 0x54442d18
	s_mov_b32 s3, exec_lo
	v_mul_f64 v[2:3], v[0:1], s[0:1]
                                        ; implicit-def: $vgpr8
                                        ; implicit-def: $vgpr4_vgpr5
                                        ; implicit-def: $vgpr6_vgpr7
	v_cmpx_ngt_f64_e64 0x41d00000, |v[2:3]|
	s_xor_b32 s3, exec_lo, s3
	s_cbranch_execz .LBB48_275
; %bb.274:
	v_ldexp_f64 v[4:5], |v[2:3]|, 0xffffff80
	v_cmp_le_f64_e64 vcc_lo, 0x7b000000, |v[2:3]|
	v_trig_preop_f64 v[6:7], |v[2:3]|, 0
	v_and_b32_e32 v8, 0x7fffffff, v3
	v_trig_preop_f64 v[18:19], |v[2:3]|, 2
	v_mov_b32_e32 v27, 0
	s_mov_b32 s1, 0x3ff921fb
	s_mov_b32 s4, 0x33145c07
	s_mov_b32 s5, 0x3c91a626
	v_cndmask_b32_e32 v5, v8, v5, vcc_lo
	v_cndmask_b32_e32 v4, v2, v4, vcc_lo
	v_trig_preop_f64 v[8:9], |v[2:3]|, 1
	v_mul_f64 v[10:11], v[6:7], v[4:5]
	v_mul_f64 v[24:25], v[18:19], v[4:5]
	;; [unrolled: 1-line block ×3, first 2 shown]
	v_fma_f64 v[6:7], v[6:7], v[4:5], -v[10:11]
	v_fma_f64 v[8:9], v[8:9], v[4:5], -v[12:13]
	;; [unrolled: 1-line block ×3, first 2 shown]
	v_add_f64 v[14:15], v[12:13], v[6:7]
	v_add_f64 v[16:17], v[14:15], -v[12:13]
	v_add_f64 v[22:23], v[10:11], v[14:15]
	v_add_f64 v[20:21], v[14:15], -v[16:17]
	v_add_f64 v[6:7], v[6:7], -v[16:17]
	v_ldexp_f64 v[16:17], v[22:23], -2
	v_add_f64 v[10:11], v[22:23], -v[10:11]
	v_add_f64 v[12:13], v[12:13], -v[20:21]
	v_add_f64 v[20:21], v[24:25], v[8:9]
	v_cmp_neq_f64_e64 vcc_lo, 0x7ff00000, |v[16:17]|
	v_add_f64 v[10:11], v[14:15], -v[10:11]
	v_add_f64 v[6:7], v[6:7], v[12:13]
	v_fract_f64_e32 v[12:13], v[16:17]
	v_add_f64 v[14:15], v[20:21], v[6:7]
	v_ldexp_f64 v[12:13], v[12:13], 2
	v_add_f64 v[16:17], v[10:11], v[14:15]
	v_cndmask_b32_e32 v13, 0, v13, vcc_lo
	v_cndmask_b32_e32 v12, 0, v12, vcc_lo
	v_add_f64 v[22:23], v[16:17], v[12:13]
	v_add_f64 v[10:11], v[16:17], -v[10:11]
	v_cmp_gt_f64_e32 vcc_lo, 0, v[22:23]
	v_add_f64 v[22:23], v[20:21], -v[24:25]
	v_cndmask_b32_e64 v28, 0, 0x40100000, vcc_lo
	v_add_f64 v[32:33], v[20:21], -v[22:23]
	v_add_f64 v[8:9], v[8:9], -v[22:23]
	v_add_f64 v[12:13], v[12:13], v[27:28]
	v_add_f64 v[28:29], v[14:15], -v[20:21]
	v_add_f64 v[22:23], v[24:25], -v[32:33]
	v_add_f64 v[30:31], v[16:17], v[12:13]
	;; [unrolled: 3-line block ×3, first 2 shown]
	v_cvt_i32_f64_e32 v30, v[30:31]
	v_add_f64 v[20:21], v[20:21], -v[34:35]
	v_cvt_f64_i32_e32 v[28:29], v30
	v_add_f64 v[6:7], v[6:7], v[20:21]
	v_add_f64 v[12:13], v[12:13], -v[28:29]
	v_add_f64 v[6:7], v[8:9], v[6:7]
	v_add_f64 v[8:9], v[14:15], -v[10:11]
	v_add_f64 v[18:19], v[16:17], v[12:13]
	v_add_f64 v[4:5], v[4:5], v[6:7]
	v_add_f64 v[6:7], v[18:19], -v[12:13]
	v_cmp_le_f64_e32 vcc_lo, 0.5, v[18:19]
	v_add_f64 v[4:5], v[8:9], v[4:5]
	v_add_f64 v[6:7], v[16:17], -v[6:7]
	v_cndmask_b32_e64 v28, 0, 0x3ff00000, vcc_lo
	v_add_co_ci_u32_e64 v8, null, 0, v30, vcc_lo
	v_add_f64 v[4:5], v[4:5], v[6:7]
	v_add_f64 v[6:7], v[18:19], -v[27:28]
	v_add_f64 v[9:10], v[6:7], v[4:5]
	v_mul_f64 v[11:12], v[9:10], s[0:1]
	v_add_f64 v[6:7], v[9:10], -v[6:7]
	v_fma_f64 v[13:14], v[9:10], s[0:1], -v[11:12]
	v_add_f64 v[4:5], v[4:5], -v[6:7]
	v_fma_f64 v[6:7], v[9:10], s[4:5], v[13:14]
	v_fma_f64 v[6:7], v[4:5], s[0:1], v[6:7]
	v_add_f64 v[4:5], v[11:12], v[6:7]
	v_add_f64 v[9:10], v[4:5], -v[11:12]
	v_add_f64 v[6:7], v[6:7], -v[9:10]
.LBB48_275:
	s_andn2_saveexec_b32 s0, s3
	s_cbranch_execz .LBB48_277
; %bb.276:
	s_mov_b32 s4, 0x6dc9c883
	s_mov_b32 s5, 0x3fe45f30
	;; [unrolled: 1-line block ×3, first 2 shown]
	v_mul_f64 v[4:5], |v[2:3]|, s[4:5]
	s_mov_b32 s4, 0x54442d18
	s_mov_b32 s5, 0xbff921fb
	;; [unrolled: 1-line block ×3, first 2 shown]
	v_rndne_f64_e32 v[8:9], v[4:5]
	v_fma_f64 v[4:5], v[8:9], s[4:5], |v[2:3]|
	v_mul_f64 v[6:7], v[8:9], s[24:25]
	s_mov_b32 s4, 0x252049c0
	s_mov_b32 s5, 0xb97b839a
	v_fma_f64 v[12:13], v[8:9], s[24:25], v[4:5]
	v_add_f64 v[10:11], v[4:5], v[6:7]
	s_mov_b32 s25, 0x3c91a626
	v_add_f64 v[4:5], v[4:5], -v[10:11]
	v_add_f64 v[10:11], v[10:11], -v[12:13]
	v_add_f64 v[4:5], v[4:5], v[6:7]
	v_fma_f64 v[6:7], v[8:9], s[24:25], v[6:7]
	v_add_f64 v[4:5], v[10:11], v[4:5]
	v_add_f64 v[4:5], v[4:5], -v[6:7]
	v_fma_f64 v[6:7], v[8:9], s[4:5], v[4:5]
	v_cvt_i32_f64_e32 v8, v[8:9]
	v_add_f64 v[4:5], v[12:13], v[6:7]
	v_add_f64 v[10:11], v[4:5], -v[12:13]
	v_add_f64 v[6:7], v[6:7], -v[10:11]
.LBB48_277:
	s_or_b32 exec_lo, exec_lo, s0
	v_mul_f64 v[9:10], v[4:5], v[4:5]
	s_mov_b32 s0, 0xb42fdfa7
	s_mov_b32 s4, 0xf9a43bb8
	;; [unrolled: 1-line block ×6, first 2 shown]
	v_mul_f64 v[19:20], v[6:7], 0.5
	v_add_f64 v[0:1], -v[0:1], 1.0
	v_fma_f64 v[11:12], v[9:10], s[4:5], s[0:1]
	s_mov_b32 s0, 0x9037ab78
	s_mov_b32 s4, 0x46cc5e42
	;; [unrolled: 1-line block ×4, first 2 shown]
	v_mul_f64 v[15:16], v[9:10], 0.5
	v_fma_f64 v[13:14], v[9:10], s[4:5], s[0:1]
	s_mov_b32 s0, 0xa17f65f6
	s_mov_b32 s4, 0x19e83e5c
	;; [unrolled: 1-line block ×4, first 2 shown]
	v_mul_f64 v[21:22], v[4:5], -v[9:10]
	v_fma_f64 v[11:12], v[9:10], v[11:12], s[24:25]
	v_add_f64 v[17:18], -v[15:16], 1.0
	v_fma_f64 v[13:14], v[9:10], v[13:14], s[0:1]
	s_mov_b32 s0, 0x19f4ec90
	s_mov_b32 s1, 0x3efa01a0
	v_fma_f64 v[11:12], v[9:10], v[11:12], s[4:5]
	s_mov_b32 s4, 0x11110bb3
	s_mov_b32 s5, 0x3f811111
	v_add_f64 v[23:24], -v[17:18], 1.0
	v_fma_f64 v[13:14], v[9:10], v[13:14], s[0:1]
	s_mov_b32 s0, 0x16c16967
	s_mov_b32 s1, 0xbf56c16c
	v_fma_f64 v[11:12], v[9:10], v[11:12], s[4:5]
	v_add_f64 v[15:16], v[23:24], -v[15:16]
	v_fma_f64 v[13:14], v[9:10], v[13:14], s[0:1]
	s_mov_b32 s1, 0x3fa55555
	s_mov_b32 s0, 0x55555555
	v_fma_f64 v[11:12], v[21:22], v[11:12], v[19:20]
	v_mul_f64 v[19:20], v[9:10], v[9:10]
	v_fma_f64 v[15:16], v[4:5], -v[6:7], v[15:16]
	v_fma_f64 v[13:14], v[9:10], v[13:14], s[0:1]
	s_mov_b32 s1, 0xbfc55555
	v_fma_f64 v[6:7], v[9:10], v[11:12], -v[6:7]
	v_fma_f64 v[9:10], v[19:20], v[13:14], v[15:16]
	v_fma_f64 v[6:7], v[21:22], s[0:1], v[6:7]
	v_cmp_class_f64_e64 s0, v[2:3], 0x1f8
	v_lshlrev_b32_e32 v2, 30, v8
	v_add_f64 v[9:10], v[17:18], v[9:10]
	v_xor_b32_e32 v2, v2, v3
	v_and_b32_e32 v2, 0x80000000, v2
	v_add_f64 v[4:5], v[4:5], -v[6:7]
	v_and_b32_e32 v6, 1, v8
	v_cmp_eq_u32_e32 vcc_lo, 0, v6
	v_cndmask_b32_e32 v3, v10, v5, vcc_lo
	v_cndmask_b32_e32 v4, v9, v4, vcc_lo
	v_xor_b32_e32 v3, v3, v2
	v_cndmask_b32_e64 v2, 0, v4, s0
	v_cndmask_b32_e64 v3, 0x7ff80000, v3, s0
	s_mov_b32 s0, 0xc9be45de
	s_mov_b32 s1, 0xc023bd3c
	v_mul_f64 v[2:3], v[2:3], v[2:3]
	v_div_scale_f64 v[4:5], null, v[2:3], v[2:3], s[0:1]
	v_div_scale_f64 v[10:11], vcc_lo, s[0:1], v[2:3], s[0:1]
	v_rcp_f64_e32 v[6:7], v[4:5]
	v_fma_f64 v[8:9], -v[4:5], v[6:7], 1.0
	v_fma_f64 v[6:7], v[6:7], v[8:9], v[6:7]
	v_fma_f64 v[8:9], -v[4:5], v[6:7], 1.0
	v_fma_f64 v[6:7], v[6:7], v[8:9], v[6:7]
	v_mul_f64 v[8:9], v[10:11], v[6:7]
	v_fma_f64 v[4:5], -v[4:5], v[8:9], v[10:11]
	v_div_fmas_f64 v[4:5], v[4:5], v[6:7], v[8:9]
	v_div_fixup_f64 v[2:3], v[4:5], v[2:3], s[0:1]
	v_add_f64 v[4:5], v[2:3], 0
	v_mov_b32_e32 v2, 0
	v_mov_b32_e32 v3, 0xbff00000
.LBB48_278:
	s_or_b32 exec_lo, exec_lo, s2
	v_add_f64 v[6:7], v[0:1], 1.0
	v_mul_f64 v[0:1], v[0:1], v[0:1]
	v_add_f64 v[8:9], v[6:7], 1.0
	v_mul_f64 v[6:7], v[6:7], v[6:7]
	v_div_scale_f64 v[20:21], null, v[0:1], v[0:1], 1.0
	v_div_scale_f64 v[69:70], vcc_lo, 1.0, v[0:1], 1.0
	v_add_f64 v[10:11], v[8:9], 1.0
	v_mul_f64 v[8:9], v[8:9], v[8:9]
	v_div_scale_f64 v[22:23], null, v[6:7], v[6:7], 1.0
	v_rcp_f64_e32 v[37:38], v[20:21]
	v_add_f64 v[12:13], v[10:11], 1.0
	v_mul_f64 v[10:11], v[10:11], v[10:11]
	v_div_scale_f64 v[24:25], null, v[8:9], v[8:9], 1.0
	v_rcp_f64_e32 v[39:40], v[22:23]
	v_fma_f64 v[53:54], -v[20:21], v[37:38], 1.0
	v_add_f64 v[14:15], v[12:13], 1.0
	v_mul_f64 v[12:13], v[12:13], v[12:13]
	v_div_scale_f64 v[27:28], null, v[10:11], v[10:11], 1.0
	v_rcp_f64_e32 v[41:42], v[24:25]
	v_fma_f64 v[55:56], -v[22:23], v[39:40], 1.0
	v_fma_f64 v[37:38], v[37:38], v[53:54], v[37:38]
	v_add_f64 v[16:17], v[14:15], 1.0
	v_mul_f64 v[14:15], v[14:15], v[14:15]
	v_div_scale_f64 v[29:30], null, v[12:13], v[12:13], 1.0
	v_rcp_f64_e32 v[43:44], v[27:28]
	v_fma_f64 v[57:58], -v[24:25], v[41:42], 1.0
	v_fma_f64 v[39:40], v[39:40], v[55:56], v[39:40]
	v_fma_f64 v[55:56], -v[20:21], v[37:38], 1.0
	v_mul_f64 v[18:19], v[16:17], v[16:17]
	v_div_scale_f64 v[31:32], null, v[14:15], v[14:15], 1.0
	v_add_f64 v[33:34], v[16:17], v[16:17]
	v_rcp_f64_e32 v[45:46], v[29:30]
	v_fma_f64 v[59:60], -v[27:28], v[43:44], 1.0
	v_fma_f64 v[41:42], v[41:42], v[57:58], v[41:42]
	v_fma_f64 v[57:58], -v[22:23], v[39:40], 1.0
	v_fma_f64 v[37:38], v[37:38], v[55:56], v[37:38]
	v_div_scale_f64 v[55:56], s0, 1.0, v[6:7], 1.0
	v_div_scale_f64 v[35:36], null, v[18:19], v[18:19], 1.0
	v_rcp_f64_e32 v[47:48], v[31:32]
	v_div_scale_f64 v[49:50], null, v[33:34], v[33:34], 1.0
	v_div_scale_f64 v[71:72], s5, 1.0, v[18:19], 1.0
	v_fma_f64 v[61:62], -v[29:30], v[45:46], 1.0
	v_fma_f64 v[43:44], v[43:44], v[59:60], v[43:44]
	v_fma_f64 v[59:60], -v[24:25], v[41:42], 1.0
	v_fma_f64 v[39:40], v[39:40], v[57:58], v[39:40]
	v_div_scale_f64 v[57:58], s1, 1.0, v[8:9], 1.0
	v_div_scale_f64 v[81:82], s6, 1.0, v[33:34], 1.0
	v_rcp_f64_e32 v[51:52], v[35:36]
	v_rcp_f64_e32 v[63:64], v[49:50]
	v_fma_f64 v[65:66], -v[31:32], v[47:48], 1.0
	v_fma_f64 v[45:46], v[45:46], v[61:62], v[45:46]
	v_fma_f64 v[61:62], -v[27:28], v[43:44], 1.0
	v_fma_f64 v[41:42], v[41:42], v[59:60], v[41:42]
	v_div_scale_f64 v[59:60], s2, 1.0, v[10:11], 1.0
	v_mul_f64 v[73:74], v[55:56], v[39:40]
	v_fma_f64 v[67:68], -v[35:36], v[51:52], 1.0
	v_fma_f64 v[47:48], v[47:48], v[65:66], v[47:48]
	v_fma_f64 v[53:54], -v[49:50], v[63:64], 1.0
	v_fma_f64 v[65:66], -v[29:30], v[45:46], 1.0
	v_fma_f64 v[43:44], v[43:44], v[61:62], v[43:44]
	v_div_scale_f64 v[61:62], s3, 1.0, v[12:13], 1.0
	v_mul_f64 v[75:76], v[57:58], v[41:42]
	v_fma_f64 v[22:23], -v[22:23], v[73:74], v[55:56]
	v_fma_f64 v[51:52], v[51:52], v[67:68], v[51:52]
	v_fma_f64 v[67:68], -v[31:32], v[47:48], 1.0
	v_fma_f64 v[53:54], v[63:64], v[53:54], v[63:64]
	v_fma_f64 v[45:46], v[45:46], v[65:66], v[45:46]
	v_div_scale_f64 v[65:66], s4, 1.0, v[14:15], 1.0
	v_mul_f64 v[77:78], v[59:60], v[43:44]
	v_fma_f64 v[24:25], -v[24:25], v[75:76], v[57:58]
	v_fma_f64 v[63:64], -v[35:36], v[51:52], 1.0
	v_fma_f64 v[47:48], v[47:48], v[67:68], v[47:48]
	v_fma_f64 v[67:68], -v[49:50], v[53:54], 1.0
	v_mul_f64 v[79:80], v[61:62], v[45:46]
	v_fma_f64 v[27:28], -v[27:28], v[77:78], v[59:60]
	v_fma_f64 v[51:52], v[51:52], v[63:64], v[51:52]
	v_mul_f64 v[63:64], v[69:70], v[37:38]
	v_mul_f64 v[83:84], v[65:66], v[47:48]
	v_fma_f64 v[53:54], v[53:54], v[67:68], v[53:54]
	v_fma_f64 v[29:30], -v[29:30], v[79:80], v[61:62]
	v_mul_f64 v[67:68], v[71:72], v[51:52]
	v_fma_f64 v[20:21], -v[20:21], v[63:64], v[69:70]
	v_fma_f64 v[31:32], -v[31:32], v[83:84], v[65:66]
	v_mul_f64 v[55:56], v[81:82], v[53:54]
	v_fma_f64 v[35:36], -v[35:36], v[67:68], v[71:72]
	v_div_fmas_f64 v[20:21], v[20:21], v[37:38], v[63:64]
	s_mov_b32 vcc_lo, s0
	v_fma_f64 v[37:38], -v[49:50], v[55:56], v[81:82]
	v_div_fmas_f64 v[22:23], v[22:23], v[39:40], v[73:74]
	s_mov_b32 vcc_lo, s1
	s_mov_b32 s0, 0x11111111
	v_div_fmas_f64 v[24:25], v[24:25], v[41:42], v[75:76]
	s_mov_b32 vcc_lo, s2
	s_mov_b32 s1, 0x3fa11111
	;; [unrolled: 3-line block ×4, first 2 shown]
	v_div_fmas_f64 v[31:32], v[31:32], v[47:48], v[83:84]
	s_mov_b32 vcc_lo, s5
	v_div_fmas_f64 v[35:36], v[35:36], v[51:52], v[67:68]
	s_mov_b32 vcc_lo, s6
	v_div_fixup_f64 v[0:1], v[20:21], v[0:1], 1.0
	v_div_fmas_f64 v[37:38], v[37:38], v[53:54], v[55:56]
	v_div_fixup_f64 v[18:19], v[35:36], v[18:19], 1.0
	v_add_f64 v[0:1], v[4:5], v[0:1]
	v_div_fixup_f64 v[33:34], v[37:38], v[33:34], 1.0
	v_div_fixup_f64 v[4:5], v[22:23], v[6:7], 1.0
	v_fma_f64 v[35:36], v[18:19], s[2:3], s[0:1]
	s_mov_b32 s0, 0x55555555
	s_mov_b32 s1, 0x3fc55555
	v_add_f64 v[33:34], v[33:34], 1.0
	v_add_f64 v[0:1], v[0:1], v[4:5]
	v_div_fixup_f64 v[4:5], v[24:25], v[8:9], 1.0
	v_fma_f64 v[35:36], -v[18:19], v[35:36], s[0:1]
	s_and_b32 s1, s7, 0xff
	s_cmp_lt_i32 s1, 11
	v_add_f64 v[0:1], v[0:1], v[4:5]
	v_div_fixup_f64 v[4:5], v[27:28], v[10:11], 1.0
	v_fma_f64 v[18:19], v[18:19], v[35:36], v[33:34]
	v_add_f64 v[0:1], v[0:1], v[4:5]
	v_div_fixup_f64 v[4:5], v[29:30], v[12:13], 1.0
	v_div_scale_f64 v[33:34], null, v[16:17], v[16:17], v[18:19]
	v_div_scale_f64 v[8:9], vcc_lo, v[18:19], v[16:17], v[18:19]
	v_add_f64 v[0:1], v[0:1], v[4:5]
	v_div_fixup_f64 v[4:5], v[31:32], v[14:15], 1.0
	v_rcp_f64_e32 v[35:36], v[33:34]
	v_add_f64 v[0:1], v[0:1], v[4:5]
	v_fma_f64 v[37:38], -v[33:34], v[35:36], 1.0
	v_fma_f64 v[20:21], v[35:36], v[37:38], v[35:36]
	v_fma_f64 v[6:7], -v[33:34], v[20:21], 1.0
	v_fma_f64 v[6:7], v[20:21], v[6:7], v[20:21]
	v_mul_f64 v[10:11], v[8:9], v[6:7]
	v_fma_f64 v[8:9], -v[33:34], v[10:11], v[8:9]
	v_div_fmas_f64 v[6:7], v[8:9], v[6:7], v[10:11]
	v_div_fixup_f64 v[4:5], v[6:7], v[16:17], v[18:19]
	v_add_f64 v[0:1], v[0:1], v[4:5]
	v_mul_f64 v[0:1], v[2:3], v[0:1]
	v_mul_lo_u32 v2, v26, s12
	v_ashrrev_i32_e32 v3, 31, v2
	v_add_co_u32 v4, vcc_lo, s8, v2
	v_add_co_ci_u32_e64 v5, null, s9, v3, vcc_lo
	s_cbranch_scc1 .LBB48_286
; %bb.279:
	s_and_b32 s2, 0xffff, s1
	s_cmp_gt_i32 s2, 25
	s_cbranch_scc0 .LBB48_288
; %bb.280:
	s_cmp_gt_i32 s2, 28
	s_cbranch_scc0 .LBB48_290
; %bb.281:
	;; [unrolled: 3-line block ×4, first 2 shown]
	s_mov_b32 s4, 0
	s_mov_b32 s0, -1
	s_cmp_eq_u32 s2, 46
	s_mov_b32 s3, 0
	s_cbranch_scc0 .LBB48_303
; %bb.284:
	v_cvt_f32_f64_e32 v2, v[0:1]
	s_mov_b32 s3, -1
	s_mov_b32 s0, 0
	v_bfe_u32 v3, v2, 16, 1
	v_cmp_o_f32_e32 vcc_lo, v2, v2
	v_add3_u32 v2, v2, v3, 0x7fff
	v_mov_b32_e32 v3, 0x7fc0
	v_cndmask_b32_sdwa v2, v3, v2, vcc_lo dst_sel:DWORD dst_unused:UNUSED_PAD src0_sel:DWORD src1_sel:WORD_1
	global_store_dword v[4:5], v2, off
	s_branch .LBB48_303
.LBB48_285:
	s_mov_b32 s2, -1
	s_mov_b32 s1, 0
	s_mov_b32 s21, s19
                                        ; implicit-def: $vgpr0_vgpr1
	s_branch .LBB48_442
.LBB48_286:
	s_mov_b32 s2, -1
	s_mov_b32 s3, 0
	s_mov_b32 s0, s17
	s_branch .LBB48_372
.LBB48_287:
	s_mov_b32 s2, -1
	s_mov_b32 s1, 0
	s_mov_b32 s21, s19
                                        ; implicit-def: $vgpr0_vgpr1
	s_branch .LBB48_421
.LBB48_288:
	s_mov_b32 s4, -1
	s_mov_b32 s3, 0
	s_mov_b32 s0, s17
	s_branch .LBB48_330
.LBB48_289:
	s_mov_b32 s2, -1
	s_mov_b32 s1, 0
	s_mov_b32 s21, s19
                                        ; implicit-def: $vgpr0_vgpr1
	s_branch .LBB48_416
.LBB48_290:
	s_mov_b32 s4, -1
	s_mov_b32 s3, 0
	s_mov_b32 s0, s17
	s_branch .LBB48_313
.LBB48_291:
	s_andn2_saveexec_b32 s5, s5
	s_cbranch_execz .LBB48_60
.LBB48_292:
	v_add_f32_e64 v3, 0x46000000, |v2|
	s_andn2_b32 s4, s4, exec_lo
	v_and_b32_e32 v3, 0xff, v3
	v_cmp_ne_u32_e32 vcc_lo, 0, v3
	s_and_b32 s6, vcc_lo, exec_lo
	s_or_b32 s4, s4, s6
	s_or_b32 exec_lo, exec_lo, s5
	v_mov_b32_e32 v6, 0
	s_and_saveexec_b32 s5, s4
	s_cbranch_execnz .LBB48_61
	s_branch .LBB48_62
.LBB48_293:
	s_mov_b32 s2, -1
	s_mov_b32 s1, 0
	s_mov_b32 s21, s19
	s_branch .LBB48_298
.LBB48_294:
	s_mov_b32 s4, -1
	s_mov_b32 s3, 0
	s_mov_b32 s0, s17
	s_branch .LBB48_309
.LBB48_295:
	s_andn2_saveexec_b32 s5, s5
	s_cbranch_execz .LBB48_73
.LBB48_296:
	v_add_f32_e64 v3, 0x42800000, |v2|
	s_andn2_b32 s4, s4, exec_lo
	v_and_b32_e32 v3, 0xff, v3
	v_cmp_ne_u32_e32 vcc_lo, 0, v3
	s_and_b32 s6, vcc_lo, exec_lo
	s_or_b32 s4, s4, s6
	s_or_b32 exec_lo, exec_lo, s5
	v_mov_b32_e32 v6, 0
	s_and_saveexec_b32 s5, s4
	s_cbranch_execnz .LBB48_74
	s_branch .LBB48_75
.LBB48_297:
	s_mov_b32 s21, -1
	s_mov_b32 s1, 0
.LBB48_298:
                                        ; implicit-def: $vgpr0_vgpr1
.LBB48_299:
	s_and_b32 vcc_lo, exec_lo, s2
	s_cbranch_vccz .LBB48_415
; %bb.300:
	s_cmp_eq_u32 s0, 44
	s_cbranch_scc0 .LBB48_414
; %bb.301:
	global_load_ubyte v4, v[2:3], off
	s_mov_b32 s21, 0
	s_mov_b32 s1, -1
	s_waitcnt vmcnt(0)
	v_lshlrev_b32_e32 v0, 23, v4
	v_cmp_ne_u32_e32 vcc_lo, 0xff, v4
	v_cvt_f64_f32_e32 v[0:1], v0
	v_cndmask_b32_e32 v0, 0x20000000, v0, vcc_lo
	v_cndmask_b32_e32 v1, 0x7ff80000, v1, vcc_lo
	v_cmp_ne_u32_e32 vcc_lo, 0, v4
	v_cndmask_b32_e32 v1, 0x38000000, v1, vcc_lo
	v_cndmask_b32_e32 v0, 0, v0, vcc_lo
	s_branch .LBB48_415
.LBB48_302:
	s_mov_b32 s4, -1
	s_mov_b32 s3, 0
	s_mov_b32 s0, s17
.LBB48_303:
	s_and_b32 vcc_lo, exec_lo, s4
	s_cbranch_vccz .LBB48_308
; %bb.304:
	s_cmp_eq_u32 s2, 44
	s_mov_b32 s0, -1
	s_cbranch_scc0 .LBB48_308
; %bb.305:
	v_cvt_f32_f64_e32 v2, v[0:1]
	v_mov_b32_e32 v3, 0xff
	s_mov_b32 s3, exec_lo
	v_bfe_u32 v6, v2, 23, 8
	v_cmpx_ne_u32_e32 0xff, v6
	s_cbranch_execz .LBB48_307
; %bb.306:
	v_and_b32_e32 v3, 0x400000, v2
	v_and_or_b32 v6, 0x3fffff, v2, v6
	v_lshrrev_b32_e32 v2, 23, v2
	v_cmp_ne_u32_e32 vcc_lo, 0, v3
	v_cmp_ne_u32_e64 s0, 0, v6
	s_and_b32 s0, vcc_lo, s0
	v_cndmask_b32_e64 v3, 0, 1, s0
	v_add_nc_u32_e32 v3, v2, v3
.LBB48_307:
	s_or_b32 exec_lo, exec_lo, s3
	s_mov_b32 s3, -1
	s_mov_b32 s0, 0
	global_store_byte v[4:5], v3, off
.LBB48_308:
	s_mov_b32 s4, 0
.LBB48_309:
	s_and_b32 vcc_lo, exec_lo, s4
	s_cbranch_vccz .LBB48_312
; %bb.310:
	s_cmp_eq_u32 s2, 29
	s_mov_b32 s0, -1
	s_cbranch_scc0 .LBB48_312
; %bb.311:
	v_trunc_f64_e32 v[2:3], v[0:1]
	s_mov_b32 s3, -1
	s_mov_b32 s0, 0
	s_mov_b32 s4, 0
	v_ldexp_f64 v[6:7], v[2:3], 0xffffffe0
	v_floor_f64_e32 v[6:7], v[6:7]
	v_fma_f64 v[2:3], 0xc1f00000, v[6:7], v[2:3]
	v_cvt_u32_f64_e32 v7, v[6:7]
	v_cvt_u32_f64_e32 v6, v[2:3]
	global_store_dwordx2 v[4:5], v[6:7], off
	s_branch .LBB48_313
.LBB48_312:
	s_mov_b32 s4, 0
.LBB48_313:
	s_and_b32 vcc_lo, exec_lo, s4
	s_cbranch_vccz .LBB48_329
; %bb.314:
	s_cmp_lt_i32 s2, 27
	s_mov_b32 s3, -1
	s_cbranch_scc1 .LBB48_320
; %bb.315:
	v_cvt_u32_f64_e32 v2, v[0:1]
	s_cmp_gt_i32 s2, 27
	s_cbranch_scc0 .LBB48_317
; %bb.316:
	s_mov_b32 s3, 0
	global_store_dword v[4:5], v2, off
.LBB48_317:
	s_andn2_b32 vcc_lo, exec_lo, s3
	s_cbranch_vccnz .LBB48_319
; %bb.318:
	global_store_short v[4:5], v2, off
.LBB48_319:
	s_mov_b32 s3, 0
.LBB48_320:
	s_andn2_b32 vcc_lo, exec_lo, s3
	s_cbranch_vccnz .LBB48_328
; %bb.321:
	v_cvt_f32_f64_e32 v2, v[0:1]
	v_mov_b32_e32 v6, 0x80
	s_mov_b32 s3, exec_lo
	v_and_b32_e32 v3, 0x7fffffff, v2
	v_cmpx_gt_u32_e32 0x43800000, v3
	s_cbranch_execz .LBB48_327
; %bb.322:
	v_cmp_lt_u32_e32 vcc_lo, 0x3bffffff, v3
	s_mov_b32 s4, 0
                                        ; implicit-def: $vgpr3
	s_and_saveexec_b32 s5, vcc_lo
	s_xor_b32 s5, exec_lo, s5
	s_cbranch_execz .LBB48_540
; %bb.323:
	v_bfe_u32 v3, v2, 20, 1
	s_mov_b32 s4, exec_lo
	v_add3_u32 v3, v2, v3, 0x487ffff
	v_lshrrev_b32_e32 v3, 20, v3
	s_andn2_saveexec_b32 s5, s5
	s_cbranch_execnz .LBB48_541
.LBB48_324:
	s_or_b32 exec_lo, exec_lo, s5
	v_mov_b32_e32 v6, 0
	s_and_saveexec_b32 s5, s4
.LBB48_325:
	v_lshrrev_b32_e32 v2, 24, v2
	v_and_or_b32 v6, 0x80, v2, v3
.LBB48_326:
	s_or_b32 exec_lo, exec_lo, s5
.LBB48_327:
	s_or_b32 exec_lo, exec_lo, s3
	global_store_byte v[4:5], v6, off
.LBB48_328:
	s_mov_b32 s3, -1
.LBB48_329:
	s_mov_b32 s4, 0
.LBB48_330:
	s_and_b32 vcc_lo, exec_lo, s4
	s_cbranch_vccz .LBB48_371
; %bb.331:
	s_cmp_gt_i32 s2, 22
	s_mov_b32 s4, -1
	s_cbranch_scc0 .LBB48_363
; %bb.332:
	s_cmp_lt_i32 s2, 24
	s_mov_b32 s3, -1
	s_cbranch_scc1 .LBB48_352
; %bb.333:
	s_cmp_gt_i32 s2, 24
	s_cbranch_scc0 .LBB48_341
; %bb.334:
	v_cvt_f32_f64_e32 v2, v[0:1]
	v_mov_b32_e32 v6, 0x80
	s_mov_b32 s3, exec_lo
	v_and_b32_e32 v3, 0x7fffffff, v2
	v_cmpx_gt_u32_e32 0x47800000, v3
	s_cbranch_execz .LBB48_340
; %bb.335:
	v_cmp_lt_u32_e32 vcc_lo, 0x37ffffff, v3
	s_mov_b32 s4, 0
                                        ; implicit-def: $vgpr3
	s_and_saveexec_b32 s5, vcc_lo
	s_xor_b32 s5, exec_lo, s5
	s_cbranch_execz .LBB48_543
; %bb.336:
	v_bfe_u32 v3, v2, 21, 1
	s_mov_b32 s4, exec_lo
	v_add3_u32 v3, v2, v3, 0x88fffff
	v_lshrrev_b32_e32 v3, 21, v3
	s_andn2_saveexec_b32 s5, s5
	s_cbranch_execnz .LBB48_544
.LBB48_337:
	s_or_b32 exec_lo, exec_lo, s5
	v_mov_b32_e32 v6, 0
	s_and_saveexec_b32 s5, s4
.LBB48_338:
	v_lshrrev_b32_e32 v2, 24, v2
	v_and_or_b32 v6, 0x80, v2, v3
.LBB48_339:
	s_or_b32 exec_lo, exec_lo, s5
.LBB48_340:
	s_or_b32 exec_lo, exec_lo, s3
	s_mov_b32 s3, 0
	global_store_byte v[4:5], v6, off
.LBB48_341:
	s_and_b32 vcc_lo, exec_lo, s3
	s_cbranch_vccz .LBB48_351
; %bb.342:
	v_cvt_f32_f64_e32 v2, v[0:1]
	s_mov_b32 s3, exec_lo
                                        ; implicit-def: $vgpr3
	v_and_b32_e32 v6, 0x7fffffff, v2
	v_cmpx_gt_u32_e32 0x43f00000, v6
	s_xor_b32 s3, exec_lo, s3
	s_cbranch_execz .LBB48_348
; %bb.343:
	s_mov_b32 s4, exec_lo
                                        ; implicit-def: $vgpr3
	v_cmpx_lt_u32_e32 0x3c7fffff, v6
	s_xor_b32 s4, exec_lo, s4
; %bb.344:
	v_bfe_u32 v3, v2, 20, 1
	v_add3_u32 v3, v2, v3, 0x407ffff
	v_and_b32_e32 v6, 0xff00000, v3
	v_lshrrev_b32_e32 v3, 20, v3
	v_cmp_ne_u32_e32 vcc_lo, 0x7f00000, v6
	v_cndmask_b32_e32 v3, 0x7e, v3, vcc_lo
; %bb.345:
	s_andn2_saveexec_b32 s4, s4
; %bb.346:
	v_add_f32_e64 v3, 0x46800000, |v2|
; %bb.347:
	s_or_b32 exec_lo, exec_lo, s4
                                        ; implicit-def: $vgpr6
.LBB48_348:
	s_andn2_saveexec_b32 s3, s3
; %bb.349:
	v_mov_b32_e32 v3, 0x7f
	v_cmp_lt_u32_e32 vcc_lo, 0x7f800000, v6
	v_cndmask_b32_e32 v3, 0x7e, v3, vcc_lo
; %bb.350:
	s_or_b32 exec_lo, exec_lo, s3
	v_lshrrev_b32_e32 v2, 24, v2
	v_and_or_b32 v2, 0x80, v2, v3
	global_store_byte v[4:5], v2, off
.LBB48_351:
	s_mov_b32 s3, 0
.LBB48_352:
	s_andn2_b32 vcc_lo, exec_lo, s3
	s_cbranch_vccnz .LBB48_362
; %bb.353:
	v_cvt_f32_f64_e32 v2, v[0:1]
	s_mov_b32 s3, exec_lo
                                        ; implicit-def: $vgpr3
	v_and_b32_e32 v6, 0x7fffffff, v2
	v_cmpx_gt_u32_e32 0x47800000, v6
	s_xor_b32 s3, exec_lo, s3
	s_cbranch_execz .LBB48_359
; %bb.354:
	s_mov_b32 s4, exec_lo
                                        ; implicit-def: $vgpr3
	v_cmpx_lt_u32_e32 0x387fffff, v6
	s_xor_b32 s4, exec_lo, s4
; %bb.355:
	v_bfe_u32 v3, v2, 21, 1
	v_add3_u32 v3, v2, v3, 0x80fffff
	v_lshrrev_b32_e32 v3, 21, v3
; %bb.356:
	s_andn2_saveexec_b32 s4, s4
; %bb.357:
	v_add_f32_e64 v3, 0x43000000, |v2|
; %bb.358:
	s_or_b32 exec_lo, exec_lo, s4
                                        ; implicit-def: $vgpr6
.LBB48_359:
	s_andn2_saveexec_b32 s3, s3
; %bb.360:
	v_mov_b32_e32 v3, 0x7f
	v_cmp_lt_u32_e32 vcc_lo, 0x7f800000, v6
	v_cndmask_b32_e32 v3, 0x7c, v3, vcc_lo
; %bb.361:
	s_or_b32 exec_lo, exec_lo, s3
	v_lshrrev_b32_e32 v2, 24, v2
	v_and_or_b32 v2, 0x80, v2, v3
	global_store_byte v[4:5], v2, off
.LBB48_362:
	s_mov_b32 s4, 0
	s_mov_b32 s3, -1
.LBB48_363:
	s_andn2_b32 vcc_lo, exec_lo, s4
	s_cbranch_vccnz .LBB48_371
; %bb.364:
	s_cmp_gt_i32 s2, 14
	s_mov_b32 s4, -1
	s_cbranch_scc0 .LBB48_368
; %bb.365:
	s_cmp_eq_u32 s2, 15
	s_mov_b32 s0, -1
	s_cbranch_scc0 .LBB48_367
; %bb.366:
	v_cvt_f32_f64_e32 v2, v[0:1]
	s_mov_b32 s3, -1
	s_mov_b32 s0, 0
	v_bfe_u32 v3, v2, 16, 1
	v_cmp_o_f32_e32 vcc_lo, v2, v2
	v_add3_u32 v2, v2, v3, 0x7fff
	v_mov_b32_e32 v3, 0x7fc0
	v_cndmask_b32_sdwa v2, v3, v2, vcc_lo dst_sel:DWORD dst_unused:UNUSED_PAD src0_sel:DWORD src1_sel:WORD_1
	global_store_short v[4:5], v2, off
.LBB48_367:
	s_mov_b32 s4, 0
.LBB48_368:
	s_and_b32 vcc_lo, exec_lo, s4
	s_cbranch_vccz .LBB48_371
; %bb.369:
	s_cmp_eq_u32 s2, 11
	s_mov_b32 s0, -1
	s_cbranch_scc0 .LBB48_371
; %bb.370:
	v_cmp_neq_f64_e32 vcc_lo, 0, v[0:1]
	s_mov_b32 s3, -1
	s_mov_b32 s0, 0
	v_cndmask_b32_e64 v2, 0, 1, vcc_lo
	global_store_byte v[4:5], v2, off
.LBB48_371:
	s_mov_b32 s2, 0
.LBB48_372:
	s_and_b32 vcc_lo, exec_lo, s2
	s_cbranch_vccz .LBB48_411
; %bb.373:
	s_and_b32 s1, 0xffff, s1
	s_mov_b32 s2, -1
	s_cmp_lt_i32 s1, 5
	s_cbranch_scc1 .LBB48_394
; %bb.374:
	s_cmp_lt_i32 s1, 8
	s_cbranch_scc1 .LBB48_384
; %bb.375:
	;; [unrolled: 3-line block ×3, first 2 shown]
	s_cmp_gt_i32 s1, 9
	s_cbranch_scc0 .LBB48_378
; %bb.377:
	v_mov_b32_e32 v2, 0
	s_mov_b32 s2, 0
	v_mov_b32_e32 v3, v2
	global_store_dwordx4 v[4:5], v[0:3], off
.LBB48_378:
	s_andn2_b32 vcc_lo, exec_lo, s2
	s_cbranch_vccnz .LBB48_380
; %bb.379:
	v_cvt_f32_f64_e32 v2, v[0:1]
	v_mov_b32_e32 v3, 0
	global_store_dwordx2 v[4:5], v[2:3], off
.LBB48_380:
	s_mov_b32 s2, 0
.LBB48_381:
	s_andn2_b32 vcc_lo, exec_lo, s2
	s_cbranch_vccnz .LBB48_383
; %bb.382:
	v_and_or_b32 v2, 0x1ff, v1, v0
	v_lshrrev_b32_e32 v3, 8, v1
	v_bfe_u32 v6, v1, 20, 11
	v_cmp_ne_u32_e32 vcc_lo, 0, v2
	v_sub_nc_u32_e32 v7, 0x3f1, v6
	v_add_nc_u32_e32 v6, 0xfffffc10, v6
	v_cndmask_b32_e64 v2, 0, 1, vcc_lo
	v_and_or_b32 v2, 0xffe, v3, v2
	v_med3_i32 v3, v7, 0, 13
	v_or_b32_e32 v7, 0x1000, v2
	v_lshrrev_b32_e32 v8, v3, v7
	v_lshlrev_b32_e32 v3, v3, v8
	v_cmp_ne_u32_e32 vcc_lo, v3, v7
	v_lshl_or_b32 v7, v6, 12, v2
	v_cndmask_b32_e64 v3, 0, 1, vcc_lo
	v_cmp_gt_i32_e32 vcc_lo, 1, v6
	v_or_b32_e32 v3, v8, v3
	v_cndmask_b32_e32 v3, v7, v3, vcc_lo
	v_and_b32_e32 v7, 7, v3
	v_lshrrev_b32_e32 v3, 2, v3
	v_cmp_lt_i32_e32 vcc_lo, 5, v7
	v_cndmask_b32_e64 v8, 0, 1, vcc_lo
	v_cmp_eq_u32_e32 vcc_lo, 3, v7
	v_cndmask_b32_e64 v7, 0, 1, vcc_lo
	v_cmp_ne_u32_e32 vcc_lo, 0, v2
	v_or_b32_e32 v7, v7, v8
	v_mov_b32_e32 v8, 0x7e00
	v_add_nc_u32_e32 v3, v3, v7
	v_cndmask_b32_e32 v2, 0x7c00, v8, vcc_lo
	v_cmp_gt_i32_e32 vcc_lo, 31, v6
	v_cndmask_b32_e32 v3, 0x7c00, v3, vcc_lo
	v_cmp_eq_u32_e32 vcc_lo, 0x40f, v6
	v_cndmask_b32_e32 v2, v3, v2, vcc_lo
	v_lshrrev_b32_e32 v3, 16, v1
	v_and_or_b32 v2, 0x8000, v3, v2
	v_and_b32_e32 v2, 0xffff, v2
	global_store_dword v[4:5], v2, off
.LBB48_383:
	s_mov_b32 s2, 0
.LBB48_384:
	s_andn2_b32 vcc_lo, exec_lo, s2
	s_cbranch_vccnz .LBB48_393
; %bb.385:
	s_cmp_lt_i32 s1, 6
	s_mov_b32 s2, -1
	s_cbranch_scc1 .LBB48_391
; %bb.386:
	s_cmp_gt_i32 s1, 6
	s_cbranch_scc0 .LBB48_388
; %bb.387:
	s_mov_b32 s2, 0
	global_store_dwordx2 v[4:5], v[0:1], off
.LBB48_388:
	s_andn2_b32 vcc_lo, exec_lo, s2
	s_cbranch_vccnz .LBB48_390
; %bb.389:
	v_cvt_f32_f64_e32 v2, v[0:1]
	global_store_dword v[4:5], v2, off
.LBB48_390:
	s_mov_b32 s2, 0
.LBB48_391:
	s_andn2_b32 vcc_lo, exec_lo, s2
	s_cbranch_vccnz .LBB48_393
; %bb.392:
	v_and_or_b32 v2, 0x1ff, v1, v0
	v_lshrrev_b32_e32 v3, 8, v1
	v_bfe_u32 v6, v1, 20, 11
	v_cmp_ne_u32_e32 vcc_lo, 0, v2
	v_sub_nc_u32_e32 v7, 0x3f1, v6
	v_add_nc_u32_e32 v6, 0xfffffc10, v6
	v_cndmask_b32_e64 v2, 0, 1, vcc_lo
	v_and_or_b32 v2, 0xffe, v3, v2
	v_med3_i32 v3, v7, 0, 13
	v_or_b32_e32 v7, 0x1000, v2
	v_lshrrev_b32_e32 v8, v3, v7
	v_lshlrev_b32_e32 v3, v3, v8
	v_cmp_ne_u32_e32 vcc_lo, v3, v7
	v_lshl_or_b32 v7, v6, 12, v2
	v_cndmask_b32_e64 v3, 0, 1, vcc_lo
	v_cmp_gt_i32_e32 vcc_lo, 1, v6
	v_or_b32_e32 v3, v8, v3
	v_cndmask_b32_e32 v3, v7, v3, vcc_lo
	v_and_b32_e32 v7, 7, v3
	v_lshrrev_b32_e32 v3, 2, v3
	v_cmp_lt_i32_e32 vcc_lo, 5, v7
	v_cndmask_b32_e64 v8, 0, 1, vcc_lo
	v_cmp_eq_u32_e32 vcc_lo, 3, v7
	v_cndmask_b32_e64 v7, 0, 1, vcc_lo
	v_cmp_ne_u32_e32 vcc_lo, 0, v2
	v_or_b32_e32 v7, v7, v8
	v_mov_b32_e32 v8, 0x7e00
	v_add_nc_u32_e32 v3, v3, v7
	v_cndmask_b32_e32 v2, 0x7c00, v8, vcc_lo
	v_cmp_gt_i32_e32 vcc_lo, 31, v6
	v_cndmask_b32_e32 v3, 0x7c00, v3, vcc_lo
	v_cmp_eq_u32_e32 vcc_lo, 0x40f, v6
	v_cndmask_b32_e32 v2, v3, v2, vcc_lo
	v_lshrrev_b32_e32 v3, 16, v1
	v_and_or_b32 v2, 0x8000, v3, v2
	global_store_short v[4:5], v2, off
.LBB48_393:
	s_mov_b32 s2, 0
.LBB48_394:
	s_andn2_b32 vcc_lo, exec_lo, s2
	s_cbranch_vccnz .LBB48_410
; %bb.395:
	s_cmp_lt_i32 s1, 2
	s_mov_b32 s2, -1
	s_cbranch_scc1 .LBB48_405
; %bb.396:
	s_cmp_lt_i32 s1, 3
	s_cbranch_scc1 .LBB48_402
; %bb.397:
	s_cmp_gt_i32 s1, 3
	s_cbranch_scc0 .LBB48_399
; %bb.398:
	v_trunc_f64_e32 v[2:3], v[0:1]
	s_mov_b32 s2, 0
	v_ldexp_f64 v[6:7], v[2:3], 0xffffffe0
	v_floor_f64_e32 v[6:7], v[6:7]
	v_fma_f64 v[2:3], 0xc1f00000, v[6:7], v[2:3]
	v_cvt_i32_f64_e32 v7, v[6:7]
	v_cvt_u32_f64_e32 v6, v[2:3]
	global_store_dwordx2 v[4:5], v[6:7], off
.LBB48_399:
	s_andn2_b32 vcc_lo, exec_lo, s2
	s_cbranch_vccnz .LBB48_401
; %bb.400:
	v_cvt_i32_f64_e32 v2, v[0:1]
	global_store_dword v[4:5], v2, off
.LBB48_401:
	s_mov_b32 s2, 0
.LBB48_402:
	s_andn2_b32 vcc_lo, exec_lo, s2
	s_cbranch_vccnz .LBB48_404
; %bb.403:
	v_cvt_i32_f64_e32 v2, v[0:1]
	global_store_short v[4:5], v2, off
.LBB48_404:
	s_mov_b32 s2, 0
.LBB48_405:
	s_andn2_b32 vcc_lo, exec_lo, s2
	s_cbranch_vccnz .LBB48_410
; %bb.406:
	s_cmp_gt_i32 s1, 0
	s_mov_b32 s1, -1
	s_cbranch_scc0 .LBB48_408
; %bb.407:
	v_cvt_i32_f64_e32 v2, v[0:1]
	s_mov_b32 s1, 0
	global_store_byte v[4:5], v2, off
.LBB48_408:
	s_andn2_b32 vcc_lo, exec_lo, s1
	s_cbranch_vccnz .LBB48_410
; %bb.409:
	v_trunc_f64_e32 v[0:1], v[0:1]
	v_ldexp_f64 v[2:3], v[0:1], 0xffffffe0
	v_floor_f64_e32 v[2:3], v[2:3]
	v_fma_f64 v[0:1], 0xc1f00000, v[2:3], v[0:1]
	v_cvt_u32_f64_e32 v0, v[0:1]
	global_store_byte v[4:5], v0, off
.LBB48_410:
	s_mov_b32 s3, -1
.LBB48_411:
	s_andn2_b32 vcc_lo, exec_lo, s3
	s_cbranch_vccnz .LBB48_413
; %bb.412:
	v_add_nc_u32_e32 v26, 0x80, v26
	s_mov_b32 s1, -1
	s_branch .LBB48_526
.LBB48_413:
	s_mov_b32 s1, 0
	s_branch .LBB48_525
.LBB48_414:
	s_mov_b32 s21, -1
                                        ; implicit-def: $vgpr0_vgpr1
.LBB48_415:
	s_mov_b32 s2, 0
.LBB48_416:
	s_and_b32 vcc_lo, exec_lo, s2
	s_cbranch_vccz .LBB48_420
; %bb.417:
	s_cmp_eq_u32 s0, 29
	s_cbranch_scc0 .LBB48_419
; %bb.418:
	global_load_dwordx2 v[0:1], v[2:3], off
	s_mov_b32 s1, -1
	s_mov_b32 s21, 0
	s_mov_b32 s2, 0
	s_waitcnt vmcnt(0)
	v_cvt_f64_u32_e32 v[4:5], v1
	v_cvt_f64_u32_e32 v[0:1], v0
	v_ldexp_f64 v[4:5], v[4:5], 32
	v_add_f64 v[0:1], v[4:5], v[0:1]
	s_branch .LBB48_421
.LBB48_419:
	s_mov_b32 s21, -1
                                        ; implicit-def: $vgpr0_vgpr1
.LBB48_420:
	s_mov_b32 s2, 0
.LBB48_421:
	s_and_b32 vcc_lo, exec_lo, s2
	s_cbranch_vccz .LBB48_441
; %bb.422:
	s_cmp_lt_i32 s0, 27
	s_cbranch_scc1 .LBB48_425
; %bb.423:
	s_cmp_gt_i32 s0, 27
	s_cbranch_scc0 .LBB48_426
; %bb.424:
	global_load_dword v0, v[2:3], off
	s_mov_b32 s1, 0
	s_waitcnt vmcnt(0)
	v_cvt_f64_u32_e32 v[0:1], v0
	s_branch .LBB48_427
.LBB48_425:
	s_mov_b32 s1, -1
                                        ; implicit-def: $vgpr0_vgpr1
	s_branch .LBB48_430
.LBB48_426:
	s_mov_b32 s1, -1
                                        ; implicit-def: $vgpr0_vgpr1
.LBB48_427:
	s_andn2_b32 vcc_lo, exec_lo, s1
	s_cbranch_vccnz .LBB48_429
; %bb.428:
	global_load_ushort v0, v[2:3], off
	s_waitcnt vmcnt(0)
	v_cvt_f64_u32_e32 v[0:1], v0
.LBB48_429:
	s_mov_b32 s1, 0
.LBB48_430:
	s_andn2_b32 vcc_lo, exec_lo, s1
	s_cbranch_vccnz .LBB48_440
; %bb.431:
	global_load_ubyte v4, v[2:3], off
	s_mov_b32 s1, 0
	s_mov_b32 s2, exec_lo
	s_waitcnt vmcnt(0)
	v_cmpx_lt_i16_e32 0x7f, v4
	s_xor_b32 s2, exec_lo, s2
	s_cbranch_execz .LBB48_435
; %bb.432:
	s_mov_b32 s1, -1
	s_mov_b32 s3, exec_lo
	v_cmpx_eq_u16_e32 0x80, v4
; %bb.433:
	s_xor_b32 s1, exec_lo, -1
; %bb.434:
	s_or_b32 exec_lo, exec_lo, s3
	s_and_b32 s1, s1, exec_lo
.LBB48_435:
	s_or_saveexec_b32 s2, s2
	v_bfrev_b32_e32 v0, 4
	v_mov_b32_e32 v1, 0x7ff80000
	s_xor_b32 exec_lo, exec_lo, s2
; %bb.436:
	v_cmp_ne_u16_e32 vcc_lo, 0, v4
	v_mov_b32_e32 v0, 0
	v_mov_b32_e32 v1, 0
	s_andn2_b32 s1, s1, exec_lo
	s_and_b32 s3, vcc_lo, exec_lo
	s_or_b32 s1, s1, s3
; %bb.437:
	s_or_b32 exec_lo, exec_lo, s2
	s_and_saveexec_b32 s2, s1
	s_cbranch_execz .LBB48_439
; %bb.438:
	v_and_b32_e32 v0, 0xffff, v4
	v_lshlrev_b32_e32 v4, 24, v4
	v_and_b32_e32 v1, 7, v0
	v_bfe_u32 v7, v0, 3, 4
	v_ffbh_u32_e32 v5, v1
	v_cmp_eq_u32_e32 vcc_lo, 0, v7
	v_min_u32_e32 v5, 32, v5
	v_subrev_nc_u32_e32 v6, 28, v5
	v_sub_nc_u32_e32 v5, 29, v5
	v_lshlrev_b32_e32 v0, v6, v0
	v_cndmask_b32_e32 v5, v7, v5, vcc_lo
	v_and_b32_e32 v0, 7, v0
	v_cndmask_b32_e32 v0, v1, v0, vcc_lo
	v_and_b32_e32 v1, 0x80000000, v4
	v_lshl_add_u32 v4, v5, 23, 0x3b800000
	v_lshlrev_b32_e32 v0, 20, v0
	v_or3_b32 v0, v1, v4, v0
	v_cvt_f64_f32_e32 v[0:1], v0
.LBB48_439:
	s_or_b32 exec_lo, exec_lo, s2
.LBB48_440:
	s_mov_b32 s1, -1
.LBB48_441:
	s_mov_b32 s2, 0
.LBB48_442:
	s_and_b32 vcc_lo, exec_lo, s2
	s_cbranch_vccz .LBB48_475
; %bb.443:
	s_cmp_gt_i32 s0, 22
	s_cbranch_scc0 .LBB48_455
; %bb.444:
	s_cmp_lt_i32 s0, 24
	s_cbranch_scc1 .LBB48_456
; %bb.445:
	s_cmp_gt_i32 s0, 24
	s_cbranch_scc0 .LBB48_457
; %bb.446:
	global_load_ubyte v4, v[2:3], off
	s_mov_b32 s1, 0
	s_mov_b32 s2, exec_lo
	s_waitcnt vmcnt(0)
	v_cmpx_lt_i16_e32 0x7f, v4
	s_xor_b32 s2, exec_lo, s2
	s_cbranch_execz .LBB48_450
; %bb.447:
	s_mov_b32 s1, -1
	s_mov_b32 s3, exec_lo
	v_cmpx_eq_u16_e32 0x80, v4
; %bb.448:
	s_xor_b32 s1, exec_lo, -1
; %bb.449:
	s_or_b32 exec_lo, exec_lo, s3
	s_and_b32 s1, s1, exec_lo
.LBB48_450:
	s_or_saveexec_b32 s2, s2
	v_bfrev_b32_e32 v0, 4
	v_mov_b32_e32 v1, 0x7ff80000
	s_xor_b32 exec_lo, exec_lo, s2
; %bb.451:
	v_cmp_ne_u16_e32 vcc_lo, 0, v4
	v_mov_b32_e32 v0, 0
	v_mov_b32_e32 v1, 0
	s_andn2_b32 s1, s1, exec_lo
	s_and_b32 s3, vcc_lo, exec_lo
	s_or_b32 s1, s1, s3
; %bb.452:
	s_or_b32 exec_lo, exec_lo, s2
	s_and_saveexec_b32 s2, s1
	s_cbranch_execz .LBB48_454
; %bb.453:
	v_and_b32_e32 v0, 0xffff, v4
	v_lshlrev_b32_e32 v4, 24, v4
	v_and_b32_e32 v1, 3, v0
	v_bfe_u32 v7, v0, 2, 5
	v_ffbh_u32_e32 v5, v1
	v_cmp_eq_u32_e32 vcc_lo, 0, v7
	v_min_u32_e32 v5, 32, v5
	v_subrev_nc_u32_e32 v6, 29, v5
	v_sub_nc_u32_e32 v5, 30, v5
	v_lshlrev_b32_e32 v0, v6, v0
	v_cndmask_b32_e32 v5, v7, v5, vcc_lo
	v_and_b32_e32 v0, 3, v0
	v_cndmask_b32_e32 v0, v1, v0, vcc_lo
	v_and_b32_e32 v1, 0x80000000, v4
	v_lshl_add_u32 v4, v5, 23, 0x37800000
	v_lshlrev_b32_e32 v0, 21, v0
	v_or3_b32 v0, v1, v4, v0
	v_cvt_f64_f32_e32 v[0:1], v0
.LBB48_454:
	s_or_b32 exec_lo, exec_lo, s2
	s_mov_b32 s1, 0
	s_branch .LBB48_458
.LBB48_455:
	s_mov_b32 s2, -1
                                        ; implicit-def: $vgpr0_vgpr1
	s_branch .LBB48_464
.LBB48_456:
	s_mov_b32 s1, -1
                                        ; implicit-def: $vgpr0_vgpr1
	s_branch .LBB48_461
.LBB48_457:
	s_mov_b32 s1, -1
                                        ; implicit-def: $vgpr0_vgpr1
.LBB48_458:
	s_and_b32 vcc_lo, exec_lo, s1
	s_cbranch_vccz .LBB48_460
; %bb.459:
	global_load_ubyte v0, v[2:3], off
	s_waitcnt vmcnt(0)
	v_lshlrev_b32_e32 v0, 24, v0
	v_and_b32_e32 v1, 0x7f000000, v0
	v_ffbh_u32_e32 v4, v1
	v_add_nc_u32_e32 v6, 0x1000000, v1
	v_cmp_ne_u32_e32 vcc_lo, 0, v1
	v_min_u32_e32 v4, 32, v4
	v_sub_nc_u32_e64 v4, v4, 4 clamp
	v_lshlrev_b32_e32 v5, v4, v1
	v_lshlrev_b32_e32 v4, 23, v4
	v_lshrrev_b32_e32 v5, 4, v5
	v_sub_nc_u32_e32 v4, v5, v4
	v_ashrrev_i32_e32 v5, 8, v6
	v_add_nc_u32_e32 v4, 0x3c000000, v4
	v_and_or_b32 v4, 0x7f800000, v5, v4
	v_cndmask_b32_e32 v1, 0, v4, vcc_lo
	v_and_or_b32 v0, 0x80000000, v0, v1
	v_cvt_f64_f32_e32 v[0:1], v0
.LBB48_460:
	s_mov_b32 s1, 0
.LBB48_461:
	s_andn2_b32 vcc_lo, exec_lo, s1
	s_cbranch_vccnz .LBB48_463
; %bb.462:
	global_load_ubyte v0, v[2:3], off
	s_waitcnt vmcnt(0)
	v_lshlrev_b32_e32 v1, 25, v0
	v_lshlrev_b16 v0, 8, v0
	v_lshrrev_b32_e32 v4, 4, v1
	v_and_or_b32 v5, 0x7f00, v0, 0.5
	v_cmp_gt_u32_e32 vcc_lo, 0x8000000, v1
	v_bfe_i32 v0, v0, 0, 16
	v_or_b32_e32 v4, 0x70000000, v4
	v_add_f32_e32 v5, -0.5, v5
	v_mul_f32_e32 v4, 0x7800000, v4
	v_cndmask_b32_e32 v1, v4, v5, vcc_lo
	v_and_or_b32 v0, 0x80000000, v0, v1
	v_cvt_f64_f32_e32 v[0:1], v0
.LBB48_463:
	s_mov_b32 s2, 0
	s_mov_b32 s1, -1
.LBB48_464:
	s_andn2_b32 vcc_lo, exec_lo, s2
	s_cbranch_vccnz .LBB48_475
; %bb.465:
	s_cmp_gt_i32 s0, 14
	s_cbranch_scc0 .LBB48_468
; %bb.466:
	s_cmp_eq_u32 s0, 15
	s_cbranch_scc0 .LBB48_469
; %bb.467:
	global_load_ushort v0, v[2:3], off
	s_mov_b32 s1, -1
	s_mov_b32 s21, 0
	s_waitcnt vmcnt(0)
	v_lshlrev_b32_e32 v0, 16, v0
	v_cvt_f64_f32_e32 v[0:1], v0
	s_branch .LBB48_470
.LBB48_468:
	s_mov_b32 s2, -1
                                        ; implicit-def: $vgpr0_vgpr1
	s_branch .LBB48_471
.LBB48_469:
	s_mov_b32 s21, -1
                                        ; implicit-def: $vgpr0_vgpr1
.LBB48_470:
	s_mov_b32 s2, 0
.LBB48_471:
	s_and_b32 vcc_lo, exec_lo, s2
	s_cbranch_vccz .LBB48_475
; %bb.472:
	s_cmp_eq_u32 s0, 11
	s_cbranch_scc0 .LBB48_474
; %bb.473:
	global_load_ubyte v0, v[2:3], off
	s_mov_b32 s21, 0
	s_mov_b32 s1, -1
	s_waitcnt vmcnt(0)
	v_cmp_ne_u16_e32 vcc_lo, 0, v0
	v_mov_b32_e32 v0, 0
	v_cndmask_b32_e64 v1, 0, 0x3ff00000, vcc_lo
	s_branch .LBB48_475
.LBB48_474:
	s_mov_b32 s21, -1
                                        ; implicit-def: $vgpr0_vgpr1
.LBB48_475:
	s_branch .LBB48_271
.LBB48_476:
	s_cmp_lt_i32 s0, 5
	s_cbranch_scc1 .LBB48_481
; %bb.477:
	s_cmp_lt_i32 s0, 8
	s_cbranch_scc1 .LBB48_482
; %bb.478:
	;; [unrolled: 3-line block ×3, first 2 shown]
	s_cmp_gt_i32 s0, 9
	s_cbranch_scc0 .LBB48_484
; %bb.480:
	global_load_dwordx2 v[0:1], v[2:3], off
	s_mov_b32 s1, 0
	s_branch .LBB48_485
.LBB48_481:
	s_mov_b32 s1, -1
                                        ; implicit-def: $vgpr0_vgpr1
	s_branch .LBB48_503
.LBB48_482:
	s_mov_b32 s1, -1
                                        ; implicit-def: $vgpr0_vgpr1
	s_branch .LBB48_491
.LBB48_483:
	s_mov_b32 s1, -1
                                        ; implicit-def: $vgpr0_vgpr1
	s_branch .LBB48_488
.LBB48_484:
	s_mov_b32 s1, -1
                                        ; implicit-def: $vgpr0_vgpr1
.LBB48_485:
	s_andn2_b32 vcc_lo, exec_lo, s1
	s_cbranch_vccnz .LBB48_487
; %bb.486:
	global_load_dword v0, v[2:3], off
	s_waitcnt vmcnt(0)
	v_cvt_f64_f32_e32 v[0:1], v0
.LBB48_487:
	s_mov_b32 s1, 0
.LBB48_488:
	s_andn2_b32 vcc_lo, exec_lo, s1
	s_cbranch_vccnz .LBB48_490
; %bb.489:
	global_load_dword v0, v[2:3], off
	s_waitcnt vmcnt(0)
	v_cvt_f32_f16_e32 v0, v0
	v_cvt_f64_f32_e32 v[0:1], v0
.LBB48_490:
	s_mov_b32 s1, 0
.LBB48_491:
	s_andn2_b32 vcc_lo, exec_lo, s1
	s_cbranch_vccnz .LBB48_502
; %bb.492:
	s_cmp_lt_i32 s0, 6
	s_cbranch_scc1 .LBB48_495
; %bb.493:
	s_cmp_gt_i32 s0, 6
	s_cbranch_scc0 .LBB48_496
; %bb.494:
	global_load_dwordx2 v[0:1], v[2:3], off
	s_mov_b32 s1, 0
	s_branch .LBB48_497
.LBB48_495:
	s_mov_b32 s1, -1
                                        ; implicit-def: $vgpr0_vgpr1
	s_branch .LBB48_500
.LBB48_496:
	s_mov_b32 s1, -1
                                        ; implicit-def: $vgpr0_vgpr1
.LBB48_497:
	s_andn2_b32 vcc_lo, exec_lo, s1
	s_cbranch_vccnz .LBB48_499
; %bb.498:
	global_load_dword v0, v[2:3], off
	s_waitcnt vmcnt(0)
	v_cvt_f64_f32_e32 v[0:1], v0
.LBB48_499:
	s_mov_b32 s1, 0
.LBB48_500:
	s_andn2_b32 vcc_lo, exec_lo, s1
	s_cbranch_vccnz .LBB48_502
; %bb.501:
	global_load_ushort v0, v[2:3], off
	s_waitcnt vmcnt(0)
	v_cvt_f32_f16_e32 v0, v0
	v_cvt_f64_f32_e32 v[0:1], v0
.LBB48_502:
	s_mov_b32 s1, 0
.LBB48_503:
	s_andn2_b32 vcc_lo, exec_lo, s1
	s_cbranch_vccnz .LBB48_523
; %bb.504:
	s_cmp_lt_i32 s0, 2
	s_cbranch_scc1 .LBB48_508
; %bb.505:
	s_cmp_lt_i32 s0, 3
	s_cbranch_scc1 .LBB48_509
; %bb.506:
	s_cmp_gt_i32 s0, 3
	s_cbranch_scc0 .LBB48_510
; %bb.507:
	global_load_dwordx2 v[0:1], v[2:3], off
	s_mov_b32 s1, 0
	s_waitcnt vmcnt(0)
	v_cvt_f64_i32_e32 v[4:5], v1
	v_cvt_f64_u32_e32 v[0:1], v0
	v_ldexp_f64 v[4:5], v[4:5], 32
	v_add_f64 v[0:1], v[4:5], v[0:1]
	s_branch .LBB48_511
.LBB48_508:
	s_mov_b32 s1, -1
                                        ; implicit-def: $vgpr0_vgpr1
	s_branch .LBB48_517
.LBB48_509:
	s_mov_b32 s1, -1
                                        ; implicit-def: $vgpr0_vgpr1
	s_branch .LBB48_514
.LBB48_510:
	s_mov_b32 s1, -1
                                        ; implicit-def: $vgpr0_vgpr1
.LBB48_511:
	s_andn2_b32 vcc_lo, exec_lo, s1
	s_cbranch_vccnz .LBB48_513
; %bb.512:
	global_load_dword v0, v[2:3], off
	s_waitcnt vmcnt(0)
	v_cvt_f64_i32_e32 v[0:1], v0
.LBB48_513:
	s_mov_b32 s1, 0
.LBB48_514:
	s_andn2_b32 vcc_lo, exec_lo, s1
	s_cbranch_vccnz .LBB48_516
; %bb.515:
	global_load_sshort v0, v[2:3], off
	s_waitcnt vmcnt(0)
	v_cvt_f64_i32_e32 v[0:1], v0
.LBB48_516:
	s_mov_b32 s1, 0
.LBB48_517:
	s_andn2_b32 vcc_lo, exec_lo, s1
	s_cbranch_vccnz .LBB48_523
; %bb.518:
	s_cmp_gt_i32 s0, 0
	s_mov_b32 s0, 0
	s_cbranch_scc0 .LBB48_520
; %bb.519:
	global_load_sbyte v0, v[2:3], off
	s_waitcnt vmcnt(0)
	v_cvt_f64_i32_e32 v[0:1], v0
	s_branch .LBB48_521
.LBB48_520:
	s_mov_b32 s0, -1
                                        ; implicit-def: $vgpr0_vgpr1
.LBB48_521:
	s_andn2_b32 vcc_lo, exec_lo, s0
	s_cbranch_vccnz .LBB48_523
; %bb.522:
	global_load_ubyte v0, v[2:3], off
	s_waitcnt vmcnt(0)
	v_cvt_f64_u32_e32 v[0:1], v0
.LBB48_523:
	s_branch .LBB48_272
.LBB48_524:
	s_mov_b32 s1, 0
	s_mov_b32 s0, s17
.LBB48_525:
                                        ; implicit-def: $vgpr26
.LBB48_526:
	s_andn2_b32 s2, s17, exec_lo
	s_and_b32 s0, s0, exec_lo
	s_andn2_b32 s3, s19, exec_lo
	s_and_b32 s4, s21, exec_lo
	s_or_b32 s22, s2, s0
	s_or_b32 s21, s3, s4
	s_orn2_b32 s0, s1, exec_lo
.LBB48_527:
	s_or_b32 exec_lo, exec_lo, s23
	s_mov_b32 s1, 0
	s_mov_b32 s2, 0
	;; [unrolled: 1-line block ×3, first 2 shown]
                                        ; implicit-def: $vgpr0_vgpr1
                                        ; implicit-def: $vgpr2_vgpr3
	s_and_saveexec_b32 s23, s0
	s_cbranch_execz .LBB48_880
; %bb.528:
	s_mov_b32 s6, -1
	s_mov_b32 s0, s21
	s_mov_b32 s1, s22
	s_mov_b32 s24, exec_lo
	v_cmpx_gt_i32_e64 s18, v26
	s_cbranch_execz .LBB48_794
; %bb.529:
	s_waitcnt vmcnt(0)
	v_mul_lo_u32 v0, v26, s13
	s_and_b32 s0, 0xffff, s15
	s_cmp_lt_i32 s0, 11
	v_ashrrev_i32_e32 v1, 31, v0
	v_add_co_u32 v2, vcc_lo, s10, v0
	v_add_co_ci_u32_e64 v3, null, s11, v1, vcc_lo
	s_cbranch_scc1 .LBB48_536
; %bb.530:
	s_cmp_gt_i32 s0, 25
	s_cbranch_scc0 .LBB48_537
; %bb.531:
	s_cmp_gt_i32 s0, 28
	s_cbranch_scc0 .LBB48_538
	;; [unrolled: 3-line block ×4, first 2 shown]
; %bb.534:
	s_cmp_eq_u32 s0, 46
	s_cbranch_scc0 .LBB48_545
; %bb.535:
	global_load_dword v0, v[2:3], off
	s_mov_b32 s1, -1
	s_mov_b32 s25, 0
	s_waitcnt vmcnt(0)
	v_lshlrev_b32_e32 v0, 16, v0
	v_cvt_f64_f32_e32 v[0:1], v0
	s_branch .LBB48_547
.LBB48_536:
	s_mov_b32 s2, -1
	s_mov_b32 s1, 0
	s_mov_b32 s25, s21
                                        ; implicit-def: $vgpr0_vgpr1
	s_branch .LBB48_612
.LBB48_537:
	s_mov_b32 s2, -1
	s_mov_b32 s1, 0
	s_mov_b32 s25, s21
                                        ; implicit-def: $vgpr0_vgpr1
	s_branch .LBB48_578
.LBB48_538:
	s_mov_b32 s2, -1
	s_mov_b32 s1, 0
	s_mov_b32 s25, s21
                                        ; implicit-def: $vgpr0_vgpr1
	s_branch .LBB48_557
.LBB48_539:
	s_mov_b32 s2, -1
	s_mov_b32 s1, 0
	s_mov_b32 s25, s21
                                        ; implicit-def: $vgpr0_vgpr1
	s_branch .LBB48_552
.LBB48_540:
	s_andn2_saveexec_b32 s5, s5
	s_cbranch_execz .LBB48_324
.LBB48_541:
	v_add_f32_e64 v3, 0x46000000, |v2|
	s_andn2_b32 s4, s4, exec_lo
	v_and_b32_e32 v3, 0xff, v3
	v_cmp_ne_u32_e32 vcc_lo, 0, v3
	s_and_b32 s6, vcc_lo, exec_lo
	s_or_b32 s4, s4, s6
	s_or_b32 exec_lo, exec_lo, s5
	v_mov_b32_e32 v6, 0
	s_and_saveexec_b32 s5, s4
	s_cbranch_execnz .LBB48_325
	s_branch .LBB48_326
.LBB48_542:
	s_mov_b32 s2, -1
	s_mov_b32 s1, 0
	s_mov_b32 s25, s21
	s_branch .LBB48_546
.LBB48_543:
	s_andn2_saveexec_b32 s5, s5
	s_cbranch_execz .LBB48_337
.LBB48_544:
	v_add_f32_e64 v3, 0x42800000, |v2|
	s_andn2_b32 s4, s4, exec_lo
	v_and_b32_e32 v3, 0xff, v3
	v_cmp_ne_u32_e32 vcc_lo, 0, v3
	s_and_b32 s6, vcc_lo, exec_lo
	s_or_b32 s4, s4, s6
	s_or_b32 exec_lo, exec_lo, s5
	v_mov_b32_e32 v6, 0
	s_and_saveexec_b32 s5, s4
	s_cbranch_execnz .LBB48_338
	s_branch .LBB48_339
.LBB48_545:
	s_mov_b32 s25, -1
	s_mov_b32 s1, 0
.LBB48_546:
                                        ; implicit-def: $vgpr0_vgpr1
.LBB48_547:
	s_and_b32 vcc_lo, exec_lo, s2
	s_cbranch_vccz .LBB48_551
; %bb.548:
	s_cmp_eq_u32 s0, 44
	s_cbranch_scc0 .LBB48_550
; %bb.549:
	global_load_ubyte v4, v[2:3], off
	s_mov_b32 s25, 0
	s_mov_b32 s1, -1
	s_waitcnt vmcnt(0)
	v_lshlrev_b32_e32 v0, 23, v4
	v_cmp_ne_u32_e32 vcc_lo, 0xff, v4
	v_cvt_f64_f32_e32 v[0:1], v0
	v_cndmask_b32_e32 v0, 0x20000000, v0, vcc_lo
	v_cndmask_b32_e32 v1, 0x7ff80000, v1, vcc_lo
	v_cmp_ne_u32_e32 vcc_lo, 0, v4
	v_cndmask_b32_e32 v1, 0x38000000, v1, vcc_lo
	v_cndmask_b32_e32 v0, 0, v0, vcc_lo
	s_branch .LBB48_551
.LBB48_550:
	s_mov_b32 s25, -1
                                        ; implicit-def: $vgpr0_vgpr1
.LBB48_551:
	s_mov_b32 s2, 0
.LBB48_552:
	s_and_b32 vcc_lo, exec_lo, s2
	s_cbranch_vccz .LBB48_556
; %bb.553:
	s_cmp_eq_u32 s0, 29
	s_cbranch_scc0 .LBB48_555
; %bb.554:
	global_load_dwordx2 v[0:1], v[2:3], off
	s_mov_b32 s1, -1
	s_mov_b32 s25, 0
	s_mov_b32 s2, 0
	s_waitcnt vmcnt(0)
	v_cvt_f64_u32_e32 v[4:5], v1
	v_cvt_f64_u32_e32 v[0:1], v0
	v_ldexp_f64 v[4:5], v[4:5], 32
	v_add_f64 v[0:1], v[4:5], v[0:1]
	s_branch .LBB48_557
.LBB48_555:
	s_mov_b32 s25, -1
                                        ; implicit-def: $vgpr0_vgpr1
.LBB48_556:
	s_mov_b32 s2, 0
.LBB48_557:
	s_and_b32 vcc_lo, exec_lo, s2
	s_cbranch_vccz .LBB48_577
; %bb.558:
	s_cmp_lt_i32 s0, 27
	s_cbranch_scc1 .LBB48_561
; %bb.559:
	s_cmp_gt_i32 s0, 27
	s_cbranch_scc0 .LBB48_562
; %bb.560:
	global_load_dword v0, v[2:3], off
	s_mov_b32 s1, 0
	s_waitcnt vmcnt(0)
	v_cvt_f64_u32_e32 v[0:1], v0
	s_branch .LBB48_563
.LBB48_561:
	s_mov_b32 s1, -1
                                        ; implicit-def: $vgpr0_vgpr1
	s_branch .LBB48_566
.LBB48_562:
	s_mov_b32 s1, -1
                                        ; implicit-def: $vgpr0_vgpr1
.LBB48_563:
	s_andn2_b32 vcc_lo, exec_lo, s1
	s_cbranch_vccnz .LBB48_565
; %bb.564:
	global_load_ushort v0, v[2:3], off
	s_waitcnt vmcnt(0)
	v_cvt_f64_u32_e32 v[0:1], v0
.LBB48_565:
	s_mov_b32 s1, 0
.LBB48_566:
	s_andn2_b32 vcc_lo, exec_lo, s1
	s_cbranch_vccnz .LBB48_576
; %bb.567:
	global_load_ubyte v4, v[2:3], off
	s_mov_b32 s1, 0
	s_mov_b32 s2, exec_lo
	s_waitcnt vmcnt(0)
	v_cmpx_lt_i16_e32 0x7f, v4
	s_xor_b32 s2, exec_lo, s2
	s_cbranch_execz .LBB48_571
; %bb.568:
	s_mov_b32 s1, -1
	s_mov_b32 s3, exec_lo
	v_cmpx_eq_u16_e32 0x80, v4
; %bb.569:
	s_xor_b32 s1, exec_lo, -1
; %bb.570:
	s_or_b32 exec_lo, exec_lo, s3
	s_and_b32 s1, s1, exec_lo
.LBB48_571:
	s_or_saveexec_b32 s2, s2
	v_bfrev_b32_e32 v0, 4
	v_mov_b32_e32 v1, 0x7ff80000
	s_xor_b32 exec_lo, exec_lo, s2
; %bb.572:
	v_cmp_ne_u16_e32 vcc_lo, 0, v4
	v_mov_b32_e32 v0, 0
	v_mov_b32_e32 v1, 0
	s_andn2_b32 s1, s1, exec_lo
	s_and_b32 s3, vcc_lo, exec_lo
	s_or_b32 s1, s1, s3
; %bb.573:
	s_or_b32 exec_lo, exec_lo, s2
	s_and_saveexec_b32 s2, s1
	s_cbranch_execz .LBB48_575
; %bb.574:
	v_and_b32_e32 v0, 0xffff, v4
	v_lshlrev_b32_e32 v4, 24, v4
	v_and_b32_e32 v1, 7, v0
	v_bfe_u32 v7, v0, 3, 4
	v_ffbh_u32_e32 v5, v1
	v_cmp_eq_u32_e32 vcc_lo, 0, v7
	v_min_u32_e32 v5, 32, v5
	v_subrev_nc_u32_e32 v6, 28, v5
	v_sub_nc_u32_e32 v5, 29, v5
	v_lshlrev_b32_e32 v0, v6, v0
	v_cndmask_b32_e32 v5, v7, v5, vcc_lo
	v_and_b32_e32 v0, 7, v0
	v_cndmask_b32_e32 v0, v1, v0, vcc_lo
	v_and_b32_e32 v1, 0x80000000, v4
	v_lshl_add_u32 v4, v5, 23, 0x3b800000
	v_lshlrev_b32_e32 v0, 20, v0
	v_or3_b32 v0, v1, v4, v0
	v_cvt_f64_f32_e32 v[0:1], v0
.LBB48_575:
	s_or_b32 exec_lo, exec_lo, s2
.LBB48_576:
	s_mov_b32 s1, -1
.LBB48_577:
	s_mov_b32 s2, 0
.LBB48_578:
	s_and_b32 vcc_lo, exec_lo, s2
	s_cbranch_vccz .LBB48_611
; %bb.579:
	s_cmp_gt_i32 s0, 22
	s_cbranch_scc0 .LBB48_591
; %bb.580:
	s_cmp_lt_i32 s0, 24
	s_cbranch_scc1 .LBB48_592
; %bb.581:
	s_cmp_gt_i32 s0, 24
	s_cbranch_scc0 .LBB48_593
; %bb.582:
	global_load_ubyte v4, v[2:3], off
	s_mov_b32 s1, 0
	s_mov_b32 s2, exec_lo
	s_waitcnt vmcnt(0)
	v_cmpx_lt_i16_e32 0x7f, v4
	s_xor_b32 s2, exec_lo, s2
	s_cbranch_execz .LBB48_586
; %bb.583:
	s_mov_b32 s1, -1
	s_mov_b32 s3, exec_lo
	v_cmpx_eq_u16_e32 0x80, v4
; %bb.584:
	s_xor_b32 s1, exec_lo, -1
; %bb.585:
	s_or_b32 exec_lo, exec_lo, s3
	s_and_b32 s1, s1, exec_lo
.LBB48_586:
	s_or_saveexec_b32 s2, s2
	v_bfrev_b32_e32 v0, 4
	v_mov_b32_e32 v1, 0x7ff80000
	s_xor_b32 exec_lo, exec_lo, s2
; %bb.587:
	v_cmp_ne_u16_e32 vcc_lo, 0, v4
	v_mov_b32_e32 v0, 0
	v_mov_b32_e32 v1, 0
	s_andn2_b32 s1, s1, exec_lo
	s_and_b32 s3, vcc_lo, exec_lo
	s_or_b32 s1, s1, s3
; %bb.588:
	s_or_b32 exec_lo, exec_lo, s2
	s_and_saveexec_b32 s2, s1
	s_cbranch_execz .LBB48_590
; %bb.589:
	v_and_b32_e32 v0, 0xffff, v4
	v_lshlrev_b32_e32 v4, 24, v4
	v_and_b32_e32 v1, 3, v0
	v_bfe_u32 v7, v0, 2, 5
	v_ffbh_u32_e32 v5, v1
	v_cmp_eq_u32_e32 vcc_lo, 0, v7
	v_min_u32_e32 v5, 32, v5
	v_subrev_nc_u32_e32 v6, 29, v5
	v_sub_nc_u32_e32 v5, 30, v5
	v_lshlrev_b32_e32 v0, v6, v0
	v_cndmask_b32_e32 v5, v7, v5, vcc_lo
	v_and_b32_e32 v0, 3, v0
	v_cndmask_b32_e32 v0, v1, v0, vcc_lo
	v_and_b32_e32 v1, 0x80000000, v4
	v_lshl_add_u32 v4, v5, 23, 0x37800000
	v_lshlrev_b32_e32 v0, 21, v0
	v_or3_b32 v0, v1, v4, v0
	v_cvt_f64_f32_e32 v[0:1], v0
.LBB48_590:
	s_or_b32 exec_lo, exec_lo, s2
	s_mov_b32 s1, 0
	s_branch .LBB48_594
.LBB48_591:
	s_mov_b32 s2, -1
                                        ; implicit-def: $vgpr0_vgpr1
	s_branch .LBB48_600
.LBB48_592:
	s_mov_b32 s1, -1
                                        ; implicit-def: $vgpr0_vgpr1
	s_branch .LBB48_597
.LBB48_593:
	s_mov_b32 s1, -1
                                        ; implicit-def: $vgpr0_vgpr1
.LBB48_594:
	s_and_b32 vcc_lo, exec_lo, s1
	s_cbranch_vccz .LBB48_596
; %bb.595:
	global_load_ubyte v0, v[2:3], off
	s_waitcnt vmcnt(0)
	v_lshlrev_b32_e32 v0, 24, v0
	v_and_b32_e32 v1, 0x7f000000, v0
	v_ffbh_u32_e32 v4, v1
	v_add_nc_u32_e32 v6, 0x1000000, v1
	v_cmp_ne_u32_e32 vcc_lo, 0, v1
	v_min_u32_e32 v4, 32, v4
	v_sub_nc_u32_e64 v4, v4, 4 clamp
	v_lshlrev_b32_e32 v5, v4, v1
	v_lshlrev_b32_e32 v4, 23, v4
	v_lshrrev_b32_e32 v5, 4, v5
	v_sub_nc_u32_e32 v4, v5, v4
	v_ashrrev_i32_e32 v5, 8, v6
	v_add_nc_u32_e32 v4, 0x3c000000, v4
	v_and_or_b32 v4, 0x7f800000, v5, v4
	v_cndmask_b32_e32 v1, 0, v4, vcc_lo
	v_and_or_b32 v0, 0x80000000, v0, v1
	v_cvt_f64_f32_e32 v[0:1], v0
.LBB48_596:
	s_mov_b32 s1, 0
.LBB48_597:
	s_andn2_b32 vcc_lo, exec_lo, s1
	s_cbranch_vccnz .LBB48_599
; %bb.598:
	global_load_ubyte v0, v[2:3], off
	s_waitcnt vmcnt(0)
	v_lshlrev_b32_e32 v1, 25, v0
	v_lshlrev_b16 v0, 8, v0
	v_lshrrev_b32_e32 v4, 4, v1
	v_and_or_b32 v5, 0x7f00, v0, 0.5
	v_cmp_gt_u32_e32 vcc_lo, 0x8000000, v1
	v_bfe_i32 v0, v0, 0, 16
	v_or_b32_e32 v4, 0x70000000, v4
	v_add_f32_e32 v5, -0.5, v5
	v_mul_f32_e32 v4, 0x7800000, v4
	v_cndmask_b32_e32 v1, v4, v5, vcc_lo
	v_and_or_b32 v0, 0x80000000, v0, v1
	v_cvt_f64_f32_e32 v[0:1], v0
.LBB48_599:
	s_mov_b32 s2, 0
	s_mov_b32 s1, -1
.LBB48_600:
	s_andn2_b32 vcc_lo, exec_lo, s2
	s_cbranch_vccnz .LBB48_611
; %bb.601:
	s_cmp_gt_i32 s0, 14
	s_cbranch_scc0 .LBB48_604
; %bb.602:
	s_cmp_eq_u32 s0, 15
	s_cbranch_scc0 .LBB48_605
; %bb.603:
	global_load_ushort v0, v[2:3], off
	s_mov_b32 s1, -1
	s_mov_b32 s25, 0
	s_waitcnt vmcnt(0)
	v_lshlrev_b32_e32 v0, 16, v0
	v_cvt_f64_f32_e32 v[0:1], v0
	s_branch .LBB48_606
.LBB48_604:
	s_mov_b32 s2, -1
                                        ; implicit-def: $vgpr0_vgpr1
	s_branch .LBB48_607
.LBB48_605:
	s_mov_b32 s25, -1
                                        ; implicit-def: $vgpr0_vgpr1
.LBB48_606:
	s_mov_b32 s2, 0
.LBB48_607:
	s_and_b32 vcc_lo, exec_lo, s2
	s_cbranch_vccz .LBB48_611
; %bb.608:
	s_cmp_eq_u32 s0, 11
	s_cbranch_scc0 .LBB48_610
; %bb.609:
	global_load_ubyte v0, v[2:3], off
	s_mov_b32 s25, 0
	s_mov_b32 s1, -1
	s_waitcnt vmcnt(0)
	v_cmp_ne_u16_e32 vcc_lo, 0, v0
	v_mov_b32_e32 v0, 0
	v_cndmask_b32_e64 v1, 0, 0x3ff00000, vcc_lo
	s_branch .LBB48_611
.LBB48_610:
	s_mov_b32 s25, -1
                                        ; implicit-def: $vgpr0_vgpr1
.LBB48_611:
	s_mov_b32 s2, 0
.LBB48_612:
	s_and_b32 vcc_lo, exec_lo, s2
	s_cbranch_vccz .LBB48_661
; %bb.613:
	s_cmp_lt_i32 s0, 5
	s_cbranch_scc1 .LBB48_618
; %bb.614:
	s_cmp_lt_i32 s0, 8
	s_cbranch_scc1 .LBB48_619
; %bb.615:
	s_cmp_lt_i32 s0, 9
	s_cbranch_scc1 .LBB48_620
; %bb.616:
	s_cmp_gt_i32 s0, 9
	s_cbranch_scc0 .LBB48_621
; %bb.617:
	global_load_dwordx2 v[0:1], v[2:3], off
	s_mov_b32 s1, 0
	s_branch .LBB48_622
.LBB48_618:
	s_mov_b32 s1, -1
                                        ; implicit-def: $vgpr0_vgpr1
	s_branch .LBB48_640
.LBB48_619:
	s_mov_b32 s1, -1
                                        ; implicit-def: $vgpr0_vgpr1
	s_branch .LBB48_628
.LBB48_620:
	s_mov_b32 s1, -1
                                        ; implicit-def: $vgpr0_vgpr1
	s_branch .LBB48_625
.LBB48_621:
	s_mov_b32 s1, -1
                                        ; implicit-def: $vgpr0_vgpr1
.LBB48_622:
	s_andn2_b32 vcc_lo, exec_lo, s1
	s_cbranch_vccnz .LBB48_624
; %bb.623:
	global_load_dword v0, v[2:3], off
	s_waitcnt vmcnt(0)
	v_cvt_f64_f32_e32 v[0:1], v0
.LBB48_624:
	s_mov_b32 s1, 0
.LBB48_625:
	s_andn2_b32 vcc_lo, exec_lo, s1
	s_cbranch_vccnz .LBB48_627
; %bb.626:
	global_load_dword v0, v[2:3], off
	s_waitcnt vmcnt(0)
	v_cvt_f32_f16_e32 v0, v0
	v_cvt_f64_f32_e32 v[0:1], v0
.LBB48_627:
	s_mov_b32 s1, 0
.LBB48_628:
	s_andn2_b32 vcc_lo, exec_lo, s1
	s_cbranch_vccnz .LBB48_639
; %bb.629:
	s_cmp_lt_i32 s0, 6
	s_cbranch_scc1 .LBB48_632
; %bb.630:
	s_cmp_gt_i32 s0, 6
	s_cbranch_scc0 .LBB48_633
; %bb.631:
	global_load_dwordx2 v[0:1], v[2:3], off
	s_mov_b32 s1, 0
	s_branch .LBB48_634
.LBB48_632:
	s_mov_b32 s1, -1
                                        ; implicit-def: $vgpr0_vgpr1
	s_branch .LBB48_637
.LBB48_633:
	s_mov_b32 s1, -1
                                        ; implicit-def: $vgpr0_vgpr1
.LBB48_634:
	s_andn2_b32 vcc_lo, exec_lo, s1
	s_cbranch_vccnz .LBB48_636
; %bb.635:
	global_load_dword v0, v[2:3], off
	s_waitcnt vmcnt(0)
	v_cvt_f64_f32_e32 v[0:1], v0
.LBB48_636:
	s_mov_b32 s1, 0
.LBB48_637:
	s_andn2_b32 vcc_lo, exec_lo, s1
	s_cbranch_vccnz .LBB48_639
; %bb.638:
	global_load_ushort v0, v[2:3], off
	s_waitcnt vmcnt(0)
	v_cvt_f32_f16_e32 v0, v0
	v_cvt_f64_f32_e32 v[0:1], v0
.LBB48_639:
	s_mov_b32 s1, 0
.LBB48_640:
	s_andn2_b32 vcc_lo, exec_lo, s1
	s_cbranch_vccnz .LBB48_660
; %bb.641:
	s_cmp_lt_i32 s0, 2
	s_cbranch_scc1 .LBB48_645
; %bb.642:
	s_cmp_lt_i32 s0, 3
	s_cbranch_scc1 .LBB48_646
; %bb.643:
	s_cmp_gt_i32 s0, 3
	s_cbranch_scc0 .LBB48_647
; %bb.644:
	global_load_dwordx2 v[0:1], v[2:3], off
	s_mov_b32 s1, 0
	s_waitcnt vmcnt(0)
	v_cvt_f64_i32_e32 v[4:5], v1
	v_cvt_f64_u32_e32 v[0:1], v0
	v_ldexp_f64 v[4:5], v[4:5], 32
	v_add_f64 v[0:1], v[4:5], v[0:1]
	s_branch .LBB48_648
.LBB48_645:
	s_mov_b32 s1, -1
                                        ; implicit-def: $vgpr0_vgpr1
	s_branch .LBB48_654
.LBB48_646:
	s_mov_b32 s1, -1
                                        ; implicit-def: $vgpr0_vgpr1
	s_branch .LBB48_651
.LBB48_647:
	s_mov_b32 s1, -1
                                        ; implicit-def: $vgpr0_vgpr1
.LBB48_648:
	s_andn2_b32 vcc_lo, exec_lo, s1
	s_cbranch_vccnz .LBB48_650
; %bb.649:
	global_load_dword v0, v[2:3], off
	s_waitcnt vmcnt(0)
	v_cvt_f64_i32_e32 v[0:1], v0
.LBB48_650:
	s_mov_b32 s1, 0
.LBB48_651:
	s_andn2_b32 vcc_lo, exec_lo, s1
	s_cbranch_vccnz .LBB48_653
; %bb.652:
	global_load_sshort v0, v[2:3], off
	s_waitcnt vmcnt(0)
	v_cvt_f64_i32_e32 v[0:1], v0
.LBB48_653:
	s_mov_b32 s1, 0
.LBB48_654:
	s_andn2_b32 vcc_lo, exec_lo, s1
	s_cbranch_vccnz .LBB48_660
; %bb.655:
	s_cmp_gt_i32 s0, 0
	s_mov_b32 s0, 0
	s_cbranch_scc0 .LBB48_657
; %bb.656:
	global_load_sbyte v0, v[2:3], off
	s_waitcnt vmcnt(0)
	v_cvt_f64_i32_e32 v[0:1], v0
	s_branch .LBB48_658
.LBB48_657:
	s_mov_b32 s0, -1
                                        ; implicit-def: $vgpr0_vgpr1
.LBB48_658:
	s_andn2_b32 vcc_lo, exec_lo, s0
	s_cbranch_vccnz .LBB48_660
; %bb.659:
	global_load_ubyte v0, v[2:3], off
	s_waitcnt vmcnt(0)
	v_cvt_f64_u32_e32 v[0:1], v0
.LBB48_660:
	s_mov_b32 s1, -1
.LBB48_661:
	s_andn2_b32 vcc_lo, exec_lo, s1
	s_cbranch_vccnz .LBB48_675
; %bb.662:
	v_mov_b32_e32 v4, 0
	v_mov_b32_e32 v2, 0
	;; [unrolled: 1-line block ×4, first 2 shown]
	s_mov_b32 s2, exec_lo
	s_waitcnt vmcnt(0)
	v_cmpx_gt_f64_e32 0.5, v[0:1]
	s_cbranch_execz .LBB48_668
; %bb.663:
	s_mov_b32 s1, 0x400921fb
	s_mov_b32 s0, 0x54442d18
	s_mov_b32 s3, exec_lo
	v_mul_f64 v[2:3], v[0:1], s[0:1]
                                        ; implicit-def: $vgpr8
                                        ; implicit-def: $vgpr4_vgpr5
                                        ; implicit-def: $vgpr6_vgpr7
	v_cmpx_ngt_f64_e64 0x41d00000, |v[2:3]|
	s_xor_b32 s3, exec_lo, s3
	s_cbranch_execz .LBB48_665
; %bb.664:
	v_ldexp_f64 v[4:5], |v[2:3]|, 0xffffff80
	v_cmp_le_f64_e64 vcc_lo, 0x7b000000, |v[2:3]|
	v_trig_preop_f64 v[6:7], |v[2:3]|, 0
	v_and_b32_e32 v8, 0x7fffffff, v3
	v_trig_preop_f64 v[18:19], |v[2:3]|, 2
	v_mov_b32_e32 v27, 0
	s_mov_b32 s1, 0x3ff921fb
	s_mov_b32 s4, 0x33145c07
	;; [unrolled: 1-line block ×3, first 2 shown]
	v_cndmask_b32_e32 v5, v8, v5, vcc_lo
	v_cndmask_b32_e32 v4, v2, v4, vcc_lo
	v_trig_preop_f64 v[8:9], |v[2:3]|, 1
	v_mul_f64 v[10:11], v[6:7], v[4:5]
	v_mul_f64 v[24:25], v[18:19], v[4:5]
	;; [unrolled: 1-line block ×3, first 2 shown]
	v_fma_f64 v[6:7], v[6:7], v[4:5], -v[10:11]
	v_fma_f64 v[8:9], v[8:9], v[4:5], -v[12:13]
	;; [unrolled: 1-line block ×3, first 2 shown]
	v_add_f64 v[14:15], v[12:13], v[6:7]
	v_add_f64 v[16:17], v[14:15], -v[12:13]
	v_add_f64 v[22:23], v[10:11], v[14:15]
	v_add_f64 v[20:21], v[14:15], -v[16:17]
	v_add_f64 v[6:7], v[6:7], -v[16:17]
	v_ldexp_f64 v[16:17], v[22:23], -2
	v_add_f64 v[10:11], v[22:23], -v[10:11]
	v_add_f64 v[12:13], v[12:13], -v[20:21]
	v_add_f64 v[20:21], v[24:25], v[8:9]
	v_cmp_neq_f64_e64 vcc_lo, 0x7ff00000, |v[16:17]|
	v_add_f64 v[10:11], v[14:15], -v[10:11]
	v_add_f64 v[6:7], v[6:7], v[12:13]
	v_fract_f64_e32 v[12:13], v[16:17]
	v_add_f64 v[14:15], v[20:21], v[6:7]
	v_ldexp_f64 v[12:13], v[12:13], 2
	v_add_f64 v[16:17], v[10:11], v[14:15]
	v_cndmask_b32_e32 v13, 0, v13, vcc_lo
	v_cndmask_b32_e32 v12, 0, v12, vcc_lo
	v_add_f64 v[22:23], v[16:17], v[12:13]
	v_add_f64 v[10:11], v[16:17], -v[10:11]
	v_cmp_gt_f64_e32 vcc_lo, 0, v[22:23]
	v_add_f64 v[22:23], v[20:21], -v[24:25]
	v_cndmask_b32_e64 v28, 0, 0x40100000, vcc_lo
	v_add_f64 v[32:33], v[20:21], -v[22:23]
	v_add_f64 v[8:9], v[8:9], -v[22:23]
	v_add_f64 v[12:13], v[12:13], v[27:28]
	v_add_f64 v[28:29], v[14:15], -v[20:21]
	v_add_f64 v[22:23], v[24:25], -v[32:33]
	v_add_f64 v[30:31], v[16:17], v[12:13]
	;; [unrolled: 3-line block ×3, first 2 shown]
	v_cvt_i32_f64_e32 v30, v[30:31]
	v_add_f64 v[20:21], v[20:21], -v[34:35]
	v_cvt_f64_i32_e32 v[28:29], v30
	v_add_f64 v[6:7], v[6:7], v[20:21]
	v_add_f64 v[12:13], v[12:13], -v[28:29]
	v_add_f64 v[6:7], v[8:9], v[6:7]
	v_add_f64 v[8:9], v[14:15], -v[10:11]
	v_add_f64 v[18:19], v[16:17], v[12:13]
	v_add_f64 v[4:5], v[4:5], v[6:7]
	v_add_f64 v[6:7], v[18:19], -v[12:13]
	v_cmp_le_f64_e32 vcc_lo, 0.5, v[18:19]
	v_add_f64 v[4:5], v[8:9], v[4:5]
	v_add_f64 v[6:7], v[16:17], -v[6:7]
	v_cndmask_b32_e64 v28, 0, 0x3ff00000, vcc_lo
	v_add_co_ci_u32_e64 v8, null, 0, v30, vcc_lo
	v_add_f64 v[4:5], v[4:5], v[6:7]
	v_add_f64 v[6:7], v[18:19], -v[27:28]
	v_add_f64 v[9:10], v[6:7], v[4:5]
	v_mul_f64 v[11:12], v[9:10], s[0:1]
	v_add_f64 v[6:7], v[9:10], -v[6:7]
	v_fma_f64 v[13:14], v[9:10], s[0:1], -v[11:12]
	v_add_f64 v[4:5], v[4:5], -v[6:7]
	v_fma_f64 v[6:7], v[9:10], s[4:5], v[13:14]
	v_fma_f64 v[6:7], v[4:5], s[0:1], v[6:7]
	v_add_f64 v[4:5], v[11:12], v[6:7]
	v_add_f64 v[9:10], v[4:5], -v[11:12]
	v_add_f64 v[6:7], v[6:7], -v[9:10]
.LBB48_665:
	s_andn2_saveexec_b32 s0, s3
	s_cbranch_execz .LBB48_667
; %bb.666:
	s_mov_b32 s4, 0x6dc9c883
	s_mov_b32 s5, 0x3fe45f30
	;; [unrolled: 1-line block ×3, first 2 shown]
	v_mul_f64 v[4:5], |v[2:3]|, s[4:5]
	s_mov_b32 s4, 0x54442d18
	s_mov_b32 s5, 0xbff921fb
	;; [unrolled: 1-line block ×3, first 2 shown]
	v_rndne_f64_e32 v[8:9], v[4:5]
	v_fma_f64 v[4:5], v[8:9], s[4:5], |v[2:3]|
	v_mul_f64 v[6:7], v[8:9], s[26:27]
	s_mov_b32 s4, 0x252049c0
	s_mov_b32 s5, 0xb97b839a
	v_fma_f64 v[12:13], v[8:9], s[26:27], v[4:5]
	v_add_f64 v[10:11], v[4:5], v[6:7]
	s_mov_b32 s27, 0x3c91a626
	v_add_f64 v[4:5], v[4:5], -v[10:11]
	v_add_f64 v[10:11], v[10:11], -v[12:13]
	v_add_f64 v[4:5], v[4:5], v[6:7]
	v_fma_f64 v[6:7], v[8:9], s[26:27], v[6:7]
	v_add_f64 v[4:5], v[10:11], v[4:5]
	v_add_f64 v[4:5], v[4:5], -v[6:7]
	v_fma_f64 v[6:7], v[8:9], s[4:5], v[4:5]
	v_cvt_i32_f64_e32 v8, v[8:9]
	v_add_f64 v[4:5], v[12:13], v[6:7]
	v_add_f64 v[10:11], v[4:5], -v[12:13]
	v_add_f64 v[6:7], v[6:7], -v[10:11]
.LBB48_667:
	s_or_b32 exec_lo, exec_lo, s0
	v_mul_f64 v[9:10], v[4:5], v[4:5]
	s_mov_b32 s0, 0xb42fdfa7
	s_mov_b32 s4, 0xf9a43bb8
	;; [unrolled: 1-line block ×6, first 2 shown]
	v_mul_f64 v[19:20], v[6:7], 0.5
	v_add_f64 v[0:1], -v[0:1], 1.0
	v_fma_f64 v[11:12], v[9:10], s[4:5], s[0:1]
	s_mov_b32 s0, 0x9037ab78
	s_mov_b32 s4, 0x46cc5e42
	;; [unrolled: 1-line block ×4, first 2 shown]
	v_mul_f64 v[15:16], v[9:10], 0.5
	v_fma_f64 v[13:14], v[9:10], s[4:5], s[0:1]
	s_mov_b32 s0, 0xa17f65f6
	s_mov_b32 s4, 0x19e83e5c
	;; [unrolled: 1-line block ×4, first 2 shown]
	v_mul_f64 v[21:22], v[4:5], -v[9:10]
	v_fma_f64 v[11:12], v[9:10], v[11:12], s[26:27]
	v_add_f64 v[17:18], -v[15:16], 1.0
	v_fma_f64 v[13:14], v[9:10], v[13:14], s[0:1]
	s_mov_b32 s0, 0x19f4ec90
	s_mov_b32 s1, 0x3efa01a0
	v_fma_f64 v[11:12], v[9:10], v[11:12], s[4:5]
	s_mov_b32 s4, 0x11110bb3
	s_mov_b32 s5, 0x3f811111
	v_add_f64 v[23:24], -v[17:18], 1.0
	v_fma_f64 v[13:14], v[9:10], v[13:14], s[0:1]
	s_mov_b32 s0, 0x16c16967
	s_mov_b32 s1, 0xbf56c16c
	v_fma_f64 v[11:12], v[9:10], v[11:12], s[4:5]
	v_add_f64 v[15:16], v[23:24], -v[15:16]
	v_fma_f64 v[13:14], v[9:10], v[13:14], s[0:1]
	s_mov_b32 s1, 0x3fa55555
	s_mov_b32 s0, 0x55555555
	v_fma_f64 v[11:12], v[21:22], v[11:12], v[19:20]
	v_mul_f64 v[19:20], v[9:10], v[9:10]
	v_fma_f64 v[15:16], v[4:5], -v[6:7], v[15:16]
	v_fma_f64 v[13:14], v[9:10], v[13:14], s[0:1]
	s_mov_b32 s1, 0xbfc55555
	v_fma_f64 v[6:7], v[9:10], v[11:12], -v[6:7]
	v_fma_f64 v[9:10], v[19:20], v[13:14], v[15:16]
	v_fma_f64 v[6:7], v[21:22], s[0:1], v[6:7]
	v_cmp_class_f64_e64 s0, v[2:3], 0x1f8
	v_lshlrev_b32_e32 v2, 30, v8
	v_add_f64 v[9:10], v[17:18], v[9:10]
	v_xor_b32_e32 v2, v2, v3
	v_and_b32_e32 v2, 0x80000000, v2
	v_add_f64 v[4:5], v[4:5], -v[6:7]
	v_and_b32_e32 v6, 1, v8
	v_cmp_eq_u32_e32 vcc_lo, 0, v6
	v_cndmask_b32_e32 v3, v10, v5, vcc_lo
	v_cndmask_b32_e32 v4, v9, v4, vcc_lo
	v_xor_b32_e32 v3, v3, v2
	v_cndmask_b32_e64 v2, 0, v4, s0
	v_cndmask_b32_e64 v3, 0x7ff80000, v3, s0
	s_mov_b32 s0, 0xc9be45de
	s_mov_b32 s1, 0xc023bd3c
	v_mul_f64 v[2:3], v[2:3], v[2:3]
	v_div_scale_f64 v[4:5], null, v[2:3], v[2:3], s[0:1]
	v_div_scale_f64 v[10:11], vcc_lo, s[0:1], v[2:3], s[0:1]
	v_rcp_f64_e32 v[6:7], v[4:5]
	v_fma_f64 v[8:9], -v[4:5], v[6:7], 1.0
	v_fma_f64 v[6:7], v[6:7], v[8:9], v[6:7]
	v_fma_f64 v[8:9], -v[4:5], v[6:7], 1.0
	v_fma_f64 v[6:7], v[6:7], v[8:9], v[6:7]
	v_mul_f64 v[8:9], v[10:11], v[6:7]
	v_fma_f64 v[4:5], -v[4:5], v[8:9], v[10:11]
	v_div_fmas_f64 v[4:5], v[4:5], v[6:7], v[8:9]
	v_div_fixup_f64 v[2:3], v[4:5], v[2:3], s[0:1]
	v_add_f64 v[4:5], v[2:3], 0
	v_mov_b32_e32 v2, 0
	v_mov_b32_e32 v3, 0xbff00000
.LBB48_668:
	s_or_b32 exec_lo, exec_lo, s2
	v_add_f64 v[6:7], v[0:1], 1.0
	v_mul_f64 v[0:1], v[0:1], v[0:1]
	v_add_f64 v[8:9], v[6:7], 1.0
	v_mul_f64 v[6:7], v[6:7], v[6:7]
	v_div_scale_f64 v[20:21], null, v[0:1], v[0:1], 1.0
	v_div_scale_f64 v[69:70], vcc_lo, 1.0, v[0:1], 1.0
	v_add_f64 v[10:11], v[8:9], 1.0
	v_mul_f64 v[8:9], v[8:9], v[8:9]
	v_div_scale_f64 v[22:23], null, v[6:7], v[6:7], 1.0
	v_rcp_f64_e32 v[37:38], v[20:21]
	v_add_f64 v[12:13], v[10:11], 1.0
	v_mul_f64 v[10:11], v[10:11], v[10:11]
	v_div_scale_f64 v[24:25], null, v[8:9], v[8:9], 1.0
	v_rcp_f64_e32 v[39:40], v[22:23]
	v_fma_f64 v[53:54], -v[20:21], v[37:38], 1.0
	v_add_f64 v[14:15], v[12:13], 1.0
	v_mul_f64 v[12:13], v[12:13], v[12:13]
	v_div_scale_f64 v[27:28], null, v[10:11], v[10:11], 1.0
	v_rcp_f64_e32 v[41:42], v[24:25]
	v_fma_f64 v[55:56], -v[22:23], v[39:40], 1.0
	v_fma_f64 v[37:38], v[37:38], v[53:54], v[37:38]
	v_add_f64 v[16:17], v[14:15], 1.0
	v_mul_f64 v[14:15], v[14:15], v[14:15]
	v_div_scale_f64 v[29:30], null, v[12:13], v[12:13], 1.0
	v_rcp_f64_e32 v[43:44], v[27:28]
	v_fma_f64 v[57:58], -v[24:25], v[41:42], 1.0
	v_fma_f64 v[39:40], v[39:40], v[55:56], v[39:40]
	v_fma_f64 v[55:56], -v[20:21], v[37:38], 1.0
	v_mul_f64 v[18:19], v[16:17], v[16:17]
	v_div_scale_f64 v[31:32], null, v[14:15], v[14:15], 1.0
	v_add_f64 v[33:34], v[16:17], v[16:17]
	v_rcp_f64_e32 v[45:46], v[29:30]
	v_fma_f64 v[59:60], -v[27:28], v[43:44], 1.0
	v_fma_f64 v[41:42], v[41:42], v[57:58], v[41:42]
	v_fma_f64 v[57:58], -v[22:23], v[39:40], 1.0
	v_fma_f64 v[37:38], v[37:38], v[55:56], v[37:38]
	v_div_scale_f64 v[55:56], s0, 1.0, v[6:7], 1.0
	v_div_scale_f64 v[35:36], null, v[18:19], v[18:19], 1.0
	v_rcp_f64_e32 v[47:48], v[31:32]
	v_div_scale_f64 v[49:50], null, v[33:34], v[33:34], 1.0
	v_div_scale_f64 v[71:72], s5, 1.0, v[18:19], 1.0
	v_fma_f64 v[61:62], -v[29:30], v[45:46], 1.0
	v_fma_f64 v[43:44], v[43:44], v[59:60], v[43:44]
	v_fma_f64 v[59:60], -v[24:25], v[41:42], 1.0
	v_fma_f64 v[39:40], v[39:40], v[57:58], v[39:40]
	v_div_scale_f64 v[57:58], s1, 1.0, v[8:9], 1.0
	v_div_scale_f64 v[81:82], s6, 1.0, v[33:34], 1.0
	v_rcp_f64_e32 v[51:52], v[35:36]
	v_rcp_f64_e32 v[63:64], v[49:50]
	v_fma_f64 v[65:66], -v[31:32], v[47:48], 1.0
	v_fma_f64 v[45:46], v[45:46], v[61:62], v[45:46]
	v_fma_f64 v[61:62], -v[27:28], v[43:44], 1.0
	v_fma_f64 v[41:42], v[41:42], v[59:60], v[41:42]
	v_div_scale_f64 v[59:60], s2, 1.0, v[10:11], 1.0
	v_mul_f64 v[73:74], v[55:56], v[39:40]
	v_fma_f64 v[67:68], -v[35:36], v[51:52], 1.0
	v_fma_f64 v[47:48], v[47:48], v[65:66], v[47:48]
	v_fma_f64 v[53:54], -v[49:50], v[63:64], 1.0
	v_fma_f64 v[65:66], -v[29:30], v[45:46], 1.0
	v_fma_f64 v[43:44], v[43:44], v[61:62], v[43:44]
	v_div_scale_f64 v[61:62], s3, 1.0, v[12:13], 1.0
	v_mul_f64 v[75:76], v[57:58], v[41:42]
	v_fma_f64 v[22:23], -v[22:23], v[73:74], v[55:56]
	v_fma_f64 v[51:52], v[51:52], v[67:68], v[51:52]
	v_fma_f64 v[67:68], -v[31:32], v[47:48], 1.0
	v_fma_f64 v[53:54], v[63:64], v[53:54], v[63:64]
	v_fma_f64 v[45:46], v[45:46], v[65:66], v[45:46]
	v_div_scale_f64 v[65:66], s4, 1.0, v[14:15], 1.0
	v_mul_f64 v[77:78], v[59:60], v[43:44]
	v_fma_f64 v[24:25], -v[24:25], v[75:76], v[57:58]
	v_fma_f64 v[63:64], -v[35:36], v[51:52], 1.0
	v_fma_f64 v[47:48], v[47:48], v[67:68], v[47:48]
	v_fma_f64 v[67:68], -v[49:50], v[53:54], 1.0
	v_mul_f64 v[79:80], v[61:62], v[45:46]
	v_fma_f64 v[27:28], -v[27:28], v[77:78], v[59:60]
	v_fma_f64 v[51:52], v[51:52], v[63:64], v[51:52]
	v_mul_f64 v[63:64], v[69:70], v[37:38]
	v_mul_f64 v[83:84], v[65:66], v[47:48]
	v_fma_f64 v[53:54], v[53:54], v[67:68], v[53:54]
	v_fma_f64 v[29:30], -v[29:30], v[79:80], v[61:62]
	v_mul_f64 v[67:68], v[71:72], v[51:52]
	v_fma_f64 v[20:21], -v[20:21], v[63:64], v[69:70]
	v_fma_f64 v[31:32], -v[31:32], v[83:84], v[65:66]
	v_mul_f64 v[55:56], v[81:82], v[53:54]
	v_fma_f64 v[35:36], -v[35:36], v[67:68], v[71:72]
	v_div_fmas_f64 v[20:21], v[20:21], v[37:38], v[63:64]
	s_mov_b32 vcc_lo, s0
	v_fma_f64 v[37:38], -v[49:50], v[55:56], v[81:82]
	v_div_fmas_f64 v[22:23], v[22:23], v[39:40], v[73:74]
	s_mov_b32 vcc_lo, s1
	s_mov_b32 s0, 0x11111111
	v_div_fmas_f64 v[24:25], v[24:25], v[41:42], v[75:76]
	s_mov_b32 vcc_lo, s2
	s_mov_b32 s1, 0x3fa11111
	;; [unrolled: 3-line block ×4, first 2 shown]
	v_div_fmas_f64 v[31:32], v[31:32], v[47:48], v[83:84]
	s_mov_b32 vcc_lo, s5
	v_div_fmas_f64 v[35:36], v[35:36], v[51:52], v[67:68]
	s_mov_b32 vcc_lo, s6
	v_div_fixup_f64 v[0:1], v[20:21], v[0:1], 1.0
	v_div_fmas_f64 v[37:38], v[37:38], v[53:54], v[55:56]
	v_div_fixup_f64 v[18:19], v[35:36], v[18:19], 1.0
	v_add_f64 v[0:1], v[4:5], v[0:1]
	v_div_fixup_f64 v[33:34], v[37:38], v[33:34], 1.0
	v_div_fixup_f64 v[4:5], v[22:23], v[6:7], 1.0
	v_fma_f64 v[35:36], v[18:19], s[2:3], s[0:1]
	s_mov_b32 s0, 0x55555555
	s_mov_b32 s1, 0x3fc55555
	v_add_f64 v[33:34], v[33:34], 1.0
	v_add_f64 v[0:1], v[0:1], v[4:5]
	v_div_fixup_f64 v[4:5], v[24:25], v[8:9], 1.0
	v_fma_f64 v[35:36], -v[18:19], v[35:36], s[0:1]
	s_and_b32 s1, s7, 0xff
	s_cmp_lt_i32 s1, 11
	v_add_f64 v[0:1], v[0:1], v[4:5]
	v_div_fixup_f64 v[4:5], v[27:28], v[10:11], 1.0
	v_fma_f64 v[18:19], v[18:19], v[35:36], v[33:34]
	v_add_f64 v[0:1], v[0:1], v[4:5]
	v_div_fixup_f64 v[4:5], v[29:30], v[12:13], 1.0
	v_div_scale_f64 v[33:34], null, v[16:17], v[16:17], v[18:19]
	v_div_scale_f64 v[8:9], vcc_lo, v[18:19], v[16:17], v[18:19]
	v_add_f64 v[0:1], v[0:1], v[4:5]
	v_div_fixup_f64 v[4:5], v[31:32], v[14:15], 1.0
	v_rcp_f64_e32 v[35:36], v[33:34]
	v_add_f64 v[0:1], v[0:1], v[4:5]
	v_fma_f64 v[37:38], -v[33:34], v[35:36], 1.0
	v_fma_f64 v[20:21], v[35:36], v[37:38], v[35:36]
	v_fma_f64 v[6:7], -v[33:34], v[20:21], 1.0
	v_fma_f64 v[6:7], v[20:21], v[6:7], v[20:21]
	v_mul_f64 v[10:11], v[8:9], v[6:7]
	v_fma_f64 v[8:9], -v[33:34], v[10:11], v[8:9]
	v_div_fmas_f64 v[6:7], v[8:9], v[6:7], v[10:11]
	v_div_fixup_f64 v[4:5], v[6:7], v[16:17], v[18:19]
	v_add_f64 v[0:1], v[0:1], v[4:5]
	v_mul_f64 v[0:1], v[2:3], v[0:1]
	v_mul_lo_u32 v2, v26, s12
	v_ashrrev_i32_e32 v3, 31, v2
	v_add_co_u32 v4, vcc_lo, s8, v2
	v_add_co_ci_u32_e64 v5, null, s9, v3, vcc_lo
	s_cbranch_scc1 .LBB48_676
; %bb.669:
	s_and_b32 s2, 0xffff, s1
	s_cmp_gt_i32 s2, 25
	s_cbranch_scc0 .LBB48_677
; %bb.670:
	s_cmp_gt_i32 s2, 28
	s_cbranch_scc0 .LBB48_678
; %bb.671:
	;; [unrolled: 3-line block ×4, first 2 shown]
	s_mov_b32 s4, 0
	s_mov_b32 s0, -1
	s_cmp_eq_u32 s2, 46
	s_mov_b32 s3, 0
	s_cbranch_scc0 .LBB48_681
; %bb.674:
	v_cvt_f32_f64_e32 v2, v[0:1]
	s_mov_b32 s3, -1
	s_mov_b32 s0, 0
	v_bfe_u32 v3, v2, 16, 1
	v_cmp_o_f32_e32 vcc_lo, v2, v2
	v_add3_u32 v2, v2, v3, 0x7fff
	v_mov_b32_e32 v3, 0x7fc0
	v_cndmask_b32_sdwa v2, v3, v2, vcc_lo dst_sel:DWORD dst_unused:UNUSED_PAD src0_sel:DWORD src1_sel:WORD_1
	global_store_dword v[4:5], v2, off
	s_branch .LBB48_681
.LBB48_675:
	s_mov_b32 s2, 0
	s_mov_b32 s0, s22
	s_branch .LBB48_792
.LBB48_676:
	s_mov_b32 s2, -1
	s_mov_b32 s3, 0
	s_mov_b32 s0, s22
	s_branch .LBB48_750
.LBB48_677:
	s_mov_b32 s4, -1
	s_mov_b32 s3, 0
	s_mov_b32 s0, s22
	s_branch .LBB48_708
.LBB48_678:
	s_mov_b32 s4, -1
	s_mov_b32 s3, 0
	s_mov_b32 s0, s22
	s_branch .LBB48_691
.LBB48_679:
	s_mov_b32 s4, -1
	s_mov_b32 s3, 0
	s_mov_b32 s0, s22
	s_branch .LBB48_687
.LBB48_680:
	s_mov_b32 s4, -1
	s_mov_b32 s3, 0
	s_mov_b32 s0, s22
.LBB48_681:
	s_and_b32 vcc_lo, exec_lo, s4
	s_cbranch_vccz .LBB48_686
; %bb.682:
	s_cmp_eq_u32 s2, 44
	s_mov_b32 s0, -1
	s_cbranch_scc0 .LBB48_686
; %bb.683:
	v_cvt_f32_f64_e32 v2, v[0:1]
	v_mov_b32_e32 v3, 0xff
	s_mov_b32 s3, exec_lo
	v_bfe_u32 v6, v2, 23, 8
	v_cmpx_ne_u32_e32 0xff, v6
	s_cbranch_execz .LBB48_685
; %bb.684:
	v_and_b32_e32 v3, 0x400000, v2
	v_and_or_b32 v6, 0x3fffff, v2, v6
	v_lshrrev_b32_e32 v2, 23, v2
	v_cmp_ne_u32_e32 vcc_lo, 0, v3
	v_cmp_ne_u32_e64 s0, 0, v6
	s_and_b32 s0, vcc_lo, s0
	v_cndmask_b32_e64 v3, 0, 1, s0
	v_add_nc_u32_e32 v3, v2, v3
.LBB48_685:
	s_or_b32 exec_lo, exec_lo, s3
	s_mov_b32 s3, -1
	s_mov_b32 s0, 0
	global_store_byte v[4:5], v3, off
.LBB48_686:
	s_mov_b32 s4, 0
.LBB48_687:
	s_and_b32 vcc_lo, exec_lo, s4
	s_cbranch_vccz .LBB48_690
; %bb.688:
	s_cmp_eq_u32 s2, 29
	s_mov_b32 s0, -1
	s_cbranch_scc0 .LBB48_690
; %bb.689:
	v_trunc_f64_e32 v[2:3], v[0:1]
	s_mov_b32 s3, -1
	s_mov_b32 s0, 0
	s_mov_b32 s4, 0
	v_ldexp_f64 v[6:7], v[2:3], 0xffffffe0
	v_floor_f64_e32 v[6:7], v[6:7]
	v_fma_f64 v[2:3], 0xc1f00000, v[6:7], v[2:3]
	v_cvt_u32_f64_e32 v7, v[6:7]
	v_cvt_u32_f64_e32 v6, v[2:3]
	global_store_dwordx2 v[4:5], v[6:7], off
	s_branch .LBB48_691
.LBB48_690:
	s_mov_b32 s4, 0
.LBB48_691:
	s_and_b32 vcc_lo, exec_lo, s4
	s_cbranch_vccz .LBB48_707
; %bb.692:
	s_cmp_lt_i32 s2, 27
	s_mov_b32 s3, -1
	s_cbranch_scc1 .LBB48_698
; %bb.693:
	v_cvt_u32_f64_e32 v2, v[0:1]
	s_cmp_gt_i32 s2, 27
	s_cbranch_scc0 .LBB48_695
; %bb.694:
	s_mov_b32 s3, 0
	global_store_dword v[4:5], v2, off
.LBB48_695:
	s_andn2_b32 vcc_lo, exec_lo, s3
	s_cbranch_vccnz .LBB48_697
; %bb.696:
	global_store_short v[4:5], v2, off
.LBB48_697:
	s_mov_b32 s3, 0
.LBB48_698:
	s_andn2_b32 vcc_lo, exec_lo, s3
	s_cbranch_vccnz .LBB48_706
; %bb.699:
	v_cvt_f32_f64_e32 v2, v[0:1]
	v_mov_b32_e32 v6, 0x80
	s_mov_b32 s3, exec_lo
	v_and_b32_e32 v3, 0x7fffffff, v2
	v_cmpx_gt_u32_e32 0x43800000, v3
	s_cbranch_execz .LBB48_705
; %bb.700:
	v_cmp_lt_u32_e32 vcc_lo, 0x3bffffff, v3
	s_mov_b32 s4, 0
                                        ; implicit-def: $vgpr3
	s_and_saveexec_b32 s5, vcc_lo
	s_xor_b32 s5, exec_lo, s5
	s_cbranch_execz .LBB48_807
; %bb.701:
	v_bfe_u32 v3, v2, 20, 1
	s_mov_b32 s4, exec_lo
	v_add3_u32 v3, v2, v3, 0x487ffff
	v_lshrrev_b32_e32 v3, 20, v3
	s_andn2_saveexec_b32 s5, s5
	s_cbranch_execnz .LBB48_808
.LBB48_702:
	s_or_b32 exec_lo, exec_lo, s5
	v_mov_b32_e32 v6, 0
	s_and_saveexec_b32 s5, s4
.LBB48_703:
	v_lshrrev_b32_e32 v2, 24, v2
	v_and_or_b32 v6, 0x80, v2, v3
.LBB48_704:
	s_or_b32 exec_lo, exec_lo, s5
.LBB48_705:
	s_or_b32 exec_lo, exec_lo, s3
	global_store_byte v[4:5], v6, off
.LBB48_706:
	s_mov_b32 s3, -1
.LBB48_707:
	s_mov_b32 s4, 0
.LBB48_708:
	s_and_b32 vcc_lo, exec_lo, s4
	s_cbranch_vccz .LBB48_749
; %bb.709:
	s_cmp_gt_i32 s2, 22
	s_mov_b32 s4, -1
	s_cbranch_scc0 .LBB48_741
; %bb.710:
	s_cmp_lt_i32 s2, 24
	s_mov_b32 s3, -1
	s_cbranch_scc1 .LBB48_730
; %bb.711:
	s_cmp_gt_i32 s2, 24
	s_cbranch_scc0 .LBB48_719
; %bb.712:
	v_cvt_f32_f64_e32 v2, v[0:1]
	v_mov_b32_e32 v6, 0x80
	s_mov_b32 s3, exec_lo
	v_and_b32_e32 v3, 0x7fffffff, v2
	v_cmpx_gt_u32_e32 0x47800000, v3
	s_cbranch_execz .LBB48_718
; %bb.713:
	v_cmp_lt_u32_e32 vcc_lo, 0x37ffffff, v3
	s_mov_b32 s4, 0
                                        ; implicit-def: $vgpr3
	s_and_saveexec_b32 s5, vcc_lo
	s_xor_b32 s5, exec_lo, s5
	s_cbranch_execz .LBB48_810
; %bb.714:
	v_bfe_u32 v3, v2, 21, 1
	s_mov_b32 s4, exec_lo
	v_add3_u32 v3, v2, v3, 0x88fffff
	v_lshrrev_b32_e32 v3, 21, v3
	s_andn2_saveexec_b32 s5, s5
	s_cbranch_execnz .LBB48_811
.LBB48_715:
	s_or_b32 exec_lo, exec_lo, s5
	v_mov_b32_e32 v6, 0
	s_and_saveexec_b32 s5, s4
.LBB48_716:
	v_lshrrev_b32_e32 v2, 24, v2
	v_and_or_b32 v6, 0x80, v2, v3
.LBB48_717:
	s_or_b32 exec_lo, exec_lo, s5
.LBB48_718:
	s_or_b32 exec_lo, exec_lo, s3
	s_mov_b32 s3, 0
	global_store_byte v[4:5], v6, off
.LBB48_719:
	s_and_b32 vcc_lo, exec_lo, s3
	s_cbranch_vccz .LBB48_729
; %bb.720:
	v_cvt_f32_f64_e32 v2, v[0:1]
	s_mov_b32 s3, exec_lo
                                        ; implicit-def: $vgpr3
	v_and_b32_e32 v6, 0x7fffffff, v2
	v_cmpx_gt_u32_e32 0x43f00000, v6
	s_xor_b32 s3, exec_lo, s3
	s_cbranch_execz .LBB48_726
; %bb.721:
	s_mov_b32 s4, exec_lo
                                        ; implicit-def: $vgpr3
	v_cmpx_lt_u32_e32 0x3c7fffff, v6
	s_xor_b32 s4, exec_lo, s4
; %bb.722:
	v_bfe_u32 v3, v2, 20, 1
	v_add3_u32 v3, v2, v3, 0x407ffff
	v_and_b32_e32 v6, 0xff00000, v3
	v_lshrrev_b32_e32 v3, 20, v3
	v_cmp_ne_u32_e32 vcc_lo, 0x7f00000, v6
	v_cndmask_b32_e32 v3, 0x7e, v3, vcc_lo
; %bb.723:
	s_andn2_saveexec_b32 s4, s4
; %bb.724:
	v_add_f32_e64 v3, 0x46800000, |v2|
; %bb.725:
	s_or_b32 exec_lo, exec_lo, s4
                                        ; implicit-def: $vgpr6
.LBB48_726:
	s_andn2_saveexec_b32 s3, s3
; %bb.727:
	v_mov_b32_e32 v3, 0x7f
	v_cmp_lt_u32_e32 vcc_lo, 0x7f800000, v6
	v_cndmask_b32_e32 v3, 0x7e, v3, vcc_lo
; %bb.728:
	s_or_b32 exec_lo, exec_lo, s3
	v_lshrrev_b32_e32 v2, 24, v2
	v_and_or_b32 v2, 0x80, v2, v3
	global_store_byte v[4:5], v2, off
.LBB48_729:
	s_mov_b32 s3, 0
.LBB48_730:
	s_andn2_b32 vcc_lo, exec_lo, s3
	s_cbranch_vccnz .LBB48_740
; %bb.731:
	v_cvt_f32_f64_e32 v2, v[0:1]
	s_mov_b32 s3, exec_lo
                                        ; implicit-def: $vgpr3
	v_and_b32_e32 v6, 0x7fffffff, v2
	v_cmpx_gt_u32_e32 0x47800000, v6
	s_xor_b32 s3, exec_lo, s3
	s_cbranch_execz .LBB48_737
; %bb.732:
	s_mov_b32 s4, exec_lo
                                        ; implicit-def: $vgpr3
	v_cmpx_lt_u32_e32 0x387fffff, v6
	s_xor_b32 s4, exec_lo, s4
; %bb.733:
	v_bfe_u32 v3, v2, 21, 1
	v_add3_u32 v3, v2, v3, 0x80fffff
	v_lshrrev_b32_e32 v3, 21, v3
; %bb.734:
	s_andn2_saveexec_b32 s4, s4
; %bb.735:
	v_add_f32_e64 v3, 0x43000000, |v2|
; %bb.736:
	s_or_b32 exec_lo, exec_lo, s4
                                        ; implicit-def: $vgpr6
.LBB48_737:
	s_andn2_saveexec_b32 s3, s3
; %bb.738:
	v_mov_b32_e32 v3, 0x7f
	v_cmp_lt_u32_e32 vcc_lo, 0x7f800000, v6
	v_cndmask_b32_e32 v3, 0x7c, v3, vcc_lo
; %bb.739:
	s_or_b32 exec_lo, exec_lo, s3
	v_lshrrev_b32_e32 v2, 24, v2
	v_and_or_b32 v2, 0x80, v2, v3
	global_store_byte v[4:5], v2, off
.LBB48_740:
	s_mov_b32 s4, 0
	s_mov_b32 s3, -1
.LBB48_741:
	s_andn2_b32 vcc_lo, exec_lo, s4
	s_cbranch_vccnz .LBB48_749
; %bb.742:
	s_cmp_gt_i32 s2, 14
	s_mov_b32 s4, -1
	s_cbranch_scc0 .LBB48_746
; %bb.743:
	s_cmp_eq_u32 s2, 15
	s_mov_b32 s0, -1
	s_cbranch_scc0 .LBB48_745
; %bb.744:
	v_cvt_f32_f64_e32 v2, v[0:1]
	s_mov_b32 s3, -1
	s_mov_b32 s0, 0
	v_bfe_u32 v3, v2, 16, 1
	v_cmp_o_f32_e32 vcc_lo, v2, v2
	v_add3_u32 v2, v2, v3, 0x7fff
	v_mov_b32_e32 v3, 0x7fc0
	v_cndmask_b32_sdwa v2, v3, v2, vcc_lo dst_sel:DWORD dst_unused:UNUSED_PAD src0_sel:DWORD src1_sel:WORD_1
	global_store_short v[4:5], v2, off
.LBB48_745:
	s_mov_b32 s4, 0
.LBB48_746:
	s_and_b32 vcc_lo, exec_lo, s4
	s_cbranch_vccz .LBB48_749
; %bb.747:
	s_cmp_eq_u32 s2, 11
	s_mov_b32 s0, -1
	s_cbranch_scc0 .LBB48_749
; %bb.748:
	v_cmp_neq_f64_e32 vcc_lo, 0, v[0:1]
	s_mov_b32 s3, -1
	s_mov_b32 s0, 0
	v_cndmask_b32_e64 v2, 0, 1, vcc_lo
	global_store_byte v[4:5], v2, off
.LBB48_749:
	s_mov_b32 s2, 0
.LBB48_750:
	s_and_b32 vcc_lo, exec_lo, s2
	s_cbranch_vccz .LBB48_789
; %bb.751:
	s_and_b32 s1, 0xffff, s1
	s_mov_b32 s2, -1
	s_cmp_lt_i32 s1, 5
	s_cbranch_scc1 .LBB48_772
; %bb.752:
	s_cmp_lt_i32 s1, 8
	s_cbranch_scc1 .LBB48_762
; %bb.753:
	;; [unrolled: 3-line block ×3, first 2 shown]
	s_cmp_gt_i32 s1, 9
	s_cbranch_scc0 .LBB48_756
; %bb.755:
	v_mov_b32_e32 v2, 0
	s_mov_b32 s2, 0
	v_mov_b32_e32 v3, v2
	global_store_dwordx4 v[4:5], v[0:3], off
.LBB48_756:
	s_andn2_b32 vcc_lo, exec_lo, s2
	s_cbranch_vccnz .LBB48_758
; %bb.757:
	v_cvt_f32_f64_e32 v2, v[0:1]
	v_mov_b32_e32 v3, 0
	global_store_dwordx2 v[4:5], v[2:3], off
.LBB48_758:
	s_mov_b32 s2, 0
.LBB48_759:
	s_andn2_b32 vcc_lo, exec_lo, s2
	s_cbranch_vccnz .LBB48_761
; %bb.760:
	v_and_or_b32 v2, 0x1ff, v1, v0
	v_lshrrev_b32_e32 v3, 8, v1
	v_bfe_u32 v6, v1, 20, 11
	v_cmp_ne_u32_e32 vcc_lo, 0, v2
	v_sub_nc_u32_e32 v7, 0x3f1, v6
	v_add_nc_u32_e32 v6, 0xfffffc10, v6
	v_cndmask_b32_e64 v2, 0, 1, vcc_lo
	v_and_or_b32 v2, 0xffe, v3, v2
	v_med3_i32 v3, v7, 0, 13
	v_or_b32_e32 v7, 0x1000, v2
	v_lshrrev_b32_e32 v8, v3, v7
	v_lshlrev_b32_e32 v3, v3, v8
	v_cmp_ne_u32_e32 vcc_lo, v3, v7
	v_lshl_or_b32 v7, v6, 12, v2
	v_cndmask_b32_e64 v3, 0, 1, vcc_lo
	v_cmp_gt_i32_e32 vcc_lo, 1, v6
	v_or_b32_e32 v3, v8, v3
	v_cndmask_b32_e32 v3, v7, v3, vcc_lo
	v_and_b32_e32 v7, 7, v3
	v_lshrrev_b32_e32 v3, 2, v3
	v_cmp_lt_i32_e32 vcc_lo, 5, v7
	v_cndmask_b32_e64 v8, 0, 1, vcc_lo
	v_cmp_eq_u32_e32 vcc_lo, 3, v7
	v_cndmask_b32_e64 v7, 0, 1, vcc_lo
	v_cmp_ne_u32_e32 vcc_lo, 0, v2
	v_or_b32_e32 v7, v7, v8
	v_mov_b32_e32 v8, 0x7e00
	v_add_nc_u32_e32 v3, v3, v7
	v_cndmask_b32_e32 v2, 0x7c00, v8, vcc_lo
	v_cmp_gt_i32_e32 vcc_lo, 31, v6
	v_cndmask_b32_e32 v3, 0x7c00, v3, vcc_lo
	v_cmp_eq_u32_e32 vcc_lo, 0x40f, v6
	v_cndmask_b32_e32 v2, v3, v2, vcc_lo
	v_lshrrev_b32_e32 v3, 16, v1
	v_and_or_b32 v2, 0x8000, v3, v2
	v_and_b32_e32 v2, 0xffff, v2
	global_store_dword v[4:5], v2, off
.LBB48_761:
	s_mov_b32 s2, 0
.LBB48_762:
	s_andn2_b32 vcc_lo, exec_lo, s2
	s_cbranch_vccnz .LBB48_771
; %bb.763:
	s_cmp_lt_i32 s1, 6
	s_mov_b32 s2, -1
	s_cbranch_scc1 .LBB48_769
; %bb.764:
	s_cmp_gt_i32 s1, 6
	s_cbranch_scc0 .LBB48_766
; %bb.765:
	s_mov_b32 s2, 0
	global_store_dwordx2 v[4:5], v[0:1], off
.LBB48_766:
	s_andn2_b32 vcc_lo, exec_lo, s2
	s_cbranch_vccnz .LBB48_768
; %bb.767:
	v_cvt_f32_f64_e32 v2, v[0:1]
	global_store_dword v[4:5], v2, off
.LBB48_768:
	s_mov_b32 s2, 0
.LBB48_769:
	s_andn2_b32 vcc_lo, exec_lo, s2
	s_cbranch_vccnz .LBB48_771
; %bb.770:
	v_and_or_b32 v2, 0x1ff, v1, v0
	v_lshrrev_b32_e32 v3, 8, v1
	v_bfe_u32 v6, v1, 20, 11
	v_cmp_ne_u32_e32 vcc_lo, 0, v2
	v_sub_nc_u32_e32 v7, 0x3f1, v6
	v_add_nc_u32_e32 v6, 0xfffffc10, v6
	v_cndmask_b32_e64 v2, 0, 1, vcc_lo
	v_and_or_b32 v2, 0xffe, v3, v2
	v_med3_i32 v3, v7, 0, 13
	v_or_b32_e32 v7, 0x1000, v2
	v_lshrrev_b32_e32 v8, v3, v7
	v_lshlrev_b32_e32 v3, v3, v8
	v_cmp_ne_u32_e32 vcc_lo, v3, v7
	v_lshl_or_b32 v7, v6, 12, v2
	v_cndmask_b32_e64 v3, 0, 1, vcc_lo
	v_cmp_gt_i32_e32 vcc_lo, 1, v6
	v_or_b32_e32 v3, v8, v3
	v_cndmask_b32_e32 v3, v7, v3, vcc_lo
	v_and_b32_e32 v7, 7, v3
	v_lshrrev_b32_e32 v3, 2, v3
	v_cmp_lt_i32_e32 vcc_lo, 5, v7
	v_cndmask_b32_e64 v8, 0, 1, vcc_lo
	v_cmp_eq_u32_e32 vcc_lo, 3, v7
	v_cndmask_b32_e64 v7, 0, 1, vcc_lo
	v_cmp_ne_u32_e32 vcc_lo, 0, v2
	v_or_b32_e32 v7, v7, v8
	v_mov_b32_e32 v8, 0x7e00
	v_add_nc_u32_e32 v3, v3, v7
	v_cndmask_b32_e32 v2, 0x7c00, v8, vcc_lo
	v_cmp_gt_i32_e32 vcc_lo, 31, v6
	v_cndmask_b32_e32 v3, 0x7c00, v3, vcc_lo
	v_cmp_eq_u32_e32 vcc_lo, 0x40f, v6
	v_cndmask_b32_e32 v2, v3, v2, vcc_lo
	v_lshrrev_b32_e32 v3, 16, v1
	v_and_or_b32 v2, 0x8000, v3, v2
	global_store_short v[4:5], v2, off
.LBB48_771:
	s_mov_b32 s2, 0
.LBB48_772:
	s_andn2_b32 vcc_lo, exec_lo, s2
	s_cbranch_vccnz .LBB48_788
; %bb.773:
	s_cmp_lt_i32 s1, 2
	s_mov_b32 s2, -1
	s_cbranch_scc1 .LBB48_783
; %bb.774:
	s_cmp_lt_i32 s1, 3
	s_cbranch_scc1 .LBB48_780
; %bb.775:
	s_cmp_gt_i32 s1, 3
	s_cbranch_scc0 .LBB48_777
; %bb.776:
	v_trunc_f64_e32 v[2:3], v[0:1]
	s_mov_b32 s2, 0
	v_ldexp_f64 v[6:7], v[2:3], 0xffffffe0
	v_floor_f64_e32 v[6:7], v[6:7]
	v_fma_f64 v[2:3], 0xc1f00000, v[6:7], v[2:3]
	v_cvt_i32_f64_e32 v7, v[6:7]
	v_cvt_u32_f64_e32 v6, v[2:3]
	global_store_dwordx2 v[4:5], v[6:7], off
.LBB48_777:
	s_andn2_b32 vcc_lo, exec_lo, s2
	s_cbranch_vccnz .LBB48_779
; %bb.778:
	v_cvt_i32_f64_e32 v2, v[0:1]
	global_store_dword v[4:5], v2, off
.LBB48_779:
	s_mov_b32 s2, 0
.LBB48_780:
	s_andn2_b32 vcc_lo, exec_lo, s2
	s_cbranch_vccnz .LBB48_782
; %bb.781:
	v_cvt_i32_f64_e32 v2, v[0:1]
	global_store_short v[4:5], v2, off
.LBB48_782:
	s_mov_b32 s2, 0
.LBB48_783:
	s_andn2_b32 vcc_lo, exec_lo, s2
	s_cbranch_vccnz .LBB48_788
; %bb.784:
	s_cmp_gt_i32 s1, 0
	s_mov_b32 s1, -1
	s_cbranch_scc0 .LBB48_786
; %bb.785:
	v_cvt_i32_f64_e32 v2, v[0:1]
	s_mov_b32 s1, 0
	global_store_byte v[4:5], v2, off
.LBB48_786:
	s_andn2_b32 vcc_lo, exec_lo, s1
	s_cbranch_vccnz .LBB48_788
; %bb.787:
	v_trunc_f64_e32 v[0:1], v[0:1]
	v_ldexp_f64 v[2:3], v[0:1], 0xffffffe0
	v_floor_f64_e32 v[2:3], v[2:3]
	v_fma_f64 v[0:1], 0xc1f00000, v[2:3], v[0:1]
	v_cvt_u32_f64_e32 v0, v[0:1]
	global_store_byte v[4:5], v0, off
.LBB48_788:
	s_mov_b32 s3, -1
.LBB48_789:
	s_andn2_b32 vcc_lo, exec_lo, s3
	s_cbranch_vccnz .LBB48_791
; %bb.790:
	v_add_nc_u32_e32 v26, 0x80, v26
	s_mov_b32 s2, -1
	s_branch .LBB48_793
.LBB48_791:
	s_mov_b32 s2, 0
.LBB48_792:
                                        ; implicit-def: $vgpr26
.LBB48_793:
	s_andn2_b32 s1, s22, exec_lo
	s_and_b32 s0, s0, exec_lo
	s_andn2_b32 s3, s21, exec_lo
	s_and_b32 s4, s25, exec_lo
	s_or_b32 s1, s1, s0
	s_or_b32 s0, s3, s4
	s_orn2_b32 s6, s2, exec_lo
.LBB48_794:
	s_or_b32 exec_lo, exec_lo, s24
	s_mov_b32 s4, 0
	s_mov_b32 s5, 0
	;; [unrolled: 1-line block ×3, first 2 shown]
                                        ; implicit-def: $vgpr0_vgpr1
                                        ; implicit-def: $vgpr2_vgpr3
	s_and_saveexec_b32 s2, s6
	s_cbranch_execz .LBB48_879
; %bb.795:
	v_cmp_gt_i32_e32 vcc_lo, s18, v26
	s_mov_b32 s6, s0
	s_mov_b32 s18, 0
	s_mov_b32 s24, 0
                                        ; implicit-def: $vgpr0_vgpr1
                                        ; implicit-def: $vgpr2_vgpr3
	s_and_saveexec_b32 s3, vcc_lo
	s_cbranch_execz .LBB48_878
; %bb.796:
	s_waitcnt vmcnt(0)
	v_mul_lo_u32 v0, v26, s13
	s_and_b32 s4, 0xffff, s15
	s_cmp_lt_i32 s4, 11
	v_ashrrev_i32_e32 v1, 31, v0
	v_add_co_u32 v0, vcc_lo, s10, v0
	v_add_co_ci_u32_e64 v1, null, s11, v1, vcc_lo
	s_cbranch_scc1 .LBB48_803
; %bb.797:
	s_cmp_gt_i32 s4, 25
	s_mov_b32 s6, 0
	s_cbranch_scc0 .LBB48_804
; %bb.798:
	s_cmp_gt_i32 s4, 28
	s_cbranch_scc0 .LBB48_805
; %bb.799:
	s_cmp_gt_i32 s4, 43
	;; [unrolled: 3-line block ×3, first 2 shown]
	s_cbranch_scc0 .LBB48_809
; %bb.801:
	s_cmp_eq_u32 s4, 46
	s_cbranch_scc0 .LBB48_812
; %bb.802:
	global_load_dword v2, v[0:1], off
	s_mov_b32 s18, -1
	s_waitcnt vmcnt(0)
	v_lshlrev_b32_e32 v2, 16, v2
	v_cvt_f64_f32_e32 v[2:3], v2
	s_branch .LBB48_814
.LBB48_803:
	s_mov_b32 s4, -1
	s_mov_b32 s6, 0
	s_mov_b32 s5, s0
                                        ; implicit-def: $vgpr2_vgpr3
	s_branch .LBB48_877
.LBB48_804:
	s_mov_b32 s24, -1
	s_mov_b32 s5, s0
                                        ; implicit-def: $vgpr2_vgpr3
	s_branch .LBB48_845
.LBB48_805:
	s_mov_b32 s24, -1
	s_mov_b32 s5, s0
                                        ; implicit-def: $vgpr2_vgpr3
	s_branch .LBB48_824
.LBB48_806:
	s_mov_b32 s24, -1
	s_mov_b32 s5, s0
                                        ; implicit-def: $vgpr2_vgpr3
	s_branch .LBB48_819
.LBB48_807:
	s_andn2_saveexec_b32 s5, s5
	s_cbranch_execz .LBB48_702
.LBB48_808:
	v_add_f32_e64 v3, 0x46000000, |v2|
	s_andn2_b32 s4, s4, exec_lo
	v_and_b32_e32 v3, 0xff, v3
	v_cmp_ne_u32_e32 vcc_lo, 0, v3
	s_and_b32 s6, vcc_lo, exec_lo
	s_or_b32 s4, s4, s6
	s_or_b32 exec_lo, exec_lo, s5
	v_mov_b32_e32 v6, 0
	s_and_saveexec_b32 s5, s4
	s_cbranch_execnz .LBB48_703
	s_branch .LBB48_704
.LBB48_809:
	s_mov_b32 s24, -1
	s_mov_b32 s5, s0
	s_branch .LBB48_813
.LBB48_810:
	s_andn2_saveexec_b32 s5, s5
	s_cbranch_execz .LBB48_715
.LBB48_811:
	v_add_f32_e64 v3, 0x42800000, |v2|
	s_andn2_b32 s4, s4, exec_lo
	v_and_b32_e32 v3, 0xff, v3
	v_cmp_ne_u32_e32 vcc_lo, 0, v3
	s_and_b32 s6, vcc_lo, exec_lo
	s_or_b32 s4, s4, s6
	s_or_b32 exec_lo, exec_lo, s5
	v_mov_b32_e32 v6, 0
	s_and_saveexec_b32 s5, s4
	s_cbranch_execnz .LBB48_716
	s_branch .LBB48_717
.LBB48_812:
	s_mov_b32 s5, -1
.LBB48_813:
                                        ; implicit-def: $vgpr2_vgpr3
.LBB48_814:
	s_and_b32 vcc_lo, exec_lo, s24
	s_cbranch_vccz .LBB48_818
; %bb.815:
	s_cmp_eq_u32 s4, 44
	s_cbranch_scc0 .LBB48_817
; %bb.816:
	global_load_ubyte v4, v[0:1], off
	s_mov_b32 s5, 0
	s_mov_b32 s18, -1
	s_waitcnt vmcnt(0)
	v_lshlrev_b32_e32 v2, 23, v4
	v_cmp_ne_u32_e32 vcc_lo, 0xff, v4
	v_cvt_f64_f32_e32 v[2:3], v2
	v_cndmask_b32_e32 v2, 0x20000000, v2, vcc_lo
	v_cndmask_b32_e32 v3, 0x7ff80000, v3, vcc_lo
	v_cmp_ne_u32_e32 vcc_lo, 0, v4
	v_cndmask_b32_e32 v3, 0x38000000, v3, vcc_lo
	v_cndmask_b32_e32 v2, 0, v2, vcc_lo
	s_branch .LBB48_818
.LBB48_817:
	s_mov_b32 s5, -1
                                        ; implicit-def: $vgpr2_vgpr3
.LBB48_818:
	s_mov_b32 s24, 0
.LBB48_819:
	s_and_b32 vcc_lo, exec_lo, s24
	s_cbranch_vccz .LBB48_823
; %bb.820:
	s_cmp_eq_u32 s4, 29
	s_cbranch_scc0 .LBB48_822
; %bb.821:
	global_load_dwordx2 v[2:3], v[0:1], off
	s_mov_b32 s5, 0
	s_mov_b32 s18, -1
	s_mov_b32 s24, 0
	s_waitcnt vmcnt(0)
	v_cvt_f64_u32_e32 v[3:4], v3
	v_cvt_f64_u32_e32 v[5:6], v2
	v_ldexp_f64 v[3:4], v[3:4], 32
	v_add_f64 v[2:3], v[3:4], v[5:6]
	s_branch .LBB48_824
.LBB48_822:
	s_mov_b32 s5, -1
                                        ; implicit-def: $vgpr2_vgpr3
.LBB48_823:
	s_mov_b32 s24, 0
.LBB48_824:
	s_and_b32 vcc_lo, exec_lo, s24
	s_cbranch_vccz .LBB48_844
; %bb.825:
	s_cmp_lt_i32 s4, 27
	s_cbranch_scc1 .LBB48_828
; %bb.826:
	s_cmp_gt_i32 s4, 27
	s_cbranch_scc0 .LBB48_829
; %bb.827:
	global_load_dword v2, v[0:1], off
	s_mov_b32 s18, 0
	s_waitcnt vmcnt(0)
	v_cvt_f64_u32_e32 v[2:3], v2
	s_branch .LBB48_830
.LBB48_828:
	s_mov_b32 s18, -1
                                        ; implicit-def: $vgpr2_vgpr3
	s_branch .LBB48_833
.LBB48_829:
	s_mov_b32 s18, -1
                                        ; implicit-def: $vgpr2_vgpr3
.LBB48_830:
	s_andn2_b32 vcc_lo, exec_lo, s18
	s_cbranch_vccnz .LBB48_832
; %bb.831:
	global_load_ushort v2, v[0:1], off
	s_waitcnt vmcnt(0)
	v_cvt_f64_u32_e32 v[2:3], v2
.LBB48_832:
	s_mov_b32 s18, 0
.LBB48_833:
	s_andn2_b32 vcc_lo, exec_lo, s18
	s_cbranch_vccnz .LBB48_843
; %bb.834:
	global_load_ubyte v4, v[0:1], off
	s_mov_b32 s18, 0
	s_mov_b32 s24, exec_lo
	s_waitcnt vmcnt(0)
	v_cmpx_lt_i16_e32 0x7f, v4
	s_xor_b32 s24, exec_lo, s24
	s_cbranch_execz .LBB48_838
; %bb.835:
	s_mov_b32 s18, -1
	s_mov_b32 s25, exec_lo
	v_cmpx_eq_u16_e32 0x80, v4
; %bb.836:
	s_xor_b32 s18, exec_lo, -1
; %bb.837:
	s_or_b32 exec_lo, exec_lo, s25
	s_and_b32 s18, s18, exec_lo
.LBB48_838:
	s_or_saveexec_b32 s24, s24
	v_bfrev_b32_e32 v2, 4
	v_mov_b32_e32 v3, 0x7ff80000
	s_xor_b32 exec_lo, exec_lo, s24
; %bb.839:
	v_cmp_ne_u16_e32 vcc_lo, 0, v4
	v_mov_b32_e32 v2, 0
	v_mov_b32_e32 v3, 0
	s_andn2_b32 s18, s18, exec_lo
	s_and_b32 s25, vcc_lo, exec_lo
	s_or_b32 s18, s18, s25
; %bb.840:
	s_or_b32 exec_lo, exec_lo, s24
	s_and_saveexec_b32 s24, s18
	s_cbranch_execz .LBB48_842
; %bb.841:
	v_and_b32_e32 v2, 0xffff, v4
	v_lshlrev_b32_e32 v4, 24, v4
	v_and_b32_e32 v3, 7, v2
	v_bfe_u32 v7, v2, 3, 4
	v_ffbh_u32_e32 v5, v3
	v_cmp_eq_u32_e32 vcc_lo, 0, v7
	v_min_u32_e32 v5, 32, v5
	v_subrev_nc_u32_e32 v6, 28, v5
	v_sub_nc_u32_e32 v5, 29, v5
	v_lshlrev_b32_e32 v2, v6, v2
	v_cndmask_b32_e32 v5, v7, v5, vcc_lo
	v_and_b32_e32 v2, 7, v2
	v_cndmask_b32_e32 v2, v3, v2, vcc_lo
	v_and_b32_e32 v3, 0x80000000, v4
	v_lshl_add_u32 v4, v5, 23, 0x3b800000
	v_lshlrev_b32_e32 v2, 20, v2
	v_or3_b32 v2, v3, v4, v2
	v_cvt_f64_f32_e32 v[2:3], v2
.LBB48_842:
	s_or_b32 exec_lo, exec_lo, s24
.LBB48_843:
	s_mov_b32 s18, -1
.LBB48_844:
	s_mov_b32 s24, 0
.LBB48_845:
	s_and_b32 vcc_lo, exec_lo, s24
	s_cbranch_vccz .LBB48_876
; %bb.846:
	s_cmp_gt_i32 s4, 22
	s_cbranch_scc0 .LBB48_858
; %bb.847:
	s_cmp_lt_i32 s4, 24
	s_cbranch_scc1 .LBB48_859
; %bb.848:
	s_cmp_gt_i32 s4, 24
	s_cbranch_scc0 .LBB48_860
; %bb.849:
	global_load_ubyte v4, v[0:1], off
	s_mov_b32 s18, exec_lo
	s_waitcnt vmcnt(0)
	v_cmpx_lt_i16_e32 0x7f, v4
	s_xor_b32 s18, exec_lo, s18
	s_cbranch_execz .LBB48_853
; %bb.850:
	s_mov_b32 s6, -1
	s_mov_b32 s24, exec_lo
	v_cmpx_eq_u16_e32 0x80, v4
; %bb.851:
	s_xor_b32 s6, exec_lo, -1
; %bb.852:
	s_or_b32 exec_lo, exec_lo, s24
	s_and_b32 s6, s6, exec_lo
.LBB48_853:
	s_or_saveexec_b32 s18, s18
	v_bfrev_b32_e32 v2, 4
	v_mov_b32_e32 v3, 0x7ff80000
	s_xor_b32 exec_lo, exec_lo, s18
; %bb.854:
	v_cmp_ne_u16_e32 vcc_lo, 0, v4
	v_mov_b32_e32 v2, 0
	v_mov_b32_e32 v3, 0
	s_andn2_b32 s6, s6, exec_lo
	s_and_b32 s24, vcc_lo, exec_lo
	s_or_b32 s6, s6, s24
; %bb.855:
	s_or_b32 exec_lo, exec_lo, s18
	s_and_saveexec_b32 s18, s6
	s_cbranch_execz .LBB48_857
; %bb.856:
	v_and_b32_e32 v2, 0xffff, v4
	v_lshlrev_b32_e32 v4, 24, v4
	v_and_b32_e32 v3, 3, v2
	v_bfe_u32 v7, v2, 2, 5
	v_ffbh_u32_e32 v5, v3
	v_cmp_eq_u32_e32 vcc_lo, 0, v7
	v_min_u32_e32 v5, 32, v5
	v_subrev_nc_u32_e32 v6, 29, v5
	v_sub_nc_u32_e32 v5, 30, v5
	v_lshlrev_b32_e32 v2, v6, v2
	v_cndmask_b32_e32 v5, v7, v5, vcc_lo
	v_and_b32_e32 v2, 3, v2
	v_cndmask_b32_e32 v2, v3, v2, vcc_lo
	v_and_b32_e32 v3, 0x80000000, v4
	v_lshl_add_u32 v4, v5, 23, 0x37800000
	v_lshlrev_b32_e32 v2, 21, v2
	v_or3_b32 v2, v3, v4, v2
	v_cvt_f64_f32_e32 v[2:3], v2
.LBB48_857:
	s_or_b32 exec_lo, exec_lo, s18
	s_mov_b32 s6, 0
	s_branch .LBB48_861
.LBB48_858:
	s_mov_b32 s6, -1
                                        ; implicit-def: $vgpr2_vgpr3
	s_branch .LBB48_867
.LBB48_859:
	s_mov_b32 s6, -1
                                        ; implicit-def: $vgpr2_vgpr3
	s_branch .LBB48_864
.LBB48_860:
	s_mov_b32 s6, -1
                                        ; implicit-def: $vgpr2_vgpr3
.LBB48_861:
	s_and_b32 vcc_lo, exec_lo, s6
	s_cbranch_vccz .LBB48_863
; %bb.862:
	global_load_ubyte v2, v[0:1], off
	s_waitcnt vmcnt(0)
	v_lshlrev_b32_e32 v2, 24, v2
	v_and_b32_e32 v3, 0x7f000000, v2
	v_ffbh_u32_e32 v4, v3
	v_add_nc_u32_e32 v6, 0x1000000, v3
	v_cmp_ne_u32_e32 vcc_lo, 0, v3
	v_min_u32_e32 v4, 32, v4
	v_sub_nc_u32_e64 v4, v4, 4 clamp
	v_lshlrev_b32_e32 v5, v4, v3
	v_lshlrev_b32_e32 v4, 23, v4
	v_lshrrev_b32_e32 v5, 4, v5
	v_sub_nc_u32_e32 v4, v5, v4
	v_ashrrev_i32_e32 v5, 8, v6
	v_add_nc_u32_e32 v4, 0x3c000000, v4
	v_and_or_b32 v4, 0x7f800000, v5, v4
	v_cndmask_b32_e32 v3, 0, v4, vcc_lo
	v_and_or_b32 v2, 0x80000000, v2, v3
	v_cvt_f64_f32_e32 v[2:3], v2
.LBB48_863:
	s_mov_b32 s6, 0
.LBB48_864:
	s_andn2_b32 vcc_lo, exec_lo, s6
	s_cbranch_vccnz .LBB48_866
; %bb.865:
	global_load_ubyte v2, v[0:1], off
	s_waitcnt vmcnt(0)
	v_lshlrev_b32_e32 v3, 25, v2
	v_lshlrev_b16 v2, 8, v2
	v_lshrrev_b32_e32 v4, 4, v3
	v_and_or_b32 v5, 0x7f00, v2, 0.5
	v_cmp_gt_u32_e32 vcc_lo, 0x8000000, v3
	v_bfe_i32 v2, v2, 0, 16
	v_or_b32_e32 v4, 0x70000000, v4
	v_add_f32_e32 v5, -0.5, v5
	v_mul_f32_e32 v4, 0x7800000, v4
	v_cndmask_b32_e32 v3, v4, v5, vcc_lo
	v_and_or_b32 v2, 0x80000000, v2, v3
	v_cvt_f64_f32_e32 v[2:3], v2
.LBB48_866:
	s_mov_b32 s6, 0
	s_mov_b32 s18, -1
.LBB48_867:
	s_andn2_b32 vcc_lo, exec_lo, s6
	s_mov_b32 s6, 0
	s_cbranch_vccnz .LBB48_876
; %bb.868:
	s_cmp_gt_i32 s4, 14
	s_cbranch_scc0 .LBB48_871
; %bb.869:
	s_cmp_eq_u32 s4, 15
	s_cbranch_scc0 .LBB48_872
; %bb.870:
	global_load_ushort v2, v[0:1], off
	s_mov_b32 s5, 0
	s_mov_b32 s18, -1
	s_waitcnt vmcnt(0)
	v_lshlrev_b32_e32 v2, 16, v2
	v_cvt_f64_f32_e32 v[2:3], v2
	s_branch .LBB48_874
.LBB48_871:
	s_mov_b32 s6, -1
	s_branch .LBB48_873
.LBB48_872:
	s_mov_b32 s5, -1
.LBB48_873:
                                        ; implicit-def: $vgpr2_vgpr3
.LBB48_874:
	s_and_b32 vcc_lo, exec_lo, s6
	s_mov_b32 s6, 0
	s_cbranch_vccz .LBB48_876
; %bb.875:
	s_cmp_lg_u32 s4, 11
	s_mov_b32 s6, -1
	s_cselect_b32 s4, -1, 0
	s_andn2_b32 s5, s5, exec_lo
	s_and_b32 s4, s4, exec_lo
	s_or_b32 s5, s5, s4
.LBB48_876:
	s_mov_b32 s4, 0
.LBB48_877:
	s_andn2_b32 s25, s0, exec_lo
	s_and_b32 s5, s5, exec_lo
	s_and_b32 s24, s18, exec_lo
	;; [unrolled: 1-line block ×4, first 2 shown]
	s_or_b32 s6, s25, s5
.LBB48_878:
	s_or_b32 exec_lo, exec_lo, s3
	s_andn2_b32 s0, s0, exec_lo
	s_and_b32 s6, s6, exec_lo
	s_and_b32 s3, s24, exec_lo
	;; [unrolled: 1-line block ×4, first 2 shown]
	s_or_b32 s0, s0, s6
.LBB48_879:
	s_or_b32 exec_lo, exec_lo, s2
	s_andn2_b32 s2, s22, exec_lo
	s_and_b32 s1, s1, exec_lo
	s_and_b32 s0, s0, exec_lo
	s_or_b32 s22, s2, s1
	s_and_b32 s2, s5, exec_lo
	s_andn2_b32 s5, s21, exec_lo
	s_and_b32 s3, s3, exec_lo
	s_and_b32 s1, s4, exec_lo
	s_or_b32 s21, s5, s0
.LBB48_880:
	s_or_b32 exec_lo, exec_lo, s23
	s_andn2_b32 s0, s17, exec_lo
	s_and_b32 s4, s22, exec_lo
	s_and_b32 s2, s2, exec_lo
	s_or_b32 s17, s0, s4
	s_and_b32 s0, s3, exec_lo
	s_andn2_b32 s3, s19, exec_lo
	s_and_b32 s4, s21, exec_lo
	s_and_b32 s21, s1, exec_lo
	s_or_b32 s19, s3, s4
	s_or_b32 exec_lo, exec_lo, s20
	s_mov_b32 s18, 0
	s_and_saveexec_b32 s1, s19
	s_cbranch_execz .LBB48_268
.LBB48_881:
	s_mov_b32 s18, exec_lo
	s_andn2_b32 s21, s21, exec_lo
	s_trap 2
	s_or_b32 exec_lo, exec_lo, s1
	s_and_saveexec_b32 s1, s21
	s_xor_b32 s1, exec_lo, s1
	s_cbranch_execnz .LBB48_269
.LBB48_882:
	s_or_b32 exec_lo, exec_lo, s1
	s_and_saveexec_b32 s1, s2
	s_cbranch_execz .LBB48_928
.LBB48_883:
	s_sext_i32_i16 s2, s15
	s_cmp_lt_i32 s2, 5
	s_cbranch_scc1 .LBB48_888
; %bb.884:
	s_cmp_lt_i32 s2, 8
	s_cbranch_scc1 .LBB48_889
; %bb.885:
	;; [unrolled: 3-line block ×3, first 2 shown]
	s_cmp_gt_i32 s2, 9
	s_cbranch_scc0 .LBB48_891
; %bb.887:
	s_waitcnt vmcnt(0)
	global_load_dwordx2 v[2:3], v[0:1], off
	s_mov_b32 s2, 0
	s_branch .LBB48_892
.LBB48_888:
                                        ; implicit-def: $vgpr2_vgpr3
	s_branch .LBB48_909
.LBB48_889:
                                        ; implicit-def: $vgpr2_vgpr3
	s_branch .LBB48_898
.LBB48_890:
	s_mov_b32 s2, -1
                                        ; implicit-def: $vgpr2_vgpr3
	s_branch .LBB48_895
.LBB48_891:
	s_mov_b32 s2, -1
                                        ; implicit-def: $vgpr2_vgpr3
.LBB48_892:
	s_andn2_b32 vcc_lo, exec_lo, s2
	s_cbranch_vccnz .LBB48_894
; %bb.893:
	s_waitcnt vmcnt(0)
	global_load_dword v2, v[0:1], off
	s_waitcnt vmcnt(0)
	v_cvt_f64_f32_e32 v[2:3], v2
.LBB48_894:
	s_mov_b32 s2, 0
.LBB48_895:
	s_andn2_b32 vcc_lo, exec_lo, s2
	s_cbranch_vccnz .LBB48_897
; %bb.896:
	s_waitcnt vmcnt(0)
	global_load_dword v2, v[0:1], off
	s_waitcnt vmcnt(0)
	v_cvt_f32_f16_e32 v2, v2
	v_cvt_f64_f32_e32 v[2:3], v2
.LBB48_897:
	s_cbranch_execnz .LBB48_908
.LBB48_898:
	s_sext_i32_i16 s2, s15
	s_cmp_lt_i32 s2, 6
	s_cbranch_scc1 .LBB48_901
; %bb.899:
	s_cmp_gt_i32 s2, 6
	s_cbranch_scc0 .LBB48_902
; %bb.900:
	s_waitcnt vmcnt(0)
	global_load_dwordx2 v[2:3], v[0:1], off
	s_mov_b32 s2, 0
	s_branch .LBB48_903
.LBB48_901:
	s_mov_b32 s2, -1
                                        ; implicit-def: $vgpr2_vgpr3
	s_branch .LBB48_906
.LBB48_902:
	s_mov_b32 s2, -1
                                        ; implicit-def: $vgpr2_vgpr3
.LBB48_903:
	s_andn2_b32 vcc_lo, exec_lo, s2
	s_cbranch_vccnz .LBB48_905
; %bb.904:
	s_waitcnt vmcnt(0)
	global_load_dword v2, v[0:1], off
	s_waitcnt vmcnt(0)
	v_cvt_f64_f32_e32 v[2:3], v2
.LBB48_905:
	s_mov_b32 s2, 0
.LBB48_906:
	s_andn2_b32 vcc_lo, exec_lo, s2
	s_cbranch_vccnz .LBB48_908
; %bb.907:
	s_waitcnt vmcnt(0)
	global_load_ushort v2, v[0:1], off
	s_waitcnt vmcnt(0)
	v_cvt_f32_f16_e32 v2, v2
	v_cvt_f64_f32_e32 v[2:3], v2
.LBB48_908:
	s_cbranch_execnz .LBB48_927
.LBB48_909:
	s_sext_i32_i16 s2, s15
	s_cmp_lt_i32 s2, 2
	s_cbranch_scc1 .LBB48_913
; %bb.910:
	s_cmp_lt_i32 s2, 3
	s_cbranch_scc1 .LBB48_914
; %bb.911:
	s_cmp_gt_i32 s2, 3
	s_cbranch_scc0 .LBB48_915
; %bb.912:
	s_waitcnt vmcnt(0)
	global_load_dwordx2 v[2:3], v[0:1], off
	s_mov_b32 s2, 0
	s_waitcnt vmcnt(0)
	v_cvt_f64_i32_e32 v[3:4], v3
	v_cvt_f64_u32_e32 v[5:6], v2
	v_ldexp_f64 v[3:4], v[3:4], 32
	v_add_f64 v[2:3], v[3:4], v[5:6]
	s_branch .LBB48_916
.LBB48_913:
                                        ; implicit-def: $vgpr2_vgpr3
	s_branch .LBB48_922
.LBB48_914:
	s_mov_b32 s2, -1
                                        ; implicit-def: $vgpr2_vgpr3
	s_branch .LBB48_919
.LBB48_915:
	s_mov_b32 s2, -1
                                        ; implicit-def: $vgpr2_vgpr3
.LBB48_916:
	s_andn2_b32 vcc_lo, exec_lo, s2
	s_cbranch_vccnz .LBB48_918
; %bb.917:
	s_waitcnt vmcnt(0)
	global_load_dword v2, v[0:1], off
	s_waitcnt vmcnt(0)
	v_cvt_f64_i32_e32 v[2:3], v2
.LBB48_918:
	s_mov_b32 s2, 0
.LBB48_919:
	s_andn2_b32 vcc_lo, exec_lo, s2
	s_cbranch_vccnz .LBB48_921
; %bb.920:
	s_waitcnt vmcnt(0)
	global_load_sshort v2, v[0:1], off
	s_waitcnt vmcnt(0)
	v_cvt_f64_i32_e32 v[2:3], v2
.LBB48_921:
	s_cbranch_execnz .LBB48_927
.LBB48_922:
	s_sext_i32_i16 s2, s15
	s_cmp_gt_i32 s2, 0
	s_mov_b32 s2, 0
	s_cbranch_scc0 .LBB48_924
; %bb.923:
	s_waitcnt vmcnt(0)
	global_load_sbyte v2, v[0:1], off
	s_waitcnt vmcnt(0)
	v_cvt_f64_i32_e32 v[2:3], v2
	s_branch .LBB48_925
.LBB48_924:
	s_mov_b32 s2, -1
                                        ; implicit-def: $vgpr2_vgpr3
.LBB48_925:
	s_andn2_b32 vcc_lo, exec_lo, s2
	s_cbranch_vccnz .LBB48_927
; %bb.926:
	s_waitcnt vmcnt(0)
	global_load_ubyte v0, v[0:1], off
	s_waitcnt vmcnt(0)
	v_cvt_f64_u32_e32 v[2:3], v0
.LBB48_927:
	s_or_b32 s0, s0, exec_lo
.LBB48_928:
	s_or_b32 exec_lo, exec_lo, s1
	s_mov_b32 s3, 0
	s_mov_b32 s2, 0
                                        ; implicit-def: $sgpr1
                                        ; implicit-def: $vgpr4_vgpr5
                                        ; implicit-def: $vgpr0_vgpr1
	s_and_saveexec_b32 s19, s0
	s_cbranch_execz .LBB48_942
; %bb.929:
	v_mov_b32_e32 v4, 0
	s_waitcnt vmcnt(0)
	v_mov_b32_e32 v0, 0
	v_mov_b32_e32 v5, 0
	;; [unrolled: 1-line block ×3, first 2 shown]
	s_mov_b32 s2, exec_lo
	v_cmpx_gt_f64_e32 0.5, v[2:3]
	s_cbranch_execz .LBB48_935
; %bb.930:
	s_mov_b32 s1, 0x400921fb
	s_mov_b32 s0, 0x54442d18
	s_mov_b32 s3, exec_lo
	v_mul_f64 v[0:1], v[2:3], s[0:1]
                                        ; implicit-def: $vgpr8
                                        ; implicit-def: $vgpr4_vgpr5
                                        ; implicit-def: $vgpr6_vgpr7
	v_cmpx_ngt_f64_e64 0x41d00000, |v[0:1]|
	s_xor_b32 s3, exec_lo, s3
	s_cbranch_execz .LBB48_932
; %bb.931:
	v_ldexp_f64 v[4:5], |v[0:1]|, 0xffffff80
	v_cmp_le_f64_e64 vcc_lo, 0x7b000000, |v[0:1]|
	v_trig_preop_f64 v[6:7], |v[0:1]|, 0
	v_and_b32_e32 v8, 0x7fffffff, v1
	v_trig_preop_f64 v[18:19], |v[0:1]|, 2
	v_mov_b32_e32 v27, 0
	s_mov_b32 s1, 0x3ff921fb
	s_mov_b32 s4, 0x33145c07
	s_mov_b32 s5, 0x3c91a626
	v_cndmask_b32_e32 v5, v8, v5, vcc_lo
	v_cndmask_b32_e32 v4, v0, v4, vcc_lo
	v_trig_preop_f64 v[8:9], |v[0:1]|, 1
	v_mul_f64 v[10:11], v[6:7], v[4:5]
	v_mul_f64 v[24:25], v[18:19], v[4:5]
	;; [unrolled: 1-line block ×3, first 2 shown]
	v_fma_f64 v[6:7], v[6:7], v[4:5], -v[10:11]
	v_fma_f64 v[8:9], v[8:9], v[4:5], -v[12:13]
	v_fma_f64 v[4:5], v[18:19], v[4:5], -v[24:25]
	v_add_f64 v[14:15], v[12:13], v[6:7]
	v_add_f64 v[16:17], v[14:15], -v[12:13]
	v_add_f64 v[22:23], v[10:11], v[14:15]
	v_add_f64 v[20:21], v[14:15], -v[16:17]
	v_add_f64 v[6:7], v[6:7], -v[16:17]
	v_ldexp_f64 v[16:17], v[22:23], -2
	v_add_f64 v[10:11], v[22:23], -v[10:11]
	v_add_f64 v[12:13], v[12:13], -v[20:21]
	v_add_f64 v[20:21], v[24:25], v[8:9]
	v_cmp_neq_f64_e64 vcc_lo, 0x7ff00000, |v[16:17]|
	v_add_f64 v[10:11], v[14:15], -v[10:11]
	v_add_f64 v[6:7], v[6:7], v[12:13]
	v_fract_f64_e32 v[12:13], v[16:17]
	v_add_f64 v[14:15], v[20:21], v[6:7]
	v_ldexp_f64 v[12:13], v[12:13], 2
	v_add_f64 v[16:17], v[10:11], v[14:15]
	v_cndmask_b32_e32 v13, 0, v13, vcc_lo
	v_cndmask_b32_e32 v12, 0, v12, vcc_lo
	v_add_f64 v[22:23], v[16:17], v[12:13]
	v_add_f64 v[10:11], v[16:17], -v[10:11]
	v_cmp_gt_f64_e32 vcc_lo, 0, v[22:23]
	v_add_f64 v[22:23], v[20:21], -v[24:25]
	v_cndmask_b32_e64 v28, 0, 0x40100000, vcc_lo
	v_add_f64 v[32:33], v[20:21], -v[22:23]
	v_add_f64 v[8:9], v[8:9], -v[22:23]
	v_add_f64 v[12:13], v[12:13], v[27:28]
	v_add_f64 v[28:29], v[14:15], -v[20:21]
	v_add_f64 v[22:23], v[24:25], -v[32:33]
	v_add_f64 v[30:31], v[16:17], v[12:13]
	;; [unrolled: 3-line block ×3, first 2 shown]
	v_cvt_i32_f64_e32 v30, v[30:31]
	v_add_f64 v[20:21], v[20:21], -v[34:35]
	v_cvt_f64_i32_e32 v[28:29], v30
	v_add_f64 v[6:7], v[6:7], v[20:21]
	v_add_f64 v[12:13], v[12:13], -v[28:29]
	v_add_f64 v[6:7], v[8:9], v[6:7]
	v_add_f64 v[8:9], v[14:15], -v[10:11]
	v_add_f64 v[18:19], v[16:17], v[12:13]
	v_add_f64 v[4:5], v[4:5], v[6:7]
	v_add_f64 v[6:7], v[18:19], -v[12:13]
	v_cmp_le_f64_e32 vcc_lo, 0.5, v[18:19]
	v_add_f64 v[4:5], v[8:9], v[4:5]
	v_add_f64 v[6:7], v[16:17], -v[6:7]
	v_cndmask_b32_e64 v28, 0, 0x3ff00000, vcc_lo
	v_add_co_ci_u32_e64 v8, null, 0, v30, vcc_lo
	v_add_f64 v[4:5], v[4:5], v[6:7]
	v_add_f64 v[6:7], v[18:19], -v[27:28]
	v_add_f64 v[9:10], v[6:7], v[4:5]
	v_mul_f64 v[11:12], v[9:10], s[0:1]
	v_add_f64 v[6:7], v[9:10], -v[6:7]
	v_fma_f64 v[13:14], v[9:10], s[0:1], -v[11:12]
	v_add_f64 v[4:5], v[4:5], -v[6:7]
	v_fma_f64 v[6:7], v[9:10], s[4:5], v[13:14]
	v_fma_f64 v[6:7], v[4:5], s[0:1], v[6:7]
	v_add_f64 v[4:5], v[11:12], v[6:7]
	v_add_f64 v[9:10], v[4:5], -v[11:12]
	v_add_f64 v[6:7], v[6:7], -v[9:10]
.LBB48_932:
	s_andn2_saveexec_b32 s0, s3
	s_cbranch_execz .LBB48_934
; %bb.933:
	s_mov_b32 s4, 0x6dc9c883
	s_mov_b32 s5, 0x3fe45f30
	;; [unrolled: 1-line block ×3, first 2 shown]
	v_mul_f64 v[4:5], |v[0:1]|, s[4:5]
	s_mov_b32 s4, 0x54442d18
	s_mov_b32 s5, 0xbff921fb
	s_mov_b32 s20, 0x33145c00
	v_rndne_f64_e32 v[8:9], v[4:5]
	v_fma_f64 v[4:5], v[8:9], s[4:5], |v[0:1]|
	v_mul_f64 v[6:7], v[8:9], s[20:21]
	s_mov_b32 s4, 0x252049c0
	s_mov_b32 s5, 0xb97b839a
	v_fma_f64 v[12:13], v[8:9], s[20:21], v[4:5]
	v_add_f64 v[10:11], v[4:5], v[6:7]
	s_mov_b32 s21, 0x3c91a626
	v_add_f64 v[4:5], v[4:5], -v[10:11]
	v_add_f64 v[10:11], v[10:11], -v[12:13]
	v_add_f64 v[4:5], v[4:5], v[6:7]
	v_fma_f64 v[6:7], v[8:9], s[20:21], v[6:7]
	v_add_f64 v[4:5], v[10:11], v[4:5]
	v_add_f64 v[4:5], v[4:5], -v[6:7]
	v_fma_f64 v[6:7], v[8:9], s[4:5], v[4:5]
	v_cvt_i32_f64_e32 v8, v[8:9]
	v_add_f64 v[4:5], v[12:13], v[6:7]
	v_add_f64 v[10:11], v[4:5], -v[12:13]
	v_add_f64 v[6:7], v[6:7], -v[10:11]
.LBB48_934:
	s_or_b32 exec_lo, exec_lo, s0
	v_mul_f64 v[9:10], v[4:5], v[4:5]
	s_mov_b32 s0, 0xb42fdfa7
	s_mov_b32 s4, 0xf9a43bb8
	;; [unrolled: 1-line block ×6, first 2 shown]
	v_mul_f64 v[19:20], v[6:7], 0.5
	v_add_f64 v[2:3], -v[2:3], 1.0
	v_fma_f64 v[11:12], v[9:10], s[4:5], s[0:1]
	s_mov_b32 s0, 0x9037ab78
	s_mov_b32 s4, 0x46cc5e42
	;; [unrolled: 1-line block ×4, first 2 shown]
	v_mul_f64 v[15:16], v[9:10], 0.5
	v_fma_f64 v[13:14], v[9:10], s[4:5], s[0:1]
	s_mov_b32 s0, 0xa17f65f6
	s_mov_b32 s4, 0x19e83e5c
	;; [unrolled: 1-line block ×4, first 2 shown]
	v_mul_f64 v[21:22], v[4:5], -v[9:10]
	v_fma_f64 v[11:12], v[9:10], v[11:12], s[20:21]
	v_add_f64 v[17:18], -v[15:16], 1.0
	v_fma_f64 v[13:14], v[9:10], v[13:14], s[0:1]
	s_mov_b32 s0, 0x19f4ec90
	s_mov_b32 s1, 0x3efa01a0
	v_fma_f64 v[11:12], v[9:10], v[11:12], s[4:5]
	s_mov_b32 s4, 0x11110bb3
	s_mov_b32 s5, 0x3f811111
	v_add_f64 v[23:24], -v[17:18], 1.0
	v_fma_f64 v[13:14], v[9:10], v[13:14], s[0:1]
	s_mov_b32 s0, 0x16c16967
	s_mov_b32 s1, 0xbf56c16c
	v_fma_f64 v[11:12], v[9:10], v[11:12], s[4:5]
	v_add_f64 v[15:16], v[23:24], -v[15:16]
	v_fma_f64 v[13:14], v[9:10], v[13:14], s[0:1]
	s_mov_b32 s1, 0x3fa55555
	s_mov_b32 s0, 0x55555555
	v_fma_f64 v[11:12], v[21:22], v[11:12], v[19:20]
	v_mul_f64 v[19:20], v[9:10], v[9:10]
	v_fma_f64 v[15:16], v[4:5], -v[6:7], v[15:16]
	v_fma_f64 v[13:14], v[9:10], v[13:14], s[0:1]
	s_mov_b32 s1, 0xbfc55555
	v_fma_f64 v[6:7], v[9:10], v[11:12], -v[6:7]
	v_fma_f64 v[9:10], v[19:20], v[13:14], v[15:16]
	v_fma_f64 v[6:7], v[21:22], s[0:1], v[6:7]
	v_cmp_class_f64_e64 s0, v[0:1], 0x1f8
	v_lshlrev_b32_e32 v0, 30, v8
	v_add_f64 v[9:10], v[17:18], v[9:10]
	v_xor_b32_e32 v0, v0, v1
	v_and_b32_e32 v0, 0x80000000, v0
	v_add_f64 v[4:5], v[4:5], -v[6:7]
	v_and_b32_e32 v6, 1, v8
	v_cmp_eq_u32_e32 vcc_lo, 0, v6
	v_cndmask_b32_e32 v1, v10, v5, vcc_lo
	v_cndmask_b32_e32 v4, v9, v4, vcc_lo
	v_xor_b32_e32 v1, v1, v0
	v_cndmask_b32_e64 v0, 0, v4, s0
	v_cndmask_b32_e64 v1, 0x7ff80000, v1, s0
	s_mov_b32 s0, 0xc9be45de
	s_mov_b32 s1, 0xc023bd3c
	v_mul_f64 v[0:1], v[0:1], v[0:1]
	v_div_scale_f64 v[4:5], null, v[0:1], v[0:1], s[0:1]
	v_div_scale_f64 v[10:11], vcc_lo, s[0:1], v[0:1], s[0:1]
	v_rcp_f64_e32 v[6:7], v[4:5]
	v_fma_f64 v[8:9], -v[4:5], v[6:7], 1.0
	v_fma_f64 v[6:7], v[6:7], v[8:9], v[6:7]
	v_fma_f64 v[8:9], -v[4:5], v[6:7], 1.0
	v_fma_f64 v[6:7], v[6:7], v[8:9], v[6:7]
	v_mul_f64 v[8:9], v[10:11], v[6:7]
	v_fma_f64 v[4:5], -v[4:5], v[8:9], v[10:11]
	v_div_fmas_f64 v[4:5], v[4:5], v[6:7], v[8:9]
	v_div_fixup_f64 v[0:1], v[4:5], v[0:1], s[0:1]
	v_add_f64 v[4:5], v[0:1], 0
	v_mov_b32_e32 v0, 0
	v_mov_b32_e32 v1, 0xbff00000
.LBB48_935:
	s_or_b32 exec_lo, exec_lo, s2
	v_add_f64 v[6:7], v[2:3], 1.0
	v_mul_f64 v[2:3], v[2:3], v[2:3]
	v_add_f64 v[8:9], v[6:7], 1.0
	v_mul_f64 v[6:7], v[6:7], v[6:7]
	v_div_scale_f64 v[20:21], null, v[2:3], v[2:3], 1.0
	v_div_scale_f64 v[69:70], vcc_lo, 1.0, v[2:3], 1.0
	v_add_f64 v[10:11], v[8:9], 1.0
	v_mul_f64 v[8:9], v[8:9], v[8:9]
	v_div_scale_f64 v[22:23], null, v[6:7], v[6:7], 1.0
	v_rcp_f64_e32 v[37:38], v[20:21]
	v_add_f64 v[12:13], v[10:11], 1.0
	v_mul_f64 v[10:11], v[10:11], v[10:11]
	v_div_scale_f64 v[24:25], null, v[8:9], v[8:9], 1.0
	v_rcp_f64_e32 v[39:40], v[22:23]
	v_fma_f64 v[53:54], -v[20:21], v[37:38], 1.0
	v_add_f64 v[14:15], v[12:13], 1.0
	v_mul_f64 v[12:13], v[12:13], v[12:13]
	v_div_scale_f64 v[27:28], null, v[10:11], v[10:11], 1.0
	v_rcp_f64_e32 v[41:42], v[24:25]
	v_fma_f64 v[55:56], -v[22:23], v[39:40], 1.0
	v_fma_f64 v[37:38], v[37:38], v[53:54], v[37:38]
	v_add_f64 v[16:17], v[14:15], 1.0
	v_mul_f64 v[14:15], v[14:15], v[14:15]
	v_div_scale_f64 v[29:30], null, v[12:13], v[12:13], 1.0
	v_rcp_f64_e32 v[43:44], v[27:28]
	v_fma_f64 v[57:58], -v[24:25], v[41:42], 1.0
	v_fma_f64 v[39:40], v[39:40], v[55:56], v[39:40]
	v_fma_f64 v[55:56], -v[20:21], v[37:38], 1.0
	v_mul_f64 v[18:19], v[16:17], v[16:17]
	v_div_scale_f64 v[31:32], null, v[14:15], v[14:15], 1.0
	v_add_f64 v[33:34], v[16:17], v[16:17]
	v_rcp_f64_e32 v[45:46], v[29:30]
	v_fma_f64 v[59:60], -v[27:28], v[43:44], 1.0
	v_fma_f64 v[41:42], v[41:42], v[57:58], v[41:42]
	v_fma_f64 v[57:58], -v[22:23], v[39:40], 1.0
	v_fma_f64 v[37:38], v[37:38], v[55:56], v[37:38]
	v_div_scale_f64 v[55:56], s0, 1.0, v[6:7], 1.0
	v_div_scale_f64 v[35:36], null, v[18:19], v[18:19], 1.0
	v_rcp_f64_e32 v[47:48], v[31:32]
	v_div_scale_f64 v[49:50], null, v[33:34], v[33:34], 1.0
	v_div_scale_f64 v[71:72], s5, 1.0, v[18:19], 1.0
	v_fma_f64 v[61:62], -v[29:30], v[45:46], 1.0
	v_fma_f64 v[43:44], v[43:44], v[59:60], v[43:44]
	v_fma_f64 v[59:60], -v[24:25], v[41:42], 1.0
	v_fma_f64 v[39:40], v[39:40], v[57:58], v[39:40]
	v_div_scale_f64 v[57:58], s1, 1.0, v[8:9], 1.0
	v_div_scale_f64 v[81:82], s6, 1.0, v[33:34], 1.0
	v_rcp_f64_e32 v[51:52], v[35:36]
	v_rcp_f64_e32 v[63:64], v[49:50]
	v_fma_f64 v[65:66], -v[31:32], v[47:48], 1.0
	v_fma_f64 v[45:46], v[45:46], v[61:62], v[45:46]
	v_fma_f64 v[61:62], -v[27:28], v[43:44], 1.0
	v_fma_f64 v[41:42], v[41:42], v[59:60], v[41:42]
	v_div_scale_f64 v[59:60], s2, 1.0, v[10:11], 1.0
	v_mul_f64 v[73:74], v[55:56], v[39:40]
	v_fma_f64 v[67:68], -v[35:36], v[51:52], 1.0
	v_fma_f64 v[47:48], v[47:48], v[65:66], v[47:48]
	v_fma_f64 v[53:54], -v[49:50], v[63:64], 1.0
	v_fma_f64 v[65:66], -v[29:30], v[45:46], 1.0
	v_fma_f64 v[43:44], v[43:44], v[61:62], v[43:44]
	v_div_scale_f64 v[61:62], s3, 1.0, v[12:13], 1.0
	v_mul_f64 v[75:76], v[57:58], v[41:42]
	v_fma_f64 v[22:23], -v[22:23], v[73:74], v[55:56]
	v_fma_f64 v[51:52], v[51:52], v[67:68], v[51:52]
	v_fma_f64 v[67:68], -v[31:32], v[47:48], 1.0
	v_fma_f64 v[53:54], v[63:64], v[53:54], v[63:64]
	v_fma_f64 v[45:46], v[45:46], v[65:66], v[45:46]
	v_div_scale_f64 v[65:66], s4, 1.0, v[14:15], 1.0
	v_mul_f64 v[77:78], v[59:60], v[43:44]
	v_fma_f64 v[24:25], -v[24:25], v[75:76], v[57:58]
	v_fma_f64 v[63:64], -v[35:36], v[51:52], 1.0
	v_fma_f64 v[47:48], v[47:48], v[67:68], v[47:48]
	v_fma_f64 v[67:68], -v[49:50], v[53:54], 1.0
	v_mul_f64 v[79:80], v[61:62], v[45:46]
	v_fma_f64 v[27:28], -v[27:28], v[77:78], v[59:60]
	v_fma_f64 v[51:52], v[51:52], v[63:64], v[51:52]
	v_mul_f64 v[63:64], v[69:70], v[37:38]
	v_mul_f64 v[83:84], v[65:66], v[47:48]
	v_fma_f64 v[53:54], v[53:54], v[67:68], v[53:54]
	v_fma_f64 v[29:30], -v[29:30], v[79:80], v[61:62]
	v_mul_f64 v[67:68], v[71:72], v[51:52]
	v_fma_f64 v[20:21], -v[20:21], v[63:64], v[69:70]
	v_fma_f64 v[31:32], -v[31:32], v[83:84], v[65:66]
	v_mul_f64 v[55:56], v[81:82], v[53:54]
	v_fma_f64 v[35:36], -v[35:36], v[67:68], v[71:72]
	v_div_fmas_f64 v[20:21], v[20:21], v[37:38], v[63:64]
	s_mov_b32 vcc_lo, s0
	v_fma_f64 v[37:38], -v[49:50], v[55:56], v[81:82]
	v_div_fmas_f64 v[22:23], v[22:23], v[39:40], v[73:74]
	s_mov_b32 vcc_lo, s1
	s_mov_b32 s0, 0x11111111
	v_div_fmas_f64 v[24:25], v[24:25], v[41:42], v[75:76]
	s_mov_b32 vcc_lo, s2
	s_mov_b32 s1, 0x3fa11111
	;; [unrolled: 3-line block ×4, first 2 shown]
	v_div_fmas_f64 v[31:32], v[31:32], v[47:48], v[83:84]
	s_mov_b32 vcc_lo, s5
	v_div_fmas_f64 v[35:36], v[35:36], v[51:52], v[67:68]
	s_mov_b32 vcc_lo, s6
	v_div_fixup_f64 v[2:3], v[20:21], v[2:3], 1.0
	v_div_fmas_f64 v[37:38], v[37:38], v[53:54], v[55:56]
	v_div_fixup_f64 v[18:19], v[35:36], v[18:19], 1.0
	v_add_f64 v[2:3], v[4:5], v[2:3]
	v_div_fixup_f64 v[33:34], v[37:38], v[33:34], 1.0
	v_div_fixup_f64 v[4:5], v[22:23], v[6:7], 1.0
	v_fma_f64 v[35:36], v[18:19], s[2:3], s[0:1]
	s_mov_b32 s0, 0x55555555
	s_mov_b32 s1, 0x3fc55555
	v_add_f64 v[33:34], v[33:34], 1.0
	v_add_f64 v[2:3], v[2:3], v[4:5]
	v_div_fixup_f64 v[4:5], v[24:25], v[8:9], 1.0
	v_fma_f64 v[35:36], -v[18:19], v[35:36], s[0:1]
	s_and_b32 s1, s7, 0xff
	s_cmp_lt_i32 s1, 11
	v_add_f64 v[2:3], v[2:3], v[4:5]
	v_div_fixup_f64 v[4:5], v[27:28], v[10:11], 1.0
	v_fma_f64 v[18:19], v[18:19], v[35:36], v[33:34]
	v_add_f64 v[2:3], v[2:3], v[4:5]
	v_div_fixup_f64 v[4:5], v[29:30], v[12:13], 1.0
	v_div_scale_f64 v[33:34], null, v[16:17], v[16:17], v[18:19]
	v_div_scale_f64 v[8:9], vcc_lo, v[18:19], v[16:17], v[18:19]
	v_add_f64 v[2:3], v[2:3], v[4:5]
	v_div_fixup_f64 v[4:5], v[31:32], v[14:15], 1.0
	v_rcp_f64_e32 v[35:36], v[33:34]
	v_add_f64 v[2:3], v[2:3], v[4:5]
	v_fma_f64 v[37:38], -v[33:34], v[35:36], 1.0
	v_fma_f64 v[20:21], v[35:36], v[37:38], v[35:36]
	v_fma_f64 v[6:7], -v[33:34], v[20:21], 1.0
	v_fma_f64 v[6:7], v[20:21], v[6:7], v[20:21]
	v_mul_f64 v[10:11], v[8:9], v[6:7]
	v_fma_f64 v[8:9], -v[33:34], v[10:11], v[8:9]
	v_div_fmas_f64 v[6:7], v[8:9], v[6:7], v[10:11]
	v_div_fixup_f64 v[4:5], v[6:7], v[16:17], v[18:19]
	v_add_f64 v[2:3], v[2:3], v[4:5]
	v_mul_f64 v[0:1], v[0:1], v[2:3]
	v_mul_lo_u32 v2, v26, s12
	v_ashrrev_i32_e32 v3, 31, v2
	v_add_co_u32 v4, vcc_lo, s8, v2
	v_add_co_ci_u32_e64 v5, null, s9, v3, vcc_lo
	s_cbranch_scc1 .LBB48_945
; %bb.936:
	s_and_b32 s2, 0xffff, s1
	s_mov_b32 s3, -1
	s_cmp_gt_i32 s2, 25
	s_mov_b32 s0, s17
	s_cbranch_scc0 .LBB48_973
; %bb.937:
	s_cmp_gt_i32 s2, 28
	s_mov_b32 s0, s17
	s_cbranch_scc0 .LBB48_957
; %bb.938:
	;; [unrolled: 4-line block ×4, first 2 shown]
	s_cmp_eq_u32 s2, 46
	s_mov_b32 s0, -1
	s_cbranch_scc0 .LBB48_946
; %bb.941:
	v_cvt_f32_f64_e32 v2, v[0:1]
	s_mov_b32 s0, 0
	s_mov_b32 s3, 0
	v_bfe_u32 v3, v2, 16, 1
	v_cmp_o_f32_e32 vcc_lo, v2, v2
	v_add3_u32 v2, v2, v3, 0x7fff
	v_mov_b32_e32 v3, 0x7fc0
	v_cndmask_b32_sdwa v2, v3, v2, vcc_lo dst_sel:DWORD dst_unused:UNUSED_PAD src0_sel:DWORD src1_sel:WORD_1
	global_store_dword v[4:5], v2, off
	s_branch .LBB48_947
.LBB48_942:
	s_or_b32 exec_lo, exec_lo, s19
	s_and_saveexec_b32 s0, s17
	s_cbranch_execnz .LBB48_1015
.LBB48_943:
	s_or_b32 exec_lo, exec_lo, s0
	s_and_saveexec_b32 s0, s3
	s_xor_b32 s0, exec_lo, s0
	s_cbranch_execz .LBB48_1016
.LBB48_944:
	s_waitcnt vmcnt(0)
	v_cmp_neq_f64_e32 vcc_lo, 0, v[0:1]
	v_cndmask_b32_e64 v2, 0, 1, vcc_lo
	global_store_byte v[4:5], v2, off
	s_or_b32 exec_lo, exec_lo, s0
	s_and_saveexec_b32 s0, s2
	s_xor_b32 s0, exec_lo, s0
	s_cbranch_execz .LBB48_1054
	s_branch .LBB48_1017
.LBB48_945:
	s_mov_b32 s4, 0
	s_mov_b32 s3, -1
	s_mov_b32 s0, s17
	s_branch .LBB48_1014
.LBB48_946:
	s_mov_b32 s3, 0
.LBB48_947:
	s_and_b32 vcc_lo, exec_lo, s3
	s_cbranch_vccz .LBB48_952
; %bb.948:
	s_cmp_eq_u32 s2, 44
	s_mov_b32 s0, -1
	s_cbranch_scc0 .LBB48_952
; %bb.949:
	v_cvt_f32_f64_e32 v2, v[0:1]
	v_mov_b32_e32 v3, 0xff
	s_mov_b32 s3, exec_lo
	v_bfe_u32 v6, v2, 23, 8
	v_cmpx_ne_u32_e32 0xff, v6
	s_cbranch_execz .LBB48_951
; %bb.950:
	v_and_b32_e32 v3, 0x400000, v2
	v_and_or_b32 v6, 0x3fffff, v2, v6
	v_lshrrev_b32_e32 v2, 23, v2
	v_cmp_ne_u32_e32 vcc_lo, 0, v3
	v_cmp_ne_u32_e64 s0, 0, v6
	s_and_b32 s0, vcc_lo, s0
	v_cndmask_b32_e64 v3, 0, 1, s0
	v_add_nc_u32_e32 v3, v2, v3
.LBB48_951:
	s_or_b32 exec_lo, exec_lo, s3
	s_mov_b32 s0, 0
	global_store_byte v[4:5], v3, off
.LBB48_952:
	s_mov_b32 s3, 0
.LBB48_953:
	s_and_b32 vcc_lo, exec_lo, s3
	s_cbranch_vccz .LBB48_956
; %bb.954:
	s_cmp_eq_u32 s2, 29
	s_mov_b32 s0, -1
	s_cbranch_scc0 .LBB48_956
; %bb.955:
	v_trunc_f64_e32 v[2:3], v[0:1]
	s_mov_b32 s0, 0
	s_mov_b32 s3, 0
	v_ldexp_f64 v[6:7], v[2:3], 0xffffffe0
	v_floor_f64_e32 v[6:7], v[6:7]
	v_fma_f64 v[2:3], 0xc1f00000, v[6:7], v[2:3]
	v_cvt_u32_f64_e32 v7, v[6:7]
	v_cvt_u32_f64_e32 v6, v[2:3]
	global_store_dwordx2 v[4:5], v[6:7], off
	s_branch .LBB48_957
.LBB48_956:
	s_mov_b32 s3, 0
.LBB48_957:
	s_and_b32 vcc_lo, exec_lo, s3
	s_cbranch_vccz .LBB48_972
; %bb.958:
	s_cmp_lt_i32 s2, 27
	s_mov_b32 s3, -1
	s_cbranch_scc1 .LBB48_964
; %bb.959:
	v_cvt_u32_f64_e32 v2, v[0:1]
	s_cmp_gt_i32 s2, 27
	s_cbranch_scc0 .LBB48_961
; %bb.960:
	s_mov_b32 s3, 0
	global_store_dword v[4:5], v2, off
.LBB48_961:
	s_andn2_b32 vcc_lo, exec_lo, s3
	s_cbranch_vccnz .LBB48_963
; %bb.962:
	global_store_short v[4:5], v2, off
.LBB48_963:
	s_mov_b32 s3, 0
.LBB48_964:
	s_andn2_b32 vcc_lo, exec_lo, s3
	s_cbranch_vccnz .LBB48_972
; %bb.965:
	v_cvt_f32_f64_e32 v2, v[0:1]
	v_mov_b32_e32 v6, 0x80
	s_mov_b32 s3, exec_lo
	v_and_b32_e32 v3, 0x7fffffff, v2
	v_cmpx_gt_u32_e32 0x43800000, v3
	s_cbranch_execz .LBB48_971
; %bb.966:
	v_cmp_lt_u32_e32 vcc_lo, 0x3bffffff, v3
	s_mov_b32 s4, 0
                                        ; implicit-def: $vgpr3
	s_and_saveexec_b32 s5, vcc_lo
	s_xor_b32 s5, exec_lo, s5
	s_cbranch_execz .LBB48_1069
; %bb.967:
	v_bfe_u32 v3, v2, 20, 1
	s_mov_b32 s4, exec_lo
	v_add3_u32 v3, v2, v3, 0x487ffff
	v_lshrrev_b32_e32 v3, 20, v3
	s_andn2_saveexec_b32 s5, s5
	s_cbranch_execnz .LBB48_1070
.LBB48_968:
	s_or_b32 exec_lo, exec_lo, s5
	v_mov_b32_e32 v6, 0
	s_and_saveexec_b32 s5, s4
.LBB48_969:
	v_lshrrev_b32_e32 v2, 24, v2
	v_and_or_b32 v6, 0x80, v2, v3
.LBB48_970:
	s_or_b32 exec_lo, exec_lo, s5
.LBB48_971:
	s_or_b32 exec_lo, exec_lo, s3
	global_store_byte v[4:5], v6, off
.LBB48_972:
	s_mov_b32 s3, 0
.LBB48_973:
	s_and_b32 vcc_lo, exec_lo, s3
	s_mov_b32 s3, 0
	s_cbranch_vccz .LBB48_1013
; %bb.974:
	s_cmp_gt_i32 s2, 22
	s_mov_b32 s4, -1
	s_cbranch_scc0 .LBB48_1006
; %bb.975:
	s_cmp_lt_i32 s2, 24
	s_cbranch_scc1 .LBB48_995
; %bb.976:
	s_cmp_gt_i32 s2, 24
	s_cbranch_scc0 .LBB48_984
; %bb.977:
	v_cvt_f32_f64_e32 v2, v[0:1]
	v_mov_b32_e32 v6, 0x80
	s_mov_b32 s4, exec_lo
	v_and_b32_e32 v3, 0x7fffffff, v2
	v_cmpx_gt_u32_e32 0x47800000, v3
	s_cbranch_execz .LBB48_983
; %bb.978:
	v_cmp_lt_u32_e32 vcc_lo, 0x37ffffff, v3
	s_mov_b32 s5, 0
                                        ; implicit-def: $vgpr3
	s_and_saveexec_b32 s6, vcc_lo
	s_xor_b32 s6, exec_lo, s6
	s_cbranch_execz .LBB48_1201
; %bb.979:
	v_bfe_u32 v3, v2, 21, 1
	s_mov_b32 s5, exec_lo
	v_add3_u32 v3, v2, v3, 0x88fffff
	v_lshrrev_b32_e32 v3, 21, v3
	s_andn2_saveexec_b32 s6, s6
	s_cbranch_execnz .LBB48_1202
.LBB48_980:
	s_or_b32 exec_lo, exec_lo, s6
	v_mov_b32_e32 v6, 0
	s_and_saveexec_b32 s6, s5
.LBB48_981:
	v_lshrrev_b32_e32 v2, 24, v2
	v_and_or_b32 v6, 0x80, v2, v3
.LBB48_982:
	s_or_b32 exec_lo, exec_lo, s6
.LBB48_983:
	s_or_b32 exec_lo, exec_lo, s4
	s_mov_b32 s4, 0
	global_store_byte v[4:5], v6, off
.LBB48_984:
	s_and_b32 vcc_lo, exec_lo, s4
	s_cbranch_vccz .LBB48_994
; %bb.985:
	v_cvt_f32_f64_e32 v2, v[0:1]
	s_mov_b32 s4, exec_lo
                                        ; implicit-def: $vgpr3
	v_and_b32_e32 v6, 0x7fffffff, v2
	v_cmpx_gt_u32_e32 0x43f00000, v6
	s_xor_b32 s4, exec_lo, s4
	s_cbranch_execz .LBB48_991
; %bb.986:
	s_mov_b32 s5, exec_lo
                                        ; implicit-def: $vgpr3
	v_cmpx_lt_u32_e32 0x3c7fffff, v6
	s_xor_b32 s5, exec_lo, s5
; %bb.987:
	v_bfe_u32 v3, v2, 20, 1
	v_add3_u32 v3, v2, v3, 0x407ffff
	v_and_b32_e32 v6, 0xff00000, v3
	v_lshrrev_b32_e32 v3, 20, v3
	v_cmp_ne_u32_e32 vcc_lo, 0x7f00000, v6
	v_cndmask_b32_e32 v3, 0x7e, v3, vcc_lo
; %bb.988:
	s_andn2_saveexec_b32 s5, s5
; %bb.989:
	v_add_f32_e64 v3, 0x46800000, |v2|
; %bb.990:
	s_or_b32 exec_lo, exec_lo, s5
                                        ; implicit-def: $vgpr6
.LBB48_991:
	s_andn2_saveexec_b32 s4, s4
; %bb.992:
	v_mov_b32_e32 v3, 0x7f
	v_cmp_lt_u32_e32 vcc_lo, 0x7f800000, v6
	v_cndmask_b32_e32 v3, 0x7e, v3, vcc_lo
; %bb.993:
	s_or_b32 exec_lo, exec_lo, s4
	v_lshrrev_b32_e32 v2, 24, v2
	v_and_or_b32 v2, 0x80, v2, v3
	global_store_byte v[4:5], v2, off
.LBB48_994:
	s_mov_b32 s4, 0
.LBB48_995:
	s_andn2_b32 vcc_lo, exec_lo, s4
	s_cbranch_vccnz .LBB48_1005
; %bb.996:
	v_cvt_f32_f64_e32 v2, v[0:1]
	s_mov_b32 s4, exec_lo
                                        ; implicit-def: $vgpr3
	v_and_b32_e32 v6, 0x7fffffff, v2
	v_cmpx_gt_u32_e32 0x47800000, v6
	s_xor_b32 s4, exec_lo, s4
	s_cbranch_execz .LBB48_1002
; %bb.997:
	s_mov_b32 s5, exec_lo
                                        ; implicit-def: $vgpr3
	v_cmpx_lt_u32_e32 0x387fffff, v6
	s_xor_b32 s5, exec_lo, s5
; %bb.998:
	v_bfe_u32 v3, v2, 21, 1
	v_add3_u32 v3, v2, v3, 0x80fffff
	v_lshrrev_b32_e32 v3, 21, v3
; %bb.999:
	s_andn2_saveexec_b32 s5, s5
; %bb.1000:
	v_add_f32_e64 v3, 0x43000000, |v2|
; %bb.1001:
	s_or_b32 exec_lo, exec_lo, s5
                                        ; implicit-def: $vgpr6
.LBB48_1002:
	s_andn2_saveexec_b32 s4, s4
; %bb.1003:
	v_mov_b32_e32 v3, 0x7f
	v_cmp_lt_u32_e32 vcc_lo, 0x7f800000, v6
	v_cndmask_b32_e32 v3, 0x7c, v3, vcc_lo
; %bb.1004:
	s_or_b32 exec_lo, exec_lo, s4
	v_lshrrev_b32_e32 v2, 24, v2
	v_and_or_b32 v2, 0x80, v2, v3
	global_store_byte v[4:5], v2, off
.LBB48_1005:
	s_mov_b32 s4, 0
.LBB48_1006:
	s_andn2_b32 vcc_lo, exec_lo, s4
	s_mov_b32 s4, 0
	s_cbranch_vccnz .LBB48_1014
; %bb.1007:
	s_cmp_gt_i32 s2, 14
	s_mov_b32 s4, -1
	s_cbranch_scc0 .LBB48_1011
; %bb.1008:
	s_cmp_eq_u32 s2, 15
	s_mov_b32 s0, -1
	s_cbranch_scc0 .LBB48_1010
; %bb.1009:
	v_cvt_f32_f64_e32 v2, v[0:1]
	s_mov_b32 s0, 0
	v_bfe_u32 v3, v2, 16, 1
	v_cmp_o_f32_e32 vcc_lo, v2, v2
	v_add3_u32 v2, v2, v3, 0x7fff
	v_mov_b32_e32 v3, 0x7fc0
	v_cndmask_b32_sdwa v2, v3, v2, vcc_lo dst_sel:DWORD dst_unused:UNUSED_PAD src0_sel:DWORD src1_sel:WORD_1
	global_store_short v[4:5], v2, off
.LBB48_1010:
	s_mov_b32 s4, 0
.LBB48_1011:
	s_and_b32 vcc_lo, exec_lo, s4
	s_mov_b32 s4, 0
	s_cbranch_vccz .LBB48_1014
; %bb.1012:
	s_cmp_lg_u32 s2, 11
	s_mov_b32 s4, -1
	s_cselect_b32 s2, -1, 0
	s_andn2_b32 s0, s0, exec_lo
	s_and_b32 s2, s2, exec_lo
	s_or_b32 s0, s0, s2
	s_branch .LBB48_1014
.LBB48_1013:
	s_mov_b32 s4, 0
.LBB48_1014:
	s_andn2_b32 s5, s17, exec_lo
	s_and_b32 s0, s0, exec_lo
	s_and_b32 s2, s3, exec_lo
	s_and_b32 s3, s4, exec_lo
	s_or_b32 s17, s5, s0
	s_or_b32 exec_lo, exec_lo, s19
	s_and_saveexec_b32 s0, s17
	s_cbranch_execz .LBB48_943
.LBB48_1015:
	s_or_b32 s18, s18, exec_lo
	s_andn2_b32 s3, s3, exec_lo
	s_trap 2
	s_or_b32 exec_lo, exec_lo, s0
	s_and_saveexec_b32 s0, s3
	s_xor_b32 s0, exec_lo, s0
	s_cbranch_execnz .LBB48_944
.LBB48_1016:
	s_or_b32 exec_lo, exec_lo, s0
	s_and_saveexec_b32 s0, s2
	s_xor_b32 s0, exec_lo, s0
	s_cbranch_execz .LBB48_1054
.LBB48_1017:
	s_sext_i32_i16 s3, s1
	s_mov_b32 s2, -1
	s_cmp_lt_i32 s3, 5
	s_cbranch_scc1 .LBB48_1038
; %bb.1018:
	s_cmp_lt_i32 s3, 8
	s_cbranch_scc1 .LBB48_1028
; %bb.1019:
	;; [unrolled: 3-line block ×3, first 2 shown]
	s_cmp_gt_i32 s3, 9
	s_cbranch_scc0 .LBB48_1022
; %bb.1021:
	s_waitcnt vmcnt(0)
	v_mov_b32_e32 v2, 0
	s_mov_b32 s2, 0
	v_mov_b32_e32 v3, v2
	global_store_dwordx4 v[4:5], v[0:3], off
.LBB48_1022:
	s_andn2_b32 vcc_lo, exec_lo, s2
	s_cbranch_vccnz .LBB48_1024
; %bb.1023:
	s_waitcnt vmcnt(0)
	v_cvt_f32_f64_e32 v2, v[0:1]
	v_mov_b32_e32 v3, 0
	global_store_dwordx2 v[4:5], v[2:3], off
.LBB48_1024:
	s_mov_b32 s2, 0
.LBB48_1025:
	s_andn2_b32 vcc_lo, exec_lo, s2
	s_cbranch_vccnz .LBB48_1027
; %bb.1026:
	s_waitcnt vmcnt(0)
	v_and_or_b32 v2, 0x1ff, v1, v0
	v_lshrrev_b32_e32 v3, 8, v1
	v_bfe_u32 v6, v1, 20, 11
	v_cmp_ne_u32_e32 vcc_lo, 0, v2
	v_sub_nc_u32_e32 v7, 0x3f1, v6
	v_add_nc_u32_e32 v6, 0xfffffc10, v6
	v_cndmask_b32_e64 v2, 0, 1, vcc_lo
	v_and_or_b32 v2, 0xffe, v3, v2
	v_med3_i32 v3, v7, 0, 13
	v_or_b32_e32 v7, 0x1000, v2
	v_lshrrev_b32_e32 v8, v3, v7
	v_lshlrev_b32_e32 v3, v3, v8
	v_cmp_ne_u32_e32 vcc_lo, v3, v7
	v_lshl_or_b32 v7, v6, 12, v2
	v_cndmask_b32_e64 v3, 0, 1, vcc_lo
	v_cmp_gt_i32_e32 vcc_lo, 1, v6
	v_or_b32_e32 v3, v8, v3
	v_cndmask_b32_e32 v3, v7, v3, vcc_lo
	v_and_b32_e32 v7, 7, v3
	v_lshrrev_b32_e32 v3, 2, v3
	v_cmp_lt_i32_e32 vcc_lo, 5, v7
	v_cndmask_b32_e64 v8, 0, 1, vcc_lo
	v_cmp_eq_u32_e32 vcc_lo, 3, v7
	v_cndmask_b32_e64 v7, 0, 1, vcc_lo
	v_cmp_ne_u32_e32 vcc_lo, 0, v2
	v_or_b32_e32 v7, v7, v8
	v_mov_b32_e32 v8, 0x7e00
	v_add_nc_u32_e32 v3, v3, v7
	v_cndmask_b32_e32 v2, 0x7c00, v8, vcc_lo
	v_cmp_gt_i32_e32 vcc_lo, 31, v6
	v_cndmask_b32_e32 v3, 0x7c00, v3, vcc_lo
	v_cmp_eq_u32_e32 vcc_lo, 0x40f, v6
	v_cndmask_b32_e32 v2, v3, v2, vcc_lo
	v_lshrrev_b32_e32 v3, 16, v1
	v_and_or_b32 v2, 0x8000, v3, v2
	v_and_b32_e32 v2, 0xffff, v2
	global_store_dword v[4:5], v2, off
.LBB48_1027:
	s_mov_b32 s2, 0
.LBB48_1028:
	s_andn2_b32 vcc_lo, exec_lo, s2
	s_cbranch_vccnz .LBB48_1037
; %bb.1029:
	s_sext_i32_i16 s3, s1
	s_mov_b32 s2, -1
	s_cmp_lt_i32 s3, 6
	s_cbranch_scc1 .LBB48_1035
; %bb.1030:
	s_cmp_gt_i32 s3, 6
	s_cbranch_scc0 .LBB48_1032
; %bb.1031:
	s_mov_b32 s2, 0
	s_waitcnt vmcnt(0)
	global_store_dwordx2 v[4:5], v[0:1], off
.LBB48_1032:
	s_andn2_b32 vcc_lo, exec_lo, s2
	s_cbranch_vccnz .LBB48_1034
; %bb.1033:
	s_waitcnt vmcnt(0)
	v_cvt_f32_f64_e32 v2, v[0:1]
	global_store_dword v[4:5], v2, off
.LBB48_1034:
	s_mov_b32 s2, 0
.LBB48_1035:
	s_andn2_b32 vcc_lo, exec_lo, s2
	s_cbranch_vccnz .LBB48_1037
; %bb.1036:
	s_waitcnt vmcnt(0)
	v_and_or_b32 v2, 0x1ff, v1, v0
	v_lshrrev_b32_e32 v3, 8, v1
	v_bfe_u32 v6, v1, 20, 11
	v_cmp_ne_u32_e32 vcc_lo, 0, v2
	v_sub_nc_u32_e32 v7, 0x3f1, v6
	v_add_nc_u32_e32 v6, 0xfffffc10, v6
	v_cndmask_b32_e64 v2, 0, 1, vcc_lo
	v_and_or_b32 v2, 0xffe, v3, v2
	v_med3_i32 v3, v7, 0, 13
	v_or_b32_e32 v7, 0x1000, v2
	v_lshrrev_b32_e32 v8, v3, v7
	v_lshlrev_b32_e32 v3, v3, v8
	v_cmp_ne_u32_e32 vcc_lo, v3, v7
	v_lshl_or_b32 v7, v6, 12, v2
	v_cndmask_b32_e64 v3, 0, 1, vcc_lo
	v_cmp_gt_i32_e32 vcc_lo, 1, v6
	v_or_b32_e32 v3, v8, v3
	v_cndmask_b32_e32 v3, v7, v3, vcc_lo
	v_and_b32_e32 v7, 7, v3
	v_lshrrev_b32_e32 v3, 2, v3
	v_cmp_lt_i32_e32 vcc_lo, 5, v7
	v_cndmask_b32_e64 v8, 0, 1, vcc_lo
	v_cmp_eq_u32_e32 vcc_lo, 3, v7
	v_cndmask_b32_e64 v7, 0, 1, vcc_lo
	v_cmp_ne_u32_e32 vcc_lo, 0, v2
	v_or_b32_e32 v7, v7, v8
	v_mov_b32_e32 v8, 0x7e00
	v_add_nc_u32_e32 v3, v3, v7
	v_cndmask_b32_e32 v2, 0x7c00, v8, vcc_lo
	v_cmp_gt_i32_e32 vcc_lo, 31, v6
	v_cndmask_b32_e32 v3, 0x7c00, v3, vcc_lo
	v_cmp_eq_u32_e32 vcc_lo, 0x40f, v6
	v_cndmask_b32_e32 v2, v3, v2, vcc_lo
	v_lshrrev_b32_e32 v3, 16, v1
	v_and_or_b32 v2, 0x8000, v3, v2
	global_store_short v[4:5], v2, off
.LBB48_1037:
	s_mov_b32 s2, 0
.LBB48_1038:
	s_andn2_b32 vcc_lo, exec_lo, s2
	s_cbranch_vccnz .LBB48_1054
; %bb.1039:
	s_sext_i32_i16 s3, s1
	s_mov_b32 s2, -1
	s_cmp_lt_i32 s3, 2
	s_cbranch_scc1 .LBB48_1049
; %bb.1040:
	s_cmp_lt_i32 s3, 3
	s_cbranch_scc1 .LBB48_1046
; %bb.1041:
	s_cmp_gt_i32 s3, 3
	s_cbranch_scc0 .LBB48_1043
; %bb.1042:
	s_waitcnt vmcnt(0)
	v_trunc_f64_e32 v[2:3], v[0:1]
	s_mov_b32 s2, 0
	v_ldexp_f64 v[6:7], v[2:3], 0xffffffe0
	v_floor_f64_e32 v[6:7], v[6:7]
	v_fma_f64 v[2:3], 0xc1f00000, v[6:7], v[2:3]
	v_cvt_i32_f64_e32 v7, v[6:7]
	v_cvt_u32_f64_e32 v6, v[2:3]
	global_store_dwordx2 v[4:5], v[6:7], off
.LBB48_1043:
	s_andn2_b32 vcc_lo, exec_lo, s2
	s_cbranch_vccnz .LBB48_1045
; %bb.1044:
	s_waitcnt vmcnt(0)
	v_cvt_i32_f64_e32 v2, v[0:1]
	global_store_dword v[4:5], v2, off
.LBB48_1045:
	s_mov_b32 s2, 0
.LBB48_1046:
	s_andn2_b32 vcc_lo, exec_lo, s2
	s_cbranch_vccnz .LBB48_1048
; %bb.1047:
	s_waitcnt vmcnt(0)
	v_cvt_i32_f64_e32 v2, v[0:1]
	global_store_short v[4:5], v2, off
.LBB48_1048:
	s_mov_b32 s2, 0
.LBB48_1049:
	s_andn2_b32 vcc_lo, exec_lo, s2
	s_cbranch_vccnz .LBB48_1054
; %bb.1050:
	s_sext_i32_i16 s1, s1
	s_cmp_gt_i32 s1, 0
	s_mov_b32 s1, -1
	s_cbranch_scc0 .LBB48_1052
; %bb.1051:
	s_waitcnt vmcnt(0)
	v_cvt_i32_f64_e32 v2, v[0:1]
	s_mov_b32 s1, 0
	global_store_byte v[4:5], v2, off
.LBB48_1052:
	s_andn2_b32 vcc_lo, exec_lo, s1
	s_cbranch_vccnz .LBB48_1054
; %bb.1053:
	s_waitcnt vmcnt(0)
	v_trunc_f64_e32 v[0:1], v[0:1]
	v_ldexp_f64 v[2:3], v[0:1], 0xffffffe0
	v_floor_f64_e32 v[2:3], v[2:3]
	v_fma_f64 v[0:1], 0xc1f00000, v[2:3], v[0:1]
	v_cvt_u32_f64_e32 v0, v[0:1]
	global_store_byte v[4:5], v0, off
.LBB48_1054:
	s_or_b32 exec_lo, exec_lo, s0
	s_and_b32 s17, s18, exec_lo
                                        ; implicit-def: $vgpr26
.LBB48_1055:
	s_or_saveexec_b32 s16, s16
	s_mov_b32 s0, 0
                                        ; implicit-def: $sgpr18
                                        ; implicit-def: $vgpr4_vgpr5
                                        ; implicit-def: $vgpr0_vgpr1
	s_xor_b32 exec_lo, exec_lo, s16
	s_cbranch_execz .LBB48_2031
; %bb.1056:
	v_mul_lo_u32 v8, s13, v26
	s_and_b32 s2, 0xffff, s15
	s_cmp_lt_i32 s2, 11
	s_waitcnt vmcnt(0)
	v_ashrrev_i32_e32 v0, 31, v8
	v_add_co_u32 v2, vcc_lo, s10, v8
	v_add_co_ci_u32_e64 v3, null, s11, v0, vcc_lo
	s_cbranch_scc1 .LBB48_1063
; %bb.1057:
	s_cmp_gt_i32 s2, 25
	s_mov_b32 s1, 0
	s_cbranch_scc0 .LBB48_1065
; %bb.1058:
	s_cmp_gt_i32 s2, 28
	s_cbranch_scc0 .LBB48_1066
; %bb.1059:
	s_cmp_gt_i32 s2, 43
	;; [unrolled: 3-line block ×3, first 2 shown]
	s_cbranch_scc0 .LBB48_1068
; %bb.1061:
	s_cmp_eq_u32 s2, 46
	s_mov_b32 s4, 0
	s_cbranch_scc0 .LBB48_1071
; %bb.1062:
	global_load_dword v0, v[2:3], off
	s_mov_b32 s3, -1
	s_waitcnt vmcnt(0)
	v_lshlrev_b32_e32 v0, 16, v0
	v_cvt_f64_f32_e32 v[0:1], v0
	s_branch .LBB48_1073
.LBB48_1063:
	s_mov_b32 s3, 0
	s_mov_b32 s14, s17
                                        ; implicit-def: $vgpr0_vgpr1
	s_cbranch_execnz .LBB48_1136
.LBB48_1064:
	s_andn2_b32 vcc_lo, exec_lo, s3
                                        ; implicit-def: $vgpr2_vgpr3
	s_cbranch_vccz .LBB48_1181
	s_branch .LBB48_2029
.LBB48_1065:
	s_mov_b32 s3, 0
                                        ; implicit-def: $vgpr0_vgpr1
	s_cbranch_execnz .LBB48_1103
	s_branch .LBB48_1132
.LBB48_1066:
	s_mov_b32 s4, -1
	s_mov_b32 s3, 0
                                        ; implicit-def: $vgpr0_vgpr1
	s_branch .LBB48_1082
.LBB48_1067:
	s_mov_b32 s3, 0
                                        ; implicit-def: $vgpr0_vgpr1
	s_cbranch_execnz .LBB48_1078
	s_branch .LBB48_1081
.LBB48_1068:
	s_mov_b32 s4, -1
	s_branch .LBB48_1072
.LBB48_1069:
	s_andn2_saveexec_b32 s5, s5
	s_cbranch_execz .LBB48_968
.LBB48_1070:
	v_add_f32_e64 v3, 0x46000000, |v2|
	s_andn2_b32 s4, s4, exec_lo
	v_and_b32_e32 v3, 0xff, v3
	v_cmp_ne_u32_e32 vcc_lo, 0, v3
	s_and_b32 s6, vcc_lo, exec_lo
	s_or_b32 s4, s4, s6
	s_or_b32 exec_lo, exec_lo, s5
	v_mov_b32_e32 v6, 0
	s_and_saveexec_b32 s5, s4
	s_cbranch_execnz .LBB48_969
	s_branch .LBB48_970
.LBB48_1071:
	s_mov_b32 s0, -1
.LBB48_1072:
	s_mov_b32 s3, 0
                                        ; implicit-def: $vgpr0_vgpr1
.LBB48_1073:
	s_and_b32 vcc_lo, exec_lo, s4
	s_cbranch_vccz .LBB48_1076
; %bb.1074:
	s_cmp_eq_u32 s2, 44
	s_cbranch_scc0 .LBB48_1077
; %bb.1075:
	global_load_ubyte v4, v[2:3], off
	s_mov_b32 s0, 0
	s_mov_b32 s3, -1
	s_waitcnt vmcnt(0)
	v_lshlrev_b32_e32 v0, 23, v4
	v_cmp_ne_u32_e32 vcc_lo, 0xff, v4
	v_cvt_f64_f32_e32 v[0:1], v0
	v_cndmask_b32_e32 v0, 0x20000000, v0, vcc_lo
	v_cndmask_b32_e32 v1, 0x7ff80000, v1, vcc_lo
	v_cmp_ne_u32_e32 vcc_lo, 0, v4
	v_cndmask_b32_e32 v1, 0x38000000, v1, vcc_lo
	v_cndmask_b32_e32 v0, 0, v0, vcc_lo
.LBB48_1076:
	s_branch .LBB48_1081
.LBB48_1077:
	s_mov_b32 s0, -1
                                        ; implicit-def: $vgpr0_vgpr1
	s_branch .LBB48_1081
.LBB48_1078:
	s_cmp_eq_u32 s2, 29
	s_cbranch_scc0 .LBB48_1080
; %bb.1079:
	global_load_dwordx2 v[0:1], v[2:3], off
	s_mov_b32 s0, 0
	s_mov_b32 s3, -1
	s_mov_b32 s4, 0
	s_waitcnt vmcnt(0)
	v_cvt_f64_u32_e32 v[4:5], v1
	v_cvt_f64_u32_e32 v[0:1], v0
	v_ldexp_f64 v[4:5], v[4:5], 32
	v_add_f64 v[0:1], v[4:5], v[0:1]
	s_branch .LBB48_1082
.LBB48_1080:
	s_mov_b32 s0, -1
                                        ; implicit-def: $vgpr0_vgpr1
.LBB48_1081:
	s_mov_b32 s4, 0
.LBB48_1082:
	s_and_b32 vcc_lo, exec_lo, s4
	s_cbranch_vccz .LBB48_1102
; %bb.1083:
	s_cmp_lt_i32 s2, 27
	s_cbranch_scc1 .LBB48_1086
; %bb.1084:
	s_cmp_gt_i32 s2, 27
	s_cbranch_scc0 .LBB48_1087
; %bb.1085:
	global_load_dword v0, v[2:3], off
	s_mov_b32 s3, 0
	s_waitcnt vmcnt(0)
	v_cvt_f64_u32_e32 v[0:1], v0
	s_branch .LBB48_1088
.LBB48_1086:
	s_mov_b32 s3, -1
                                        ; implicit-def: $vgpr0_vgpr1
	s_branch .LBB48_1091
.LBB48_1087:
	s_mov_b32 s3, -1
                                        ; implicit-def: $vgpr0_vgpr1
.LBB48_1088:
	s_andn2_b32 vcc_lo, exec_lo, s3
	s_cbranch_vccnz .LBB48_1090
; %bb.1089:
	global_load_ushort v0, v[2:3], off
	s_waitcnt vmcnt(0)
	v_cvt_f64_u32_e32 v[0:1], v0
.LBB48_1090:
	s_mov_b32 s3, 0
.LBB48_1091:
	s_andn2_b32 vcc_lo, exec_lo, s3
	s_cbranch_vccnz .LBB48_1101
; %bb.1092:
	global_load_ubyte v4, v[2:3], off
	s_mov_b32 s3, 0
	s_mov_b32 s4, exec_lo
	s_waitcnt vmcnt(0)
	v_cmpx_lt_i16_e32 0x7f, v4
	s_xor_b32 s4, exec_lo, s4
	s_cbranch_execz .LBB48_1096
; %bb.1093:
	s_mov_b32 s3, -1
	s_mov_b32 s5, exec_lo
	v_cmpx_eq_u16_e32 0x80, v4
; %bb.1094:
	s_xor_b32 s3, exec_lo, -1
; %bb.1095:
	s_or_b32 exec_lo, exec_lo, s5
	s_and_b32 s3, s3, exec_lo
.LBB48_1096:
	s_or_saveexec_b32 s4, s4
	v_bfrev_b32_e32 v0, 4
	v_mov_b32_e32 v1, 0x7ff80000
	s_xor_b32 exec_lo, exec_lo, s4
; %bb.1097:
	v_cmp_ne_u16_e32 vcc_lo, 0, v4
	v_mov_b32_e32 v0, 0
	v_mov_b32_e32 v1, 0
	s_andn2_b32 s3, s3, exec_lo
	s_and_b32 s5, vcc_lo, exec_lo
	s_or_b32 s3, s3, s5
; %bb.1098:
	s_or_b32 exec_lo, exec_lo, s4
	s_and_saveexec_b32 s4, s3
	s_cbranch_execz .LBB48_1100
; %bb.1099:
	v_and_b32_e32 v0, 0xffff, v4
	v_lshlrev_b32_e32 v4, 24, v4
	v_and_b32_e32 v1, 7, v0
	v_bfe_u32 v7, v0, 3, 4
	v_ffbh_u32_e32 v5, v1
	v_cmp_eq_u32_e32 vcc_lo, 0, v7
	v_min_u32_e32 v5, 32, v5
	v_subrev_nc_u32_e32 v6, 28, v5
	v_sub_nc_u32_e32 v5, 29, v5
	v_lshlrev_b32_e32 v0, v6, v0
	v_cndmask_b32_e32 v5, v7, v5, vcc_lo
	v_and_b32_e32 v0, 7, v0
	v_cndmask_b32_e32 v0, v1, v0, vcc_lo
	v_and_b32_e32 v1, 0x80000000, v4
	v_lshl_add_u32 v4, v5, 23, 0x3b800000
	v_lshlrev_b32_e32 v0, 20, v0
	v_or3_b32 v0, v1, v4, v0
	v_cvt_f64_f32_e32 v[0:1], v0
.LBB48_1100:
	s_or_b32 exec_lo, exec_lo, s4
.LBB48_1101:
	s_mov_b32 s3, -1
.LBB48_1102:
	s_branch .LBB48_1132
.LBB48_1103:
	s_cmp_gt_i32 s2, 22
	s_cbranch_scc0 .LBB48_1115
; %bb.1104:
	s_cmp_lt_i32 s2, 24
	s_cbranch_scc1 .LBB48_1116
; %bb.1105:
	s_cmp_gt_i32 s2, 24
	s_cbranch_scc0 .LBB48_1117
; %bb.1106:
	global_load_ubyte v4, v[2:3], off
	s_mov_b32 s3, exec_lo
	s_waitcnt vmcnt(0)
	v_cmpx_lt_i16_e32 0x7f, v4
	s_xor_b32 s3, exec_lo, s3
	s_cbranch_execz .LBB48_1110
; %bb.1107:
	s_mov_b32 s1, -1
	s_mov_b32 s4, exec_lo
	v_cmpx_eq_u16_e32 0x80, v4
; %bb.1108:
	s_xor_b32 s1, exec_lo, -1
; %bb.1109:
	s_or_b32 exec_lo, exec_lo, s4
	s_and_b32 s1, s1, exec_lo
.LBB48_1110:
	s_or_saveexec_b32 s3, s3
	v_bfrev_b32_e32 v0, 4
	v_mov_b32_e32 v1, 0x7ff80000
	s_xor_b32 exec_lo, exec_lo, s3
; %bb.1111:
	v_cmp_ne_u16_e32 vcc_lo, 0, v4
	v_mov_b32_e32 v0, 0
	v_mov_b32_e32 v1, 0
	s_andn2_b32 s1, s1, exec_lo
	s_and_b32 s4, vcc_lo, exec_lo
	s_or_b32 s1, s1, s4
; %bb.1112:
	s_or_b32 exec_lo, exec_lo, s3
	s_and_saveexec_b32 s3, s1
	s_cbranch_execz .LBB48_1114
; %bb.1113:
	v_and_b32_e32 v0, 0xffff, v4
	v_lshlrev_b32_e32 v4, 24, v4
	v_and_b32_e32 v1, 3, v0
	v_bfe_u32 v7, v0, 2, 5
	v_ffbh_u32_e32 v5, v1
	v_cmp_eq_u32_e32 vcc_lo, 0, v7
	v_min_u32_e32 v5, 32, v5
	v_subrev_nc_u32_e32 v6, 29, v5
	v_sub_nc_u32_e32 v5, 30, v5
	v_lshlrev_b32_e32 v0, v6, v0
	v_cndmask_b32_e32 v5, v7, v5, vcc_lo
	v_and_b32_e32 v0, 3, v0
	v_cndmask_b32_e32 v0, v1, v0, vcc_lo
	v_and_b32_e32 v1, 0x80000000, v4
	v_lshl_add_u32 v4, v5, 23, 0x37800000
	v_lshlrev_b32_e32 v0, 21, v0
	v_or3_b32 v0, v1, v4, v0
	v_cvt_f64_f32_e32 v[0:1], v0
.LBB48_1114:
	s_or_b32 exec_lo, exec_lo, s3
	s_mov_b32 s1, 0
	s_branch .LBB48_1118
.LBB48_1115:
                                        ; implicit-def: $vgpr0_vgpr1
	s_mov_b32 s1, 0
	s_branch .LBB48_1124
.LBB48_1116:
	s_mov_b32 s1, -1
                                        ; implicit-def: $vgpr0_vgpr1
	s_branch .LBB48_1121
.LBB48_1117:
	s_mov_b32 s1, -1
                                        ; implicit-def: $vgpr0_vgpr1
.LBB48_1118:
	s_and_b32 vcc_lo, exec_lo, s1
	s_cbranch_vccz .LBB48_1120
; %bb.1119:
	global_load_ubyte v0, v[2:3], off
	s_waitcnt vmcnt(0)
	v_lshlrev_b32_e32 v0, 24, v0
	v_and_b32_e32 v1, 0x7f000000, v0
	v_ffbh_u32_e32 v4, v1
	v_add_nc_u32_e32 v6, 0x1000000, v1
	v_cmp_ne_u32_e32 vcc_lo, 0, v1
	v_min_u32_e32 v4, 32, v4
	v_sub_nc_u32_e64 v4, v4, 4 clamp
	v_lshlrev_b32_e32 v5, v4, v1
	v_lshlrev_b32_e32 v4, 23, v4
	v_lshrrev_b32_e32 v5, 4, v5
	v_sub_nc_u32_e32 v4, v5, v4
	v_ashrrev_i32_e32 v5, 8, v6
	v_add_nc_u32_e32 v4, 0x3c000000, v4
	v_and_or_b32 v4, 0x7f800000, v5, v4
	v_cndmask_b32_e32 v1, 0, v4, vcc_lo
	v_and_or_b32 v0, 0x80000000, v0, v1
	v_cvt_f64_f32_e32 v[0:1], v0
.LBB48_1120:
	s_mov_b32 s1, 0
.LBB48_1121:
	s_andn2_b32 vcc_lo, exec_lo, s1
	s_cbranch_vccnz .LBB48_1123
; %bb.1122:
	global_load_ubyte v0, v[2:3], off
	s_waitcnt vmcnt(0)
	v_lshlrev_b32_e32 v1, 25, v0
	v_lshlrev_b16 v0, 8, v0
	v_lshrrev_b32_e32 v4, 4, v1
	v_and_or_b32 v5, 0x7f00, v0, 0.5
	v_cmp_gt_u32_e32 vcc_lo, 0x8000000, v1
	v_bfe_i32 v0, v0, 0, 16
	v_or_b32_e32 v4, 0x70000000, v4
	v_add_f32_e32 v5, -0.5, v5
	v_mul_f32_e32 v4, 0x7800000, v4
	v_cndmask_b32_e32 v1, v4, v5, vcc_lo
	v_and_or_b32 v0, 0x80000000, v0, v1
	v_cvt_f64_f32_e32 v[0:1], v0
.LBB48_1123:
	s_mov_b32 s3, -1
	s_mov_b32 s1, 0
	s_cbranch_execnz .LBB48_1132
.LBB48_1124:
	s_cmp_gt_i32 s2, 14
	s_cbranch_scc0 .LBB48_1127
; %bb.1125:
	s_cmp_eq_u32 s2, 15
	s_cbranch_scc0 .LBB48_1128
; %bb.1126:
	global_load_ushort v0, v[2:3], off
	s_mov_b32 s0, 0
	s_mov_b32 s3, -1
	s_waitcnt vmcnt(0)
	v_lshlrev_b32_e32 v0, 16, v0
	v_cvt_f64_f32_e32 v[0:1], v0
	s_branch .LBB48_1130
.LBB48_1127:
	s_mov_b32 s1, -1
	s_branch .LBB48_1129
.LBB48_1128:
	s_mov_b32 s0, -1
.LBB48_1129:
                                        ; implicit-def: $vgpr0_vgpr1
.LBB48_1130:
	s_and_b32 vcc_lo, exec_lo, s1
	s_mov_b32 s1, 0
	s_cbranch_vccz .LBB48_1132
; %bb.1131:
	s_cmp_lg_u32 s2, 11
	s_mov_b32 s1, -1
	s_cselect_b32 s0, -1, 0
.LBB48_1132:
	s_and_b32 vcc_lo, exec_lo, s0
	s_mov_b32 s14, s17
	s_cbranch_vccnz .LBB48_1199
; %bb.1133:
	s_andn2_b32 vcc_lo, exec_lo, s1
	s_cbranch_vccnz .LBB48_1135
.LBB48_1134:
	global_load_ubyte v0, v[2:3], off
	s_mov_b32 s3, -1
	s_waitcnt vmcnt(0)
	v_cmp_ne_u16_e32 vcc_lo, 0, v0
	v_mov_b32_e32 v0, 0
	v_cndmask_b32_e64 v1, 0, 0x3ff00000, vcc_lo
.LBB48_1135:
	s_branch .LBB48_1064
.LBB48_1136:
	s_cmp_lt_i32 s2, 5
	s_cbranch_scc1 .LBB48_1141
; %bb.1137:
	s_cmp_lt_i32 s2, 8
	s_cbranch_scc1 .LBB48_1142
; %bb.1138:
	;; [unrolled: 3-line block ×3, first 2 shown]
	s_cmp_gt_i32 s2, 9
	s_cbranch_scc0 .LBB48_1144
; %bb.1140:
	global_load_dwordx2 v[0:1], v[2:3], off
	s_mov_b32 s0, 0
	s_branch .LBB48_1145
.LBB48_1141:
                                        ; implicit-def: $vgpr0_vgpr1
	s_branch .LBB48_1162
.LBB48_1142:
                                        ; implicit-def: $vgpr0_vgpr1
	s_branch .LBB48_1151
.LBB48_1143:
	s_mov_b32 s0, -1
                                        ; implicit-def: $vgpr0_vgpr1
	s_branch .LBB48_1148
.LBB48_1144:
	s_mov_b32 s0, -1
                                        ; implicit-def: $vgpr0_vgpr1
.LBB48_1145:
	s_andn2_b32 vcc_lo, exec_lo, s0
	s_cbranch_vccnz .LBB48_1147
; %bb.1146:
	global_load_dword v0, v[2:3], off
	s_waitcnt vmcnt(0)
	v_cvt_f64_f32_e32 v[0:1], v0
.LBB48_1147:
	s_mov_b32 s0, 0
.LBB48_1148:
	s_andn2_b32 vcc_lo, exec_lo, s0
	s_cbranch_vccnz .LBB48_1150
; %bb.1149:
	global_load_dword v0, v[2:3], off
	s_waitcnt vmcnt(0)
	v_cvt_f32_f16_e32 v0, v0
	v_cvt_f64_f32_e32 v[0:1], v0
.LBB48_1150:
	s_cbranch_execnz .LBB48_1161
.LBB48_1151:
	s_cmp_lt_i32 s2, 6
	s_cbranch_scc1 .LBB48_1154
; %bb.1152:
	s_cmp_gt_i32 s2, 6
	s_cbranch_scc0 .LBB48_1155
; %bb.1153:
	global_load_dwordx2 v[0:1], v[2:3], off
	s_mov_b32 s0, 0
	s_branch .LBB48_1156
.LBB48_1154:
	s_mov_b32 s0, -1
                                        ; implicit-def: $vgpr0_vgpr1
	s_branch .LBB48_1159
.LBB48_1155:
	s_mov_b32 s0, -1
                                        ; implicit-def: $vgpr0_vgpr1
.LBB48_1156:
	s_andn2_b32 vcc_lo, exec_lo, s0
	s_cbranch_vccnz .LBB48_1158
; %bb.1157:
	global_load_dword v0, v[2:3], off
	s_waitcnt vmcnt(0)
	v_cvt_f64_f32_e32 v[0:1], v0
.LBB48_1158:
	s_mov_b32 s0, 0
.LBB48_1159:
	s_andn2_b32 vcc_lo, exec_lo, s0
	s_cbranch_vccnz .LBB48_1161
; %bb.1160:
	global_load_ushort v0, v[2:3], off
	s_waitcnt vmcnt(0)
	v_cvt_f32_f16_e32 v0, v0
	v_cvt_f64_f32_e32 v[0:1], v0
.LBB48_1161:
	s_cbranch_execnz .LBB48_1180
.LBB48_1162:
	s_cmp_lt_i32 s2, 2
	s_cbranch_scc1 .LBB48_1166
; %bb.1163:
	s_cmp_lt_i32 s2, 3
	s_cbranch_scc1 .LBB48_1167
; %bb.1164:
	s_cmp_gt_i32 s2, 3
	s_cbranch_scc0 .LBB48_1168
; %bb.1165:
	global_load_dwordx2 v[0:1], v[2:3], off
	s_mov_b32 s0, 0
	s_waitcnt vmcnt(0)
	v_cvt_f64_i32_e32 v[4:5], v1
	v_cvt_f64_u32_e32 v[0:1], v0
	v_ldexp_f64 v[4:5], v[4:5], 32
	v_add_f64 v[0:1], v[4:5], v[0:1]
	s_branch .LBB48_1169
.LBB48_1166:
                                        ; implicit-def: $vgpr0_vgpr1
	s_branch .LBB48_1175
.LBB48_1167:
	s_mov_b32 s0, -1
                                        ; implicit-def: $vgpr0_vgpr1
	s_branch .LBB48_1172
.LBB48_1168:
	s_mov_b32 s0, -1
                                        ; implicit-def: $vgpr0_vgpr1
.LBB48_1169:
	s_andn2_b32 vcc_lo, exec_lo, s0
	s_cbranch_vccnz .LBB48_1171
; %bb.1170:
	global_load_dword v0, v[2:3], off
	s_waitcnt vmcnt(0)
	v_cvt_f64_i32_e32 v[0:1], v0
.LBB48_1171:
	s_mov_b32 s0, 0
.LBB48_1172:
	s_andn2_b32 vcc_lo, exec_lo, s0
	s_cbranch_vccnz .LBB48_1174
; %bb.1173:
	global_load_sshort v0, v[2:3], off
	s_waitcnt vmcnt(0)
	v_cvt_f64_i32_e32 v[0:1], v0
.LBB48_1174:
	s_cbranch_execnz .LBB48_1180
.LBB48_1175:
	s_cmp_gt_i32 s2, 0
	s_mov_b32 s0, 0
	s_cbranch_scc0 .LBB48_1177
; %bb.1176:
	global_load_sbyte v0, v[2:3], off
	s_waitcnt vmcnt(0)
	v_cvt_f64_i32_e32 v[0:1], v0
	s_branch .LBB48_1178
.LBB48_1177:
	s_mov_b32 s0, -1
                                        ; implicit-def: $vgpr0_vgpr1
.LBB48_1178:
	s_andn2_b32 vcc_lo, exec_lo, s0
	s_cbranch_vccnz .LBB48_1180
; %bb.1179:
	global_load_ubyte v0, v[2:3], off
	s_waitcnt vmcnt(0)
	v_cvt_f64_u32_e32 v[0:1], v0
.LBB48_1180:
                                        ; implicit-def: $vgpr2_vgpr3
.LBB48_1181:
	v_mov_b32_e32 v18, 0
	v_mov_b32_e32 v2, 0
	v_mov_b32_e32 v19, 0
	v_mov_b32_e32 v3, 0x3ff00000
	s_mov_b32 s3, exec_lo
	s_waitcnt vmcnt(0)
	v_cmpx_gt_f64_e32 0.5, v[0:1]
	s_cbranch_execz .LBB48_1187
; %bb.1182:
	s_mov_b32 s1, 0x400921fb
	s_mov_b32 s0, 0x54442d18
	s_mov_b32 s4, exec_lo
	v_mul_f64 v[2:3], v[0:1], s[0:1]
                                        ; implicit-def: $vgpr9
                                        ; implicit-def: $vgpr4_vgpr5
                                        ; implicit-def: $vgpr6_vgpr7
	v_cmpx_ngt_f64_e64 0x41d00000, |v[2:3]|
	s_xor_b32 s4, exec_lo, s4
	s_cbranch_execz .LBB48_1184
; %bb.1183:
	v_ldexp_f64 v[4:5], |v[2:3]|, 0xffffff80
	v_cmp_le_f64_e64 vcc_lo, 0x7b000000, |v[2:3]|
	v_trig_preop_f64 v[6:7], |v[2:3]|, 0
	v_and_b32_e32 v9, 0x7fffffff, v3
	v_trig_preop_f64 v[19:20], |v[2:3]|, 2
	v_mov_b32_e32 v29, 0
	s_mov_b32 s1, 0x3ff921fb
	s_mov_b32 s18, 0x33145c07
	;; [unrolled: 1-line block ×3, first 2 shown]
	v_cndmask_b32_e32 v5, v9, v5, vcc_lo
	v_cndmask_b32_e32 v4, v2, v4, vcc_lo
	v_trig_preop_f64 v[9:10], |v[2:3]|, 1
	v_mul_f64 v[11:12], v[6:7], v[4:5]
	v_mul_f64 v[27:28], v[19:20], v[4:5]
	;; [unrolled: 1-line block ×3, first 2 shown]
	v_fma_f64 v[6:7], v[6:7], v[4:5], -v[11:12]
	v_fma_f64 v[9:10], v[9:10], v[4:5], -v[13:14]
	;; [unrolled: 1-line block ×3, first 2 shown]
	v_add_f64 v[15:16], v[13:14], v[6:7]
	v_add_f64 v[17:18], v[15:16], -v[13:14]
	v_add_f64 v[23:24], v[11:12], v[15:16]
	v_add_f64 v[21:22], v[15:16], -v[17:18]
	v_add_f64 v[6:7], v[6:7], -v[17:18]
	v_ldexp_f64 v[17:18], v[23:24], -2
	v_add_f64 v[11:12], v[23:24], -v[11:12]
	v_add_f64 v[13:14], v[13:14], -v[21:22]
	v_add_f64 v[21:22], v[27:28], v[9:10]
	v_cmp_neq_f64_e64 vcc_lo, 0x7ff00000, |v[17:18]|
	v_add_f64 v[11:12], v[15:16], -v[11:12]
	v_add_f64 v[6:7], v[6:7], v[13:14]
	v_fract_f64_e32 v[13:14], v[17:18]
	v_add_f64 v[15:16], v[21:22], v[6:7]
	v_ldexp_f64 v[13:14], v[13:14], 2
	v_add_f64 v[17:18], v[11:12], v[15:16]
	v_cndmask_b32_e32 v14, 0, v14, vcc_lo
	v_cndmask_b32_e32 v13, 0, v13, vcc_lo
	v_add_f64 v[23:24], v[17:18], v[13:14]
	v_add_f64 v[11:12], v[17:18], -v[11:12]
	v_cmp_gt_f64_e32 vcc_lo, 0, v[23:24]
	v_add_f64 v[23:24], v[21:22], -v[27:28]
	v_cndmask_b32_e64 v30, 0, 0x40100000, vcc_lo
	v_add_f64 v[34:35], v[21:22], -v[23:24]
	v_add_f64 v[9:10], v[9:10], -v[23:24]
	v_add_f64 v[13:14], v[13:14], v[29:30]
	v_add_f64 v[30:31], v[15:16], -v[21:22]
	v_add_f64 v[23:24], v[27:28], -v[34:35]
	v_add_f64 v[32:33], v[17:18], v[13:14]
	;; [unrolled: 3-line block ×3, first 2 shown]
	v_cvt_i32_f64_e32 v25, v[32:33]
	v_add_f64 v[21:22], v[21:22], -v[36:37]
	v_cvt_f64_i32_e32 v[30:31], v25
	v_add_f64 v[6:7], v[6:7], v[21:22]
	v_add_f64 v[13:14], v[13:14], -v[30:31]
	v_add_f64 v[6:7], v[9:10], v[6:7]
	v_add_f64 v[9:10], v[15:16], -v[11:12]
	v_add_f64 v[19:20], v[17:18], v[13:14]
	v_add_f64 v[4:5], v[4:5], v[6:7]
	v_add_f64 v[6:7], v[19:20], -v[13:14]
	v_cmp_le_f64_e32 vcc_lo, 0.5, v[19:20]
	v_add_f64 v[4:5], v[9:10], v[4:5]
	v_add_f64 v[6:7], v[17:18], -v[6:7]
	v_cndmask_b32_e64 v30, 0, 0x3ff00000, vcc_lo
	v_add_co_ci_u32_e64 v9, null, 0, v25, vcc_lo
	v_add_f64 v[4:5], v[4:5], v[6:7]
	v_add_f64 v[6:7], v[19:20], -v[29:30]
	v_add_f64 v[10:11], v[6:7], v[4:5]
	v_mul_f64 v[12:13], v[10:11], s[0:1]
	v_add_f64 v[6:7], v[10:11], -v[6:7]
	v_fma_f64 v[14:15], v[10:11], s[0:1], -v[12:13]
	v_add_f64 v[4:5], v[4:5], -v[6:7]
	v_fma_f64 v[6:7], v[10:11], s[18:19], v[14:15]
	v_fma_f64 v[6:7], v[4:5], s[0:1], v[6:7]
	v_add_f64 v[4:5], v[12:13], v[6:7]
	v_add_f64 v[10:11], v[4:5], -v[12:13]
	v_add_f64 v[6:7], v[6:7], -v[10:11]
.LBB48_1184:
	s_andn2_saveexec_b32 s0, s4
	s_cbranch_execz .LBB48_1186
; %bb.1185:
	s_mov_b32 s4, 0x6dc9c883
	s_mov_b32 s5, 0x3fe45f30
	s_mov_b32 s19, 0xbc91a626
	v_mul_f64 v[4:5], |v[2:3]|, s[4:5]
	s_mov_b32 s4, 0x54442d18
	s_mov_b32 s5, 0xbff921fb
	;; [unrolled: 1-line block ×3, first 2 shown]
	v_rndne_f64_e32 v[9:10], v[4:5]
	v_fma_f64 v[4:5], v[9:10], s[4:5], |v[2:3]|
	v_mul_f64 v[6:7], v[9:10], s[18:19]
	s_mov_b32 s4, 0x252049c0
	s_mov_b32 s5, 0xb97b839a
	v_fma_f64 v[13:14], v[9:10], s[18:19], v[4:5]
	v_add_f64 v[11:12], v[4:5], v[6:7]
	s_mov_b32 s19, 0x3c91a626
	v_add_f64 v[4:5], v[4:5], -v[11:12]
	v_add_f64 v[11:12], v[11:12], -v[13:14]
	v_add_f64 v[4:5], v[4:5], v[6:7]
	v_fma_f64 v[6:7], v[9:10], s[18:19], v[6:7]
	v_add_f64 v[4:5], v[11:12], v[4:5]
	v_add_f64 v[4:5], v[4:5], -v[6:7]
	v_fma_f64 v[6:7], v[9:10], s[4:5], v[4:5]
	v_cvt_i32_f64_e32 v9, v[9:10]
	v_add_f64 v[4:5], v[13:14], v[6:7]
	v_add_f64 v[11:12], v[4:5], -v[13:14]
	v_add_f64 v[6:7], v[6:7], -v[11:12]
.LBB48_1186:
	s_or_b32 exec_lo, exec_lo, s0
	v_mul_f64 v[10:11], v[4:5], v[4:5]
	s_mov_b32 s0, 0xb42fdfa7
	s_mov_b32 s4, 0xf9a43bb8
	;; [unrolled: 1-line block ×6, first 2 shown]
	v_mul_f64 v[20:21], v[6:7], 0.5
	v_add_f64 v[0:1], -v[0:1], 1.0
	v_fma_f64 v[12:13], v[10:11], s[4:5], s[0:1]
	s_mov_b32 s0, 0x9037ab78
	s_mov_b32 s4, 0x46cc5e42
	s_mov_b32 s1, 0x3e21eeb6
	s_mov_b32 s5, 0xbda907db
	v_mul_f64 v[16:17], v[10:11], 0.5
	v_fma_f64 v[14:15], v[10:11], s[4:5], s[0:1]
	s_mov_b32 s0, 0xa17f65f6
	s_mov_b32 s4, 0x19e83e5c
	;; [unrolled: 1-line block ×4, first 2 shown]
	v_mul_f64 v[22:23], v[4:5], -v[10:11]
	v_fma_f64 v[12:13], v[10:11], v[12:13], s[18:19]
	v_add_f64 v[18:19], -v[16:17], 1.0
	v_fma_f64 v[14:15], v[10:11], v[14:15], s[0:1]
	s_mov_b32 s0, 0x19f4ec90
	s_mov_b32 s1, 0x3efa01a0
	v_fma_f64 v[12:13], v[10:11], v[12:13], s[4:5]
	s_mov_b32 s4, 0x11110bb3
	s_mov_b32 s5, 0x3f811111
	v_add_f64 v[24:25], -v[18:19], 1.0
	v_fma_f64 v[14:15], v[10:11], v[14:15], s[0:1]
	s_mov_b32 s0, 0x16c16967
	s_mov_b32 s1, 0xbf56c16c
	v_fma_f64 v[12:13], v[10:11], v[12:13], s[4:5]
	v_add_f64 v[16:17], v[24:25], -v[16:17]
	v_fma_f64 v[14:15], v[10:11], v[14:15], s[0:1]
	s_mov_b32 s1, 0x3fa55555
	s_mov_b32 s0, 0x55555555
	v_fma_f64 v[12:13], v[22:23], v[12:13], v[20:21]
	v_mul_f64 v[20:21], v[10:11], v[10:11]
	v_fma_f64 v[16:17], v[4:5], -v[6:7], v[16:17]
	v_fma_f64 v[14:15], v[10:11], v[14:15], s[0:1]
	s_mov_b32 s1, 0xbfc55555
	v_fma_f64 v[6:7], v[10:11], v[12:13], -v[6:7]
	v_fma_f64 v[10:11], v[20:21], v[14:15], v[16:17]
	v_fma_f64 v[6:7], v[22:23], s[0:1], v[6:7]
	v_cmp_class_f64_e64 s0, v[2:3], 0x1f8
	v_lshlrev_b32_e32 v2, 30, v9
	v_add_f64 v[10:11], v[18:19], v[10:11]
	v_xor_b32_e32 v2, v2, v3
	v_and_b32_e32 v2, 0x80000000, v2
	v_add_f64 v[4:5], v[4:5], -v[6:7]
	v_and_b32_e32 v6, 1, v9
	v_cmp_eq_u32_e32 vcc_lo, 0, v6
	v_cndmask_b32_e32 v3, v11, v5, vcc_lo
	v_cndmask_b32_e32 v4, v10, v4, vcc_lo
	v_xor_b32_e32 v3, v3, v2
	v_cndmask_b32_e64 v2, 0, v4, s0
	v_cndmask_b32_e64 v3, 0x7ff80000, v3, s0
	s_mov_b32 s0, 0xc9be45de
	s_mov_b32 s1, 0xc023bd3c
	v_mul_f64 v[2:3], v[2:3], v[2:3]
	v_div_scale_f64 v[4:5], null, v[2:3], v[2:3], s[0:1]
	v_div_scale_f64 v[11:12], vcc_lo, s[0:1], v[2:3], s[0:1]
	v_rcp_f64_e32 v[6:7], v[4:5]
	v_fma_f64 v[9:10], -v[4:5], v[6:7], 1.0
	v_fma_f64 v[6:7], v[6:7], v[9:10], v[6:7]
	v_fma_f64 v[9:10], -v[4:5], v[6:7], 1.0
	v_fma_f64 v[6:7], v[6:7], v[9:10], v[6:7]
	v_mul_f64 v[9:10], v[11:12], v[6:7]
	v_fma_f64 v[4:5], -v[4:5], v[9:10], v[11:12]
	v_div_fmas_f64 v[4:5], v[4:5], v[6:7], v[9:10]
	v_div_fixup_f64 v[2:3], v[4:5], v[2:3], s[0:1]
	v_add_f64 v[18:19], v[2:3], 0
	v_mov_b32_e32 v2, 0
	v_mov_b32_e32 v3, 0xbff00000
.LBB48_1187:
	s_or_b32 exec_lo, exec_lo, s3
	s_lshl_b32 s3, s13, 7
	s_cmp_lt_i32 s2, 11
	v_add_nc_u32_e32 v14, s3, v8
	v_ashrrev_i32_e32 v5, 31, v14
	v_add_co_u32 v4, vcc_lo, s10, v14
	v_add_co_ci_u32_e64 v5, null, s11, v5, vcc_lo
	s_cbranch_scc1 .LBB48_1194
; %bb.1188:
	s_cmp_gt_i32 s2, 25
	s_mov_b32 s1, 0
	s_cbranch_scc0 .LBB48_1196
; %bb.1189:
	s_cmp_gt_i32 s2, 28
	s_cbranch_scc0 .LBB48_1197
; %bb.1190:
	s_cmp_gt_i32 s2, 43
	;; [unrolled: 3-line block ×3, first 2 shown]
	s_cbranch_scc0 .LBB48_1200
; %bb.1192:
	s_cmp_eq_u32 s2, 46
	s_mov_b32 s5, 0
	s_cbranch_scc0 .LBB48_1203
; %bb.1193:
	global_load_dword v6, v[4:5], off
	s_mov_b32 s0, 0
	s_mov_b32 s4, -1
	s_waitcnt vmcnt(0)
	v_lshlrev_b32_e32 v6, 16, v6
	v_cvt_f64_f32_e32 v[6:7], v6
	s_branch .LBB48_1205
.LBB48_1194:
	s_mov_b32 s4, 0
                                        ; implicit-def: $vgpr6_vgpr7
	s_cbranch_execnz .LBB48_1270
.LBB48_1195:
	s_andn2_b32 vcc_lo, exec_lo, s4
	s_cbranch_vccnz .LBB48_2029
	s_branch .LBB48_1317
.LBB48_1196:
	s_mov_b32 s4, 0
	s_mov_b32 s0, 0
                                        ; implicit-def: $vgpr6_vgpr7
	s_cbranch_execnz .LBB48_1236
	s_branch .LBB48_1266
.LBB48_1197:
	s_mov_b32 s5, -1
	s_mov_b32 s4, 0
	s_mov_b32 s0, 0
                                        ; implicit-def: $vgpr6_vgpr7
	s_branch .LBB48_1215
.LBB48_1198:
	s_mov_b32 s5, -1
	s_mov_b32 s4, 0
	s_mov_b32 s0, 0
                                        ; implicit-def: $vgpr6_vgpr7
	s_branch .LBB48_1210
.LBB48_1199:
	s_or_b32 s14, s17, exec_lo
	s_trap 2
	s_cbranch_execz .LBB48_1134
	s_branch .LBB48_1135
.LBB48_1200:
	s_mov_b32 s5, -1
	s_mov_b32 s4, 0
	s_mov_b32 s0, 0
	s_branch .LBB48_1204
.LBB48_1201:
	s_andn2_saveexec_b32 s6, s6
	s_cbranch_execz .LBB48_980
.LBB48_1202:
	v_add_f32_e64 v3, 0x42800000, |v2|
	s_andn2_b32 s5, s5, exec_lo
	v_and_b32_e32 v3, 0xff, v3
	v_cmp_ne_u32_e32 vcc_lo, 0, v3
	s_and_b32 s20, vcc_lo, exec_lo
	s_or_b32 s5, s5, s20
	s_or_b32 exec_lo, exec_lo, s6
	v_mov_b32_e32 v6, 0
	s_and_saveexec_b32 s6, s5
	s_cbranch_execnz .LBB48_981
	s_branch .LBB48_982
.LBB48_1203:
	s_mov_b32 s0, -1
	s_mov_b32 s4, 0
.LBB48_1204:
                                        ; implicit-def: $vgpr6_vgpr7
.LBB48_1205:
	s_and_b32 vcc_lo, exec_lo, s5
	s_cbranch_vccz .LBB48_1209
; %bb.1206:
	s_cmp_eq_u32 s2, 44
	s_cbranch_scc0 .LBB48_1208
; %bb.1207:
	global_load_ubyte v8, v[4:5], off
	s_mov_b32 s0, 0
	s_mov_b32 s4, -1
	s_waitcnt vmcnt(0)
	v_lshlrev_b32_e32 v6, 23, v8
	v_cmp_ne_u32_e32 vcc_lo, 0xff, v8
	v_cvt_f64_f32_e32 v[6:7], v6
	v_cndmask_b32_e32 v6, 0x20000000, v6, vcc_lo
	v_cndmask_b32_e32 v7, 0x7ff80000, v7, vcc_lo
	v_cmp_ne_u32_e32 vcc_lo, 0, v8
	v_cndmask_b32_e32 v7, 0x38000000, v7, vcc_lo
	v_cndmask_b32_e32 v6, 0, v6, vcc_lo
	s_branch .LBB48_1209
.LBB48_1208:
	s_mov_b32 s0, -1
                                        ; implicit-def: $vgpr6_vgpr7
.LBB48_1209:
	s_mov_b32 s5, 0
.LBB48_1210:
	s_and_b32 vcc_lo, exec_lo, s5
	s_cbranch_vccz .LBB48_1214
; %bb.1211:
	s_cmp_eq_u32 s2, 29
	s_cbranch_scc0 .LBB48_1213
; %bb.1212:
	global_load_dwordx2 v[6:7], v[4:5], off
	s_mov_b32 s0, 0
	s_mov_b32 s4, -1
	s_mov_b32 s5, 0
	s_waitcnt vmcnt(0)
	v_cvt_f64_u32_e32 v[7:8], v7
	v_cvt_f64_u32_e32 v[9:10], v6
	v_ldexp_f64 v[7:8], v[7:8], 32
	v_add_f64 v[6:7], v[7:8], v[9:10]
	s_branch .LBB48_1215
.LBB48_1213:
	s_mov_b32 s0, -1
                                        ; implicit-def: $vgpr6_vgpr7
.LBB48_1214:
	s_mov_b32 s5, 0
.LBB48_1215:
	s_and_b32 vcc_lo, exec_lo, s5
	s_cbranch_vccz .LBB48_1235
; %bb.1216:
	s_cmp_lt_i32 s2, 27
	s_cbranch_scc1 .LBB48_1219
; %bb.1217:
	s_cmp_gt_i32 s2, 27
	s_cbranch_scc0 .LBB48_1220
; %bb.1218:
	global_load_dword v6, v[4:5], off
	s_mov_b32 s4, 0
	s_waitcnt vmcnt(0)
	v_cvt_f64_u32_e32 v[6:7], v6
	s_branch .LBB48_1221
.LBB48_1219:
	s_mov_b32 s4, -1
                                        ; implicit-def: $vgpr6_vgpr7
	s_branch .LBB48_1224
.LBB48_1220:
	s_mov_b32 s4, -1
                                        ; implicit-def: $vgpr6_vgpr7
.LBB48_1221:
	s_andn2_b32 vcc_lo, exec_lo, s4
	s_cbranch_vccnz .LBB48_1223
; %bb.1222:
	global_load_ushort v6, v[4:5], off
	s_waitcnt vmcnt(0)
	v_cvt_f64_u32_e32 v[6:7], v6
.LBB48_1223:
	s_mov_b32 s4, 0
.LBB48_1224:
	s_andn2_b32 vcc_lo, exec_lo, s4
	s_cbranch_vccnz .LBB48_1234
; %bb.1225:
	global_load_ubyte v8, v[4:5], off
	s_mov_b32 s4, 0
	s_mov_b32 s5, exec_lo
	s_waitcnt vmcnt(0)
	v_cmpx_lt_i16_e32 0x7f, v8
	s_xor_b32 s5, exec_lo, s5
	s_cbranch_execz .LBB48_1229
; %bb.1226:
	s_mov_b32 s4, -1
	s_mov_b32 s6, exec_lo
	v_cmpx_eq_u16_e32 0x80, v8
; %bb.1227:
	s_xor_b32 s4, exec_lo, -1
; %bb.1228:
	s_or_b32 exec_lo, exec_lo, s6
	s_and_b32 s4, s4, exec_lo
.LBB48_1229:
	s_or_saveexec_b32 s5, s5
	v_bfrev_b32_e32 v6, 4
	v_mov_b32_e32 v7, 0x7ff80000
	s_xor_b32 exec_lo, exec_lo, s5
; %bb.1230:
	v_cmp_ne_u16_e32 vcc_lo, 0, v8
	v_mov_b32_e32 v6, 0
	v_mov_b32_e32 v7, 0
	s_andn2_b32 s4, s4, exec_lo
	s_and_b32 s6, vcc_lo, exec_lo
	s_or_b32 s4, s4, s6
; %bb.1231:
	s_or_b32 exec_lo, exec_lo, s5
	s_and_saveexec_b32 s5, s4
	s_cbranch_execz .LBB48_1233
; %bb.1232:
	v_and_b32_e32 v6, 0xffff, v8
	v_lshlrev_b32_e32 v8, 24, v8
	v_and_b32_e32 v7, 7, v6
	v_bfe_u32 v11, v6, 3, 4
	v_ffbh_u32_e32 v9, v7
	v_cmp_eq_u32_e32 vcc_lo, 0, v11
	v_min_u32_e32 v9, 32, v9
	v_subrev_nc_u32_e32 v10, 28, v9
	v_sub_nc_u32_e32 v9, 29, v9
	v_lshlrev_b32_e32 v6, v10, v6
	v_cndmask_b32_e32 v9, v11, v9, vcc_lo
	v_and_b32_e32 v6, 7, v6
	v_cndmask_b32_e32 v6, v7, v6, vcc_lo
	v_and_b32_e32 v7, 0x80000000, v8
	v_lshl_add_u32 v8, v9, 23, 0x3b800000
	v_lshlrev_b32_e32 v6, 20, v6
	v_or3_b32 v6, v7, v8, v6
	v_cvt_f64_f32_e32 v[6:7], v6
.LBB48_1233:
	s_or_b32 exec_lo, exec_lo, s5
.LBB48_1234:
	s_mov_b32 s4, -1
.LBB48_1235:
	s_branch .LBB48_1266
.LBB48_1236:
	s_cmp_gt_i32 s2, 22
	s_cbranch_scc0 .LBB48_1248
; %bb.1237:
	s_cmp_lt_i32 s2, 24
	s_cbranch_scc1 .LBB48_1249
; %bb.1238:
	s_cmp_gt_i32 s2, 24
	s_cbranch_scc0 .LBB48_1250
; %bb.1239:
	global_load_ubyte v8, v[4:5], off
	s_mov_b32 s4, exec_lo
	s_waitcnt vmcnt(0)
	v_cmpx_lt_i16_e32 0x7f, v8
	s_xor_b32 s4, exec_lo, s4
	s_cbranch_execz .LBB48_1243
; %bb.1240:
	s_mov_b32 s1, -1
	s_mov_b32 s5, exec_lo
	v_cmpx_eq_u16_e32 0x80, v8
; %bb.1241:
	s_xor_b32 s1, exec_lo, -1
; %bb.1242:
	s_or_b32 exec_lo, exec_lo, s5
	s_and_b32 s1, s1, exec_lo
.LBB48_1243:
	s_or_saveexec_b32 s4, s4
	v_bfrev_b32_e32 v6, 4
	v_mov_b32_e32 v7, 0x7ff80000
	s_xor_b32 exec_lo, exec_lo, s4
; %bb.1244:
	v_cmp_ne_u16_e32 vcc_lo, 0, v8
	v_mov_b32_e32 v6, 0
	v_mov_b32_e32 v7, 0
	s_andn2_b32 s1, s1, exec_lo
	s_and_b32 s5, vcc_lo, exec_lo
	s_or_b32 s1, s1, s5
; %bb.1245:
	s_or_b32 exec_lo, exec_lo, s4
	s_and_saveexec_b32 s4, s1
	s_cbranch_execz .LBB48_1247
; %bb.1246:
	v_and_b32_e32 v6, 0xffff, v8
	v_lshlrev_b32_e32 v8, 24, v8
	v_and_b32_e32 v7, 3, v6
	v_bfe_u32 v11, v6, 2, 5
	v_ffbh_u32_e32 v9, v7
	v_cmp_eq_u32_e32 vcc_lo, 0, v11
	v_min_u32_e32 v9, 32, v9
	v_subrev_nc_u32_e32 v10, 29, v9
	v_sub_nc_u32_e32 v9, 30, v9
	v_lshlrev_b32_e32 v6, v10, v6
	v_cndmask_b32_e32 v9, v11, v9, vcc_lo
	v_and_b32_e32 v6, 3, v6
	v_cndmask_b32_e32 v6, v7, v6, vcc_lo
	v_and_b32_e32 v7, 0x80000000, v8
	v_lshl_add_u32 v8, v9, 23, 0x37800000
	v_lshlrev_b32_e32 v6, 21, v6
	v_or3_b32 v6, v7, v8, v6
	v_cvt_f64_f32_e32 v[6:7], v6
.LBB48_1247:
	s_or_b32 exec_lo, exec_lo, s4
	s_mov_b32 s1, 0
	s_branch .LBB48_1251
.LBB48_1248:
	s_mov_b32 s1, -1
                                        ; implicit-def: $vgpr6_vgpr7
	s_branch .LBB48_1257
.LBB48_1249:
	s_mov_b32 s1, -1
                                        ; implicit-def: $vgpr6_vgpr7
	s_branch .LBB48_1254
.LBB48_1250:
	s_mov_b32 s1, -1
                                        ; implicit-def: $vgpr6_vgpr7
.LBB48_1251:
	s_and_b32 vcc_lo, exec_lo, s1
	s_cbranch_vccz .LBB48_1253
; %bb.1252:
	global_load_ubyte v6, v[4:5], off
	s_waitcnt vmcnt(0)
	v_lshlrev_b32_e32 v6, 24, v6
	v_and_b32_e32 v7, 0x7f000000, v6
	v_ffbh_u32_e32 v8, v7
	v_add_nc_u32_e32 v10, 0x1000000, v7
	v_cmp_ne_u32_e32 vcc_lo, 0, v7
	v_min_u32_e32 v8, 32, v8
	v_sub_nc_u32_e64 v8, v8, 4 clamp
	v_lshlrev_b32_e32 v9, v8, v7
	v_lshlrev_b32_e32 v8, 23, v8
	v_lshrrev_b32_e32 v9, 4, v9
	v_sub_nc_u32_e32 v8, v9, v8
	v_ashrrev_i32_e32 v9, 8, v10
	v_add_nc_u32_e32 v8, 0x3c000000, v8
	v_and_or_b32 v8, 0x7f800000, v9, v8
	v_cndmask_b32_e32 v7, 0, v8, vcc_lo
	v_and_or_b32 v6, 0x80000000, v6, v7
	v_cvt_f64_f32_e32 v[6:7], v6
.LBB48_1253:
	s_mov_b32 s1, 0
.LBB48_1254:
	s_andn2_b32 vcc_lo, exec_lo, s1
	s_cbranch_vccnz .LBB48_1256
; %bb.1255:
	global_load_ubyte v6, v[4:5], off
	s_waitcnt vmcnt(0)
	v_lshlrev_b32_e32 v7, 25, v6
	v_lshlrev_b16 v6, 8, v6
	v_lshrrev_b32_e32 v8, 4, v7
	v_and_or_b32 v9, 0x7f00, v6, 0.5
	v_cmp_gt_u32_e32 vcc_lo, 0x8000000, v7
	v_bfe_i32 v6, v6, 0, 16
	v_or_b32_e32 v8, 0x70000000, v8
	v_add_f32_e32 v9, -0.5, v9
	v_mul_f32_e32 v8, 0x7800000, v8
	v_cndmask_b32_e32 v7, v8, v9, vcc_lo
	v_and_or_b32 v6, 0x80000000, v6, v7
	v_cvt_f64_f32_e32 v[6:7], v6
.LBB48_1256:
	s_mov_b32 s1, 0
	s_mov_b32 s4, -1
.LBB48_1257:
	s_andn2_b32 vcc_lo, exec_lo, s1
	s_mov_b32 s1, 0
	s_cbranch_vccnz .LBB48_1266
; %bb.1258:
	s_cmp_gt_i32 s2, 14
	s_cbranch_scc0 .LBB48_1261
; %bb.1259:
	s_cmp_eq_u32 s2, 15
	s_cbranch_scc0 .LBB48_1262
; %bb.1260:
	global_load_ushort v6, v[4:5], off
	s_mov_b32 s0, 0
	s_mov_b32 s4, -1
	s_waitcnt vmcnt(0)
	v_lshlrev_b32_e32 v6, 16, v6
	v_cvt_f64_f32_e32 v[6:7], v6
	s_branch .LBB48_1264
.LBB48_1261:
	s_mov_b32 s1, -1
	s_branch .LBB48_1263
.LBB48_1262:
	s_mov_b32 s0, -1
.LBB48_1263:
                                        ; implicit-def: $vgpr6_vgpr7
.LBB48_1264:
	s_and_b32 vcc_lo, exec_lo, s1
	s_mov_b32 s1, 0
	s_cbranch_vccz .LBB48_1266
; %bb.1265:
	s_cmp_lg_u32 s2, 11
	s_mov_b32 s1, -1
	s_cselect_b32 s0, -1, 0
.LBB48_1266:
	s_and_b32 vcc_lo, exec_lo, s0
	s_cbranch_vccnz .LBB48_1335
; %bb.1267:
	s_andn2_b32 vcc_lo, exec_lo, s1
	s_cbranch_vccnz .LBB48_1269
.LBB48_1268:
	global_load_ubyte v6, v[4:5], off
	s_mov_b32 s4, -1
	s_waitcnt vmcnt(0)
	v_cmp_ne_u16_e32 vcc_lo, 0, v6
	v_mov_b32_e32 v6, 0
	v_cndmask_b32_e64 v7, 0, 0x3ff00000, vcc_lo
.LBB48_1269:
	s_branch .LBB48_1195
.LBB48_1270:
	s_cmp_lt_i32 s2, 5
	s_cbranch_scc1 .LBB48_1275
; %bb.1271:
	s_cmp_lt_i32 s2, 8
	s_cbranch_scc1 .LBB48_1276
; %bb.1272:
	;; [unrolled: 3-line block ×3, first 2 shown]
	s_cmp_gt_i32 s2, 9
	s_cbranch_scc0 .LBB48_1278
; %bb.1274:
	global_load_dwordx2 v[6:7], v[4:5], off
	s_mov_b32 s0, 0
	s_branch .LBB48_1279
.LBB48_1275:
                                        ; implicit-def: $vgpr6_vgpr7
	s_branch .LBB48_1297
.LBB48_1276:
	s_mov_b32 s0, -1
                                        ; implicit-def: $vgpr6_vgpr7
	s_branch .LBB48_1285
.LBB48_1277:
	s_mov_b32 s0, -1
                                        ; implicit-def: $vgpr6_vgpr7
	s_branch .LBB48_1282
.LBB48_1278:
	s_mov_b32 s0, -1
                                        ; implicit-def: $vgpr6_vgpr7
.LBB48_1279:
	s_andn2_b32 vcc_lo, exec_lo, s0
	s_cbranch_vccnz .LBB48_1281
; %bb.1280:
	global_load_dword v6, v[4:5], off
	s_waitcnt vmcnt(0)
	v_cvt_f64_f32_e32 v[6:7], v6
.LBB48_1281:
	s_mov_b32 s0, 0
.LBB48_1282:
	s_andn2_b32 vcc_lo, exec_lo, s0
	s_cbranch_vccnz .LBB48_1284
; %bb.1283:
	global_load_dword v6, v[4:5], off
	s_waitcnt vmcnt(0)
	v_cvt_f32_f16_e32 v6, v6
	v_cvt_f64_f32_e32 v[6:7], v6
.LBB48_1284:
	s_mov_b32 s0, 0
.LBB48_1285:
	s_andn2_b32 vcc_lo, exec_lo, s0
	s_cbranch_vccnz .LBB48_1296
; %bb.1286:
	s_cmp_lt_i32 s2, 6
	s_cbranch_scc1 .LBB48_1289
; %bb.1287:
	s_cmp_gt_i32 s2, 6
	s_cbranch_scc0 .LBB48_1290
; %bb.1288:
	global_load_dwordx2 v[6:7], v[4:5], off
	s_mov_b32 s0, 0
	s_branch .LBB48_1291
.LBB48_1289:
	s_mov_b32 s0, -1
                                        ; implicit-def: $vgpr6_vgpr7
	s_branch .LBB48_1294
.LBB48_1290:
	s_mov_b32 s0, -1
                                        ; implicit-def: $vgpr6_vgpr7
.LBB48_1291:
	s_andn2_b32 vcc_lo, exec_lo, s0
	s_cbranch_vccnz .LBB48_1293
; %bb.1292:
	global_load_dword v6, v[4:5], off
	s_waitcnt vmcnt(0)
	v_cvt_f64_f32_e32 v[6:7], v6
.LBB48_1293:
	s_mov_b32 s0, 0
.LBB48_1294:
	s_andn2_b32 vcc_lo, exec_lo, s0
	s_cbranch_vccnz .LBB48_1296
; %bb.1295:
	global_load_ushort v6, v[4:5], off
	s_waitcnt vmcnt(0)
	v_cvt_f32_f16_e32 v6, v6
	v_cvt_f64_f32_e32 v[6:7], v6
.LBB48_1296:
	s_cbranch_execnz .LBB48_1316
.LBB48_1297:
	s_cmp_lt_i32 s2, 2
	s_cbranch_scc1 .LBB48_1301
; %bb.1298:
	s_cmp_lt_i32 s2, 3
	s_cbranch_scc1 .LBB48_1302
; %bb.1299:
	s_cmp_gt_i32 s2, 3
	s_cbranch_scc0 .LBB48_1303
; %bb.1300:
	global_load_dwordx2 v[6:7], v[4:5], off
	s_mov_b32 s0, 0
	s_waitcnt vmcnt(0)
	v_cvt_f64_i32_e32 v[7:8], v7
	v_cvt_f64_u32_e32 v[9:10], v6
	v_ldexp_f64 v[7:8], v[7:8], 32
	v_add_f64 v[6:7], v[7:8], v[9:10]
	s_branch .LBB48_1304
.LBB48_1301:
	s_mov_b32 s0, -1
                                        ; implicit-def: $vgpr6_vgpr7
	s_branch .LBB48_1310
.LBB48_1302:
	s_mov_b32 s0, -1
                                        ; implicit-def: $vgpr6_vgpr7
	s_branch .LBB48_1307
.LBB48_1303:
	s_mov_b32 s0, -1
                                        ; implicit-def: $vgpr6_vgpr7
.LBB48_1304:
	s_andn2_b32 vcc_lo, exec_lo, s0
	s_cbranch_vccnz .LBB48_1306
; %bb.1305:
	global_load_dword v6, v[4:5], off
	s_waitcnt vmcnt(0)
	v_cvt_f64_i32_e32 v[6:7], v6
.LBB48_1306:
	s_mov_b32 s0, 0
.LBB48_1307:
	s_andn2_b32 vcc_lo, exec_lo, s0
	s_cbranch_vccnz .LBB48_1309
; %bb.1308:
	global_load_sshort v6, v[4:5], off
	s_waitcnt vmcnt(0)
	v_cvt_f64_i32_e32 v[6:7], v6
.LBB48_1309:
	s_mov_b32 s0, 0
.LBB48_1310:
	s_andn2_b32 vcc_lo, exec_lo, s0
	s_cbranch_vccnz .LBB48_1316
; %bb.1311:
	s_cmp_gt_i32 s2, 0
	s_mov_b32 s0, 0
	s_cbranch_scc0 .LBB48_1313
; %bb.1312:
	global_load_sbyte v6, v[4:5], off
	s_waitcnt vmcnt(0)
	v_cvt_f64_i32_e32 v[6:7], v6
	s_branch .LBB48_1314
.LBB48_1313:
	s_mov_b32 s0, -1
                                        ; implicit-def: $vgpr6_vgpr7
.LBB48_1314:
	s_andn2_b32 vcc_lo, exec_lo, s0
	s_cbranch_vccnz .LBB48_1316
; %bb.1315:
	global_load_ubyte v4, v[4:5], off
	s_waitcnt vmcnt(0)
	v_cvt_f64_u32_e32 v[6:7], v4
.LBB48_1316:
.LBB48_1317:
	v_mov_b32_e32 v12, 0
	v_mov_b32_e32 v10, 0
	;; [unrolled: 1-line block ×4, first 2 shown]
	s_mov_b32 s4, exec_lo
	s_waitcnt vmcnt(0)
	v_cmpx_gt_f64_e32 0.5, v[6:7]
	s_cbranch_execz .LBB48_1323
; %bb.1318:
	s_mov_b32 s1, 0x400921fb
	s_mov_b32 s0, 0x54442d18
	s_mov_b32 s5, exec_lo
	v_mul_f64 v[4:5], v[6:7], s[0:1]
                                        ; implicit-def: $vgpr12
                                        ; implicit-def: $vgpr8_vgpr9
                                        ; implicit-def: $vgpr10_vgpr11
	v_cmpx_ngt_f64_e64 0x41d00000, |v[4:5]|
	s_xor_b32 s5, exec_lo, s5
	s_cbranch_execz .LBB48_1320
; %bb.1319:
	v_ldexp_f64 v[8:9], |v[4:5]|, 0xffffff80
	v_cmp_le_f64_e64 vcc_lo, 0x7b000000, |v[4:5]|
	v_trig_preop_f64 v[10:11], |v[4:5]|, 0
	v_and_b32_e32 v12, 0x7fffffff, v5
	v_trig_preop_f64 v[27:28], |v[4:5]|, 2
	v_mov_b32_e32 v35, 0
	s_mov_b32 s1, 0x3ff921fb
	s_mov_b32 s18, 0x33145c07
	s_mov_b32 s19, 0x3c91a626
	v_cndmask_b32_e32 v9, v12, v9, vcc_lo
	v_cndmask_b32_e32 v8, v4, v8, vcc_lo
	v_trig_preop_f64 v[12:13], |v[4:5]|, 1
	v_mul_f64 v[15:16], v[10:11], v[8:9]
	v_mul_f64 v[33:34], v[27:28], v[8:9]
	;; [unrolled: 1-line block ×3, first 2 shown]
	v_fma_f64 v[10:11], v[10:11], v[8:9], -v[15:16]
	v_fma_f64 v[12:13], v[12:13], v[8:9], -v[20:21]
	;; [unrolled: 1-line block ×3, first 2 shown]
	v_add_f64 v[22:23], v[20:21], v[10:11]
	v_add_f64 v[24:25], v[22:23], -v[20:21]
	v_add_f64 v[31:32], v[15:16], v[22:23]
	v_add_f64 v[29:30], v[22:23], -v[24:25]
	v_add_f64 v[10:11], v[10:11], -v[24:25]
	v_ldexp_f64 v[24:25], v[31:32], -2
	v_add_f64 v[15:16], v[31:32], -v[15:16]
	v_add_f64 v[20:21], v[20:21], -v[29:30]
	v_add_f64 v[29:30], v[33:34], v[12:13]
	v_cmp_neq_f64_e64 vcc_lo, 0x7ff00000, |v[24:25]|
	v_add_f64 v[15:16], v[22:23], -v[15:16]
	v_add_f64 v[10:11], v[10:11], v[20:21]
	v_fract_f64_e32 v[20:21], v[24:25]
	v_add_f64 v[22:23], v[29:30], v[10:11]
	v_ldexp_f64 v[20:21], v[20:21], 2
	v_add_f64 v[24:25], v[15:16], v[22:23]
	v_cndmask_b32_e32 v21, 0, v21, vcc_lo
	v_cndmask_b32_e32 v20, 0, v20, vcc_lo
	v_add_f64 v[31:32], v[24:25], v[20:21]
	v_add_f64 v[15:16], v[24:25], -v[15:16]
	v_cmp_gt_f64_e32 vcc_lo, 0, v[31:32]
	v_add_f64 v[31:32], v[29:30], -v[33:34]
	v_cndmask_b32_e64 v36, 0, 0x40100000, vcc_lo
	v_add_f64 v[40:41], v[29:30], -v[31:32]
	v_add_f64 v[12:13], v[12:13], -v[31:32]
	v_add_f64 v[20:21], v[20:21], v[35:36]
	v_add_f64 v[36:37], v[22:23], -v[29:30]
	v_add_f64 v[31:32], v[33:34], -v[40:41]
	v_add_f64 v[38:39], v[24:25], v[20:21]
	;; [unrolled: 3-line block ×3, first 2 shown]
	v_cvt_i32_f64_e32 v17, v[38:39]
	v_add_f64 v[29:30], v[29:30], -v[42:43]
	v_cvt_f64_i32_e32 v[36:37], v17
	v_add_f64 v[10:11], v[10:11], v[29:30]
	v_add_f64 v[20:21], v[20:21], -v[36:37]
	v_add_f64 v[10:11], v[12:13], v[10:11]
	v_add_f64 v[12:13], v[22:23], -v[15:16]
	v_add_f64 v[27:28], v[24:25], v[20:21]
	v_add_f64 v[8:9], v[8:9], v[10:11]
	v_add_f64 v[10:11], v[27:28], -v[20:21]
	v_cmp_le_f64_e32 vcc_lo, 0.5, v[27:28]
	v_add_f64 v[8:9], v[12:13], v[8:9]
	v_add_f64 v[10:11], v[24:25], -v[10:11]
	v_cndmask_b32_e64 v36, 0, 0x3ff00000, vcc_lo
	v_add_co_ci_u32_e64 v12, null, 0, v17, vcc_lo
	v_add_f64 v[8:9], v[8:9], v[10:11]
	v_add_f64 v[10:11], v[27:28], -v[35:36]
	v_add_f64 v[15:16], v[10:11], v[8:9]
	v_mul_f64 v[20:21], v[15:16], s[0:1]
	v_add_f64 v[10:11], v[15:16], -v[10:11]
	v_fma_f64 v[22:23], v[15:16], s[0:1], -v[20:21]
	v_add_f64 v[8:9], v[8:9], -v[10:11]
	v_fma_f64 v[10:11], v[15:16], s[18:19], v[22:23]
	v_fma_f64 v[10:11], v[8:9], s[0:1], v[10:11]
	v_add_f64 v[8:9], v[20:21], v[10:11]
	v_add_f64 v[15:16], v[8:9], -v[20:21]
	v_add_f64 v[10:11], v[10:11], -v[15:16]
.LBB48_1320:
	s_andn2_saveexec_b32 s0, s5
	s_cbranch_execz .LBB48_1322
; %bb.1321:
	s_mov_b32 s18, 0x6dc9c883
	s_mov_b32 s19, 0x3fe45f30
	;; [unrolled: 1-line block ×3, first 2 shown]
	v_mul_f64 v[8:9], |v[4:5]|, s[18:19]
	s_mov_b32 s18, 0x54442d18
	s_mov_b32 s19, 0xbff921fb
	;; [unrolled: 1-line block ×3, first 2 shown]
	v_rndne_f64_e32 v[12:13], v[8:9]
	v_fma_f64 v[8:9], v[12:13], s[18:19], |v[4:5]|
	v_mul_f64 v[10:11], v[12:13], s[20:21]
	s_mov_b32 s18, 0x252049c0
	s_mov_b32 s19, 0xb97b839a
	v_fma_f64 v[20:21], v[12:13], s[20:21], v[8:9]
	v_add_f64 v[15:16], v[8:9], v[10:11]
	s_mov_b32 s21, 0x3c91a626
	v_add_f64 v[8:9], v[8:9], -v[15:16]
	v_add_f64 v[15:16], v[15:16], -v[20:21]
	v_add_f64 v[8:9], v[8:9], v[10:11]
	v_fma_f64 v[10:11], v[12:13], s[20:21], v[10:11]
	v_add_f64 v[8:9], v[15:16], v[8:9]
	v_add_f64 v[8:9], v[8:9], -v[10:11]
	v_fma_f64 v[10:11], v[12:13], s[18:19], v[8:9]
	v_cvt_i32_f64_e32 v12, v[12:13]
	v_add_f64 v[8:9], v[20:21], v[10:11]
	v_add_f64 v[15:16], v[8:9], -v[20:21]
	v_add_f64 v[10:11], v[10:11], -v[15:16]
.LBB48_1322:
	s_or_b32 exec_lo, exec_lo, s0
	v_mul_f64 v[15:16], v[8:9], v[8:9]
	s_mov_b32 s0, 0xb42fdfa7
	s_mov_b32 s18, 0xf9a43bb8
	;; [unrolled: 1-line block ×6, first 2 shown]
	v_mul_f64 v[29:30], v[10:11], 0.5
	v_add_f64 v[6:7], -v[6:7], 1.0
	v_fma_f64 v[20:21], v[15:16], s[18:19], s[0:1]
	s_mov_b32 s0, 0x9037ab78
	s_mov_b32 s18, 0x46cc5e42
	;; [unrolled: 1-line block ×4, first 2 shown]
	v_mul_f64 v[24:25], v[15:16], 0.5
	v_fma_f64 v[22:23], v[15:16], s[18:19], s[0:1]
	s_mov_b32 s0, 0xa17f65f6
	s_mov_b32 s18, 0x19e83e5c
	;; [unrolled: 1-line block ×4, first 2 shown]
	v_mul_f64 v[31:32], v[8:9], -v[15:16]
	v_fma_f64 v[20:21], v[15:16], v[20:21], s[20:21]
	v_add_f64 v[27:28], -v[24:25], 1.0
	v_fma_f64 v[22:23], v[15:16], v[22:23], s[0:1]
	s_mov_b32 s0, 0x19f4ec90
	s_mov_b32 s1, 0x3efa01a0
	v_fma_f64 v[20:21], v[15:16], v[20:21], s[18:19]
	s_mov_b32 s18, 0x11110bb3
	s_mov_b32 s19, 0x3f811111
	v_add_f64 v[33:34], -v[27:28], 1.0
	v_fma_f64 v[22:23], v[15:16], v[22:23], s[0:1]
	s_mov_b32 s0, 0x16c16967
	s_mov_b32 s1, 0xbf56c16c
	v_fma_f64 v[20:21], v[15:16], v[20:21], s[18:19]
	v_add_f64 v[24:25], v[33:34], -v[24:25]
	v_fma_f64 v[22:23], v[15:16], v[22:23], s[0:1]
	s_mov_b32 s1, 0x3fa55555
	s_mov_b32 s0, 0x55555555
	v_fma_f64 v[20:21], v[31:32], v[20:21], v[29:30]
	v_mul_f64 v[29:30], v[15:16], v[15:16]
	v_fma_f64 v[24:25], v[8:9], -v[10:11], v[24:25]
	v_fma_f64 v[22:23], v[15:16], v[22:23], s[0:1]
	s_mov_b32 s1, 0xbfc55555
	v_fma_f64 v[10:11], v[15:16], v[20:21], -v[10:11]
	v_fma_f64 v[15:16], v[29:30], v[22:23], v[24:25]
	v_fma_f64 v[10:11], v[31:32], s[0:1], v[10:11]
	v_cmp_class_f64_e64 s0, v[4:5], 0x1f8
	v_lshlrev_b32_e32 v4, 30, v12
	v_add_f64 v[15:16], v[27:28], v[15:16]
	v_xor_b32_e32 v4, v4, v5
	v_and_b32_e32 v4, 0x80000000, v4
	v_add_f64 v[8:9], v[8:9], -v[10:11]
	v_and_b32_e32 v10, 1, v12
	v_cmp_eq_u32_e32 vcc_lo, 0, v10
	v_cndmask_b32_e32 v5, v16, v9, vcc_lo
	v_cndmask_b32_e32 v8, v15, v8, vcc_lo
	v_xor_b32_e32 v5, v5, v4
	v_cndmask_b32_e64 v4, 0, v8, s0
	v_cndmask_b32_e64 v5, 0x7ff80000, v5, s0
	s_mov_b32 s0, 0xc9be45de
	s_mov_b32 s1, 0xc023bd3c
	v_mul_f64 v[4:5], v[4:5], v[4:5]
	v_div_scale_f64 v[8:9], null, v[4:5], v[4:5], s[0:1]
	v_div_scale_f64 v[15:16], vcc_lo, s[0:1], v[4:5], s[0:1]
	v_rcp_f64_e32 v[10:11], v[8:9]
	v_fma_f64 v[12:13], -v[8:9], v[10:11], 1.0
	v_fma_f64 v[10:11], v[10:11], v[12:13], v[10:11]
	v_fma_f64 v[12:13], -v[8:9], v[10:11], 1.0
	v_fma_f64 v[10:11], v[10:11], v[12:13], v[10:11]
	v_mul_f64 v[12:13], v[15:16], v[10:11]
	v_fma_f64 v[8:9], -v[8:9], v[12:13], v[15:16]
	v_div_fmas_f64 v[8:9], v[8:9], v[10:11], v[12:13]
	v_mov_b32_e32 v10, 0
	v_mov_b32_e32 v11, 0xbff00000
	v_div_fixup_f64 v[4:5], v[8:9], v[4:5], s[0:1]
	v_add_f64 v[12:13], v[4:5], 0
.LBB48_1323:
	s_or_b32 exec_lo, exec_lo, s4
	v_add_nc_u32_e32 v20, s3, v14
	s_cmp_lt_i32 s2, 11
	v_ashrrev_i32_e32 v4, 31, v20
	v_add_co_u32 v8, vcc_lo, s10, v20
	v_add_co_ci_u32_e64 v9, null, s11, v4, vcc_lo
	s_cbranch_scc1 .LBB48_1330
; %bb.1324:
	s_cmp_gt_i32 s2, 25
	s_mov_b32 s1, 0
	s_cbranch_scc0 .LBB48_1332
; %bb.1325:
	s_cmp_gt_i32 s2, 28
	s_cbranch_scc0 .LBB48_1333
; %bb.1326:
	s_cmp_gt_i32 s2, 43
	;; [unrolled: 3-line block ×3, first 2 shown]
	s_cbranch_scc0 .LBB48_1336
; %bb.1328:
	s_cmp_eq_u32 s2, 46
	s_mov_b32 s5, 0
	s_cbranch_scc0 .LBB48_1337
; %bb.1329:
	global_load_dword v4, v[8:9], off
	s_mov_b32 s0, 0
	s_mov_b32 s4, -1
	s_waitcnt vmcnt(0)
	v_lshlrev_b32_e32 v4, 16, v4
	v_cvt_f64_f32_e32 v[4:5], v4
	s_branch .LBB48_1339
.LBB48_1330:
	s_mov_b32 s4, 0
                                        ; implicit-def: $vgpr4_vgpr5
	s_cbranch_execnz .LBB48_1405
.LBB48_1331:
	s_andn2_b32 vcc_lo, exec_lo, s4
	s_cbranch_vccnz .LBB48_2029
	s_branch .LBB48_1453
.LBB48_1332:
	s_mov_b32 s5, -1
	s_mov_b32 s4, 0
	s_mov_b32 s0, 0
                                        ; implicit-def: $vgpr4_vgpr5
	s_branch .LBB48_1370
.LBB48_1333:
	s_mov_b32 s5, -1
	s_mov_b32 s4, 0
	s_mov_b32 s0, 0
                                        ; implicit-def: $vgpr4_vgpr5
	s_branch .LBB48_1349
.LBB48_1334:
	s_mov_b32 s5, -1
	s_mov_b32 s4, 0
	s_mov_b32 s0, 0
                                        ; implicit-def: $vgpr4_vgpr5
	s_branch .LBB48_1344
.LBB48_1335:
	s_or_b32 s14, s14, exec_lo
	s_trap 2
	s_cbranch_execz .LBB48_1268
	s_branch .LBB48_1269
.LBB48_1336:
	s_mov_b32 s5, -1
	s_mov_b32 s4, 0
	s_mov_b32 s0, 0
	s_branch .LBB48_1338
.LBB48_1337:
	s_mov_b32 s0, -1
	s_mov_b32 s4, 0
.LBB48_1338:
                                        ; implicit-def: $vgpr4_vgpr5
.LBB48_1339:
	s_and_b32 vcc_lo, exec_lo, s5
	s_cbranch_vccz .LBB48_1343
; %bb.1340:
	s_cmp_eq_u32 s2, 44
	s_cbranch_scc0 .LBB48_1342
; %bb.1341:
	global_load_ubyte v14, v[8:9], off
	s_mov_b32 s0, 0
	s_mov_b32 s4, -1
	s_waitcnt vmcnt(0)
	v_lshlrev_b32_e32 v4, 23, v14
	v_cmp_ne_u32_e32 vcc_lo, 0xff, v14
	v_cvt_f64_f32_e32 v[4:5], v4
	v_cndmask_b32_e32 v4, 0x20000000, v4, vcc_lo
	v_cndmask_b32_e32 v5, 0x7ff80000, v5, vcc_lo
	v_cmp_ne_u32_e32 vcc_lo, 0, v14
	v_cndmask_b32_e32 v5, 0x38000000, v5, vcc_lo
	v_cndmask_b32_e32 v4, 0, v4, vcc_lo
	s_branch .LBB48_1343
.LBB48_1342:
	s_mov_b32 s0, -1
                                        ; implicit-def: $vgpr4_vgpr5
.LBB48_1343:
	s_mov_b32 s5, 0
.LBB48_1344:
	s_and_b32 vcc_lo, exec_lo, s5
	s_cbranch_vccz .LBB48_1348
; %bb.1345:
	s_cmp_eq_u32 s2, 29
	s_cbranch_scc0 .LBB48_1347
; %bb.1346:
	global_load_dwordx2 v[4:5], v[8:9], off
	s_mov_b32 s0, 0
	s_mov_b32 s4, -1
	s_mov_b32 s5, 0
	s_waitcnt vmcnt(0)
	v_cvt_f64_u32_e32 v[14:15], v5
	v_cvt_f64_u32_e32 v[4:5], v4
	v_ldexp_f64 v[14:15], v[14:15], 32
	v_add_f64 v[4:5], v[14:15], v[4:5]
	s_branch .LBB48_1349
.LBB48_1347:
	s_mov_b32 s0, -1
                                        ; implicit-def: $vgpr4_vgpr5
.LBB48_1348:
	s_mov_b32 s5, 0
.LBB48_1349:
	s_and_b32 vcc_lo, exec_lo, s5
	s_cbranch_vccz .LBB48_1369
; %bb.1350:
	s_cmp_lt_i32 s2, 27
	s_cbranch_scc1 .LBB48_1353
; %bb.1351:
	s_cmp_gt_i32 s2, 27
	s_cbranch_scc0 .LBB48_1354
; %bb.1352:
	global_load_dword v4, v[8:9], off
	s_mov_b32 s4, 0
	s_waitcnt vmcnt(0)
	v_cvt_f64_u32_e32 v[4:5], v4
	s_branch .LBB48_1355
.LBB48_1353:
	s_mov_b32 s4, -1
                                        ; implicit-def: $vgpr4_vgpr5
	s_branch .LBB48_1358
.LBB48_1354:
	s_mov_b32 s4, -1
                                        ; implicit-def: $vgpr4_vgpr5
.LBB48_1355:
	s_andn2_b32 vcc_lo, exec_lo, s4
	s_cbranch_vccnz .LBB48_1357
; %bb.1356:
	global_load_ushort v4, v[8:9], off
	s_waitcnt vmcnt(0)
	v_cvt_f64_u32_e32 v[4:5], v4
.LBB48_1357:
	s_mov_b32 s4, 0
.LBB48_1358:
	s_andn2_b32 vcc_lo, exec_lo, s4
	s_cbranch_vccnz .LBB48_1368
; %bb.1359:
	global_load_ubyte v14, v[8:9], off
	s_mov_b32 s4, 0
	s_mov_b32 s5, exec_lo
	s_waitcnt vmcnt(0)
	v_cmpx_lt_i16_e32 0x7f, v14
	s_xor_b32 s5, exec_lo, s5
	s_cbranch_execz .LBB48_1363
; %bb.1360:
	s_mov_b32 s4, -1
	s_mov_b32 s6, exec_lo
	v_cmpx_eq_u16_e32 0x80, v14
; %bb.1361:
	s_xor_b32 s4, exec_lo, -1
; %bb.1362:
	s_or_b32 exec_lo, exec_lo, s6
	s_and_b32 s4, s4, exec_lo
.LBB48_1363:
	s_or_saveexec_b32 s5, s5
	v_bfrev_b32_e32 v4, 4
	v_mov_b32_e32 v5, 0x7ff80000
	s_xor_b32 exec_lo, exec_lo, s5
; %bb.1364:
	v_cmp_ne_u16_e32 vcc_lo, 0, v14
	v_mov_b32_e32 v4, 0
	v_mov_b32_e32 v5, 0
	s_andn2_b32 s4, s4, exec_lo
	s_and_b32 s6, vcc_lo, exec_lo
	s_or_b32 s4, s4, s6
; %bb.1365:
	s_or_b32 exec_lo, exec_lo, s5
	s_and_saveexec_b32 s5, s4
	s_cbranch_execz .LBB48_1367
; %bb.1366:
	v_and_b32_e32 v4, 0xffff, v14
	v_lshlrev_b32_e32 v14, 24, v14
	v_and_b32_e32 v5, 7, v4
	v_bfe_u32 v17, v4, 3, 4
	v_ffbh_u32_e32 v15, v5
	v_cmp_eq_u32_e32 vcc_lo, 0, v17
	v_min_u32_e32 v15, 32, v15
	v_subrev_nc_u32_e32 v16, 28, v15
	v_sub_nc_u32_e32 v15, 29, v15
	v_lshlrev_b32_e32 v4, v16, v4
	v_cndmask_b32_e32 v15, v17, v15, vcc_lo
	v_and_b32_e32 v4, 7, v4
	v_cndmask_b32_e32 v4, v5, v4, vcc_lo
	v_and_b32_e32 v5, 0x80000000, v14
	v_lshl_add_u32 v14, v15, 23, 0x3b800000
	v_lshlrev_b32_e32 v4, 20, v4
	v_or3_b32 v4, v5, v14, v4
	v_cvt_f64_f32_e32 v[4:5], v4
.LBB48_1367:
	s_or_b32 exec_lo, exec_lo, s5
.LBB48_1368:
	s_mov_b32 s4, -1
.LBB48_1369:
	s_mov_b32 s5, 0
.LBB48_1370:
	s_and_b32 vcc_lo, exec_lo, s5
	s_cbranch_vccz .LBB48_1401
; %bb.1371:
	s_cmp_gt_i32 s2, 22
	s_cbranch_scc0 .LBB48_1383
; %bb.1372:
	s_cmp_lt_i32 s2, 24
	s_cbranch_scc1 .LBB48_1384
; %bb.1373:
	s_cmp_gt_i32 s2, 24
	s_cbranch_scc0 .LBB48_1385
; %bb.1374:
	global_load_ubyte v14, v[8:9], off
	s_mov_b32 s4, exec_lo
	s_waitcnt vmcnt(0)
	v_cmpx_lt_i16_e32 0x7f, v14
	s_xor_b32 s4, exec_lo, s4
	s_cbranch_execz .LBB48_1378
; %bb.1375:
	s_mov_b32 s1, -1
	s_mov_b32 s5, exec_lo
	v_cmpx_eq_u16_e32 0x80, v14
; %bb.1376:
	s_xor_b32 s1, exec_lo, -1
; %bb.1377:
	s_or_b32 exec_lo, exec_lo, s5
	s_and_b32 s1, s1, exec_lo
.LBB48_1378:
	s_or_saveexec_b32 s4, s4
	v_bfrev_b32_e32 v4, 4
	v_mov_b32_e32 v5, 0x7ff80000
	s_xor_b32 exec_lo, exec_lo, s4
; %bb.1379:
	v_cmp_ne_u16_e32 vcc_lo, 0, v14
	v_mov_b32_e32 v4, 0
	v_mov_b32_e32 v5, 0
	s_andn2_b32 s1, s1, exec_lo
	s_and_b32 s5, vcc_lo, exec_lo
	s_or_b32 s1, s1, s5
; %bb.1380:
	s_or_b32 exec_lo, exec_lo, s4
	s_and_saveexec_b32 s4, s1
	s_cbranch_execz .LBB48_1382
; %bb.1381:
	v_and_b32_e32 v4, 0xffff, v14
	v_lshlrev_b32_e32 v14, 24, v14
	v_and_b32_e32 v5, 3, v4
	v_bfe_u32 v17, v4, 2, 5
	v_ffbh_u32_e32 v15, v5
	v_cmp_eq_u32_e32 vcc_lo, 0, v17
	v_min_u32_e32 v15, 32, v15
	v_subrev_nc_u32_e32 v16, 29, v15
	v_sub_nc_u32_e32 v15, 30, v15
	v_lshlrev_b32_e32 v4, v16, v4
	v_cndmask_b32_e32 v15, v17, v15, vcc_lo
	v_and_b32_e32 v4, 3, v4
	v_cndmask_b32_e32 v4, v5, v4, vcc_lo
	v_and_b32_e32 v5, 0x80000000, v14
	v_lshl_add_u32 v14, v15, 23, 0x37800000
	v_lshlrev_b32_e32 v4, 21, v4
	v_or3_b32 v4, v5, v14, v4
	v_cvt_f64_f32_e32 v[4:5], v4
.LBB48_1382:
	s_or_b32 exec_lo, exec_lo, s4
	s_mov_b32 s1, 0
	s_branch .LBB48_1386
.LBB48_1383:
	s_mov_b32 s1, -1
                                        ; implicit-def: $vgpr4_vgpr5
	s_branch .LBB48_1392
.LBB48_1384:
	s_mov_b32 s1, -1
                                        ; implicit-def: $vgpr4_vgpr5
	s_branch .LBB48_1389
.LBB48_1385:
	s_mov_b32 s1, -1
                                        ; implicit-def: $vgpr4_vgpr5
.LBB48_1386:
	s_and_b32 vcc_lo, exec_lo, s1
	s_cbranch_vccz .LBB48_1388
; %bb.1387:
	global_load_ubyte v4, v[8:9], off
	s_waitcnt vmcnt(0)
	v_lshlrev_b32_e32 v4, 24, v4
	v_and_b32_e32 v5, 0x7f000000, v4
	v_ffbh_u32_e32 v14, v5
	v_add_nc_u32_e32 v16, 0x1000000, v5
	v_cmp_ne_u32_e32 vcc_lo, 0, v5
	v_min_u32_e32 v14, 32, v14
	v_sub_nc_u32_e64 v14, v14, 4 clamp
	v_lshlrev_b32_e32 v15, v14, v5
	v_lshlrev_b32_e32 v14, 23, v14
	v_lshrrev_b32_e32 v15, 4, v15
	v_sub_nc_u32_e32 v14, v15, v14
	v_ashrrev_i32_e32 v15, 8, v16
	v_add_nc_u32_e32 v14, 0x3c000000, v14
	v_and_or_b32 v14, 0x7f800000, v15, v14
	v_cndmask_b32_e32 v5, 0, v14, vcc_lo
	v_and_or_b32 v4, 0x80000000, v4, v5
	v_cvt_f64_f32_e32 v[4:5], v4
.LBB48_1388:
	s_mov_b32 s1, 0
.LBB48_1389:
	s_andn2_b32 vcc_lo, exec_lo, s1
	s_cbranch_vccnz .LBB48_1391
; %bb.1390:
	global_load_ubyte v4, v[8:9], off
	s_waitcnt vmcnt(0)
	v_lshlrev_b32_e32 v5, 25, v4
	v_lshlrev_b16 v4, 8, v4
	v_lshrrev_b32_e32 v14, 4, v5
	v_and_or_b32 v15, 0x7f00, v4, 0.5
	v_cmp_gt_u32_e32 vcc_lo, 0x8000000, v5
	v_bfe_i32 v4, v4, 0, 16
	v_or_b32_e32 v14, 0x70000000, v14
	v_add_f32_e32 v15, -0.5, v15
	v_mul_f32_e32 v14, 0x7800000, v14
	v_cndmask_b32_e32 v5, v14, v15, vcc_lo
	v_and_or_b32 v4, 0x80000000, v4, v5
	v_cvt_f64_f32_e32 v[4:5], v4
.LBB48_1391:
	s_mov_b32 s1, 0
	s_mov_b32 s4, -1
.LBB48_1392:
	s_andn2_b32 vcc_lo, exec_lo, s1
	s_mov_b32 s1, 0
	s_cbranch_vccnz .LBB48_1401
; %bb.1393:
	s_cmp_gt_i32 s2, 14
	s_cbranch_scc0 .LBB48_1396
; %bb.1394:
	s_cmp_eq_u32 s2, 15
	s_cbranch_scc0 .LBB48_1397
; %bb.1395:
	global_load_ushort v4, v[8:9], off
	s_mov_b32 s0, 0
	s_mov_b32 s4, -1
	s_waitcnt vmcnt(0)
	v_lshlrev_b32_e32 v4, 16, v4
	v_cvt_f64_f32_e32 v[4:5], v4
	s_branch .LBB48_1399
.LBB48_1396:
	s_mov_b32 s1, -1
	s_branch .LBB48_1398
.LBB48_1397:
	s_mov_b32 s0, -1
.LBB48_1398:
                                        ; implicit-def: $vgpr4_vgpr5
.LBB48_1399:
	s_and_b32 vcc_lo, exec_lo, s1
	s_mov_b32 s1, 0
	s_cbranch_vccz .LBB48_1401
; %bb.1400:
	s_cmp_lg_u32 s2, 11
	s_mov_b32 s1, -1
	s_cselect_b32 s0, -1, 0
.LBB48_1401:
	s_and_b32 vcc_lo, exec_lo, s0
	s_cbranch_vccnz .LBB48_1470
; %bb.1402:
	s_andn2_b32 vcc_lo, exec_lo, s1
	s_cbranch_vccnz .LBB48_1404
.LBB48_1403:
	global_load_ubyte v4, v[8:9], off
	s_mov_b32 s4, -1
	s_waitcnt vmcnt(0)
	v_cmp_ne_u16_e32 vcc_lo, 0, v4
	v_mov_b32_e32 v4, 0
	v_cndmask_b32_e64 v5, 0, 0x3ff00000, vcc_lo
.LBB48_1404:
	s_branch .LBB48_1331
.LBB48_1405:
	s_cmp_lt_i32 s2, 5
	s_cbranch_scc1 .LBB48_1410
; %bb.1406:
	s_cmp_lt_i32 s2, 8
	s_cbranch_scc1 .LBB48_1411
; %bb.1407:
	;; [unrolled: 3-line block ×3, first 2 shown]
	s_cmp_gt_i32 s2, 9
	s_cbranch_scc0 .LBB48_1413
; %bb.1409:
	global_load_dwordx2 v[4:5], v[8:9], off
	s_mov_b32 s0, 0
	s_branch .LBB48_1414
.LBB48_1410:
	s_mov_b32 s0, -1
                                        ; implicit-def: $vgpr4_vgpr5
	s_branch .LBB48_1432
.LBB48_1411:
	s_mov_b32 s0, -1
                                        ; implicit-def: $vgpr4_vgpr5
	s_branch .LBB48_1420
.LBB48_1412:
	s_mov_b32 s0, -1
                                        ; implicit-def: $vgpr4_vgpr5
	s_branch .LBB48_1417
.LBB48_1413:
	s_mov_b32 s0, -1
                                        ; implicit-def: $vgpr4_vgpr5
.LBB48_1414:
	s_andn2_b32 vcc_lo, exec_lo, s0
	s_cbranch_vccnz .LBB48_1416
; %bb.1415:
	global_load_dword v4, v[8:9], off
	s_waitcnt vmcnt(0)
	v_cvt_f64_f32_e32 v[4:5], v4
.LBB48_1416:
	s_mov_b32 s0, 0
.LBB48_1417:
	s_andn2_b32 vcc_lo, exec_lo, s0
	s_cbranch_vccnz .LBB48_1419
; %bb.1418:
	global_load_dword v4, v[8:9], off
	s_waitcnt vmcnt(0)
	v_cvt_f32_f16_e32 v4, v4
	v_cvt_f64_f32_e32 v[4:5], v4
.LBB48_1419:
	s_mov_b32 s0, 0
.LBB48_1420:
	s_andn2_b32 vcc_lo, exec_lo, s0
	s_cbranch_vccnz .LBB48_1431
; %bb.1421:
	s_cmp_lt_i32 s2, 6
	s_cbranch_scc1 .LBB48_1424
; %bb.1422:
	s_cmp_gt_i32 s2, 6
	s_cbranch_scc0 .LBB48_1425
; %bb.1423:
	global_load_dwordx2 v[4:5], v[8:9], off
	s_mov_b32 s0, 0
	s_branch .LBB48_1426
.LBB48_1424:
	s_mov_b32 s0, -1
                                        ; implicit-def: $vgpr4_vgpr5
	s_branch .LBB48_1429
.LBB48_1425:
	s_mov_b32 s0, -1
                                        ; implicit-def: $vgpr4_vgpr5
.LBB48_1426:
	s_andn2_b32 vcc_lo, exec_lo, s0
	s_cbranch_vccnz .LBB48_1428
; %bb.1427:
	global_load_dword v4, v[8:9], off
	s_waitcnt vmcnt(0)
	v_cvt_f64_f32_e32 v[4:5], v4
.LBB48_1428:
	s_mov_b32 s0, 0
.LBB48_1429:
	s_andn2_b32 vcc_lo, exec_lo, s0
	s_cbranch_vccnz .LBB48_1431
; %bb.1430:
	global_load_ushort v4, v[8:9], off
	s_waitcnt vmcnt(0)
	v_cvt_f32_f16_e32 v4, v4
	v_cvt_f64_f32_e32 v[4:5], v4
.LBB48_1431:
	s_mov_b32 s0, 0
.LBB48_1432:
	s_andn2_b32 vcc_lo, exec_lo, s0
	s_cbranch_vccnz .LBB48_1452
; %bb.1433:
	s_cmp_lt_i32 s2, 2
	s_cbranch_scc1 .LBB48_1437
; %bb.1434:
	s_cmp_lt_i32 s2, 3
	s_cbranch_scc1 .LBB48_1438
; %bb.1435:
	s_cmp_gt_i32 s2, 3
	s_cbranch_scc0 .LBB48_1439
; %bb.1436:
	global_load_dwordx2 v[4:5], v[8:9], off
	s_mov_b32 s0, 0
	s_waitcnt vmcnt(0)
	v_cvt_f64_i32_e32 v[14:15], v5
	v_cvt_f64_u32_e32 v[4:5], v4
	v_ldexp_f64 v[14:15], v[14:15], 32
	v_add_f64 v[4:5], v[14:15], v[4:5]
	s_branch .LBB48_1440
.LBB48_1437:
	s_mov_b32 s0, -1
                                        ; implicit-def: $vgpr4_vgpr5
	s_branch .LBB48_1446
.LBB48_1438:
	s_mov_b32 s0, -1
                                        ; implicit-def: $vgpr4_vgpr5
	s_branch .LBB48_1443
.LBB48_1439:
	s_mov_b32 s0, -1
                                        ; implicit-def: $vgpr4_vgpr5
.LBB48_1440:
	s_andn2_b32 vcc_lo, exec_lo, s0
	s_cbranch_vccnz .LBB48_1442
; %bb.1441:
	global_load_dword v4, v[8:9], off
	s_waitcnt vmcnt(0)
	v_cvt_f64_i32_e32 v[4:5], v4
.LBB48_1442:
	s_mov_b32 s0, 0
.LBB48_1443:
	s_andn2_b32 vcc_lo, exec_lo, s0
	s_cbranch_vccnz .LBB48_1445
; %bb.1444:
	global_load_sshort v4, v[8:9], off
	s_waitcnt vmcnt(0)
	v_cvt_f64_i32_e32 v[4:5], v4
.LBB48_1445:
	s_mov_b32 s0, 0
.LBB48_1446:
	s_andn2_b32 vcc_lo, exec_lo, s0
	s_cbranch_vccnz .LBB48_1452
; %bb.1447:
	s_cmp_gt_i32 s2, 0
	s_mov_b32 s0, 0
	s_cbranch_scc0 .LBB48_1449
; %bb.1448:
	global_load_sbyte v4, v[8:9], off
	s_waitcnt vmcnt(0)
	v_cvt_f64_i32_e32 v[4:5], v4
	s_branch .LBB48_1450
.LBB48_1449:
	s_mov_b32 s0, -1
                                        ; implicit-def: $vgpr4_vgpr5
.LBB48_1450:
	s_andn2_b32 vcc_lo, exec_lo, s0
	s_cbranch_vccnz .LBB48_1452
; %bb.1451:
	global_load_ubyte v4, v[8:9], off
	s_waitcnt vmcnt(0)
	v_cvt_f64_u32_e32 v[4:5], v4
.LBB48_1452:
.LBB48_1453:
	v_mov_b32_e32 v16, 0
	v_mov_b32_e32 v14, 0
	;; [unrolled: 1-line block ×4, first 2 shown]
	s_mov_b32 s4, exec_lo
	s_waitcnt vmcnt(0)
	v_cmpx_gt_f64_e32 0.5, v[4:5]
	s_cbranch_execz .LBB48_1459
; %bb.1454:
	s_mov_b32 s1, 0x400921fb
	s_mov_b32 s0, 0x54442d18
	s_mov_b32 s5, exec_lo
	v_mul_f64 v[8:9], v[4:5], s[0:1]
                                        ; implicit-def: $vgpr21
                                        ; implicit-def: $vgpr14_vgpr15
                                        ; implicit-def: $vgpr16_vgpr17
	v_cmpx_ngt_f64_e64 0x41d00000, |v[8:9]|
	s_xor_b32 s5, exec_lo, s5
	s_cbranch_execz .LBB48_1456
; %bb.1455:
	v_ldexp_f64 v[14:15], |v[8:9]|, 0xffffff80
	v_cmp_le_f64_e64 vcc_lo, 0x7b000000, |v[8:9]|
	v_trig_preop_f64 v[16:17], |v[8:9]|, 0
	v_and_b32_e32 v21, 0x7fffffff, v9
	v_trig_preop_f64 v[33:34], |v[8:9]|, 2
	v_mov_b32_e32 v41, 0
	s_mov_b32 s1, 0x3ff921fb
	s_mov_b32 s18, 0x33145c07
	;; [unrolled: 1-line block ×3, first 2 shown]
	v_cndmask_b32_e32 v15, v21, v15, vcc_lo
	v_cndmask_b32_e32 v14, v8, v14, vcc_lo
	v_trig_preop_f64 v[21:22], |v[8:9]|, 1
	v_mul_f64 v[23:24], v[16:17], v[14:15]
	v_mul_f64 v[39:40], v[33:34], v[14:15]
	;; [unrolled: 1-line block ×3, first 2 shown]
	v_fma_f64 v[16:17], v[16:17], v[14:15], -v[23:24]
	v_fma_f64 v[21:22], v[21:22], v[14:15], -v[27:28]
	v_fma_f64 v[14:15], v[33:34], v[14:15], -v[39:40]
	v_add_f64 v[29:30], v[27:28], v[16:17]
	v_add_f64 v[31:32], v[29:30], -v[27:28]
	v_add_f64 v[37:38], v[23:24], v[29:30]
	v_add_f64 v[35:36], v[29:30], -v[31:32]
	v_add_f64 v[16:17], v[16:17], -v[31:32]
	v_ldexp_f64 v[31:32], v[37:38], -2
	v_add_f64 v[23:24], v[37:38], -v[23:24]
	v_add_f64 v[27:28], v[27:28], -v[35:36]
	v_add_f64 v[35:36], v[39:40], v[21:22]
	v_cmp_neq_f64_e64 vcc_lo, 0x7ff00000, |v[31:32]|
	v_add_f64 v[23:24], v[29:30], -v[23:24]
	v_add_f64 v[16:17], v[16:17], v[27:28]
	v_fract_f64_e32 v[27:28], v[31:32]
	v_add_f64 v[29:30], v[35:36], v[16:17]
	v_ldexp_f64 v[27:28], v[27:28], 2
	v_add_f64 v[31:32], v[23:24], v[29:30]
	v_cndmask_b32_e32 v28, 0, v28, vcc_lo
	v_cndmask_b32_e32 v27, 0, v27, vcc_lo
	v_add_f64 v[37:38], v[31:32], v[27:28]
	v_add_f64 v[23:24], v[31:32], -v[23:24]
	v_cmp_gt_f64_e32 vcc_lo, 0, v[37:38]
	v_add_f64 v[37:38], v[35:36], -v[39:40]
	v_cndmask_b32_e64 v42, 0, 0x40100000, vcc_lo
	v_add_f64 v[46:47], v[35:36], -v[37:38]
	v_add_f64 v[21:22], v[21:22], -v[37:38]
	v_add_f64 v[27:28], v[27:28], v[41:42]
	v_add_f64 v[42:43], v[29:30], -v[35:36]
	v_add_f64 v[37:38], v[39:40], -v[46:47]
	v_add_f64 v[44:45], v[31:32], v[27:28]
	;; [unrolled: 3-line block ×3, first 2 shown]
	v_cvt_i32_f64_e32 v25, v[44:45]
	v_add_f64 v[35:36], v[35:36], -v[48:49]
	v_cvt_f64_i32_e32 v[42:43], v25
	v_add_f64 v[16:17], v[16:17], v[35:36]
	v_add_f64 v[27:28], v[27:28], -v[42:43]
	v_add_f64 v[16:17], v[21:22], v[16:17]
	v_add_f64 v[21:22], v[29:30], -v[23:24]
	v_add_f64 v[33:34], v[31:32], v[27:28]
	v_add_f64 v[14:15], v[14:15], v[16:17]
	v_add_f64 v[16:17], v[33:34], -v[27:28]
	v_cmp_le_f64_e32 vcc_lo, 0.5, v[33:34]
	v_add_f64 v[14:15], v[21:22], v[14:15]
	v_add_f64 v[16:17], v[31:32], -v[16:17]
	v_cndmask_b32_e64 v42, 0, 0x3ff00000, vcc_lo
	v_add_co_ci_u32_e64 v21, null, 0, v25, vcc_lo
	v_add_f64 v[14:15], v[14:15], v[16:17]
	v_add_f64 v[16:17], v[33:34], -v[41:42]
	v_add_f64 v[22:23], v[16:17], v[14:15]
	v_mul_f64 v[24:25], v[22:23], s[0:1]
	v_add_f64 v[16:17], v[22:23], -v[16:17]
	v_fma_f64 v[27:28], v[22:23], s[0:1], -v[24:25]
	v_add_f64 v[14:15], v[14:15], -v[16:17]
	v_fma_f64 v[16:17], v[22:23], s[18:19], v[27:28]
	v_fma_f64 v[16:17], v[14:15], s[0:1], v[16:17]
	v_add_f64 v[14:15], v[24:25], v[16:17]
	v_add_f64 v[22:23], v[14:15], -v[24:25]
	v_add_f64 v[16:17], v[16:17], -v[22:23]
.LBB48_1456:
	s_andn2_saveexec_b32 s0, s5
	s_cbranch_execz .LBB48_1458
; %bb.1457:
	s_mov_b32 s18, 0x6dc9c883
	s_mov_b32 s19, 0x3fe45f30
	;; [unrolled: 1-line block ×3, first 2 shown]
	v_mul_f64 v[14:15], |v[8:9]|, s[18:19]
	s_mov_b32 s18, 0x54442d18
	s_mov_b32 s19, 0xbff921fb
	;; [unrolled: 1-line block ×3, first 2 shown]
	v_rndne_f64_e32 v[21:22], v[14:15]
	v_fma_f64 v[14:15], v[21:22], s[18:19], |v[8:9]|
	v_mul_f64 v[16:17], v[21:22], s[20:21]
	s_mov_b32 s18, 0x252049c0
	s_mov_b32 s19, 0xb97b839a
	v_fma_f64 v[27:28], v[21:22], s[20:21], v[14:15]
	v_add_f64 v[23:24], v[14:15], v[16:17]
	s_mov_b32 s21, 0x3c91a626
	v_add_f64 v[14:15], v[14:15], -v[23:24]
	v_add_f64 v[23:24], v[23:24], -v[27:28]
	v_add_f64 v[14:15], v[14:15], v[16:17]
	v_fma_f64 v[16:17], v[21:22], s[20:21], v[16:17]
	v_add_f64 v[14:15], v[23:24], v[14:15]
	v_add_f64 v[14:15], v[14:15], -v[16:17]
	v_fma_f64 v[16:17], v[21:22], s[18:19], v[14:15]
	v_cvt_i32_f64_e32 v21, v[21:22]
	v_add_f64 v[14:15], v[27:28], v[16:17]
	v_add_f64 v[23:24], v[14:15], -v[27:28]
	v_add_f64 v[16:17], v[16:17], -v[23:24]
.LBB48_1458:
	s_or_b32 exec_lo, exec_lo, s0
	v_mul_f64 v[22:23], v[14:15], v[14:15]
	s_mov_b32 s0, 0xb42fdfa7
	s_mov_b32 s18, 0xf9a43bb8
	s_mov_b32 s1, 0xbe5ae600
	s_mov_b32 s19, 0x3de5e0b2
	s_mov_b32 s20, 0x796cde01
	s_mov_b32 s21, 0x3ec71de3
	v_mul_f64 v[33:34], v[16:17], 0.5
	v_add_f64 v[4:5], -v[4:5], 1.0
	v_fma_f64 v[24:25], v[22:23], s[18:19], s[0:1]
	s_mov_b32 s0, 0x9037ab78
	s_mov_b32 s18, 0x46cc5e42
	;; [unrolled: 1-line block ×4, first 2 shown]
	v_mul_f64 v[29:30], v[22:23], 0.5
	v_fma_f64 v[27:28], v[22:23], s[18:19], s[0:1]
	s_mov_b32 s0, 0xa17f65f6
	s_mov_b32 s18, 0x19e83e5c
	s_mov_b32 s1, 0xbe927e4f
	s_mov_b32 s19, 0xbf2a01a0
	v_mul_f64 v[35:36], v[14:15], -v[22:23]
	v_fma_f64 v[24:25], v[22:23], v[24:25], s[20:21]
	v_add_f64 v[31:32], -v[29:30], 1.0
	v_fma_f64 v[27:28], v[22:23], v[27:28], s[0:1]
	s_mov_b32 s0, 0x19f4ec90
	s_mov_b32 s1, 0x3efa01a0
	v_fma_f64 v[24:25], v[22:23], v[24:25], s[18:19]
	s_mov_b32 s18, 0x11110bb3
	s_mov_b32 s19, 0x3f811111
	v_add_f64 v[37:38], -v[31:32], 1.0
	v_fma_f64 v[27:28], v[22:23], v[27:28], s[0:1]
	s_mov_b32 s0, 0x16c16967
	s_mov_b32 s1, 0xbf56c16c
	v_fma_f64 v[24:25], v[22:23], v[24:25], s[18:19]
	v_add_f64 v[29:30], v[37:38], -v[29:30]
	v_fma_f64 v[27:28], v[22:23], v[27:28], s[0:1]
	s_mov_b32 s1, 0x3fa55555
	s_mov_b32 s0, 0x55555555
	v_fma_f64 v[24:25], v[35:36], v[24:25], v[33:34]
	v_mul_f64 v[33:34], v[22:23], v[22:23]
	v_fma_f64 v[29:30], v[14:15], -v[16:17], v[29:30]
	v_fma_f64 v[27:28], v[22:23], v[27:28], s[0:1]
	s_mov_b32 s1, 0xbfc55555
	v_fma_f64 v[16:17], v[22:23], v[24:25], -v[16:17]
	v_fma_f64 v[22:23], v[33:34], v[27:28], v[29:30]
	v_fma_f64 v[16:17], v[35:36], s[0:1], v[16:17]
	v_cmp_class_f64_e64 s0, v[8:9], 0x1f8
	v_lshlrev_b32_e32 v8, 30, v21
	v_add_f64 v[22:23], v[31:32], v[22:23]
	v_xor_b32_e32 v8, v8, v9
	v_and_b32_e32 v8, 0x80000000, v8
	v_add_f64 v[14:15], v[14:15], -v[16:17]
	v_and_b32_e32 v16, 1, v21
	v_cmp_eq_u32_e32 vcc_lo, 0, v16
	v_cndmask_b32_e32 v9, v23, v15, vcc_lo
	v_cndmask_b32_e32 v14, v22, v14, vcc_lo
	v_xor_b32_e32 v9, v9, v8
	v_cndmask_b32_e64 v8, 0, v14, s0
	v_cndmask_b32_e64 v9, 0x7ff80000, v9, s0
	s_mov_b32 s0, 0xc9be45de
	s_mov_b32 s1, 0xc023bd3c
	v_mul_f64 v[8:9], v[8:9], v[8:9]
	v_div_scale_f64 v[14:15], null, v[8:9], v[8:9], s[0:1]
	v_div_scale_f64 v[23:24], vcc_lo, s[0:1], v[8:9], s[0:1]
	v_rcp_f64_e32 v[16:17], v[14:15]
	v_fma_f64 v[21:22], -v[14:15], v[16:17], 1.0
	v_fma_f64 v[16:17], v[16:17], v[21:22], v[16:17]
	v_fma_f64 v[21:22], -v[14:15], v[16:17], 1.0
	v_fma_f64 v[16:17], v[16:17], v[21:22], v[16:17]
	v_mul_f64 v[21:22], v[23:24], v[16:17]
	v_fma_f64 v[14:15], -v[14:15], v[21:22], v[23:24]
	v_div_fmas_f64 v[14:15], v[14:15], v[16:17], v[21:22]
	v_div_fixup_f64 v[8:9], v[14:15], v[8:9], s[0:1]
	v_mov_b32_e32 v14, 0
	v_mov_b32_e32 v15, 0xbff00000
	v_add_f64 v[16:17], v[8:9], 0
.LBB48_1459:
	s_or_b32 exec_lo, exec_lo, s4
	v_add_nc_u32_e32 v8, s3, v20
	s_cmp_lt_i32 s2, 11
	v_ashrrev_i32_e32 v9, 31, v8
	v_add_co_u32 v20, vcc_lo, s10, v8
	v_add_co_ci_u32_e64 v21, null, s11, v9, vcc_lo
	s_cbranch_scc1 .LBB48_1466
; %bb.1460:
	s_cmp_gt_i32 s2, 25
	s_mov_b32 s1, 0
	s_cbranch_scc0 .LBB48_1467
; %bb.1461:
	s_cmp_gt_i32 s2, 28
	s_cbranch_scc0 .LBB48_1468
; %bb.1462:
	s_cmp_gt_i32 s2, 43
	s_cbranch_scc0 .LBB48_1469
; %bb.1463:
	s_cmp_gt_i32 s2, 45
	s_cbranch_scc0 .LBB48_1471
; %bb.1464:
	s_cmp_eq_u32 s2, 46
	s_mov_b32 s4, 0
	s_cbranch_scc0 .LBB48_1472
; %bb.1465:
	global_load_dword v8, v[20:21], off
	s_mov_b32 s0, 0
	s_mov_b32 s3, -1
	s_waitcnt vmcnt(0)
	v_lshlrev_b32_e32 v8, 16, v8
	v_cvt_f64_f32_e32 v[8:9], v8
	s_branch .LBB48_1474
.LBB48_1466:
	s_mov_b32 s0, -1
	s_mov_b32 s3, 0
                                        ; implicit-def: $vgpr8_vgpr9
	s_branch .LBB48_1540
.LBB48_1467:
	s_mov_b32 s4, -1
	s_mov_b32 s3, 0
	s_mov_b32 s0, 0
                                        ; implicit-def: $vgpr8_vgpr9
	s_branch .LBB48_1505
.LBB48_1468:
	s_mov_b32 s4, -1
	s_mov_b32 s3, 0
	s_mov_b32 s0, 0
                                        ; implicit-def: $vgpr8_vgpr9
	s_branch .LBB48_1484
.LBB48_1469:
	s_mov_b32 s4, -1
	s_mov_b32 s3, 0
	s_mov_b32 s0, 0
                                        ; implicit-def: $vgpr8_vgpr9
	s_branch .LBB48_1479
.LBB48_1470:
	s_or_b32 s14, s14, exec_lo
	s_trap 2
	s_cbranch_execz .LBB48_1403
	s_branch .LBB48_1404
.LBB48_1471:
	s_mov_b32 s4, -1
	s_mov_b32 s3, 0
	s_mov_b32 s0, 0
	s_branch .LBB48_1473
.LBB48_1472:
	s_mov_b32 s0, -1
	s_mov_b32 s3, 0
.LBB48_1473:
                                        ; implicit-def: $vgpr8_vgpr9
.LBB48_1474:
	s_and_b32 vcc_lo, exec_lo, s4
	s_cbranch_vccz .LBB48_1478
; %bb.1475:
	s_cmp_eq_u32 s2, 44
	s_cbranch_scc0 .LBB48_1477
; %bb.1476:
	global_load_ubyte v22, v[20:21], off
	s_mov_b32 s0, 0
	s_mov_b32 s3, -1
	s_waitcnt vmcnt(0)
	v_lshlrev_b32_e32 v8, 23, v22
	v_cmp_ne_u32_e32 vcc_lo, 0xff, v22
	v_cvt_f64_f32_e32 v[8:9], v8
	v_cndmask_b32_e32 v8, 0x20000000, v8, vcc_lo
	v_cndmask_b32_e32 v9, 0x7ff80000, v9, vcc_lo
	v_cmp_ne_u32_e32 vcc_lo, 0, v22
	v_cndmask_b32_e32 v9, 0x38000000, v9, vcc_lo
	v_cndmask_b32_e32 v8, 0, v8, vcc_lo
	s_branch .LBB48_1478
.LBB48_1477:
	s_mov_b32 s0, -1
                                        ; implicit-def: $vgpr8_vgpr9
.LBB48_1478:
	s_mov_b32 s4, 0
.LBB48_1479:
	s_and_b32 vcc_lo, exec_lo, s4
	s_cbranch_vccz .LBB48_1483
; %bb.1480:
	s_cmp_eq_u32 s2, 29
	s_cbranch_scc0 .LBB48_1482
; %bb.1481:
	global_load_dwordx2 v[8:9], v[20:21], off
	s_mov_b32 s0, 0
	s_mov_b32 s3, -1
	s_mov_b32 s4, 0
	s_waitcnt vmcnt(0)
	v_cvt_f64_u32_e32 v[22:23], v9
	v_cvt_f64_u32_e32 v[8:9], v8
	v_ldexp_f64 v[22:23], v[22:23], 32
	v_add_f64 v[8:9], v[22:23], v[8:9]
	s_branch .LBB48_1484
.LBB48_1482:
	s_mov_b32 s0, -1
                                        ; implicit-def: $vgpr8_vgpr9
.LBB48_1483:
	s_mov_b32 s4, 0
.LBB48_1484:
	s_and_b32 vcc_lo, exec_lo, s4
	s_cbranch_vccz .LBB48_1504
; %bb.1485:
	s_cmp_lt_i32 s2, 27
	s_cbranch_scc1 .LBB48_1488
; %bb.1486:
	s_cmp_gt_i32 s2, 27
	s_cbranch_scc0 .LBB48_1489
; %bb.1487:
	global_load_dword v8, v[20:21], off
	s_mov_b32 s3, 0
	s_waitcnt vmcnt(0)
	v_cvt_f64_u32_e32 v[8:9], v8
	s_branch .LBB48_1490
.LBB48_1488:
	s_mov_b32 s3, -1
                                        ; implicit-def: $vgpr8_vgpr9
	s_branch .LBB48_1493
.LBB48_1489:
	s_mov_b32 s3, -1
                                        ; implicit-def: $vgpr8_vgpr9
.LBB48_1490:
	s_andn2_b32 vcc_lo, exec_lo, s3
	s_cbranch_vccnz .LBB48_1492
; %bb.1491:
	global_load_ushort v8, v[20:21], off
	s_waitcnt vmcnt(0)
	v_cvt_f64_u32_e32 v[8:9], v8
.LBB48_1492:
	s_mov_b32 s3, 0
.LBB48_1493:
	s_andn2_b32 vcc_lo, exec_lo, s3
	s_cbranch_vccnz .LBB48_1503
; %bb.1494:
	global_load_ubyte v22, v[20:21], off
	s_mov_b32 s3, 0
	s_mov_b32 s4, exec_lo
	s_waitcnt vmcnt(0)
	v_cmpx_lt_i16_e32 0x7f, v22
	s_xor_b32 s4, exec_lo, s4
	s_cbranch_execz .LBB48_1498
; %bb.1495:
	s_mov_b32 s3, -1
	s_mov_b32 s5, exec_lo
	v_cmpx_eq_u16_e32 0x80, v22
; %bb.1496:
	s_xor_b32 s3, exec_lo, -1
; %bb.1497:
	s_or_b32 exec_lo, exec_lo, s5
	s_and_b32 s3, s3, exec_lo
.LBB48_1498:
	s_or_saveexec_b32 s4, s4
	v_bfrev_b32_e32 v8, 4
	v_mov_b32_e32 v9, 0x7ff80000
	s_xor_b32 exec_lo, exec_lo, s4
; %bb.1499:
	v_cmp_ne_u16_e32 vcc_lo, 0, v22
	v_mov_b32_e32 v8, 0
	v_mov_b32_e32 v9, 0
	s_andn2_b32 s3, s3, exec_lo
	s_and_b32 s5, vcc_lo, exec_lo
	s_or_b32 s3, s3, s5
; %bb.1500:
	s_or_b32 exec_lo, exec_lo, s4
	s_and_saveexec_b32 s4, s3
	s_cbranch_execz .LBB48_1502
; %bb.1501:
	v_and_b32_e32 v8, 0xffff, v22
	v_lshlrev_b32_e32 v22, 24, v22
	v_and_b32_e32 v9, 7, v8
	v_bfe_u32 v25, v8, 3, 4
	v_ffbh_u32_e32 v23, v9
	v_cmp_eq_u32_e32 vcc_lo, 0, v25
	v_min_u32_e32 v23, 32, v23
	v_subrev_nc_u32_e32 v24, 28, v23
	v_sub_nc_u32_e32 v23, 29, v23
	v_lshlrev_b32_e32 v8, v24, v8
	v_cndmask_b32_e32 v23, v25, v23, vcc_lo
	v_and_b32_e32 v8, 7, v8
	v_cndmask_b32_e32 v8, v9, v8, vcc_lo
	v_and_b32_e32 v9, 0x80000000, v22
	v_lshl_add_u32 v22, v23, 23, 0x3b800000
	v_lshlrev_b32_e32 v8, 20, v8
	v_or3_b32 v8, v9, v22, v8
	v_cvt_f64_f32_e32 v[8:9], v8
.LBB48_1502:
	s_or_b32 exec_lo, exec_lo, s4
.LBB48_1503:
	s_mov_b32 s3, -1
.LBB48_1504:
	s_mov_b32 s4, 0
.LBB48_1505:
	s_and_b32 vcc_lo, exec_lo, s4
	s_cbranch_vccz .LBB48_1536
; %bb.1506:
	s_cmp_gt_i32 s2, 22
	s_cbranch_scc0 .LBB48_1518
; %bb.1507:
	s_cmp_lt_i32 s2, 24
	s_cbranch_scc1 .LBB48_1519
; %bb.1508:
	s_cmp_gt_i32 s2, 24
	s_cbranch_scc0 .LBB48_1520
; %bb.1509:
	global_load_ubyte v22, v[20:21], off
	s_mov_b32 s3, exec_lo
	s_waitcnt vmcnt(0)
	v_cmpx_lt_i16_e32 0x7f, v22
	s_xor_b32 s3, exec_lo, s3
	s_cbranch_execz .LBB48_1513
; %bb.1510:
	s_mov_b32 s1, -1
	s_mov_b32 s4, exec_lo
	v_cmpx_eq_u16_e32 0x80, v22
; %bb.1511:
	s_xor_b32 s1, exec_lo, -1
; %bb.1512:
	s_or_b32 exec_lo, exec_lo, s4
	s_and_b32 s1, s1, exec_lo
.LBB48_1513:
	s_or_saveexec_b32 s3, s3
	v_bfrev_b32_e32 v8, 4
	v_mov_b32_e32 v9, 0x7ff80000
	s_xor_b32 exec_lo, exec_lo, s3
; %bb.1514:
	v_cmp_ne_u16_e32 vcc_lo, 0, v22
	v_mov_b32_e32 v8, 0
	v_mov_b32_e32 v9, 0
	s_andn2_b32 s1, s1, exec_lo
	s_and_b32 s4, vcc_lo, exec_lo
	s_or_b32 s1, s1, s4
; %bb.1515:
	s_or_b32 exec_lo, exec_lo, s3
	s_and_saveexec_b32 s3, s1
	s_cbranch_execz .LBB48_1517
; %bb.1516:
	v_and_b32_e32 v8, 0xffff, v22
	v_lshlrev_b32_e32 v22, 24, v22
	v_and_b32_e32 v9, 3, v8
	v_bfe_u32 v25, v8, 2, 5
	v_ffbh_u32_e32 v23, v9
	v_cmp_eq_u32_e32 vcc_lo, 0, v25
	v_min_u32_e32 v23, 32, v23
	v_subrev_nc_u32_e32 v24, 29, v23
	v_sub_nc_u32_e32 v23, 30, v23
	v_lshlrev_b32_e32 v8, v24, v8
	v_cndmask_b32_e32 v23, v25, v23, vcc_lo
	v_and_b32_e32 v8, 3, v8
	v_cndmask_b32_e32 v8, v9, v8, vcc_lo
	v_and_b32_e32 v9, 0x80000000, v22
	v_lshl_add_u32 v22, v23, 23, 0x37800000
	v_lshlrev_b32_e32 v8, 21, v8
	v_or3_b32 v8, v9, v22, v8
	v_cvt_f64_f32_e32 v[8:9], v8
.LBB48_1517:
	s_or_b32 exec_lo, exec_lo, s3
	s_mov_b32 s1, 0
	s_branch .LBB48_1521
.LBB48_1518:
	s_mov_b32 s1, -1
                                        ; implicit-def: $vgpr8_vgpr9
	s_branch .LBB48_1527
.LBB48_1519:
	s_mov_b32 s1, -1
                                        ; implicit-def: $vgpr8_vgpr9
	s_branch .LBB48_1524
.LBB48_1520:
	s_mov_b32 s1, -1
                                        ; implicit-def: $vgpr8_vgpr9
.LBB48_1521:
	s_and_b32 vcc_lo, exec_lo, s1
	s_cbranch_vccz .LBB48_1523
; %bb.1522:
	global_load_ubyte v8, v[20:21], off
	s_waitcnt vmcnt(0)
	v_lshlrev_b32_e32 v8, 24, v8
	v_and_b32_e32 v9, 0x7f000000, v8
	v_ffbh_u32_e32 v22, v9
	v_add_nc_u32_e32 v24, 0x1000000, v9
	v_cmp_ne_u32_e32 vcc_lo, 0, v9
	v_min_u32_e32 v22, 32, v22
	v_sub_nc_u32_e64 v22, v22, 4 clamp
	v_lshlrev_b32_e32 v23, v22, v9
	v_lshlrev_b32_e32 v22, 23, v22
	v_lshrrev_b32_e32 v23, 4, v23
	v_sub_nc_u32_e32 v22, v23, v22
	v_ashrrev_i32_e32 v23, 8, v24
	v_add_nc_u32_e32 v22, 0x3c000000, v22
	v_and_or_b32 v22, 0x7f800000, v23, v22
	v_cndmask_b32_e32 v9, 0, v22, vcc_lo
	v_and_or_b32 v8, 0x80000000, v8, v9
	v_cvt_f64_f32_e32 v[8:9], v8
.LBB48_1523:
	s_mov_b32 s1, 0
.LBB48_1524:
	s_andn2_b32 vcc_lo, exec_lo, s1
	s_cbranch_vccnz .LBB48_1526
; %bb.1525:
	global_load_ubyte v8, v[20:21], off
	s_waitcnt vmcnt(0)
	v_lshlrev_b32_e32 v9, 25, v8
	v_lshlrev_b16 v8, 8, v8
	v_lshrrev_b32_e32 v22, 4, v9
	v_and_or_b32 v23, 0x7f00, v8, 0.5
	v_cmp_gt_u32_e32 vcc_lo, 0x8000000, v9
	v_bfe_i32 v8, v8, 0, 16
	v_or_b32_e32 v22, 0x70000000, v22
	v_add_f32_e32 v23, -0.5, v23
	v_mul_f32_e32 v22, 0x7800000, v22
	v_cndmask_b32_e32 v9, v22, v23, vcc_lo
	v_and_or_b32 v8, 0x80000000, v8, v9
	v_cvt_f64_f32_e32 v[8:9], v8
.LBB48_1526:
	s_mov_b32 s1, 0
	s_mov_b32 s3, -1
.LBB48_1527:
	s_andn2_b32 vcc_lo, exec_lo, s1
	s_mov_b32 s1, 0
	s_cbranch_vccnz .LBB48_1536
; %bb.1528:
	s_cmp_gt_i32 s2, 14
	s_cbranch_scc0 .LBB48_1531
; %bb.1529:
	s_cmp_eq_u32 s2, 15
	s_cbranch_scc0 .LBB48_1532
; %bb.1530:
	global_load_ushort v8, v[20:21], off
	s_mov_b32 s0, 0
	s_mov_b32 s3, -1
	s_waitcnt vmcnt(0)
	v_lshlrev_b32_e32 v8, 16, v8
	v_cvt_f64_f32_e32 v[8:9], v8
	s_branch .LBB48_1534
.LBB48_1531:
	s_mov_b32 s1, -1
	s_branch .LBB48_1533
.LBB48_1532:
	s_mov_b32 s0, -1
.LBB48_1533:
                                        ; implicit-def: $vgpr8_vgpr9
.LBB48_1534:
	s_and_b32 vcc_lo, exec_lo, s1
	s_mov_b32 s1, 0
	s_cbranch_vccz .LBB48_1536
; %bb.1535:
	s_cmp_lg_u32 s2, 11
	s_mov_b32 s1, -1
	s_cselect_b32 s0, -1, 0
.LBB48_1536:
	s_and_b32 vcc_lo, exec_lo, s0
	s_cbranch_vccnz .LBB48_2075
; %bb.1537:
	s_andn2_b32 vcc_lo, exec_lo, s1
	s_cbranch_vccnz .LBB48_1539
.LBB48_1538:
	global_load_ubyte v8, v[20:21], off
	s_mov_b32 s3, -1
	s_waitcnt vmcnt(0)
	v_cmp_ne_u16_e32 vcc_lo, 0, v8
	v_mov_b32_e32 v8, 0
	v_cndmask_b32_e64 v9, 0, 0x3ff00000, vcc_lo
.LBB48_1539:
	s_mov_b32 s0, 0
.LBB48_1540:
	s_and_b32 vcc_lo, exec_lo, s0
	s_cbranch_vccz .LBB48_1589
; %bb.1541:
	s_cmp_lt_i32 s2, 5
	s_cbranch_scc1 .LBB48_1546
; %bb.1542:
	s_cmp_lt_i32 s2, 8
	s_cbranch_scc1 .LBB48_1547
	;; [unrolled: 3-line block ×3, first 2 shown]
; %bb.1544:
	s_cmp_gt_i32 s2, 9
	s_cbranch_scc0 .LBB48_1549
; %bb.1545:
	global_load_dwordx2 v[8:9], v[20:21], off
	s_mov_b32 s0, 0
	s_branch .LBB48_1550
.LBB48_1546:
	s_mov_b32 s0, -1
                                        ; implicit-def: $vgpr8_vgpr9
	s_branch .LBB48_1568
.LBB48_1547:
	s_mov_b32 s0, -1
                                        ; implicit-def: $vgpr8_vgpr9
	s_branch .LBB48_1556
.LBB48_1548:
	s_mov_b32 s0, -1
                                        ; implicit-def: $vgpr8_vgpr9
	s_branch .LBB48_1553
.LBB48_1549:
	s_mov_b32 s0, -1
                                        ; implicit-def: $vgpr8_vgpr9
.LBB48_1550:
	s_andn2_b32 vcc_lo, exec_lo, s0
	s_cbranch_vccnz .LBB48_1552
; %bb.1551:
	global_load_dword v8, v[20:21], off
	s_waitcnt vmcnt(0)
	v_cvt_f64_f32_e32 v[8:9], v8
.LBB48_1552:
	s_mov_b32 s0, 0
.LBB48_1553:
	s_andn2_b32 vcc_lo, exec_lo, s0
	s_cbranch_vccnz .LBB48_1555
; %bb.1554:
	global_load_dword v8, v[20:21], off
	s_waitcnt vmcnt(0)
	v_cvt_f32_f16_e32 v8, v8
	v_cvt_f64_f32_e32 v[8:9], v8
.LBB48_1555:
	s_mov_b32 s0, 0
.LBB48_1556:
	s_andn2_b32 vcc_lo, exec_lo, s0
	s_cbranch_vccnz .LBB48_1567
; %bb.1557:
	s_cmp_lt_i32 s2, 6
	s_cbranch_scc1 .LBB48_1560
; %bb.1558:
	s_cmp_gt_i32 s2, 6
	s_cbranch_scc0 .LBB48_1561
; %bb.1559:
	global_load_dwordx2 v[8:9], v[20:21], off
	s_mov_b32 s0, 0
	s_branch .LBB48_1562
.LBB48_1560:
	s_mov_b32 s0, -1
                                        ; implicit-def: $vgpr8_vgpr9
	s_branch .LBB48_1565
.LBB48_1561:
	s_mov_b32 s0, -1
                                        ; implicit-def: $vgpr8_vgpr9
.LBB48_1562:
	s_andn2_b32 vcc_lo, exec_lo, s0
	s_cbranch_vccnz .LBB48_1564
; %bb.1563:
	global_load_dword v8, v[20:21], off
	s_waitcnt vmcnt(0)
	v_cvt_f64_f32_e32 v[8:9], v8
.LBB48_1564:
	s_mov_b32 s0, 0
.LBB48_1565:
	s_andn2_b32 vcc_lo, exec_lo, s0
	s_cbranch_vccnz .LBB48_1567
; %bb.1566:
	global_load_ushort v8, v[20:21], off
	s_waitcnt vmcnt(0)
	v_cvt_f32_f16_e32 v8, v8
	v_cvt_f64_f32_e32 v[8:9], v8
.LBB48_1567:
	s_mov_b32 s0, 0
.LBB48_1568:
	s_andn2_b32 vcc_lo, exec_lo, s0
	s_cbranch_vccnz .LBB48_1588
; %bb.1569:
	s_cmp_lt_i32 s2, 2
	s_cbranch_scc1 .LBB48_1573
; %bb.1570:
	s_cmp_lt_i32 s2, 3
	s_cbranch_scc1 .LBB48_1574
; %bb.1571:
	s_cmp_gt_i32 s2, 3
	s_cbranch_scc0 .LBB48_1575
; %bb.1572:
	global_load_dwordx2 v[8:9], v[20:21], off
	s_mov_b32 s0, 0
	s_waitcnt vmcnt(0)
	v_cvt_f64_i32_e32 v[22:23], v9
	v_cvt_f64_u32_e32 v[8:9], v8
	v_ldexp_f64 v[22:23], v[22:23], 32
	v_add_f64 v[8:9], v[22:23], v[8:9]
	s_branch .LBB48_1576
.LBB48_1573:
	s_mov_b32 s0, -1
                                        ; implicit-def: $vgpr8_vgpr9
	s_branch .LBB48_1582
.LBB48_1574:
	s_mov_b32 s0, -1
                                        ; implicit-def: $vgpr8_vgpr9
	s_branch .LBB48_1579
.LBB48_1575:
	s_mov_b32 s0, -1
                                        ; implicit-def: $vgpr8_vgpr9
.LBB48_1576:
	s_andn2_b32 vcc_lo, exec_lo, s0
	s_cbranch_vccnz .LBB48_1578
; %bb.1577:
	global_load_dword v8, v[20:21], off
	s_waitcnt vmcnt(0)
	v_cvt_f64_i32_e32 v[8:9], v8
.LBB48_1578:
	s_mov_b32 s0, 0
.LBB48_1579:
	s_andn2_b32 vcc_lo, exec_lo, s0
	s_cbranch_vccnz .LBB48_1581
; %bb.1580:
	global_load_sshort v8, v[20:21], off
	s_waitcnt vmcnt(0)
	v_cvt_f64_i32_e32 v[8:9], v8
.LBB48_1581:
	s_mov_b32 s0, 0
.LBB48_1582:
	s_andn2_b32 vcc_lo, exec_lo, s0
	s_cbranch_vccnz .LBB48_1588
; %bb.1583:
	s_cmp_gt_i32 s2, 0
	s_mov_b32 s0, 0
	s_cbranch_scc0 .LBB48_1585
; %bb.1584:
	global_load_sbyte v8, v[20:21], off
	s_waitcnt vmcnt(0)
	v_cvt_f64_i32_e32 v[8:9], v8
	s_branch .LBB48_1586
.LBB48_1585:
	s_mov_b32 s0, -1
                                        ; implicit-def: $vgpr8_vgpr9
.LBB48_1586:
	s_andn2_b32 vcc_lo, exec_lo, s0
	s_cbranch_vccnz .LBB48_1588
; %bb.1587:
	global_load_ubyte v8, v[20:21], off
	s_waitcnt vmcnt(0)
	v_cvt_f64_u32_e32 v[8:9], v8
.LBB48_1588:
	s_mov_b32 s3, -1
.LBB48_1589:
	s_andn2_b32 vcc_lo, exec_lo, s3
	s_cbranch_vccnz .LBB48_2029
; %bb.1590:
	v_mov_b32_e32 v22, 0
	v_mov_b32_e32 v20, 0
	;; [unrolled: 1-line block ×4, first 2 shown]
	s_mov_b32 s2, exec_lo
	s_waitcnt vmcnt(0)
	v_cmpx_gt_f64_e32 0.5, v[8:9]
	s_cbranch_execz .LBB48_1596
; %bb.1591:
	s_mov_b32 s1, 0x400921fb
	s_mov_b32 s0, 0x54442d18
	s_mov_b32 s3, exec_lo
	v_mul_f64 v[20:21], v[8:9], s[0:1]
                                        ; implicit-def: $vgpr27
                                        ; implicit-def: $vgpr22_vgpr23
                                        ; implicit-def: $vgpr24_vgpr25
	v_cmpx_ngt_f64_e64 0x41d00000, |v[20:21]|
	s_xor_b32 s3, exec_lo, s3
	s_cbranch_execz .LBB48_1593
; %bb.1592:
	v_ldexp_f64 v[22:23], |v[20:21]|, 0xffffff80
	v_cmp_le_f64_e64 vcc_lo, 0x7b000000, |v[20:21]|
	v_trig_preop_f64 v[24:25], |v[20:21]|, 0
	v_and_b32_e32 v27, 0x7fffffff, v21
	v_trig_preop_f64 v[37:38], |v[20:21]|, 2
	v_mov_b32_e32 v45, 0
	s_mov_b32 s1, 0x3ff921fb
	s_mov_b32 s4, 0x33145c07
	;; [unrolled: 1-line block ×3, first 2 shown]
	v_cndmask_b32_e32 v23, v27, v23, vcc_lo
	v_cndmask_b32_e32 v22, v20, v22, vcc_lo
	v_trig_preop_f64 v[27:28], |v[20:21]|, 1
	v_mul_f64 v[29:30], v[24:25], v[22:23]
	v_mul_f64 v[43:44], v[37:38], v[22:23]
	;; [unrolled: 1-line block ×3, first 2 shown]
	v_fma_f64 v[24:25], v[24:25], v[22:23], -v[29:30]
	v_fma_f64 v[27:28], v[27:28], v[22:23], -v[31:32]
	v_fma_f64 v[22:23], v[37:38], v[22:23], -v[43:44]
	v_add_f64 v[33:34], v[31:32], v[24:25]
	v_add_f64 v[35:36], v[33:34], -v[31:32]
	v_add_f64 v[41:42], v[29:30], v[33:34]
	v_add_f64 v[39:40], v[33:34], -v[35:36]
	v_add_f64 v[24:25], v[24:25], -v[35:36]
	v_ldexp_f64 v[35:36], v[41:42], -2
	v_add_f64 v[29:30], v[41:42], -v[29:30]
	v_add_f64 v[31:32], v[31:32], -v[39:40]
	v_add_f64 v[39:40], v[43:44], v[27:28]
	v_cmp_neq_f64_e64 vcc_lo, 0x7ff00000, |v[35:36]|
	v_add_f64 v[29:30], v[33:34], -v[29:30]
	v_add_f64 v[24:25], v[24:25], v[31:32]
	v_fract_f64_e32 v[31:32], v[35:36]
	v_add_f64 v[33:34], v[39:40], v[24:25]
	v_ldexp_f64 v[31:32], v[31:32], 2
	v_add_f64 v[35:36], v[29:30], v[33:34]
	v_cndmask_b32_e32 v32, 0, v32, vcc_lo
	v_cndmask_b32_e32 v31, 0, v31, vcc_lo
	v_add_f64 v[41:42], v[35:36], v[31:32]
	v_add_f64 v[29:30], v[35:36], -v[29:30]
	v_cmp_gt_f64_e32 vcc_lo, 0, v[41:42]
	v_add_f64 v[41:42], v[39:40], -v[43:44]
	v_cndmask_b32_e64 v46, 0, 0x40100000, vcc_lo
	v_add_f64 v[50:51], v[39:40], -v[41:42]
	v_add_f64 v[27:28], v[27:28], -v[41:42]
	v_add_f64 v[31:32], v[31:32], v[45:46]
	v_add_f64 v[46:47], v[33:34], -v[39:40]
	v_add_f64 v[41:42], v[43:44], -v[50:51]
	v_add_f64 v[48:49], v[35:36], v[31:32]
	;; [unrolled: 3-line block ×3, first 2 shown]
	v_cvt_i32_f64_e32 v48, v[48:49]
	v_add_f64 v[39:40], v[39:40], -v[52:53]
	v_cvt_f64_i32_e32 v[46:47], v48
	v_add_f64 v[24:25], v[24:25], v[39:40]
	v_add_f64 v[31:32], v[31:32], -v[46:47]
	v_add_f64 v[24:25], v[27:28], v[24:25]
	v_add_f64 v[27:28], v[33:34], -v[29:30]
	v_add_f64 v[37:38], v[35:36], v[31:32]
	v_add_f64 v[22:23], v[22:23], v[24:25]
	v_add_f64 v[24:25], v[37:38], -v[31:32]
	v_cmp_le_f64_e32 vcc_lo, 0.5, v[37:38]
	v_add_f64 v[22:23], v[27:28], v[22:23]
	v_add_f64 v[24:25], v[35:36], -v[24:25]
	v_cndmask_b32_e64 v46, 0, 0x3ff00000, vcc_lo
	v_add_co_ci_u32_e64 v27, null, 0, v48, vcc_lo
	v_add_f64 v[22:23], v[22:23], v[24:25]
	v_add_f64 v[24:25], v[37:38], -v[45:46]
	v_add_f64 v[28:29], v[24:25], v[22:23]
	v_mul_f64 v[30:31], v[28:29], s[0:1]
	v_add_f64 v[24:25], v[28:29], -v[24:25]
	v_fma_f64 v[32:33], v[28:29], s[0:1], -v[30:31]
	v_add_f64 v[22:23], v[22:23], -v[24:25]
	v_fma_f64 v[24:25], v[28:29], s[4:5], v[32:33]
	v_fma_f64 v[24:25], v[22:23], s[0:1], v[24:25]
	v_add_f64 v[22:23], v[30:31], v[24:25]
	v_add_f64 v[28:29], v[22:23], -v[30:31]
	v_add_f64 v[24:25], v[24:25], -v[28:29]
.LBB48_1593:
	s_andn2_saveexec_b32 s0, s3
	s_cbranch_execz .LBB48_1595
; %bb.1594:
	s_mov_b32 s4, 0x6dc9c883
	s_mov_b32 s5, 0x3fe45f30
	;; [unrolled: 1-line block ×3, first 2 shown]
	v_mul_f64 v[22:23], |v[20:21]|, s[4:5]
	s_mov_b32 s4, 0x54442d18
	s_mov_b32 s5, 0xbff921fb
	;; [unrolled: 1-line block ×3, first 2 shown]
	v_rndne_f64_e32 v[27:28], v[22:23]
	v_fma_f64 v[22:23], v[27:28], s[4:5], |v[20:21]|
	v_mul_f64 v[24:25], v[27:28], s[10:11]
	s_mov_b32 s4, 0x252049c0
	s_mov_b32 s5, 0xb97b839a
	v_fma_f64 v[31:32], v[27:28], s[10:11], v[22:23]
	v_add_f64 v[29:30], v[22:23], v[24:25]
	s_mov_b32 s11, 0x3c91a626
	v_add_f64 v[22:23], v[22:23], -v[29:30]
	v_add_f64 v[29:30], v[29:30], -v[31:32]
	v_add_f64 v[22:23], v[22:23], v[24:25]
	v_fma_f64 v[24:25], v[27:28], s[10:11], v[24:25]
	v_add_f64 v[22:23], v[29:30], v[22:23]
	v_add_f64 v[22:23], v[22:23], -v[24:25]
	v_fma_f64 v[24:25], v[27:28], s[4:5], v[22:23]
	v_cvt_i32_f64_e32 v27, v[27:28]
	v_add_f64 v[22:23], v[31:32], v[24:25]
	v_add_f64 v[29:30], v[22:23], -v[31:32]
	v_add_f64 v[24:25], v[24:25], -v[29:30]
.LBB48_1595:
	s_or_b32 exec_lo, exec_lo, s0
	v_mul_f64 v[28:29], v[22:23], v[22:23]
	s_mov_b32 s0, 0xb42fdfa7
	s_mov_b32 s4, 0xf9a43bb8
	;; [unrolled: 1-line block ×6, first 2 shown]
	v_mul_f64 v[38:39], v[24:25], 0.5
	v_add_f64 v[8:9], -v[8:9], 1.0
	v_fma_f64 v[30:31], v[28:29], s[4:5], s[0:1]
	s_mov_b32 s0, 0x9037ab78
	s_mov_b32 s4, 0x46cc5e42
	;; [unrolled: 1-line block ×4, first 2 shown]
	v_mul_f64 v[34:35], v[28:29], 0.5
	v_fma_f64 v[32:33], v[28:29], s[4:5], s[0:1]
	s_mov_b32 s0, 0xa17f65f6
	s_mov_b32 s4, 0x19e83e5c
	;; [unrolled: 1-line block ×4, first 2 shown]
	v_mul_f64 v[40:41], v[22:23], -v[28:29]
	v_fma_f64 v[30:31], v[28:29], v[30:31], s[10:11]
	v_add_f64 v[36:37], -v[34:35], 1.0
	v_fma_f64 v[32:33], v[28:29], v[32:33], s[0:1]
	s_mov_b32 s0, 0x19f4ec90
	s_mov_b32 s1, 0x3efa01a0
	v_fma_f64 v[30:31], v[28:29], v[30:31], s[4:5]
	s_mov_b32 s4, 0x11110bb3
	s_mov_b32 s5, 0x3f811111
	v_add_f64 v[42:43], -v[36:37], 1.0
	v_fma_f64 v[32:33], v[28:29], v[32:33], s[0:1]
	s_mov_b32 s0, 0x16c16967
	s_mov_b32 s1, 0xbf56c16c
	v_fma_f64 v[30:31], v[28:29], v[30:31], s[4:5]
	v_add_f64 v[34:35], v[42:43], -v[34:35]
	v_fma_f64 v[32:33], v[28:29], v[32:33], s[0:1]
	s_mov_b32 s1, 0x3fa55555
	s_mov_b32 s0, 0x55555555
	v_fma_f64 v[30:31], v[40:41], v[30:31], v[38:39]
	v_mul_f64 v[38:39], v[28:29], v[28:29]
	v_fma_f64 v[34:35], v[22:23], -v[24:25], v[34:35]
	v_fma_f64 v[32:33], v[28:29], v[32:33], s[0:1]
	s_mov_b32 s1, 0xbfc55555
	v_fma_f64 v[24:25], v[28:29], v[30:31], -v[24:25]
	v_fma_f64 v[28:29], v[38:39], v[32:33], v[34:35]
	v_fma_f64 v[24:25], v[40:41], s[0:1], v[24:25]
	v_cmp_class_f64_e64 s0, v[20:21], 0x1f8
	v_lshlrev_b32_e32 v20, 30, v27
	v_add_f64 v[28:29], v[36:37], v[28:29]
	v_xor_b32_e32 v20, v20, v21
	v_and_b32_e32 v20, 0x80000000, v20
	v_add_f64 v[22:23], v[22:23], -v[24:25]
	v_and_b32_e32 v24, 1, v27
	v_cmp_eq_u32_e32 vcc_lo, 0, v24
	v_cndmask_b32_e32 v21, v29, v23, vcc_lo
	v_cndmask_b32_e32 v22, v28, v22, vcc_lo
	v_xor_b32_e32 v21, v21, v20
	v_cndmask_b32_e64 v20, 0, v22, s0
	v_cndmask_b32_e64 v21, 0x7ff80000, v21, s0
	s_mov_b32 s0, 0xc9be45de
	s_mov_b32 s1, 0xc023bd3c
	v_mul_f64 v[20:21], v[20:21], v[20:21]
	v_div_scale_f64 v[22:23], null, v[20:21], v[20:21], s[0:1]
	v_div_scale_f64 v[29:30], vcc_lo, s[0:1], v[20:21], s[0:1]
	v_rcp_f64_e32 v[24:25], v[22:23]
	v_fma_f64 v[27:28], -v[22:23], v[24:25], 1.0
	v_fma_f64 v[24:25], v[24:25], v[27:28], v[24:25]
	v_fma_f64 v[27:28], -v[22:23], v[24:25], 1.0
	v_fma_f64 v[24:25], v[24:25], v[27:28], v[24:25]
	v_mul_f64 v[27:28], v[29:30], v[24:25]
	v_fma_f64 v[22:23], -v[22:23], v[27:28], v[29:30]
	v_div_fmas_f64 v[22:23], v[22:23], v[24:25], v[27:28]
	v_div_fixup_f64 v[20:21], v[22:23], v[20:21], s[0:1]
	v_add_f64 v[22:23], v[20:21], 0
	v_mov_b32_e32 v20, 0
	v_mov_b32_e32 v21, 0xbff00000
.LBB48_1596:
	s_or_b32 exec_lo, exec_lo, s2
	v_add_f64 v[24:25], v[0:1], 1.0
	v_mul_f64 v[0:1], v[0:1], v[0:1]
	s_and_b32 s18, s7, 0xff
	s_cmp_lt_i32 s18, 11
	v_add_f64 v[27:28], v[24:25], 1.0
	v_mul_f64 v[24:25], v[24:25], v[24:25]
	v_div_scale_f64 v[39:40], null, v[0:1], v[0:1], 1.0
	v_div_scale_f64 v[87:88], vcc_lo, 1.0, v[0:1], 1.0
	v_add_f64 v[29:30], v[27:28], 1.0
	v_mul_f64 v[27:28], v[27:28], v[27:28]
	v_div_scale_f64 v[41:42], null, v[24:25], v[24:25], 1.0
	v_rcp_f64_e32 v[55:56], v[39:40]
	v_add_f64 v[31:32], v[29:30], 1.0
	v_mul_f64 v[29:30], v[29:30], v[29:30]
	v_div_scale_f64 v[43:44], null, v[27:28], v[27:28], 1.0
	v_rcp_f64_e32 v[57:58], v[41:42]
	v_fma_f64 v[71:72], -v[39:40], v[55:56], 1.0
	v_add_f64 v[33:34], v[31:32], 1.0
	v_mul_f64 v[31:32], v[31:32], v[31:32]
	v_div_scale_f64 v[45:46], null, v[29:30], v[29:30], 1.0
	v_rcp_f64_e32 v[59:60], v[43:44]
	v_fma_f64 v[73:74], -v[41:42], v[57:58], 1.0
	v_fma_f64 v[55:56], v[55:56], v[71:72], v[55:56]
	v_add_f64 v[35:36], v[33:34], 1.0
	v_mul_f64 v[33:34], v[33:34], v[33:34]
	v_div_scale_f64 v[47:48], null, v[31:32], v[31:32], 1.0
	v_rcp_f64_e32 v[61:62], v[45:46]
	v_fma_f64 v[75:76], -v[43:44], v[59:60], 1.0
	v_fma_f64 v[57:58], v[57:58], v[73:74], v[57:58]
	v_fma_f64 v[73:74], -v[39:40], v[55:56], 1.0
	v_mul_f64 v[37:38], v[35:36], v[35:36]
	v_div_scale_f64 v[49:50], null, v[33:34], v[33:34], 1.0
	v_add_f64 v[51:52], v[35:36], v[35:36]
	v_rcp_f64_e32 v[63:64], v[47:48]
	v_fma_f64 v[77:78], -v[45:46], v[61:62], 1.0
	v_fma_f64 v[59:60], v[59:60], v[75:76], v[59:60]
	v_fma_f64 v[75:76], -v[41:42], v[57:58], 1.0
	v_fma_f64 v[55:56], v[55:56], v[73:74], v[55:56]
	v_div_scale_f64 v[73:74], s0, 1.0, v[24:25], 1.0
	v_div_scale_f64 v[53:54], null, v[37:38], v[37:38], 1.0
	v_rcp_f64_e32 v[65:66], v[49:50]
	v_div_scale_f64 v[67:68], null, v[51:52], v[51:52], 1.0
	v_div_scale_f64 v[89:90], s5, 1.0, v[37:38], 1.0
	v_fma_f64 v[79:80], -v[47:48], v[63:64], 1.0
	v_fma_f64 v[61:62], v[61:62], v[77:78], v[61:62]
	v_fma_f64 v[77:78], -v[43:44], v[59:60], 1.0
	v_fma_f64 v[57:58], v[57:58], v[75:76], v[57:58]
	v_div_scale_f64 v[75:76], s1, 1.0, v[27:28], 1.0
	v_div_scale_f64 v[99:100], s6, 1.0, v[51:52], 1.0
	v_rcp_f64_e32 v[69:70], v[53:54]
	v_rcp_f64_e32 v[81:82], v[67:68]
	v_fma_f64 v[83:84], -v[49:50], v[65:66], 1.0
	v_fma_f64 v[63:64], v[63:64], v[79:80], v[63:64]
	v_fma_f64 v[79:80], -v[45:46], v[61:62], 1.0
	v_fma_f64 v[59:60], v[59:60], v[77:78], v[59:60]
	v_div_scale_f64 v[77:78], s2, 1.0, v[29:30], 1.0
	v_mul_f64 v[91:92], v[73:74], v[57:58]
	v_fma_f64 v[85:86], -v[53:54], v[69:70], 1.0
	v_fma_f64 v[65:66], v[65:66], v[83:84], v[65:66]
	v_fma_f64 v[71:72], -v[67:68], v[81:82], 1.0
	v_fma_f64 v[83:84], -v[47:48], v[63:64], 1.0
	v_fma_f64 v[61:62], v[61:62], v[79:80], v[61:62]
	v_div_scale_f64 v[79:80], s3, 1.0, v[31:32], 1.0
	v_mul_f64 v[93:94], v[75:76], v[59:60]
	v_fma_f64 v[41:42], -v[41:42], v[91:92], v[73:74]
	v_fma_f64 v[69:70], v[69:70], v[85:86], v[69:70]
	v_fma_f64 v[85:86], -v[49:50], v[65:66], 1.0
	v_fma_f64 v[71:72], v[81:82], v[71:72], v[81:82]
	v_fma_f64 v[63:64], v[63:64], v[83:84], v[63:64]
	v_div_scale_f64 v[83:84], s4, 1.0, v[33:34], 1.0
	v_mul_f64 v[95:96], v[77:78], v[61:62]
	v_fma_f64 v[43:44], -v[43:44], v[93:94], v[75:76]
	v_fma_f64 v[81:82], -v[53:54], v[69:70], 1.0
	v_fma_f64 v[65:66], v[65:66], v[85:86], v[65:66]
	v_fma_f64 v[85:86], -v[67:68], v[71:72], 1.0
	v_mul_f64 v[97:98], v[79:80], v[63:64]
	v_fma_f64 v[45:46], -v[45:46], v[95:96], v[77:78]
	v_fma_f64 v[69:70], v[69:70], v[81:82], v[69:70]
	v_mul_f64 v[81:82], v[87:88], v[55:56]
	v_mul_f64 v[101:102], v[83:84], v[65:66]
	v_fma_f64 v[71:72], v[71:72], v[85:86], v[71:72]
	v_fma_f64 v[47:48], -v[47:48], v[97:98], v[79:80]
	v_mul_f64 v[85:86], v[89:90], v[69:70]
	v_fma_f64 v[39:40], -v[39:40], v[81:82], v[87:88]
	v_fma_f64 v[49:50], -v[49:50], v[101:102], v[83:84]
	v_mul_f64 v[73:74], v[99:100], v[71:72]
	v_fma_f64 v[53:54], -v[53:54], v[85:86], v[89:90]
	v_div_fmas_f64 v[39:40], v[39:40], v[55:56], v[81:82]
	s_mov_b32 vcc_lo, s0
	v_fma_f64 v[55:56], -v[67:68], v[73:74], v[99:100]
	v_div_fmas_f64 v[41:42], v[41:42], v[57:58], v[91:92]
	s_mov_b32 vcc_lo, s1
	s_mov_b32 s0, 0x11111111
	v_div_fmas_f64 v[43:44], v[43:44], v[59:60], v[93:94]
	s_mov_b32 vcc_lo, s2
	s_mov_b32 s1, 0x3fa11111
	;; [unrolled: 3-line block ×4, first 2 shown]
	v_div_fmas_f64 v[49:50], v[49:50], v[65:66], v[101:102]
	s_mov_b32 vcc_lo, s5
	v_div_fmas_f64 v[53:54], v[53:54], v[69:70], v[85:86]
	s_mov_b32 vcc_lo, s6
	v_div_fixup_f64 v[0:1], v[39:40], v[0:1], 1.0
	v_div_fmas_f64 v[55:56], v[55:56], v[71:72], v[73:74]
	v_div_fixup_f64 v[37:38], v[53:54], v[37:38], 1.0
	v_add_f64 v[0:1], v[18:19], v[0:1]
	v_div_fixup_f64 v[51:52], v[55:56], v[51:52], 1.0
	v_div_fixup_f64 v[18:19], v[41:42], v[24:25], 1.0
	v_fma_f64 v[53:54], v[37:38], s[2:3], s[0:1]
	s_mov_b32 s0, 0x55555555
	s_mov_b32 s1, 0x3fc55555
	v_add_f64 v[51:52], v[51:52], 1.0
	v_add_f64 v[0:1], v[0:1], v[18:19]
	v_div_fixup_f64 v[18:19], v[43:44], v[27:28], 1.0
	v_fma_f64 v[53:54], -v[37:38], v[53:54], s[0:1]
	v_add_f64 v[0:1], v[0:1], v[18:19]
	v_div_fixup_f64 v[18:19], v[45:46], v[29:30], 1.0
	v_fma_f64 v[37:38], v[37:38], v[53:54], v[51:52]
	v_add_f64 v[0:1], v[0:1], v[18:19]
	v_div_fixup_f64 v[18:19], v[47:48], v[31:32], 1.0
	v_div_scale_f64 v[51:52], null, v[35:36], v[35:36], v[37:38]
	v_div_scale_f64 v[27:28], vcc_lo, v[37:38], v[35:36], v[37:38]
	v_add_f64 v[0:1], v[0:1], v[18:19]
	v_div_fixup_f64 v[18:19], v[49:50], v[33:34], 1.0
	v_rcp_f64_e32 v[53:54], v[51:52]
	v_add_f64 v[0:1], v[0:1], v[18:19]
	v_fma_f64 v[55:56], -v[51:52], v[53:54], 1.0
	v_fma_f64 v[39:40], v[53:54], v[55:56], v[53:54]
	v_fma_f64 v[24:25], -v[51:52], v[39:40], 1.0
	v_fma_f64 v[24:25], v[39:40], v[24:25], v[39:40]
	v_mul_f64 v[29:30], v[27:28], v[24:25]
	v_fma_f64 v[27:28], -v[51:52], v[29:30], v[27:28]
	v_div_fmas_f64 v[24:25], v[27:28], v[24:25], v[29:30]
	v_div_fixup_f64 v[18:19], v[24:25], v[35:36], v[37:38]
	v_mul_lo_u32 v24, s12, v26
	v_add_f64 v[0:1], v[0:1], v[18:19]
	v_add_co_u32 v18, vcc_lo, s8, v24
	v_mul_f64 v[0:1], v[2:3], v[0:1]
	v_ashrrev_i32_e32 v2, 31, v24
	v_add_co_ci_u32_e64 v19, null, s9, v2, vcc_lo
	s_cbranch_scc1 .LBB48_1674
; %bb.1597:
	s_and_b32 s1, 0xffff, s18
	s_mov_b32 s4, -1
	s_mov_b32 s2, 0
	s_cmp_gt_i32 s1, 25
	s_mov_b32 s3, 0
	s_mov_b32 s0, 0
	s_cbranch_scc0 .LBB48_1630
; %bb.1598:
	s_cmp_gt_i32 s1, 28
	s_cbranch_scc0 .LBB48_1613
; %bb.1599:
	s_cmp_gt_i32 s1, 43
	s_cbranch_scc0 .LBB48_1609
; %bb.1600:
	s_cmp_gt_i32 s1, 45
	s_cbranch_scc0 .LBB48_1603
; %bb.1601:
	s_mov_b32 s0, -1
	s_mov_b32 s4, 0
	s_cmp_eq_u32 s1, 46
	s_cbranch_scc0 .LBB48_1603
; %bb.1602:
	v_cvt_f32_f64_e32 v2, v[0:1]
	s_mov_b32 s0, 0
	s_mov_b32 s3, -1
	v_bfe_u32 v3, v2, 16, 1
	v_cmp_o_f32_e32 vcc_lo, v2, v2
	v_add3_u32 v2, v2, v3, 0x7fff
	v_mov_b32_e32 v3, 0x7fc0
	v_cndmask_b32_sdwa v2, v3, v2, vcc_lo dst_sel:DWORD dst_unused:UNUSED_PAD src0_sel:DWORD src1_sel:WORD_1
	global_store_dword v[18:19], v2, off
.LBB48_1603:
	s_and_b32 vcc_lo, exec_lo, s4
	s_cbranch_vccz .LBB48_1608
; %bb.1604:
	s_cmp_eq_u32 s1, 44
	s_mov_b32 s0, -1
	s_cbranch_scc0 .LBB48_1608
; %bb.1605:
	v_cvt_f32_f64_e32 v2, v[0:1]
	v_mov_b32_e32 v3, 0xff
	s_mov_b32 s3, exec_lo
	v_bfe_u32 v25, v2, 23, 8
	v_cmpx_ne_u32_e32 0xff, v25
	s_cbranch_execz .LBB48_1607
; %bb.1606:
	v_and_b32_e32 v3, 0x400000, v2
	v_and_or_b32 v25, 0x3fffff, v2, v25
	v_lshrrev_b32_e32 v2, 23, v2
	v_cmp_ne_u32_e32 vcc_lo, 0, v3
	v_cmp_ne_u32_e64 s0, 0, v25
	s_and_b32 s0, vcc_lo, s0
	v_cndmask_b32_e64 v3, 0, 1, s0
	v_add_nc_u32_e32 v3, v2, v3
.LBB48_1607:
	s_or_b32 exec_lo, exec_lo, s3
	s_mov_b32 s0, 0
	s_mov_b32 s3, -1
	global_store_byte v[18:19], v3, off
.LBB48_1608:
	s_mov_b32 s4, 0
.LBB48_1609:
	s_and_b32 vcc_lo, exec_lo, s4
	s_cbranch_vccz .LBB48_1612
; %bb.1610:
	s_cmp_eq_u32 s1, 29
	s_mov_b32 s0, -1
	s_cbranch_scc0 .LBB48_1612
; %bb.1611:
	v_trunc_f64_e32 v[2:3], v[0:1]
	s_mov_b32 s0, 0
	s_mov_b32 s3, -1
	v_ldexp_f64 v[25:26], v[2:3], 0xffffffe0
	v_floor_f64_e32 v[25:26], v[25:26]
	v_fma_f64 v[2:3], 0xc1f00000, v[25:26], v[2:3]
	v_cvt_u32_f64_e32 v26, v[25:26]
	v_cvt_u32_f64_e32 v25, v[2:3]
	global_store_dwordx2 v[18:19], v[25:26], off
.LBB48_1612:
	s_mov_b32 s4, 0
.LBB48_1613:
	s_and_b32 vcc_lo, exec_lo, s4
	s_cbranch_vccz .LBB48_1629
; %bb.1614:
	s_cmp_lt_i32 s1, 27
	s_mov_b32 s3, -1
	s_cbranch_scc1 .LBB48_1620
; %bb.1615:
	v_cvt_u32_f64_e32 v2, v[0:1]
	s_cmp_gt_i32 s1, 27
	s_cbranch_scc0 .LBB48_1617
; %bb.1616:
	s_mov_b32 s3, 0
	global_store_dword v[18:19], v2, off
.LBB48_1617:
	s_andn2_b32 vcc_lo, exec_lo, s3
	s_cbranch_vccnz .LBB48_1619
; %bb.1618:
	global_store_short v[18:19], v2, off
.LBB48_1619:
	s_mov_b32 s3, 0
.LBB48_1620:
	s_andn2_b32 vcc_lo, exec_lo, s3
	s_cbranch_vccnz .LBB48_1628
; %bb.1621:
	v_cvt_f32_f64_e32 v2, v[0:1]
	v_mov_b32_e32 v25, 0x80
	s_mov_b32 s3, exec_lo
	v_and_b32_e32 v3, 0x7fffffff, v2
	v_cmpx_gt_u32_e32 0x43800000, v3
	s_cbranch_execz .LBB48_1627
; %bb.1622:
	v_cmp_lt_u32_e32 vcc_lo, 0x3bffffff, v3
	s_mov_b32 s4, 0
                                        ; implicit-def: $vgpr3
	s_and_saveexec_b32 s5, vcc_lo
	s_xor_b32 s5, exec_lo, s5
	s_cbranch_execz .LBB48_2076
; %bb.1623:
	v_bfe_u32 v3, v2, 20, 1
	s_mov_b32 s4, exec_lo
	v_add3_u32 v3, v2, v3, 0x487ffff
	v_lshrrev_b32_e32 v3, 20, v3
	s_andn2_saveexec_b32 s5, s5
	s_cbranch_execnz .LBB48_2077
.LBB48_1624:
	s_or_b32 exec_lo, exec_lo, s5
	v_mov_b32_e32 v25, 0
	s_and_saveexec_b32 s5, s4
.LBB48_1625:
	v_lshrrev_b32_e32 v2, 24, v2
	v_and_or_b32 v25, 0x80, v2, v3
.LBB48_1626:
	s_or_b32 exec_lo, exec_lo, s5
.LBB48_1627:
	s_or_b32 exec_lo, exec_lo, s3
	global_store_byte v[18:19], v25, off
.LBB48_1628:
	s_mov_b32 s3, -1
.LBB48_1629:
	s_mov_b32 s4, 0
.LBB48_1630:
	s_and_b32 vcc_lo, exec_lo, s4
	s_cbranch_vccz .LBB48_1670
; %bb.1631:
	s_cmp_gt_i32 s1, 22
	s_mov_b32 s2, -1
	s_cbranch_scc0 .LBB48_1663
; %bb.1632:
	s_cmp_lt_i32 s1, 24
	s_cbranch_scc1 .LBB48_1652
; %bb.1633:
	s_cmp_gt_i32 s1, 24
	s_cbranch_scc0 .LBB48_1641
; %bb.1634:
	v_cvt_f32_f64_e32 v2, v[0:1]
	v_mov_b32_e32 v25, 0x80
	s_mov_b32 s2, exec_lo
	v_and_b32_e32 v3, 0x7fffffff, v2
	v_cmpx_gt_u32_e32 0x47800000, v3
	s_cbranch_execz .LBB48_1640
; %bb.1635:
	v_cmp_lt_u32_e32 vcc_lo, 0x37ffffff, v3
	s_mov_b32 s3, 0
                                        ; implicit-def: $vgpr3
	s_and_saveexec_b32 s4, vcc_lo
	s_xor_b32 s4, exec_lo, s4
	s_cbranch_execz .LBB48_2079
; %bb.1636:
	v_bfe_u32 v3, v2, 21, 1
	s_mov_b32 s3, exec_lo
	v_add3_u32 v3, v2, v3, 0x88fffff
	v_lshrrev_b32_e32 v3, 21, v3
	s_andn2_saveexec_b32 s4, s4
	s_cbranch_execnz .LBB48_2080
.LBB48_1637:
	s_or_b32 exec_lo, exec_lo, s4
	v_mov_b32_e32 v25, 0
	s_and_saveexec_b32 s4, s3
.LBB48_1638:
	v_lshrrev_b32_e32 v2, 24, v2
	v_and_or_b32 v25, 0x80, v2, v3
.LBB48_1639:
	s_or_b32 exec_lo, exec_lo, s4
.LBB48_1640:
	s_or_b32 exec_lo, exec_lo, s2
	s_mov_b32 s2, 0
	global_store_byte v[18:19], v25, off
.LBB48_1641:
	s_and_b32 vcc_lo, exec_lo, s2
	s_cbranch_vccz .LBB48_1651
; %bb.1642:
	v_cvt_f32_f64_e32 v2, v[0:1]
	s_mov_b32 s2, exec_lo
                                        ; implicit-def: $vgpr3
	v_and_b32_e32 v25, 0x7fffffff, v2
	v_cmpx_gt_u32_e32 0x43f00000, v25
	s_xor_b32 s2, exec_lo, s2
	s_cbranch_execz .LBB48_1648
; %bb.1643:
	s_mov_b32 s3, exec_lo
                                        ; implicit-def: $vgpr3
	v_cmpx_lt_u32_e32 0x3c7fffff, v25
	s_xor_b32 s3, exec_lo, s3
; %bb.1644:
	v_bfe_u32 v3, v2, 20, 1
	v_add3_u32 v3, v2, v3, 0x407ffff
	v_and_b32_e32 v25, 0xff00000, v3
	v_lshrrev_b32_e32 v3, 20, v3
	v_cmp_ne_u32_e32 vcc_lo, 0x7f00000, v25
	v_cndmask_b32_e32 v3, 0x7e, v3, vcc_lo
; %bb.1645:
	s_andn2_saveexec_b32 s3, s3
; %bb.1646:
	v_add_f32_e64 v3, 0x46800000, |v2|
; %bb.1647:
	s_or_b32 exec_lo, exec_lo, s3
                                        ; implicit-def: $vgpr25
.LBB48_1648:
	s_andn2_saveexec_b32 s2, s2
; %bb.1649:
	v_mov_b32_e32 v3, 0x7f
	v_cmp_lt_u32_e32 vcc_lo, 0x7f800000, v25
	v_cndmask_b32_e32 v3, 0x7e, v3, vcc_lo
; %bb.1650:
	s_or_b32 exec_lo, exec_lo, s2
	v_lshrrev_b32_e32 v2, 24, v2
	v_and_or_b32 v2, 0x80, v2, v3
	global_store_byte v[18:19], v2, off
.LBB48_1651:
	s_mov_b32 s2, 0
.LBB48_1652:
	s_andn2_b32 vcc_lo, exec_lo, s2
	s_cbranch_vccnz .LBB48_1662
; %bb.1653:
	v_cvt_f32_f64_e32 v2, v[0:1]
	s_mov_b32 s2, exec_lo
                                        ; implicit-def: $vgpr3
	v_and_b32_e32 v25, 0x7fffffff, v2
	v_cmpx_gt_u32_e32 0x47800000, v25
	s_xor_b32 s2, exec_lo, s2
	s_cbranch_execz .LBB48_1659
; %bb.1654:
	s_mov_b32 s3, exec_lo
                                        ; implicit-def: $vgpr3
	v_cmpx_lt_u32_e32 0x387fffff, v25
	s_xor_b32 s3, exec_lo, s3
; %bb.1655:
	v_bfe_u32 v3, v2, 21, 1
	v_add3_u32 v3, v2, v3, 0x80fffff
	v_lshrrev_b32_e32 v3, 21, v3
; %bb.1656:
	s_andn2_saveexec_b32 s3, s3
; %bb.1657:
	v_add_f32_e64 v3, 0x43000000, |v2|
; %bb.1658:
	s_or_b32 exec_lo, exec_lo, s3
                                        ; implicit-def: $vgpr25
.LBB48_1659:
	s_andn2_saveexec_b32 s2, s2
; %bb.1660:
	v_mov_b32_e32 v3, 0x7f
	v_cmp_lt_u32_e32 vcc_lo, 0x7f800000, v25
	v_cndmask_b32_e32 v3, 0x7c, v3, vcc_lo
; %bb.1661:
	s_or_b32 exec_lo, exec_lo, s2
	v_lshrrev_b32_e32 v2, 24, v2
	v_and_or_b32 v2, 0x80, v2, v3
	global_store_byte v[18:19], v2, off
.LBB48_1662:
	s_mov_b32 s2, 0
	s_mov_b32 s3, -1
.LBB48_1663:
	s_andn2_b32 vcc_lo, exec_lo, s2
	s_mov_b32 s2, 0
	s_cbranch_vccnz .LBB48_1670
; %bb.1664:
	s_cmp_gt_i32 s1, 14
	s_mov_b32 s2, -1
	s_cbranch_scc0 .LBB48_1668
; %bb.1665:
	s_cmp_eq_u32 s1, 15
	s_mov_b32 s0, -1
	s_cbranch_scc0 .LBB48_1667
; %bb.1666:
	v_cvt_f32_f64_e32 v2, v[0:1]
	s_mov_b32 s0, 0
	s_mov_b32 s3, -1
	v_bfe_u32 v3, v2, 16, 1
	v_cmp_o_f32_e32 vcc_lo, v2, v2
	v_add3_u32 v2, v2, v3, 0x7fff
	v_mov_b32_e32 v3, 0x7fc0
	v_cndmask_b32_sdwa v2, v3, v2, vcc_lo dst_sel:DWORD dst_unused:UNUSED_PAD src0_sel:DWORD src1_sel:WORD_1
	global_store_short v[18:19], v2, off
.LBB48_1667:
	s_mov_b32 s2, 0
.LBB48_1668:
	s_and_b32 vcc_lo, exec_lo, s2
	s_mov_b32 s2, 0
	s_cbranch_vccz .LBB48_1670
; %bb.1669:
	s_cmp_lg_u32 s1, 11
	s_mov_b32 s2, -1
	s_cselect_b32 s0, -1, 0
.LBB48_1670:
	s_and_b32 vcc_lo, exec_lo, s0
	s_cbranch_vccnz .LBB48_2078
; %bb.1671:
	s_andn2_b32 vcc_lo, exec_lo, s2
	s_cbranch_vccnz .LBB48_1673
.LBB48_1672:
	v_cmp_neq_f64_e32 vcc_lo, 0, v[0:1]
	s_mov_b32 s3, -1
	v_cndmask_b32_e64 v2, 0, 1, vcc_lo
	global_store_byte v[18:19], v2, off
.LBB48_1673:
	s_mov_b32 s0, 0
	s_branch .LBB48_1675
.LBB48_1674:
	s_mov_b32 s0, -1
	s_mov_b32 s3, 0
.LBB48_1675:
	s_and_b32 vcc_lo, exec_lo, s0
	s_cbranch_vccz .LBB48_1714
; %bb.1676:
	s_and_b32 s0, 0xffff, s18
	s_mov_b32 s1, -1
	s_cmp_lt_i32 s0, 5
	s_cbranch_scc1 .LBB48_1697
; %bb.1677:
	s_cmp_lt_i32 s0, 8
	s_cbranch_scc1 .LBB48_1687
; %bb.1678:
	;; [unrolled: 3-line block ×3, first 2 shown]
	s_cmp_gt_i32 s0, 9
	s_cbranch_scc0 .LBB48_1681
; %bb.1680:
	v_mov_b32_e32 v2, 0
	s_mov_b32 s1, 0
	v_mov_b32_e32 v3, v2
	global_store_dwordx4 v[18:19], v[0:3], off
.LBB48_1681:
	s_andn2_b32 vcc_lo, exec_lo, s1
	s_cbranch_vccnz .LBB48_1683
; %bb.1682:
	v_cvt_f32_f64_e32 v2, v[0:1]
	v_mov_b32_e32 v3, 0
	global_store_dwordx2 v[18:19], v[2:3], off
.LBB48_1683:
	s_mov_b32 s1, 0
.LBB48_1684:
	s_andn2_b32 vcc_lo, exec_lo, s1
	s_cbranch_vccnz .LBB48_1686
; %bb.1685:
	v_and_or_b32 v2, 0x1ff, v1, v0
	v_lshrrev_b32_e32 v3, 8, v1
	v_bfe_u32 v25, v1, 20, 11
	v_cmp_ne_u32_e32 vcc_lo, 0, v2
	v_sub_nc_u32_e32 v26, 0x3f1, v25
	v_add_nc_u32_e32 v25, 0xfffffc10, v25
	v_cndmask_b32_e64 v2, 0, 1, vcc_lo
	v_and_or_b32 v2, 0xffe, v3, v2
	v_med3_i32 v3, v26, 0, 13
	v_or_b32_e32 v26, 0x1000, v2
	v_lshrrev_b32_e32 v27, v3, v26
	v_lshlrev_b32_e32 v3, v3, v27
	v_cmp_ne_u32_e32 vcc_lo, v3, v26
	v_lshl_or_b32 v26, v25, 12, v2
	v_cndmask_b32_e64 v3, 0, 1, vcc_lo
	v_cmp_gt_i32_e32 vcc_lo, 1, v25
	v_or_b32_e32 v3, v27, v3
	v_cndmask_b32_e32 v3, v26, v3, vcc_lo
	v_and_b32_e32 v26, 7, v3
	v_lshrrev_b32_e32 v3, 2, v3
	v_cmp_lt_i32_e32 vcc_lo, 5, v26
	v_cndmask_b32_e64 v27, 0, 1, vcc_lo
	v_cmp_eq_u32_e32 vcc_lo, 3, v26
	v_cndmask_b32_e64 v26, 0, 1, vcc_lo
	v_cmp_ne_u32_e32 vcc_lo, 0, v2
	v_or_b32_e32 v26, v26, v27
	v_mov_b32_e32 v27, 0x7e00
	v_add_nc_u32_e32 v3, v3, v26
	v_cndmask_b32_e32 v2, 0x7c00, v27, vcc_lo
	v_cmp_gt_i32_e32 vcc_lo, 31, v25
	v_cndmask_b32_e32 v3, 0x7c00, v3, vcc_lo
	v_cmp_eq_u32_e32 vcc_lo, 0x40f, v25
	v_cndmask_b32_e32 v2, v3, v2, vcc_lo
	v_lshrrev_b32_e32 v3, 16, v1
	v_and_or_b32 v2, 0x8000, v3, v2
	v_and_b32_e32 v2, 0xffff, v2
	global_store_dword v[18:19], v2, off
.LBB48_1686:
	s_mov_b32 s1, 0
.LBB48_1687:
	s_andn2_b32 vcc_lo, exec_lo, s1
	s_cbranch_vccnz .LBB48_1696
; %bb.1688:
	s_cmp_lt_i32 s0, 6
	s_mov_b32 s1, -1
	s_cbranch_scc1 .LBB48_1694
; %bb.1689:
	s_cmp_gt_i32 s0, 6
	s_cbranch_scc0 .LBB48_1691
; %bb.1690:
	s_mov_b32 s1, 0
	global_store_dwordx2 v[18:19], v[0:1], off
.LBB48_1691:
	s_andn2_b32 vcc_lo, exec_lo, s1
	s_cbranch_vccnz .LBB48_1693
; %bb.1692:
	v_cvt_f32_f64_e32 v2, v[0:1]
	global_store_dword v[18:19], v2, off
.LBB48_1693:
	s_mov_b32 s1, 0
.LBB48_1694:
	s_andn2_b32 vcc_lo, exec_lo, s1
	s_cbranch_vccnz .LBB48_1696
; %bb.1695:
	v_and_or_b32 v2, 0x1ff, v1, v0
	v_lshrrev_b32_e32 v3, 8, v1
	v_bfe_u32 v25, v1, 20, 11
	v_cmp_ne_u32_e32 vcc_lo, 0, v2
	v_sub_nc_u32_e32 v26, 0x3f1, v25
	v_add_nc_u32_e32 v25, 0xfffffc10, v25
	v_cndmask_b32_e64 v2, 0, 1, vcc_lo
	v_and_or_b32 v2, 0xffe, v3, v2
	v_med3_i32 v3, v26, 0, 13
	v_or_b32_e32 v26, 0x1000, v2
	v_lshrrev_b32_e32 v27, v3, v26
	v_lshlrev_b32_e32 v3, v3, v27
	v_cmp_ne_u32_e32 vcc_lo, v3, v26
	v_lshl_or_b32 v26, v25, 12, v2
	v_cndmask_b32_e64 v3, 0, 1, vcc_lo
	v_cmp_gt_i32_e32 vcc_lo, 1, v25
	v_or_b32_e32 v3, v27, v3
	v_cndmask_b32_e32 v3, v26, v3, vcc_lo
	v_and_b32_e32 v26, 7, v3
	v_lshrrev_b32_e32 v3, 2, v3
	v_cmp_lt_i32_e32 vcc_lo, 5, v26
	v_cndmask_b32_e64 v27, 0, 1, vcc_lo
	v_cmp_eq_u32_e32 vcc_lo, 3, v26
	v_cndmask_b32_e64 v26, 0, 1, vcc_lo
	v_cmp_ne_u32_e32 vcc_lo, 0, v2
	v_or_b32_e32 v26, v26, v27
	v_mov_b32_e32 v27, 0x7e00
	v_add_nc_u32_e32 v3, v3, v26
	v_cndmask_b32_e32 v2, 0x7c00, v27, vcc_lo
	v_cmp_gt_i32_e32 vcc_lo, 31, v25
	v_cndmask_b32_e32 v3, 0x7c00, v3, vcc_lo
	v_cmp_eq_u32_e32 vcc_lo, 0x40f, v25
	v_cndmask_b32_e32 v2, v3, v2, vcc_lo
	v_lshrrev_b32_e32 v3, 16, v1
	v_and_or_b32 v2, 0x8000, v3, v2
	global_store_short v[18:19], v2, off
.LBB48_1696:
	s_mov_b32 s1, 0
.LBB48_1697:
	s_andn2_b32 vcc_lo, exec_lo, s1
	s_cbranch_vccnz .LBB48_1713
; %bb.1698:
	s_cmp_lt_i32 s0, 2
	s_mov_b32 s1, -1
	s_cbranch_scc1 .LBB48_1708
; %bb.1699:
	s_cmp_lt_i32 s0, 3
	s_cbranch_scc1 .LBB48_1705
; %bb.1700:
	s_cmp_gt_i32 s0, 3
	s_cbranch_scc0 .LBB48_1702
; %bb.1701:
	v_trunc_f64_e32 v[2:3], v[0:1]
	s_mov_b32 s1, 0
	v_ldexp_f64 v[25:26], v[2:3], 0xffffffe0
	v_floor_f64_e32 v[25:26], v[25:26]
	v_fma_f64 v[2:3], 0xc1f00000, v[25:26], v[2:3]
	v_cvt_i32_f64_e32 v26, v[25:26]
	v_cvt_u32_f64_e32 v25, v[2:3]
	global_store_dwordx2 v[18:19], v[25:26], off
.LBB48_1702:
	s_andn2_b32 vcc_lo, exec_lo, s1
	s_cbranch_vccnz .LBB48_1704
; %bb.1703:
	v_cvt_i32_f64_e32 v2, v[0:1]
	global_store_dword v[18:19], v2, off
.LBB48_1704:
	s_mov_b32 s1, 0
.LBB48_1705:
	s_andn2_b32 vcc_lo, exec_lo, s1
	s_cbranch_vccnz .LBB48_1707
; %bb.1706:
	v_cvt_i32_f64_e32 v2, v[0:1]
	global_store_short v[18:19], v2, off
.LBB48_1707:
	s_mov_b32 s1, 0
.LBB48_1708:
	s_andn2_b32 vcc_lo, exec_lo, s1
	s_cbranch_vccnz .LBB48_1713
; %bb.1709:
	s_cmp_gt_i32 s0, 0
	s_mov_b32 s0, -1
	s_cbranch_scc0 .LBB48_1711
; %bb.1710:
	v_cvt_i32_f64_e32 v2, v[0:1]
	s_mov_b32 s0, 0
	global_store_byte v[18:19], v2, off
.LBB48_1711:
	s_andn2_b32 vcc_lo, exec_lo, s0
	s_cbranch_vccnz .LBB48_1713
; %bb.1712:
	v_trunc_f64_e32 v[0:1], v[0:1]
	v_ldexp_f64 v[2:3], v[0:1], 0xffffffe0
	v_floor_f64_e32 v[2:3], v[2:3]
	v_fma_f64 v[0:1], 0xc1f00000, v[2:3], v[0:1]
	v_cvt_u32_f64_e32 v0, v[0:1]
	global_store_byte v[18:19], v0, off
.LBB48_1713:
	s_mov_b32 s3, -1
.LBB48_1714:
	s_andn2_b32 vcc_lo, exec_lo, s3
	s_cbranch_vccnz .LBB48_2029
; %bb.1715:
	v_add_f64 v[0:1], v[6:7], 1.0
	v_mul_f64 v[6:7], v[6:7], v[6:7]
	s_lshl_b32 s7, s12, 7
	s_cmp_lt_i32 s18, 11
	v_add_f64 v[2:3], v[0:1], 1.0
	v_mul_f64 v[0:1], v[0:1], v[0:1]
	v_div_scale_f64 v[33:34], null, v[6:7], v[6:7], 1.0
	v_div_scale_f64 v[81:82], vcc_lo, 1.0, v[6:7], 1.0
	v_add_f64 v[18:19], v[2:3], 1.0
	v_mul_f64 v[2:3], v[2:3], v[2:3]
	v_div_scale_f64 v[35:36], null, v[0:1], v[0:1], 1.0
	v_rcp_f64_e32 v[49:50], v[33:34]
	v_add_f64 v[25:26], v[18:19], 1.0
	v_mul_f64 v[18:19], v[18:19], v[18:19]
	v_div_scale_f64 v[37:38], null, v[2:3], v[2:3], 1.0
	v_rcp_f64_e32 v[51:52], v[35:36]
	v_fma_f64 v[65:66], -v[33:34], v[49:50], 1.0
	v_add_f64 v[27:28], v[25:26], 1.0
	v_mul_f64 v[25:26], v[25:26], v[25:26]
	v_div_scale_f64 v[39:40], null, v[18:19], v[18:19], 1.0
	v_rcp_f64_e32 v[53:54], v[37:38]
	v_fma_f64 v[67:68], -v[35:36], v[51:52], 1.0
	v_fma_f64 v[49:50], v[49:50], v[65:66], v[49:50]
	v_add_f64 v[29:30], v[27:28], 1.0
	v_mul_f64 v[27:28], v[27:28], v[27:28]
	v_div_scale_f64 v[41:42], null, v[25:26], v[25:26], 1.0
	v_rcp_f64_e32 v[55:56], v[39:40]
	v_fma_f64 v[69:70], -v[37:38], v[53:54], 1.0
	v_fma_f64 v[51:52], v[51:52], v[67:68], v[51:52]
	v_fma_f64 v[67:68], -v[33:34], v[49:50], 1.0
	v_mul_f64 v[31:32], v[29:30], v[29:30]
	v_div_scale_f64 v[43:44], null, v[27:28], v[27:28], 1.0
	v_add_f64 v[45:46], v[29:30], v[29:30]
	v_rcp_f64_e32 v[57:58], v[41:42]
	v_fma_f64 v[71:72], -v[39:40], v[55:56], 1.0
	v_fma_f64 v[53:54], v[53:54], v[69:70], v[53:54]
	v_fma_f64 v[69:70], -v[35:36], v[51:52], 1.0
	v_fma_f64 v[49:50], v[49:50], v[67:68], v[49:50]
	v_div_scale_f64 v[67:68], s0, 1.0, v[0:1], 1.0
	v_div_scale_f64 v[47:48], null, v[31:32], v[31:32], 1.0
	v_rcp_f64_e32 v[59:60], v[43:44]
	v_div_scale_f64 v[61:62], null, v[45:46], v[45:46], 1.0
	v_div_scale_f64 v[83:84], s5, 1.0, v[31:32], 1.0
	v_fma_f64 v[73:74], -v[41:42], v[57:58], 1.0
	v_fma_f64 v[55:56], v[55:56], v[71:72], v[55:56]
	v_fma_f64 v[71:72], -v[37:38], v[53:54], 1.0
	v_fma_f64 v[51:52], v[51:52], v[69:70], v[51:52]
	v_div_scale_f64 v[69:70], s1, 1.0, v[2:3], 1.0
	v_div_scale_f64 v[93:94], s6, 1.0, v[45:46], 1.0
	v_rcp_f64_e32 v[63:64], v[47:48]
	v_rcp_f64_e32 v[75:76], v[61:62]
	v_fma_f64 v[77:78], -v[43:44], v[59:60], 1.0
	v_fma_f64 v[57:58], v[57:58], v[73:74], v[57:58]
	v_fma_f64 v[73:74], -v[39:40], v[55:56], 1.0
	v_fma_f64 v[53:54], v[53:54], v[71:72], v[53:54]
	v_div_scale_f64 v[71:72], s2, 1.0, v[18:19], 1.0
	v_mul_f64 v[85:86], v[67:68], v[51:52]
	v_fma_f64 v[79:80], -v[47:48], v[63:64], 1.0
	v_fma_f64 v[59:60], v[59:60], v[77:78], v[59:60]
	v_fma_f64 v[65:66], -v[61:62], v[75:76], 1.0
	v_fma_f64 v[77:78], -v[41:42], v[57:58], 1.0
	v_fma_f64 v[55:56], v[55:56], v[73:74], v[55:56]
	v_div_scale_f64 v[73:74], s3, 1.0, v[25:26], 1.0
	v_mul_f64 v[87:88], v[69:70], v[53:54]
	v_fma_f64 v[35:36], -v[35:36], v[85:86], v[67:68]
	v_fma_f64 v[63:64], v[63:64], v[79:80], v[63:64]
	v_fma_f64 v[79:80], -v[43:44], v[59:60], 1.0
	v_fma_f64 v[65:66], v[75:76], v[65:66], v[75:76]
	v_fma_f64 v[57:58], v[57:58], v[77:78], v[57:58]
	v_div_scale_f64 v[77:78], s4, 1.0, v[27:28], 1.0
	v_mul_f64 v[89:90], v[71:72], v[55:56]
	v_fma_f64 v[37:38], -v[37:38], v[87:88], v[69:70]
	v_fma_f64 v[75:76], -v[47:48], v[63:64], 1.0
	v_fma_f64 v[59:60], v[59:60], v[79:80], v[59:60]
	v_fma_f64 v[79:80], -v[61:62], v[65:66], 1.0
	v_mul_f64 v[91:92], v[73:74], v[57:58]
	v_fma_f64 v[39:40], -v[39:40], v[89:90], v[71:72]
	v_fma_f64 v[63:64], v[63:64], v[75:76], v[63:64]
	v_mul_f64 v[75:76], v[81:82], v[49:50]
	v_mul_f64 v[95:96], v[77:78], v[59:60]
	v_fma_f64 v[65:66], v[65:66], v[79:80], v[65:66]
	v_fma_f64 v[41:42], -v[41:42], v[91:92], v[73:74]
	v_mul_f64 v[79:80], v[83:84], v[63:64]
	v_fma_f64 v[33:34], -v[33:34], v[75:76], v[81:82]
	v_fma_f64 v[43:44], -v[43:44], v[95:96], v[77:78]
	v_mul_f64 v[67:68], v[93:94], v[65:66]
	v_fma_f64 v[47:48], -v[47:48], v[79:80], v[83:84]
	v_div_fmas_f64 v[33:34], v[33:34], v[49:50], v[75:76]
	s_mov_b32 vcc_lo, s0
	v_fma_f64 v[49:50], -v[61:62], v[67:68], v[93:94]
	v_div_fmas_f64 v[35:36], v[35:36], v[51:52], v[85:86]
	s_mov_b32 vcc_lo, s1
	s_mov_b32 s0, 0x11111111
	v_div_fmas_f64 v[37:38], v[37:38], v[53:54], v[87:88]
	s_mov_b32 vcc_lo, s2
	s_mov_b32 s1, 0x3fa11111
	;; [unrolled: 3-line block ×4, first 2 shown]
	v_div_fmas_f64 v[43:44], v[43:44], v[59:60], v[95:96]
	s_mov_b32 vcc_lo, s5
	v_div_fmas_f64 v[47:48], v[47:48], v[63:64], v[79:80]
	s_mov_b32 vcc_lo, s6
	v_div_fixup_f64 v[6:7], v[33:34], v[6:7], 1.0
	v_div_fmas_f64 v[49:50], v[49:50], v[65:66], v[67:68]
	v_div_fixup_f64 v[0:1], v[35:36], v[0:1], 1.0
	v_div_fixup_f64 v[2:3], v[37:38], v[2:3], 1.0
	;; [unrolled: 1-line block ×3, first 2 shown]
	v_add_f64 v[6:7], v[12:13], v[6:7]
	v_div_fixup_f64 v[45:46], v[49:50], v[45:46], 1.0
	v_fma_f64 v[47:48], v[31:32], s[2:3], s[0:1]
	s_mov_b32 s0, 0x55555555
	s_mov_b32 s1, 0x3fc55555
	v_add_f64 v[45:46], v[45:46], 1.0
	v_add_f64 v[0:1], v[6:7], v[0:1]
	v_fma_f64 v[47:48], -v[31:32], v[47:48], s[0:1]
	v_add_f64 v[0:1], v[0:1], v[2:3]
	v_div_fixup_f64 v[2:3], v[39:40], v[18:19], 1.0
	v_fma_f64 v[31:32], v[31:32], v[47:48], v[45:46]
	v_add_f64 v[0:1], v[0:1], v[2:3]
	v_div_fixup_f64 v[2:3], v[41:42], v[25:26], 1.0
	v_div_scale_f64 v[45:46], null, v[29:30], v[29:30], v[31:32]
	v_add_f64 v[0:1], v[0:1], v[2:3]
	v_div_fixup_f64 v[2:3], v[43:44], v[27:28], 1.0
	v_rcp_f64_e32 v[47:48], v[45:46]
	v_add_f64 v[0:1], v[0:1], v[2:3]
	v_fma_f64 v[49:50], -v[45:46], v[47:48], 1.0
	v_fma_f64 v[33:34], v[47:48], v[49:50], v[47:48]
	v_fma_f64 v[12:13], -v[45:46], v[33:34], 1.0
	v_fma_f64 v[6:7], v[33:34], v[12:13], v[33:34]
	v_div_scale_f64 v[12:13], vcc_lo, v[31:32], v[29:30], v[31:32]
	v_mul_f64 v[18:19], v[12:13], v[6:7]
	v_fma_f64 v[12:13], -v[45:46], v[18:19], v[12:13]
	v_div_fmas_f64 v[6:7], v[12:13], v[6:7], v[18:19]
	v_div_fixup_f64 v[2:3], v[6:7], v[29:30], v[31:32]
	v_add_f64 v[0:1], v[0:1], v[2:3]
	v_mul_f64 v[0:1], v[10:11], v[0:1]
	v_add_nc_u32_e32 v10, s7, v24
	v_ashrrev_i32_e32 v2, 31, v10
	v_add_co_u32 v6, vcc_lo, s8, v10
	v_add_co_ci_u32_e64 v7, null, s9, v2, vcc_lo
	s_cbranch_scc1 .LBB48_1793
; %bb.1716:
	s_and_b32 s1, 0xffff, s18
	s_mov_b32 s4, -1
	s_mov_b32 s2, 0
	s_cmp_gt_i32 s1, 25
	s_mov_b32 s3, 0
	s_mov_b32 s0, 0
	s_cbranch_scc0 .LBB48_1749
; %bb.1717:
	s_cmp_gt_i32 s1, 28
	s_cbranch_scc0 .LBB48_1732
; %bb.1718:
	s_cmp_gt_i32 s1, 43
	;; [unrolled: 3-line block ×3, first 2 shown]
	s_cbranch_scc0 .LBB48_1722
; %bb.1720:
	s_mov_b32 s0, -1
	s_mov_b32 s4, 0
	s_cmp_eq_u32 s1, 46
	s_cbranch_scc0 .LBB48_1722
; %bb.1721:
	v_cvt_f32_f64_e32 v2, v[0:1]
	s_mov_b32 s0, 0
	s_mov_b32 s3, -1
	v_bfe_u32 v3, v2, 16, 1
	v_cmp_o_f32_e32 vcc_lo, v2, v2
	v_add3_u32 v2, v2, v3, 0x7fff
	v_mov_b32_e32 v3, 0x7fc0
	v_cndmask_b32_sdwa v2, v3, v2, vcc_lo dst_sel:DWORD dst_unused:UNUSED_PAD src0_sel:DWORD src1_sel:WORD_1
	global_store_dword v[6:7], v2, off
.LBB48_1722:
	s_and_b32 vcc_lo, exec_lo, s4
	s_cbranch_vccz .LBB48_1727
; %bb.1723:
	s_cmp_eq_u32 s1, 44
	s_mov_b32 s0, -1
	s_cbranch_scc0 .LBB48_1727
; %bb.1724:
	v_cvt_f32_f64_e32 v2, v[0:1]
	v_mov_b32_e32 v3, 0xff
	s_mov_b32 s3, exec_lo
	v_bfe_u32 v11, v2, 23, 8
	v_cmpx_ne_u32_e32 0xff, v11
	s_cbranch_execz .LBB48_1726
; %bb.1725:
	v_and_b32_e32 v3, 0x400000, v2
	v_and_or_b32 v11, 0x3fffff, v2, v11
	v_lshrrev_b32_e32 v2, 23, v2
	v_cmp_ne_u32_e32 vcc_lo, 0, v3
	v_cmp_ne_u32_e64 s0, 0, v11
	s_and_b32 s0, vcc_lo, s0
	v_cndmask_b32_e64 v3, 0, 1, s0
	v_add_nc_u32_e32 v3, v2, v3
.LBB48_1726:
	s_or_b32 exec_lo, exec_lo, s3
	s_mov_b32 s0, 0
	s_mov_b32 s3, -1
	global_store_byte v[6:7], v3, off
.LBB48_1727:
	s_mov_b32 s4, 0
.LBB48_1728:
	s_and_b32 vcc_lo, exec_lo, s4
	s_cbranch_vccz .LBB48_1731
; %bb.1729:
	s_cmp_eq_u32 s1, 29
	s_mov_b32 s0, -1
	s_cbranch_scc0 .LBB48_1731
; %bb.1730:
	v_trunc_f64_e32 v[2:3], v[0:1]
	s_mov_b32 s0, 0
	s_mov_b32 s3, -1
	v_ldexp_f64 v[11:12], v[2:3], 0xffffffe0
	v_floor_f64_e32 v[11:12], v[11:12]
	v_fma_f64 v[2:3], 0xc1f00000, v[11:12], v[2:3]
	v_cvt_u32_f64_e32 v12, v[11:12]
	v_cvt_u32_f64_e32 v11, v[2:3]
	global_store_dwordx2 v[6:7], v[11:12], off
.LBB48_1731:
	s_mov_b32 s4, 0
.LBB48_1732:
	s_and_b32 vcc_lo, exec_lo, s4
	s_cbranch_vccz .LBB48_1748
; %bb.1733:
	s_cmp_lt_i32 s1, 27
	s_mov_b32 s3, -1
	s_cbranch_scc1 .LBB48_1739
; %bb.1734:
	v_cvt_u32_f64_e32 v2, v[0:1]
	s_cmp_gt_i32 s1, 27
	s_cbranch_scc0 .LBB48_1736
; %bb.1735:
	s_mov_b32 s3, 0
	global_store_dword v[6:7], v2, off
.LBB48_1736:
	s_andn2_b32 vcc_lo, exec_lo, s3
	s_cbranch_vccnz .LBB48_1738
; %bb.1737:
	global_store_short v[6:7], v2, off
.LBB48_1738:
	s_mov_b32 s3, 0
.LBB48_1739:
	s_andn2_b32 vcc_lo, exec_lo, s3
	s_cbranch_vccnz .LBB48_1747
; %bb.1740:
	v_cvt_f32_f64_e32 v2, v[0:1]
	v_mov_b32_e32 v11, 0x80
	s_mov_b32 s3, exec_lo
	v_and_b32_e32 v3, 0x7fffffff, v2
	v_cmpx_gt_u32_e32 0x43800000, v3
	s_cbranch_execz .LBB48_1746
; %bb.1741:
	v_cmp_lt_u32_e32 vcc_lo, 0x3bffffff, v3
	s_mov_b32 s4, 0
                                        ; implicit-def: $vgpr3
	s_and_saveexec_b32 s5, vcc_lo
	s_xor_b32 s5, exec_lo, s5
	s_cbranch_execz .LBB48_2081
; %bb.1742:
	v_bfe_u32 v3, v2, 20, 1
	s_mov_b32 s4, exec_lo
	v_add3_u32 v3, v2, v3, 0x487ffff
	v_lshrrev_b32_e32 v3, 20, v3
	s_andn2_saveexec_b32 s5, s5
	s_cbranch_execnz .LBB48_2082
.LBB48_1743:
	s_or_b32 exec_lo, exec_lo, s5
	v_mov_b32_e32 v11, 0
	s_and_saveexec_b32 s5, s4
.LBB48_1744:
	v_lshrrev_b32_e32 v2, 24, v2
	v_and_or_b32 v11, 0x80, v2, v3
.LBB48_1745:
	s_or_b32 exec_lo, exec_lo, s5
.LBB48_1746:
	s_or_b32 exec_lo, exec_lo, s3
	global_store_byte v[6:7], v11, off
.LBB48_1747:
	s_mov_b32 s3, -1
.LBB48_1748:
	s_mov_b32 s4, 0
.LBB48_1749:
	s_and_b32 vcc_lo, exec_lo, s4
	s_cbranch_vccz .LBB48_1789
; %bb.1750:
	s_cmp_gt_i32 s1, 22
	s_mov_b32 s2, -1
	s_cbranch_scc0 .LBB48_1782
; %bb.1751:
	s_cmp_lt_i32 s1, 24
	s_cbranch_scc1 .LBB48_1771
; %bb.1752:
	s_cmp_gt_i32 s1, 24
	s_cbranch_scc0 .LBB48_1760
; %bb.1753:
	v_cvt_f32_f64_e32 v2, v[0:1]
	v_mov_b32_e32 v11, 0x80
	s_mov_b32 s2, exec_lo
	v_and_b32_e32 v3, 0x7fffffff, v2
	v_cmpx_gt_u32_e32 0x47800000, v3
	s_cbranch_execz .LBB48_1759
; %bb.1754:
	v_cmp_lt_u32_e32 vcc_lo, 0x37ffffff, v3
	s_mov_b32 s3, 0
                                        ; implicit-def: $vgpr3
	s_and_saveexec_b32 s4, vcc_lo
	s_xor_b32 s4, exec_lo, s4
	s_cbranch_execz .LBB48_2084
; %bb.1755:
	v_bfe_u32 v3, v2, 21, 1
	s_mov_b32 s3, exec_lo
	v_add3_u32 v3, v2, v3, 0x88fffff
	v_lshrrev_b32_e32 v3, 21, v3
	s_andn2_saveexec_b32 s4, s4
	s_cbranch_execnz .LBB48_2085
.LBB48_1756:
	s_or_b32 exec_lo, exec_lo, s4
	v_mov_b32_e32 v11, 0
	s_and_saveexec_b32 s4, s3
.LBB48_1757:
	v_lshrrev_b32_e32 v2, 24, v2
	v_and_or_b32 v11, 0x80, v2, v3
.LBB48_1758:
	s_or_b32 exec_lo, exec_lo, s4
.LBB48_1759:
	s_or_b32 exec_lo, exec_lo, s2
	s_mov_b32 s2, 0
	global_store_byte v[6:7], v11, off
.LBB48_1760:
	s_and_b32 vcc_lo, exec_lo, s2
	s_cbranch_vccz .LBB48_1770
; %bb.1761:
	v_cvt_f32_f64_e32 v2, v[0:1]
	s_mov_b32 s2, exec_lo
                                        ; implicit-def: $vgpr3
	v_and_b32_e32 v11, 0x7fffffff, v2
	v_cmpx_gt_u32_e32 0x43f00000, v11
	s_xor_b32 s2, exec_lo, s2
	s_cbranch_execz .LBB48_1767
; %bb.1762:
	s_mov_b32 s3, exec_lo
                                        ; implicit-def: $vgpr3
	v_cmpx_lt_u32_e32 0x3c7fffff, v11
	s_xor_b32 s3, exec_lo, s3
; %bb.1763:
	v_bfe_u32 v3, v2, 20, 1
	v_add3_u32 v3, v2, v3, 0x407ffff
	v_and_b32_e32 v11, 0xff00000, v3
	v_lshrrev_b32_e32 v3, 20, v3
	v_cmp_ne_u32_e32 vcc_lo, 0x7f00000, v11
	v_cndmask_b32_e32 v3, 0x7e, v3, vcc_lo
; %bb.1764:
	s_andn2_saveexec_b32 s3, s3
; %bb.1765:
	v_add_f32_e64 v3, 0x46800000, |v2|
; %bb.1766:
	s_or_b32 exec_lo, exec_lo, s3
                                        ; implicit-def: $vgpr11
.LBB48_1767:
	s_andn2_saveexec_b32 s2, s2
; %bb.1768:
	v_mov_b32_e32 v3, 0x7f
	v_cmp_lt_u32_e32 vcc_lo, 0x7f800000, v11
	v_cndmask_b32_e32 v3, 0x7e, v3, vcc_lo
; %bb.1769:
	s_or_b32 exec_lo, exec_lo, s2
	v_lshrrev_b32_e32 v2, 24, v2
	v_and_or_b32 v2, 0x80, v2, v3
	global_store_byte v[6:7], v2, off
.LBB48_1770:
	s_mov_b32 s2, 0
.LBB48_1771:
	s_andn2_b32 vcc_lo, exec_lo, s2
	s_cbranch_vccnz .LBB48_1781
; %bb.1772:
	v_cvt_f32_f64_e32 v2, v[0:1]
	s_mov_b32 s2, exec_lo
                                        ; implicit-def: $vgpr3
	v_and_b32_e32 v11, 0x7fffffff, v2
	v_cmpx_gt_u32_e32 0x47800000, v11
	s_xor_b32 s2, exec_lo, s2
	s_cbranch_execz .LBB48_1778
; %bb.1773:
	s_mov_b32 s3, exec_lo
                                        ; implicit-def: $vgpr3
	v_cmpx_lt_u32_e32 0x387fffff, v11
	s_xor_b32 s3, exec_lo, s3
; %bb.1774:
	v_bfe_u32 v3, v2, 21, 1
	v_add3_u32 v3, v2, v3, 0x80fffff
	v_lshrrev_b32_e32 v3, 21, v3
; %bb.1775:
	s_andn2_saveexec_b32 s3, s3
; %bb.1776:
	v_add_f32_e64 v3, 0x43000000, |v2|
; %bb.1777:
	s_or_b32 exec_lo, exec_lo, s3
                                        ; implicit-def: $vgpr11
.LBB48_1778:
	s_andn2_saveexec_b32 s2, s2
; %bb.1779:
	v_mov_b32_e32 v3, 0x7f
	v_cmp_lt_u32_e32 vcc_lo, 0x7f800000, v11
	v_cndmask_b32_e32 v3, 0x7c, v3, vcc_lo
; %bb.1780:
	s_or_b32 exec_lo, exec_lo, s2
	v_lshrrev_b32_e32 v2, 24, v2
	v_and_or_b32 v2, 0x80, v2, v3
	global_store_byte v[6:7], v2, off
.LBB48_1781:
	s_mov_b32 s2, 0
	s_mov_b32 s3, -1
.LBB48_1782:
	s_andn2_b32 vcc_lo, exec_lo, s2
	s_mov_b32 s2, 0
	s_cbranch_vccnz .LBB48_1789
; %bb.1783:
	s_cmp_gt_i32 s1, 14
	s_mov_b32 s2, -1
	s_cbranch_scc0 .LBB48_1787
; %bb.1784:
	s_cmp_eq_u32 s1, 15
	s_mov_b32 s0, -1
	s_cbranch_scc0 .LBB48_1786
; %bb.1785:
	v_cvt_f32_f64_e32 v2, v[0:1]
	s_mov_b32 s0, 0
	s_mov_b32 s3, -1
	v_bfe_u32 v3, v2, 16, 1
	v_cmp_o_f32_e32 vcc_lo, v2, v2
	v_add3_u32 v2, v2, v3, 0x7fff
	v_mov_b32_e32 v3, 0x7fc0
	v_cndmask_b32_sdwa v2, v3, v2, vcc_lo dst_sel:DWORD dst_unused:UNUSED_PAD src0_sel:DWORD src1_sel:WORD_1
	global_store_short v[6:7], v2, off
.LBB48_1786:
	s_mov_b32 s2, 0
.LBB48_1787:
	s_and_b32 vcc_lo, exec_lo, s2
	s_mov_b32 s2, 0
	s_cbranch_vccz .LBB48_1789
; %bb.1788:
	s_cmp_lg_u32 s1, 11
	s_mov_b32 s2, -1
	s_cselect_b32 s0, -1, 0
.LBB48_1789:
	s_and_b32 vcc_lo, exec_lo, s0
	s_cbranch_vccnz .LBB48_2083
; %bb.1790:
	s_andn2_b32 vcc_lo, exec_lo, s2
	s_cbranch_vccnz .LBB48_1792
.LBB48_1791:
	v_cmp_neq_f64_e32 vcc_lo, 0, v[0:1]
	s_mov_b32 s3, -1
	v_cndmask_b32_e64 v2, 0, 1, vcc_lo
	global_store_byte v[6:7], v2, off
.LBB48_1792:
	s_mov_b32 s0, 0
	s_branch .LBB48_1794
.LBB48_1793:
	s_mov_b32 s0, -1
	s_mov_b32 s3, 0
.LBB48_1794:
	s_and_b32 vcc_lo, exec_lo, s0
	s_cbranch_vccz .LBB48_1833
; %bb.1795:
	s_and_b32 s0, 0xffff, s18
	s_mov_b32 s1, -1
	s_cmp_lt_i32 s0, 5
	s_cbranch_scc1 .LBB48_1816
; %bb.1796:
	s_cmp_lt_i32 s0, 8
	s_cbranch_scc1 .LBB48_1806
; %bb.1797:
	;; [unrolled: 3-line block ×3, first 2 shown]
	s_cmp_gt_i32 s0, 9
	s_cbranch_scc0 .LBB48_1800
; %bb.1799:
	v_mov_b32_e32 v2, 0
	s_mov_b32 s1, 0
	v_mov_b32_e32 v3, v2
	global_store_dwordx4 v[6:7], v[0:3], off
.LBB48_1800:
	s_andn2_b32 vcc_lo, exec_lo, s1
	s_cbranch_vccnz .LBB48_1802
; %bb.1801:
	v_cvt_f32_f64_e32 v2, v[0:1]
	v_mov_b32_e32 v3, 0
	global_store_dwordx2 v[6:7], v[2:3], off
.LBB48_1802:
	s_mov_b32 s1, 0
.LBB48_1803:
	s_andn2_b32 vcc_lo, exec_lo, s1
	s_cbranch_vccnz .LBB48_1805
; %bb.1804:
	v_and_or_b32 v2, 0x1ff, v1, v0
	v_lshrrev_b32_e32 v3, 8, v1
	v_bfe_u32 v11, v1, 20, 11
	v_cmp_ne_u32_e32 vcc_lo, 0, v2
	v_sub_nc_u32_e32 v12, 0x3f1, v11
	v_add_nc_u32_e32 v11, 0xfffffc10, v11
	v_cndmask_b32_e64 v2, 0, 1, vcc_lo
	v_and_or_b32 v2, 0xffe, v3, v2
	v_med3_i32 v3, v12, 0, 13
	v_or_b32_e32 v12, 0x1000, v2
	v_lshrrev_b32_e32 v13, v3, v12
	v_lshlrev_b32_e32 v3, v3, v13
	v_cmp_ne_u32_e32 vcc_lo, v3, v12
	v_lshl_or_b32 v12, v11, 12, v2
	v_cndmask_b32_e64 v3, 0, 1, vcc_lo
	v_cmp_gt_i32_e32 vcc_lo, 1, v11
	v_or_b32_e32 v3, v13, v3
	v_cndmask_b32_e32 v3, v12, v3, vcc_lo
	v_and_b32_e32 v12, 7, v3
	v_lshrrev_b32_e32 v3, 2, v3
	v_cmp_lt_i32_e32 vcc_lo, 5, v12
	v_cndmask_b32_e64 v13, 0, 1, vcc_lo
	v_cmp_eq_u32_e32 vcc_lo, 3, v12
	v_cndmask_b32_e64 v12, 0, 1, vcc_lo
	v_cmp_ne_u32_e32 vcc_lo, 0, v2
	v_or_b32_e32 v12, v12, v13
	v_mov_b32_e32 v13, 0x7e00
	v_add_nc_u32_e32 v3, v3, v12
	v_cndmask_b32_e32 v2, 0x7c00, v13, vcc_lo
	v_cmp_gt_i32_e32 vcc_lo, 31, v11
	v_cndmask_b32_e32 v3, 0x7c00, v3, vcc_lo
	v_cmp_eq_u32_e32 vcc_lo, 0x40f, v11
	v_cndmask_b32_e32 v2, v3, v2, vcc_lo
	v_lshrrev_b32_e32 v3, 16, v1
	v_and_or_b32 v2, 0x8000, v3, v2
	v_and_b32_e32 v2, 0xffff, v2
	global_store_dword v[6:7], v2, off
.LBB48_1805:
	s_mov_b32 s1, 0
.LBB48_1806:
	s_andn2_b32 vcc_lo, exec_lo, s1
	s_cbranch_vccnz .LBB48_1815
; %bb.1807:
	s_cmp_lt_i32 s0, 6
	s_mov_b32 s1, -1
	s_cbranch_scc1 .LBB48_1813
; %bb.1808:
	s_cmp_gt_i32 s0, 6
	s_cbranch_scc0 .LBB48_1810
; %bb.1809:
	s_mov_b32 s1, 0
	global_store_dwordx2 v[6:7], v[0:1], off
.LBB48_1810:
	s_andn2_b32 vcc_lo, exec_lo, s1
	s_cbranch_vccnz .LBB48_1812
; %bb.1811:
	v_cvt_f32_f64_e32 v2, v[0:1]
	global_store_dword v[6:7], v2, off
.LBB48_1812:
	s_mov_b32 s1, 0
.LBB48_1813:
	s_andn2_b32 vcc_lo, exec_lo, s1
	s_cbranch_vccnz .LBB48_1815
; %bb.1814:
	v_and_or_b32 v2, 0x1ff, v1, v0
	v_lshrrev_b32_e32 v3, 8, v1
	v_bfe_u32 v11, v1, 20, 11
	v_cmp_ne_u32_e32 vcc_lo, 0, v2
	v_sub_nc_u32_e32 v12, 0x3f1, v11
	v_add_nc_u32_e32 v11, 0xfffffc10, v11
	v_cndmask_b32_e64 v2, 0, 1, vcc_lo
	v_and_or_b32 v2, 0xffe, v3, v2
	v_med3_i32 v3, v12, 0, 13
	v_or_b32_e32 v12, 0x1000, v2
	v_lshrrev_b32_e32 v13, v3, v12
	v_lshlrev_b32_e32 v3, v3, v13
	v_cmp_ne_u32_e32 vcc_lo, v3, v12
	v_lshl_or_b32 v12, v11, 12, v2
	v_cndmask_b32_e64 v3, 0, 1, vcc_lo
	v_cmp_gt_i32_e32 vcc_lo, 1, v11
	v_or_b32_e32 v3, v13, v3
	v_cndmask_b32_e32 v3, v12, v3, vcc_lo
	v_and_b32_e32 v12, 7, v3
	v_lshrrev_b32_e32 v3, 2, v3
	v_cmp_lt_i32_e32 vcc_lo, 5, v12
	v_cndmask_b32_e64 v13, 0, 1, vcc_lo
	v_cmp_eq_u32_e32 vcc_lo, 3, v12
	v_cndmask_b32_e64 v12, 0, 1, vcc_lo
	v_cmp_ne_u32_e32 vcc_lo, 0, v2
	v_or_b32_e32 v12, v12, v13
	v_mov_b32_e32 v13, 0x7e00
	v_add_nc_u32_e32 v3, v3, v12
	v_cndmask_b32_e32 v2, 0x7c00, v13, vcc_lo
	v_cmp_gt_i32_e32 vcc_lo, 31, v11
	v_cndmask_b32_e32 v3, 0x7c00, v3, vcc_lo
	v_cmp_eq_u32_e32 vcc_lo, 0x40f, v11
	v_cndmask_b32_e32 v2, v3, v2, vcc_lo
	v_lshrrev_b32_e32 v3, 16, v1
	v_and_or_b32 v2, 0x8000, v3, v2
	global_store_short v[6:7], v2, off
.LBB48_1815:
	s_mov_b32 s1, 0
.LBB48_1816:
	s_andn2_b32 vcc_lo, exec_lo, s1
	s_cbranch_vccnz .LBB48_1832
; %bb.1817:
	s_cmp_lt_i32 s0, 2
	s_mov_b32 s1, -1
	s_cbranch_scc1 .LBB48_1827
; %bb.1818:
	s_cmp_lt_i32 s0, 3
	s_cbranch_scc1 .LBB48_1824
; %bb.1819:
	s_cmp_gt_i32 s0, 3
	s_cbranch_scc0 .LBB48_1821
; %bb.1820:
	v_trunc_f64_e32 v[2:3], v[0:1]
	s_mov_b32 s1, 0
	v_ldexp_f64 v[11:12], v[2:3], 0xffffffe0
	v_floor_f64_e32 v[11:12], v[11:12]
	v_fma_f64 v[2:3], 0xc1f00000, v[11:12], v[2:3]
	v_cvt_i32_f64_e32 v12, v[11:12]
	v_cvt_u32_f64_e32 v11, v[2:3]
	global_store_dwordx2 v[6:7], v[11:12], off
.LBB48_1821:
	s_andn2_b32 vcc_lo, exec_lo, s1
	s_cbranch_vccnz .LBB48_1823
; %bb.1822:
	v_cvt_i32_f64_e32 v2, v[0:1]
	global_store_dword v[6:7], v2, off
.LBB48_1823:
	s_mov_b32 s1, 0
.LBB48_1824:
	s_andn2_b32 vcc_lo, exec_lo, s1
	s_cbranch_vccnz .LBB48_1826
; %bb.1825:
	v_cvt_i32_f64_e32 v2, v[0:1]
	global_store_short v[6:7], v2, off
.LBB48_1826:
	s_mov_b32 s1, 0
.LBB48_1827:
	s_andn2_b32 vcc_lo, exec_lo, s1
	s_cbranch_vccnz .LBB48_1832
; %bb.1828:
	s_cmp_gt_i32 s0, 0
	s_mov_b32 s0, -1
	s_cbranch_scc0 .LBB48_1830
; %bb.1829:
	v_cvt_i32_f64_e32 v2, v[0:1]
	s_mov_b32 s0, 0
	global_store_byte v[6:7], v2, off
.LBB48_1830:
	s_andn2_b32 vcc_lo, exec_lo, s0
	s_cbranch_vccnz .LBB48_1832
; %bb.1831:
	v_trunc_f64_e32 v[0:1], v[0:1]
	v_ldexp_f64 v[2:3], v[0:1], 0xffffffe0
	v_floor_f64_e32 v[2:3], v[2:3]
	v_fma_f64 v[0:1], 0xc1f00000, v[2:3], v[0:1]
	v_cvt_u32_f64_e32 v0, v[0:1]
	global_store_byte v[6:7], v0, off
.LBB48_1832:
	s_mov_b32 s3, -1
.LBB48_1833:
	s_andn2_b32 vcc_lo, exec_lo, s3
	s_cbranch_vccnz .LBB48_2029
; %bb.1834:
	v_add_f64 v[0:1], v[4:5], 1.0
	v_mul_f64 v[4:5], v[4:5], v[4:5]
	s_cmp_lt_i32 s18, 11
	v_add_f64 v[2:3], v[0:1], 1.0
	v_mul_f64 v[0:1], v[0:1], v[0:1]
	v_div_scale_f64 v[28:29], null, v[4:5], v[4:5], 1.0
	v_div_scale_f64 v[76:77], vcc_lo, 1.0, v[4:5], 1.0
	v_add_f64 v[6:7], v[2:3], 1.0
	v_mul_f64 v[2:3], v[2:3], v[2:3]
	v_div_scale_f64 v[30:31], null, v[0:1], v[0:1], 1.0
	v_rcp_f64_e32 v[44:45], v[28:29]
	v_add_f64 v[11:12], v[6:7], 1.0
	v_mul_f64 v[6:7], v[6:7], v[6:7]
	v_div_scale_f64 v[32:33], null, v[2:3], v[2:3], 1.0
	v_rcp_f64_e32 v[46:47], v[30:31]
	v_fma_f64 v[60:61], -v[28:29], v[44:45], 1.0
	v_add_f64 v[18:19], v[11:12], 1.0
	v_mul_f64 v[11:12], v[11:12], v[11:12]
	v_div_scale_f64 v[34:35], null, v[6:7], v[6:7], 1.0
	v_rcp_f64_e32 v[48:49], v[32:33]
	v_fma_f64 v[62:63], -v[30:31], v[46:47], 1.0
	v_fma_f64 v[44:45], v[44:45], v[60:61], v[44:45]
	v_add_f64 v[24:25], v[18:19], 1.0
	v_mul_f64 v[18:19], v[18:19], v[18:19]
	v_div_scale_f64 v[36:37], null, v[11:12], v[11:12], 1.0
	v_rcp_f64_e32 v[50:51], v[34:35]
	v_fma_f64 v[64:65], -v[32:33], v[48:49], 1.0
	v_fma_f64 v[46:47], v[46:47], v[62:63], v[46:47]
	v_fma_f64 v[62:63], -v[28:29], v[44:45], 1.0
	v_mul_f64 v[26:27], v[24:25], v[24:25]
	v_div_scale_f64 v[38:39], null, v[18:19], v[18:19], 1.0
	v_add_f64 v[40:41], v[24:25], v[24:25]
	v_rcp_f64_e32 v[52:53], v[36:37]
	v_fma_f64 v[66:67], -v[34:35], v[50:51], 1.0
	v_fma_f64 v[48:49], v[48:49], v[64:65], v[48:49]
	v_fma_f64 v[64:65], -v[30:31], v[46:47], 1.0
	v_fma_f64 v[44:45], v[44:45], v[62:63], v[44:45]
	v_div_scale_f64 v[62:63], s0, 1.0, v[0:1], 1.0
	v_div_scale_f64 v[42:43], null, v[26:27], v[26:27], 1.0
	v_rcp_f64_e32 v[54:55], v[38:39]
	v_div_scale_f64 v[56:57], null, v[40:41], v[40:41], 1.0
	v_div_scale_f64 v[78:79], s5, 1.0, v[26:27], 1.0
	v_fma_f64 v[68:69], -v[36:37], v[52:53], 1.0
	v_fma_f64 v[50:51], v[50:51], v[66:67], v[50:51]
	v_fma_f64 v[66:67], -v[32:33], v[48:49], 1.0
	v_fma_f64 v[46:47], v[46:47], v[64:65], v[46:47]
	v_div_scale_f64 v[64:65], s1, 1.0, v[2:3], 1.0
	v_div_scale_f64 v[88:89], s6, 1.0, v[40:41], 1.0
	v_rcp_f64_e32 v[58:59], v[42:43]
	v_rcp_f64_e32 v[70:71], v[56:57]
	v_fma_f64 v[72:73], -v[38:39], v[54:55], 1.0
	v_fma_f64 v[52:53], v[52:53], v[68:69], v[52:53]
	v_fma_f64 v[68:69], -v[34:35], v[50:51], 1.0
	v_fma_f64 v[48:49], v[48:49], v[66:67], v[48:49]
	v_div_scale_f64 v[66:67], s2, 1.0, v[6:7], 1.0
	v_mul_f64 v[80:81], v[62:63], v[46:47]
	v_fma_f64 v[74:75], -v[42:43], v[58:59], 1.0
	v_fma_f64 v[54:55], v[54:55], v[72:73], v[54:55]
	v_fma_f64 v[60:61], -v[56:57], v[70:71], 1.0
	v_fma_f64 v[72:73], -v[36:37], v[52:53], 1.0
	v_fma_f64 v[50:51], v[50:51], v[68:69], v[50:51]
	v_div_scale_f64 v[68:69], s3, 1.0, v[11:12], 1.0
	v_mul_f64 v[82:83], v[64:65], v[48:49]
	v_fma_f64 v[30:31], -v[30:31], v[80:81], v[62:63]
	v_fma_f64 v[58:59], v[58:59], v[74:75], v[58:59]
	v_fma_f64 v[74:75], -v[38:39], v[54:55], 1.0
	v_fma_f64 v[60:61], v[70:71], v[60:61], v[70:71]
	v_fma_f64 v[52:53], v[52:53], v[72:73], v[52:53]
	v_div_scale_f64 v[72:73], s4, 1.0, v[18:19], 1.0
	v_mul_f64 v[84:85], v[66:67], v[50:51]
	v_fma_f64 v[32:33], -v[32:33], v[82:83], v[64:65]
	v_fma_f64 v[70:71], -v[42:43], v[58:59], 1.0
	v_fma_f64 v[54:55], v[54:55], v[74:75], v[54:55]
	v_fma_f64 v[74:75], -v[56:57], v[60:61], 1.0
	v_mul_f64 v[86:87], v[68:69], v[52:53]
	v_fma_f64 v[34:35], -v[34:35], v[84:85], v[66:67]
	v_fma_f64 v[58:59], v[58:59], v[70:71], v[58:59]
	v_mul_f64 v[70:71], v[76:77], v[44:45]
	v_mul_f64 v[90:91], v[72:73], v[54:55]
	v_fma_f64 v[60:61], v[60:61], v[74:75], v[60:61]
	v_fma_f64 v[36:37], -v[36:37], v[86:87], v[68:69]
	v_mul_f64 v[74:75], v[78:79], v[58:59]
	v_fma_f64 v[28:29], -v[28:29], v[70:71], v[76:77]
	v_fma_f64 v[38:39], -v[38:39], v[90:91], v[72:73]
	v_mul_f64 v[62:63], v[88:89], v[60:61]
	v_fma_f64 v[42:43], -v[42:43], v[74:75], v[78:79]
	v_div_fmas_f64 v[28:29], v[28:29], v[44:45], v[70:71]
	s_mov_b32 vcc_lo, s0
	v_fma_f64 v[44:45], -v[56:57], v[62:63], v[88:89]
	v_div_fmas_f64 v[30:31], v[30:31], v[46:47], v[80:81]
	s_mov_b32 vcc_lo, s1
	s_mov_b32 s0, 0x11111111
	v_div_fmas_f64 v[32:33], v[32:33], v[48:49], v[82:83]
	s_mov_b32 vcc_lo, s2
	s_mov_b32 s1, 0x3fa11111
	;; [unrolled: 3-line block ×4, first 2 shown]
	v_div_fmas_f64 v[38:39], v[38:39], v[54:55], v[90:91]
	s_mov_b32 vcc_lo, s5
	v_div_fmas_f64 v[42:43], v[42:43], v[58:59], v[74:75]
	s_mov_b32 vcc_lo, s6
	v_div_fixup_f64 v[4:5], v[28:29], v[4:5], 1.0
	v_div_fmas_f64 v[44:45], v[44:45], v[60:61], v[62:63]
	v_div_fixup_f64 v[0:1], v[30:31], v[0:1], 1.0
	v_div_fixup_f64 v[2:3], v[32:33], v[2:3], 1.0
	;; [unrolled: 1-line block ×3, first 2 shown]
	v_add_f64 v[4:5], v[16:17], v[4:5]
	v_div_fixup_f64 v[40:41], v[44:45], v[40:41], 1.0
	v_fma_f64 v[42:43], v[26:27], s[2:3], s[0:1]
	s_mov_b32 s0, 0x55555555
	s_mov_b32 s1, 0x3fc55555
	v_add_f64 v[40:41], v[40:41], 1.0
	v_add_f64 v[0:1], v[4:5], v[0:1]
	v_fma_f64 v[42:43], -v[26:27], v[42:43], s[0:1]
	v_add_f64 v[0:1], v[0:1], v[2:3]
	v_div_fixup_f64 v[2:3], v[34:35], v[6:7], 1.0
	v_fma_f64 v[26:27], v[26:27], v[42:43], v[40:41]
	v_add_f64 v[0:1], v[0:1], v[2:3]
	v_div_fixup_f64 v[2:3], v[36:37], v[11:12], 1.0
	v_div_scale_f64 v[40:41], null, v[24:25], v[24:25], v[26:27]
	v_add_f64 v[0:1], v[0:1], v[2:3]
	v_div_fixup_f64 v[2:3], v[38:39], v[18:19], 1.0
	v_rcp_f64_e32 v[42:43], v[40:41]
	v_add_f64 v[0:1], v[0:1], v[2:3]
	v_fma_f64 v[44:45], -v[40:41], v[42:43], 1.0
	v_fma_f64 v[28:29], v[42:43], v[44:45], v[42:43]
	v_fma_f64 v[16:17], -v[40:41], v[28:29], 1.0
	v_fma_f64 v[4:5], v[28:29], v[16:17], v[28:29]
	v_div_scale_f64 v[16:17], vcc_lo, v[26:27], v[24:25], v[26:27]
	v_mul_f64 v[6:7], v[16:17], v[4:5]
	v_fma_f64 v[11:12], -v[40:41], v[6:7], v[16:17]
	v_div_fmas_f64 v[4:5], v[11:12], v[4:5], v[6:7]
	v_add_nc_u32_e32 v6, s7, v10
	v_div_fixup_f64 v[2:3], v[4:5], v[24:25], v[26:27]
	v_add_co_u32 v4, vcc_lo, s8, v6
	v_add_f64 v[0:1], v[0:1], v[2:3]
	v_ashrrev_i32_e32 v2, 31, v6
	v_add_co_ci_u32_e64 v5, null, s9, v2, vcc_lo
	v_mul_f64 v[0:1], v[14:15], v[0:1]
	s_cbranch_scc1 .LBB48_1912
; %bb.1835:
	s_and_b32 s1, 0xffff, s18
	s_mov_b32 s4, -1
	s_mov_b32 s2, 0
	s_cmp_gt_i32 s1, 25
	s_mov_b32 s3, 0
	s_mov_b32 s0, 0
	s_cbranch_scc0 .LBB48_1868
; %bb.1836:
	s_cmp_gt_i32 s1, 28
	s_cbranch_scc0 .LBB48_1851
; %bb.1837:
	s_cmp_gt_i32 s1, 43
	;; [unrolled: 3-line block ×3, first 2 shown]
	s_cbranch_scc0 .LBB48_1841
; %bb.1839:
	s_mov_b32 s0, -1
	s_mov_b32 s4, 0
	s_cmp_eq_u32 s1, 46
	s_cbranch_scc0 .LBB48_1841
; %bb.1840:
	v_cvt_f32_f64_e32 v2, v[0:1]
	s_mov_b32 s0, 0
	s_mov_b32 s3, -1
	v_bfe_u32 v3, v2, 16, 1
	v_cmp_o_f32_e32 vcc_lo, v2, v2
	v_add3_u32 v2, v2, v3, 0x7fff
	v_mov_b32_e32 v3, 0x7fc0
	v_cndmask_b32_sdwa v2, v3, v2, vcc_lo dst_sel:DWORD dst_unused:UNUSED_PAD src0_sel:DWORD src1_sel:WORD_1
	global_store_dword v[4:5], v2, off
.LBB48_1841:
	s_and_b32 vcc_lo, exec_lo, s4
	s_cbranch_vccz .LBB48_1846
; %bb.1842:
	s_cmp_eq_u32 s1, 44
	s_mov_b32 s0, -1
	s_cbranch_scc0 .LBB48_1846
; %bb.1843:
	v_cvt_f32_f64_e32 v2, v[0:1]
	v_mov_b32_e32 v3, 0xff
	s_mov_b32 s3, exec_lo
	v_bfe_u32 v7, v2, 23, 8
	v_cmpx_ne_u32_e32 0xff, v7
	s_cbranch_execz .LBB48_1845
; %bb.1844:
	v_and_b32_e32 v3, 0x400000, v2
	v_and_or_b32 v7, 0x3fffff, v2, v7
	v_lshrrev_b32_e32 v2, 23, v2
	v_cmp_ne_u32_e32 vcc_lo, 0, v3
	v_cmp_ne_u32_e64 s0, 0, v7
	s_and_b32 s0, vcc_lo, s0
	v_cndmask_b32_e64 v3, 0, 1, s0
	v_add_nc_u32_e32 v3, v2, v3
.LBB48_1845:
	s_or_b32 exec_lo, exec_lo, s3
	s_mov_b32 s0, 0
	s_mov_b32 s3, -1
	global_store_byte v[4:5], v3, off
.LBB48_1846:
	s_mov_b32 s4, 0
.LBB48_1847:
	s_and_b32 vcc_lo, exec_lo, s4
	s_cbranch_vccz .LBB48_1850
; %bb.1848:
	s_cmp_eq_u32 s1, 29
	s_mov_b32 s0, -1
	s_cbranch_scc0 .LBB48_1850
; %bb.1849:
	v_trunc_f64_e32 v[2:3], v[0:1]
	s_mov_b32 s0, 0
	s_mov_b32 s3, -1
	v_ldexp_f64 v[10:11], v[2:3], 0xffffffe0
	v_floor_f64_e32 v[10:11], v[10:11]
	v_fma_f64 v[2:3], 0xc1f00000, v[10:11], v[2:3]
	v_cvt_u32_f64_e32 v11, v[10:11]
	v_cvt_u32_f64_e32 v10, v[2:3]
	global_store_dwordx2 v[4:5], v[10:11], off
.LBB48_1850:
	s_mov_b32 s4, 0
.LBB48_1851:
	s_and_b32 vcc_lo, exec_lo, s4
	s_cbranch_vccz .LBB48_1867
; %bb.1852:
	s_cmp_lt_i32 s1, 27
	s_mov_b32 s3, -1
	s_cbranch_scc1 .LBB48_1858
; %bb.1853:
	v_cvt_u32_f64_e32 v2, v[0:1]
	s_cmp_gt_i32 s1, 27
	s_cbranch_scc0 .LBB48_1855
; %bb.1854:
	s_mov_b32 s3, 0
	global_store_dword v[4:5], v2, off
.LBB48_1855:
	s_andn2_b32 vcc_lo, exec_lo, s3
	s_cbranch_vccnz .LBB48_1857
; %bb.1856:
	global_store_short v[4:5], v2, off
.LBB48_1857:
	s_mov_b32 s3, 0
.LBB48_1858:
	s_andn2_b32 vcc_lo, exec_lo, s3
	s_cbranch_vccnz .LBB48_1866
; %bb.1859:
	v_cvt_f32_f64_e32 v2, v[0:1]
	v_mov_b32_e32 v7, 0x80
	s_mov_b32 s3, exec_lo
	v_and_b32_e32 v3, 0x7fffffff, v2
	v_cmpx_gt_u32_e32 0x43800000, v3
	s_cbranch_execz .LBB48_1865
; %bb.1860:
	v_cmp_lt_u32_e32 vcc_lo, 0x3bffffff, v3
	s_mov_b32 s4, 0
                                        ; implicit-def: $vgpr3
	s_and_saveexec_b32 s5, vcc_lo
	s_xor_b32 s5, exec_lo, s5
	s_cbranch_execz .LBB48_2086
; %bb.1861:
	v_bfe_u32 v3, v2, 20, 1
	s_mov_b32 s4, exec_lo
	v_add3_u32 v3, v2, v3, 0x487ffff
	v_lshrrev_b32_e32 v3, 20, v3
	s_andn2_saveexec_b32 s5, s5
	s_cbranch_execnz .LBB48_2087
.LBB48_1862:
	s_or_b32 exec_lo, exec_lo, s5
	v_mov_b32_e32 v7, 0
	s_and_saveexec_b32 s5, s4
.LBB48_1863:
	v_lshrrev_b32_e32 v2, 24, v2
	v_and_or_b32 v7, 0x80, v2, v3
.LBB48_1864:
	s_or_b32 exec_lo, exec_lo, s5
.LBB48_1865:
	s_or_b32 exec_lo, exec_lo, s3
	global_store_byte v[4:5], v7, off
.LBB48_1866:
	s_mov_b32 s3, -1
.LBB48_1867:
	s_mov_b32 s4, 0
.LBB48_1868:
	s_and_b32 vcc_lo, exec_lo, s4
	s_cbranch_vccz .LBB48_1908
; %bb.1869:
	s_cmp_gt_i32 s1, 22
	s_mov_b32 s2, -1
	s_cbranch_scc0 .LBB48_1901
; %bb.1870:
	s_cmp_lt_i32 s1, 24
	s_cbranch_scc1 .LBB48_1890
; %bb.1871:
	s_cmp_gt_i32 s1, 24
	s_cbranch_scc0 .LBB48_1879
; %bb.1872:
	v_cvt_f32_f64_e32 v2, v[0:1]
	v_mov_b32_e32 v7, 0x80
	s_mov_b32 s2, exec_lo
	v_and_b32_e32 v3, 0x7fffffff, v2
	v_cmpx_gt_u32_e32 0x47800000, v3
	s_cbranch_execz .LBB48_1878
; %bb.1873:
	v_cmp_lt_u32_e32 vcc_lo, 0x37ffffff, v3
	s_mov_b32 s3, 0
                                        ; implicit-def: $vgpr3
	s_and_saveexec_b32 s4, vcc_lo
	s_xor_b32 s4, exec_lo, s4
	s_cbranch_execz .LBB48_2089
; %bb.1874:
	v_bfe_u32 v3, v2, 21, 1
	s_mov_b32 s3, exec_lo
	v_add3_u32 v3, v2, v3, 0x88fffff
	v_lshrrev_b32_e32 v3, 21, v3
	s_andn2_saveexec_b32 s4, s4
	s_cbranch_execnz .LBB48_2090
.LBB48_1875:
	s_or_b32 exec_lo, exec_lo, s4
	v_mov_b32_e32 v7, 0
	s_and_saveexec_b32 s4, s3
.LBB48_1876:
	v_lshrrev_b32_e32 v2, 24, v2
	v_and_or_b32 v7, 0x80, v2, v3
.LBB48_1877:
	s_or_b32 exec_lo, exec_lo, s4
.LBB48_1878:
	s_or_b32 exec_lo, exec_lo, s2
	s_mov_b32 s2, 0
	global_store_byte v[4:5], v7, off
.LBB48_1879:
	s_and_b32 vcc_lo, exec_lo, s2
	s_cbranch_vccz .LBB48_1889
; %bb.1880:
	v_cvt_f32_f64_e32 v2, v[0:1]
	s_mov_b32 s2, exec_lo
                                        ; implicit-def: $vgpr3
	v_and_b32_e32 v7, 0x7fffffff, v2
	v_cmpx_gt_u32_e32 0x43f00000, v7
	s_xor_b32 s2, exec_lo, s2
	s_cbranch_execz .LBB48_1886
; %bb.1881:
	s_mov_b32 s3, exec_lo
                                        ; implicit-def: $vgpr3
	v_cmpx_lt_u32_e32 0x3c7fffff, v7
	s_xor_b32 s3, exec_lo, s3
; %bb.1882:
	v_bfe_u32 v3, v2, 20, 1
	v_add3_u32 v3, v2, v3, 0x407ffff
	v_and_b32_e32 v7, 0xff00000, v3
	v_lshrrev_b32_e32 v3, 20, v3
	v_cmp_ne_u32_e32 vcc_lo, 0x7f00000, v7
	v_cndmask_b32_e32 v3, 0x7e, v3, vcc_lo
; %bb.1883:
	s_andn2_saveexec_b32 s3, s3
; %bb.1884:
	v_add_f32_e64 v3, 0x46800000, |v2|
; %bb.1885:
	s_or_b32 exec_lo, exec_lo, s3
                                        ; implicit-def: $vgpr7
.LBB48_1886:
	s_andn2_saveexec_b32 s2, s2
; %bb.1887:
	v_mov_b32_e32 v3, 0x7f
	v_cmp_lt_u32_e32 vcc_lo, 0x7f800000, v7
	v_cndmask_b32_e32 v3, 0x7e, v3, vcc_lo
; %bb.1888:
	s_or_b32 exec_lo, exec_lo, s2
	v_lshrrev_b32_e32 v2, 24, v2
	v_and_or_b32 v2, 0x80, v2, v3
	global_store_byte v[4:5], v2, off
.LBB48_1889:
	s_mov_b32 s2, 0
.LBB48_1890:
	s_andn2_b32 vcc_lo, exec_lo, s2
	s_cbranch_vccnz .LBB48_1900
; %bb.1891:
	v_cvt_f32_f64_e32 v2, v[0:1]
	s_mov_b32 s2, exec_lo
                                        ; implicit-def: $vgpr3
	v_and_b32_e32 v7, 0x7fffffff, v2
	v_cmpx_gt_u32_e32 0x47800000, v7
	s_xor_b32 s2, exec_lo, s2
	s_cbranch_execz .LBB48_1897
; %bb.1892:
	s_mov_b32 s3, exec_lo
                                        ; implicit-def: $vgpr3
	v_cmpx_lt_u32_e32 0x387fffff, v7
	s_xor_b32 s3, exec_lo, s3
; %bb.1893:
	v_bfe_u32 v3, v2, 21, 1
	v_add3_u32 v3, v2, v3, 0x80fffff
	v_lshrrev_b32_e32 v3, 21, v3
; %bb.1894:
	s_andn2_saveexec_b32 s3, s3
; %bb.1895:
	v_add_f32_e64 v3, 0x43000000, |v2|
; %bb.1896:
	s_or_b32 exec_lo, exec_lo, s3
                                        ; implicit-def: $vgpr7
.LBB48_1897:
	s_andn2_saveexec_b32 s2, s2
; %bb.1898:
	v_mov_b32_e32 v3, 0x7f
	v_cmp_lt_u32_e32 vcc_lo, 0x7f800000, v7
	v_cndmask_b32_e32 v3, 0x7c, v3, vcc_lo
; %bb.1899:
	s_or_b32 exec_lo, exec_lo, s2
	v_lshrrev_b32_e32 v2, 24, v2
	v_and_or_b32 v2, 0x80, v2, v3
	global_store_byte v[4:5], v2, off
.LBB48_1900:
	s_mov_b32 s2, 0
	s_mov_b32 s3, -1
.LBB48_1901:
	s_andn2_b32 vcc_lo, exec_lo, s2
	s_mov_b32 s2, 0
	s_cbranch_vccnz .LBB48_1908
; %bb.1902:
	s_cmp_gt_i32 s1, 14
	s_mov_b32 s2, -1
	s_cbranch_scc0 .LBB48_1906
; %bb.1903:
	s_cmp_eq_u32 s1, 15
	s_mov_b32 s0, -1
	s_cbranch_scc0 .LBB48_1905
; %bb.1904:
	v_cvt_f32_f64_e32 v2, v[0:1]
	s_mov_b32 s0, 0
	s_mov_b32 s3, -1
	v_bfe_u32 v3, v2, 16, 1
	v_cmp_o_f32_e32 vcc_lo, v2, v2
	v_add3_u32 v2, v2, v3, 0x7fff
	v_mov_b32_e32 v3, 0x7fc0
	v_cndmask_b32_sdwa v2, v3, v2, vcc_lo dst_sel:DWORD dst_unused:UNUSED_PAD src0_sel:DWORD src1_sel:WORD_1
	global_store_short v[4:5], v2, off
.LBB48_1905:
	s_mov_b32 s2, 0
.LBB48_1906:
	s_and_b32 vcc_lo, exec_lo, s2
	s_mov_b32 s2, 0
	s_cbranch_vccz .LBB48_1908
; %bb.1907:
	s_cmp_lg_u32 s1, 11
	s_mov_b32 s2, -1
	s_cselect_b32 s0, -1, 0
.LBB48_1908:
	s_and_b32 vcc_lo, exec_lo, s0
	s_cbranch_vccnz .LBB48_2088
; %bb.1909:
	s_andn2_b32 vcc_lo, exec_lo, s2
	s_cbranch_vccnz .LBB48_1911
.LBB48_1910:
	v_cmp_neq_f64_e32 vcc_lo, 0, v[0:1]
	s_mov_b32 s3, -1
	v_cndmask_b32_e64 v2, 0, 1, vcc_lo
	global_store_byte v[4:5], v2, off
.LBB48_1911:
	s_mov_b32 s0, 0
	s_branch .LBB48_1913
.LBB48_1912:
	s_mov_b32 s0, -1
	s_mov_b32 s3, 0
.LBB48_1913:
	s_and_b32 vcc_lo, exec_lo, s0
	s_cbranch_vccz .LBB48_1952
; %bb.1914:
	s_and_b32 s0, 0xffff, s18
	s_mov_b32 s1, -1
	s_cmp_lt_i32 s0, 5
	s_cbranch_scc1 .LBB48_1935
; %bb.1915:
	s_cmp_lt_i32 s0, 8
	s_cbranch_scc1 .LBB48_1925
; %bb.1916:
	;; [unrolled: 3-line block ×3, first 2 shown]
	s_cmp_gt_i32 s0, 9
	s_cbranch_scc0 .LBB48_1919
; %bb.1918:
	v_mov_b32_e32 v2, 0
	s_mov_b32 s1, 0
	v_mov_b32_e32 v3, v2
	global_store_dwordx4 v[4:5], v[0:3], off
.LBB48_1919:
	s_andn2_b32 vcc_lo, exec_lo, s1
	s_cbranch_vccnz .LBB48_1921
; %bb.1920:
	v_cvt_f32_f64_e32 v2, v[0:1]
	v_mov_b32_e32 v3, 0
	global_store_dwordx2 v[4:5], v[2:3], off
.LBB48_1921:
	s_mov_b32 s1, 0
.LBB48_1922:
	s_andn2_b32 vcc_lo, exec_lo, s1
	s_cbranch_vccnz .LBB48_1924
; %bb.1923:
	v_and_or_b32 v2, 0x1ff, v1, v0
	v_lshrrev_b32_e32 v3, 8, v1
	v_bfe_u32 v7, v1, 20, 11
	v_cmp_ne_u32_e32 vcc_lo, 0, v2
	v_sub_nc_u32_e32 v10, 0x3f1, v7
	v_add_nc_u32_e32 v7, 0xfffffc10, v7
	v_cndmask_b32_e64 v2, 0, 1, vcc_lo
	v_and_or_b32 v2, 0xffe, v3, v2
	v_med3_i32 v3, v10, 0, 13
	v_or_b32_e32 v10, 0x1000, v2
	v_lshrrev_b32_e32 v11, v3, v10
	v_lshlrev_b32_e32 v3, v3, v11
	v_cmp_ne_u32_e32 vcc_lo, v3, v10
	v_lshl_or_b32 v10, v7, 12, v2
	v_cndmask_b32_e64 v3, 0, 1, vcc_lo
	v_cmp_gt_i32_e32 vcc_lo, 1, v7
	v_or_b32_e32 v3, v11, v3
	v_cndmask_b32_e32 v3, v10, v3, vcc_lo
	v_and_b32_e32 v10, 7, v3
	v_lshrrev_b32_e32 v3, 2, v3
	v_cmp_lt_i32_e32 vcc_lo, 5, v10
	v_cndmask_b32_e64 v11, 0, 1, vcc_lo
	v_cmp_eq_u32_e32 vcc_lo, 3, v10
	v_cndmask_b32_e64 v10, 0, 1, vcc_lo
	v_cmp_ne_u32_e32 vcc_lo, 0, v2
	v_or_b32_e32 v10, v10, v11
	v_mov_b32_e32 v11, 0x7e00
	v_add_nc_u32_e32 v3, v3, v10
	v_cndmask_b32_e32 v2, 0x7c00, v11, vcc_lo
	v_cmp_gt_i32_e32 vcc_lo, 31, v7
	v_cndmask_b32_e32 v3, 0x7c00, v3, vcc_lo
	v_cmp_eq_u32_e32 vcc_lo, 0x40f, v7
	v_cndmask_b32_e32 v2, v3, v2, vcc_lo
	v_lshrrev_b32_e32 v3, 16, v1
	v_and_or_b32 v2, 0x8000, v3, v2
	v_and_b32_e32 v2, 0xffff, v2
	global_store_dword v[4:5], v2, off
.LBB48_1924:
	s_mov_b32 s1, 0
.LBB48_1925:
	s_andn2_b32 vcc_lo, exec_lo, s1
	s_cbranch_vccnz .LBB48_1934
; %bb.1926:
	s_cmp_lt_i32 s0, 6
	s_mov_b32 s1, -1
	s_cbranch_scc1 .LBB48_1932
; %bb.1927:
	s_cmp_gt_i32 s0, 6
	s_cbranch_scc0 .LBB48_1929
; %bb.1928:
	s_mov_b32 s1, 0
	global_store_dwordx2 v[4:5], v[0:1], off
.LBB48_1929:
	s_andn2_b32 vcc_lo, exec_lo, s1
	s_cbranch_vccnz .LBB48_1931
; %bb.1930:
	v_cvt_f32_f64_e32 v2, v[0:1]
	global_store_dword v[4:5], v2, off
.LBB48_1931:
	s_mov_b32 s1, 0
.LBB48_1932:
	s_andn2_b32 vcc_lo, exec_lo, s1
	s_cbranch_vccnz .LBB48_1934
; %bb.1933:
	v_and_or_b32 v2, 0x1ff, v1, v0
	v_lshrrev_b32_e32 v3, 8, v1
	v_bfe_u32 v7, v1, 20, 11
	v_cmp_ne_u32_e32 vcc_lo, 0, v2
	v_sub_nc_u32_e32 v10, 0x3f1, v7
	v_add_nc_u32_e32 v7, 0xfffffc10, v7
	v_cndmask_b32_e64 v2, 0, 1, vcc_lo
	v_and_or_b32 v2, 0xffe, v3, v2
	v_med3_i32 v3, v10, 0, 13
	v_or_b32_e32 v10, 0x1000, v2
	v_lshrrev_b32_e32 v11, v3, v10
	v_lshlrev_b32_e32 v3, v3, v11
	v_cmp_ne_u32_e32 vcc_lo, v3, v10
	v_lshl_or_b32 v10, v7, 12, v2
	v_cndmask_b32_e64 v3, 0, 1, vcc_lo
	v_cmp_gt_i32_e32 vcc_lo, 1, v7
	v_or_b32_e32 v3, v11, v3
	v_cndmask_b32_e32 v3, v10, v3, vcc_lo
	v_and_b32_e32 v10, 7, v3
	v_lshrrev_b32_e32 v3, 2, v3
	v_cmp_lt_i32_e32 vcc_lo, 5, v10
	v_cndmask_b32_e64 v11, 0, 1, vcc_lo
	v_cmp_eq_u32_e32 vcc_lo, 3, v10
	v_cndmask_b32_e64 v10, 0, 1, vcc_lo
	v_cmp_ne_u32_e32 vcc_lo, 0, v2
	v_or_b32_e32 v10, v10, v11
	v_mov_b32_e32 v11, 0x7e00
	v_add_nc_u32_e32 v3, v3, v10
	v_cndmask_b32_e32 v2, 0x7c00, v11, vcc_lo
	v_cmp_gt_i32_e32 vcc_lo, 31, v7
	v_cndmask_b32_e32 v3, 0x7c00, v3, vcc_lo
	v_cmp_eq_u32_e32 vcc_lo, 0x40f, v7
	v_cndmask_b32_e32 v2, v3, v2, vcc_lo
	v_lshrrev_b32_e32 v3, 16, v1
	v_and_or_b32 v2, 0x8000, v3, v2
	global_store_short v[4:5], v2, off
.LBB48_1934:
	s_mov_b32 s1, 0
.LBB48_1935:
	s_andn2_b32 vcc_lo, exec_lo, s1
	s_cbranch_vccnz .LBB48_1951
; %bb.1936:
	s_cmp_lt_i32 s0, 2
	s_mov_b32 s1, -1
	s_cbranch_scc1 .LBB48_1946
; %bb.1937:
	s_cmp_lt_i32 s0, 3
	s_cbranch_scc1 .LBB48_1943
; %bb.1938:
	s_cmp_gt_i32 s0, 3
	s_cbranch_scc0 .LBB48_1940
; %bb.1939:
	v_trunc_f64_e32 v[2:3], v[0:1]
	s_mov_b32 s1, 0
	v_ldexp_f64 v[10:11], v[2:3], 0xffffffe0
	v_floor_f64_e32 v[10:11], v[10:11]
	v_fma_f64 v[2:3], 0xc1f00000, v[10:11], v[2:3]
	v_cvt_i32_f64_e32 v11, v[10:11]
	v_cvt_u32_f64_e32 v10, v[2:3]
	global_store_dwordx2 v[4:5], v[10:11], off
.LBB48_1940:
	s_andn2_b32 vcc_lo, exec_lo, s1
	s_cbranch_vccnz .LBB48_1942
; %bb.1941:
	v_cvt_i32_f64_e32 v2, v[0:1]
	global_store_dword v[4:5], v2, off
.LBB48_1942:
	s_mov_b32 s1, 0
.LBB48_1943:
	s_andn2_b32 vcc_lo, exec_lo, s1
	s_cbranch_vccnz .LBB48_1945
; %bb.1944:
	v_cvt_i32_f64_e32 v2, v[0:1]
	global_store_short v[4:5], v2, off
.LBB48_1945:
	s_mov_b32 s1, 0
.LBB48_1946:
	s_andn2_b32 vcc_lo, exec_lo, s1
	s_cbranch_vccnz .LBB48_1951
; %bb.1947:
	s_cmp_gt_i32 s0, 0
	s_mov_b32 s0, -1
	s_cbranch_scc0 .LBB48_1949
; %bb.1948:
	v_cvt_i32_f64_e32 v2, v[0:1]
	s_mov_b32 s0, 0
	global_store_byte v[4:5], v2, off
.LBB48_1949:
	s_andn2_b32 vcc_lo, exec_lo, s0
	s_cbranch_vccnz .LBB48_1951
; %bb.1950:
	v_trunc_f64_e32 v[0:1], v[0:1]
	v_ldexp_f64 v[2:3], v[0:1], 0xffffffe0
	v_floor_f64_e32 v[2:3], v[2:3]
	v_fma_f64 v[0:1], 0xc1f00000, v[2:3], v[0:1]
	v_cvt_u32_f64_e32 v0, v[0:1]
	global_store_byte v[4:5], v0, off
.LBB48_1951:
	s_mov_b32 s3, -1
.LBB48_1952:
	s_andn2_b32 vcc_lo, exec_lo, s3
	s_cbranch_vccnz .LBB48_2029
; %bb.1953:
	v_add_f64 v[0:1], v[8:9], 1.0
	v_mul_f64 v[7:8], v[8:9], v[8:9]
	s_cmp_lt_i32 s18, 11
	v_add_f64 v[2:3], v[0:1], 1.0
	v_mul_f64 v[0:1], v[0:1], v[0:1]
	v_div_scale_f64 v[18:19], null, v[7:8], v[7:8], 1.0
	v_div_scale_f64 v[70:71], vcc_lo, 1.0, v[7:8], 1.0
	v_add_f64 v[4:5], v[2:3], 1.0
	v_mul_f64 v[2:3], v[2:3], v[2:3]
	v_div_scale_f64 v[24:25], null, v[0:1], v[0:1], 1.0
	v_rcp_f64_e32 v[38:39], v[18:19]
	v_add_f64 v[10:11], v[4:5], 1.0
	v_mul_f64 v[4:5], v[4:5], v[4:5]
	v_div_scale_f64 v[26:27], null, v[2:3], v[2:3], 1.0
	v_rcp_f64_e32 v[40:41], v[24:25]
	v_fma_f64 v[54:55], -v[18:19], v[38:39], 1.0
	v_add_f64 v[12:13], v[10:11], 1.0
	v_mul_f64 v[9:10], v[10:11], v[10:11]
	v_div_scale_f64 v[28:29], null, v[4:5], v[4:5], 1.0
	v_rcp_f64_e32 v[42:43], v[26:27]
	v_fma_f64 v[56:57], -v[24:25], v[40:41], 1.0
	v_fma_f64 v[38:39], v[38:39], v[54:55], v[38:39]
	v_add_f64 v[14:15], v[12:13], 1.0
	v_mul_f64 v[11:12], v[12:13], v[12:13]
	v_div_scale_f64 v[30:31], null, v[9:10], v[9:10], 1.0
	v_rcp_f64_e32 v[44:45], v[28:29]
	v_fma_f64 v[58:59], -v[26:27], v[42:43], 1.0
	v_fma_f64 v[40:41], v[40:41], v[56:57], v[40:41]
	v_fma_f64 v[56:57], -v[18:19], v[38:39], 1.0
	v_mul_f64 v[16:17], v[14:15], v[14:15]
	v_div_scale_f64 v[32:33], null, v[11:12], v[11:12], 1.0
	v_add_f64 v[34:35], v[14:15], v[14:15]
	v_rcp_f64_e32 v[46:47], v[30:31]
	v_fma_f64 v[60:61], -v[28:29], v[44:45], 1.0
	v_fma_f64 v[42:43], v[42:43], v[58:59], v[42:43]
	v_fma_f64 v[58:59], -v[24:25], v[40:41], 1.0
	v_fma_f64 v[38:39], v[38:39], v[56:57], v[38:39]
	v_div_scale_f64 v[56:57], s0, 1.0, v[0:1], 1.0
	v_div_scale_f64 v[36:37], null, v[16:17], v[16:17], 1.0
	v_rcp_f64_e32 v[48:49], v[32:33]
	v_div_scale_f64 v[50:51], null, v[34:35], v[34:35], 1.0
	v_div_scale_f64 v[72:73], s5, 1.0, v[16:17], 1.0
	v_fma_f64 v[62:63], -v[30:31], v[46:47], 1.0
	v_fma_f64 v[44:45], v[44:45], v[60:61], v[44:45]
	v_fma_f64 v[60:61], -v[26:27], v[42:43], 1.0
	v_fma_f64 v[40:41], v[40:41], v[58:59], v[40:41]
	v_div_scale_f64 v[58:59], s1, 1.0, v[2:3], 1.0
	v_div_scale_f64 v[82:83], s6, 1.0, v[34:35], 1.0
	v_rcp_f64_e32 v[52:53], v[36:37]
	v_rcp_f64_e32 v[64:65], v[50:51]
	v_fma_f64 v[66:67], -v[32:33], v[48:49], 1.0
	v_fma_f64 v[46:47], v[46:47], v[62:63], v[46:47]
	v_fma_f64 v[62:63], -v[28:29], v[44:45], 1.0
	v_fma_f64 v[42:43], v[42:43], v[60:61], v[42:43]
	v_div_scale_f64 v[60:61], s2, 1.0, v[4:5], 1.0
	v_mul_f64 v[74:75], v[56:57], v[40:41]
	v_fma_f64 v[68:69], -v[36:37], v[52:53], 1.0
	v_fma_f64 v[48:49], v[48:49], v[66:67], v[48:49]
	v_fma_f64 v[54:55], -v[50:51], v[64:65], 1.0
	v_fma_f64 v[66:67], -v[30:31], v[46:47], 1.0
	v_fma_f64 v[44:45], v[44:45], v[62:63], v[44:45]
	v_div_scale_f64 v[62:63], s3, 1.0, v[9:10], 1.0
	v_mul_f64 v[76:77], v[58:59], v[42:43]
	v_fma_f64 v[24:25], -v[24:25], v[74:75], v[56:57]
	v_fma_f64 v[52:53], v[52:53], v[68:69], v[52:53]
	v_fma_f64 v[68:69], -v[32:33], v[48:49], 1.0
	v_fma_f64 v[54:55], v[64:65], v[54:55], v[64:65]
	v_fma_f64 v[46:47], v[46:47], v[66:67], v[46:47]
	v_div_scale_f64 v[66:67], s4, 1.0, v[11:12], 1.0
	v_mul_f64 v[78:79], v[60:61], v[44:45]
	v_fma_f64 v[26:27], -v[26:27], v[76:77], v[58:59]
	v_fma_f64 v[64:65], -v[36:37], v[52:53], 1.0
	v_fma_f64 v[48:49], v[48:49], v[68:69], v[48:49]
	v_fma_f64 v[68:69], -v[50:51], v[54:55], 1.0
	v_mul_f64 v[80:81], v[62:63], v[46:47]
	v_fma_f64 v[28:29], -v[28:29], v[78:79], v[60:61]
	v_fma_f64 v[52:53], v[52:53], v[64:65], v[52:53]
	v_mul_f64 v[64:65], v[70:71], v[38:39]
	v_mul_f64 v[84:85], v[66:67], v[48:49]
	v_fma_f64 v[54:55], v[54:55], v[68:69], v[54:55]
	v_fma_f64 v[30:31], -v[30:31], v[80:81], v[62:63]
	v_mul_f64 v[68:69], v[72:73], v[52:53]
	v_fma_f64 v[18:19], -v[18:19], v[64:65], v[70:71]
	v_fma_f64 v[32:33], -v[32:33], v[84:85], v[66:67]
	v_mul_f64 v[56:57], v[82:83], v[54:55]
	v_fma_f64 v[36:37], -v[36:37], v[68:69], v[72:73]
	v_div_fmas_f64 v[18:19], v[18:19], v[38:39], v[64:65]
	s_mov_b32 vcc_lo, s0
	v_fma_f64 v[38:39], -v[50:51], v[56:57], v[82:83]
	v_div_fmas_f64 v[24:25], v[24:25], v[40:41], v[74:75]
	s_mov_b32 vcc_lo, s1
	s_mov_b32 s0, 0x11111111
	v_div_fmas_f64 v[26:27], v[26:27], v[42:43], v[76:77]
	s_mov_b32 vcc_lo, s2
	s_mov_b32 s1, 0x3fa11111
	;; [unrolled: 3-line block ×4, first 2 shown]
	v_div_fmas_f64 v[32:33], v[32:33], v[48:49], v[84:85]
	s_mov_b32 vcc_lo, s5
	v_div_fmas_f64 v[36:37], v[36:37], v[52:53], v[68:69]
	s_mov_b32 vcc_lo, s6
	v_div_fixup_f64 v[7:8], v[18:19], v[7:8], 1.0
	v_div_fmas_f64 v[38:39], v[38:39], v[54:55], v[56:57]
	v_div_fixup_f64 v[0:1], v[24:25], v[0:1], 1.0
	v_div_fixup_f64 v[2:3], v[26:27], v[2:3], 1.0
	;; [unrolled: 1-line block ×3, first 2 shown]
	v_add_f64 v[7:8], v[22:23], v[7:8]
	v_div_fixup_f64 v[34:35], v[38:39], v[34:35], 1.0
	v_fma_f64 v[36:37], v[16:17], s[2:3], s[0:1]
	s_mov_b32 s0, 0x55555555
	s_mov_b32 s1, 0x3fc55555
	v_add_f64 v[34:35], v[34:35], 1.0
	v_add_f64 v[0:1], v[7:8], v[0:1]
	v_fma_f64 v[36:37], -v[16:17], v[36:37], s[0:1]
	v_add_f64 v[0:1], v[0:1], v[2:3]
	v_div_fixup_f64 v[2:3], v[28:29], v[4:5], 1.0
	v_fma_f64 v[16:17], v[16:17], v[36:37], v[34:35]
	v_add_f64 v[0:1], v[0:1], v[2:3]
	v_div_fixup_f64 v[2:3], v[30:31], v[9:10], 1.0
	v_div_scale_f64 v[34:35], null, v[14:15], v[14:15], v[16:17]
	v_add_f64 v[0:1], v[0:1], v[2:3]
	v_div_fixup_f64 v[2:3], v[32:33], v[11:12], 1.0
	v_rcp_f64_e32 v[36:37], v[34:35]
	v_add_f64 v[0:1], v[0:1], v[2:3]
	v_fma_f64 v[38:39], -v[34:35], v[36:37], 1.0
	v_fma_f64 v[18:19], v[36:37], v[38:39], v[36:37]
	v_fma_f64 v[22:23], -v[34:35], v[18:19], 1.0
	v_fma_f64 v[7:8], v[18:19], v[22:23], v[18:19]
	v_div_scale_f64 v[18:19], vcc_lo, v[16:17], v[14:15], v[16:17]
	v_mul_f64 v[4:5], v[18:19], v[7:8]
	v_fma_f64 v[9:10], -v[34:35], v[4:5], v[18:19]
	v_div_fmas_f64 v[4:5], v[9:10], v[7:8], v[4:5]
	v_div_fixup_f64 v[2:3], v[4:5], v[14:15], v[16:17]
	v_add_f64 v[0:1], v[0:1], v[2:3]
	v_add_nc_u32_e32 v2, s7, v6
	v_ashrrev_i32_e32 v3, 31, v2
	v_add_co_u32 v4, vcc_lo, s8, v2
	v_add_co_ci_u32_e64 v5, null, s9, v3, vcc_lo
	v_mul_f64 v[0:1], v[20:21], v[0:1]
	s_cbranch_scc1 .LBB48_2074
; %bb.1954:
	s_and_b32 s1, 0xffff, s18
	s_mov_b32 s3, -1
	s_mov_b32 s2, 0
	s_cmp_gt_i32 s1, 25
	s_mov_b32 s0, 0
	s_cbranch_scc0 .LBB48_1987
; %bb.1955:
	s_cmp_gt_i32 s1, 28
	s_cbranch_scc0 .LBB48_1971
; %bb.1956:
	s_cmp_gt_i32 s1, 43
	;; [unrolled: 3-line block ×3, first 2 shown]
	s_cbranch_scc0 .LBB48_1961
; %bb.1958:
	s_cmp_eq_u32 s1, 46
	s_mov_b32 s0, -1
	s_cbranch_scc0 .LBB48_1960
; %bb.1959:
	v_cvt_f32_f64_e32 v2, v[0:1]
	s_mov_b32 s0, 0
	v_bfe_u32 v3, v2, 16, 1
	v_cmp_o_f32_e32 vcc_lo, v2, v2
	v_add3_u32 v2, v2, v3, 0x7fff
	v_mov_b32_e32 v3, 0x7fc0
	v_cndmask_b32_sdwa v2, v3, v2, vcc_lo dst_sel:DWORD dst_unused:UNUSED_PAD src0_sel:DWORD src1_sel:WORD_1
	global_store_dword v[4:5], v2, off
.LBB48_1960:
	s_mov_b32 s3, 0
.LBB48_1961:
	s_and_b32 vcc_lo, exec_lo, s3
	s_cbranch_vccz .LBB48_1966
; %bb.1962:
	s_cmp_eq_u32 s1, 44
	s_mov_b32 s0, -1
	s_cbranch_scc0 .LBB48_1966
; %bb.1963:
	v_cvt_f32_f64_e32 v2, v[0:1]
	v_mov_b32_e32 v3, 0xff
	s_mov_b32 s3, exec_lo
	v_bfe_u32 v6, v2, 23, 8
	v_cmpx_ne_u32_e32 0xff, v6
	s_cbranch_execz .LBB48_1965
; %bb.1964:
	v_and_b32_e32 v3, 0x400000, v2
	v_and_or_b32 v6, 0x3fffff, v2, v6
	v_lshrrev_b32_e32 v2, 23, v2
	v_cmp_ne_u32_e32 vcc_lo, 0, v3
	v_cmp_ne_u32_e64 s0, 0, v6
	s_and_b32 s0, vcc_lo, s0
	v_cndmask_b32_e64 v3, 0, 1, s0
	v_add_nc_u32_e32 v3, v2, v3
.LBB48_1965:
	s_or_b32 exec_lo, exec_lo, s3
	s_mov_b32 s0, 0
	global_store_byte v[4:5], v3, off
.LBB48_1966:
	s_mov_b32 s3, 0
.LBB48_1967:
	s_and_b32 vcc_lo, exec_lo, s3
	s_cbranch_vccz .LBB48_1970
; %bb.1968:
	s_cmp_eq_u32 s1, 29
	s_mov_b32 s0, -1
	s_cbranch_scc0 .LBB48_1970
; %bb.1969:
	v_trunc_f64_e32 v[2:3], v[0:1]
	s_mov_b32 s0, 0
	v_ldexp_f64 v[6:7], v[2:3], 0xffffffe0
	v_floor_f64_e32 v[6:7], v[6:7]
	v_fma_f64 v[2:3], 0xc1f00000, v[6:7], v[2:3]
	v_cvt_u32_f64_e32 v7, v[6:7]
	v_cvt_u32_f64_e32 v6, v[2:3]
	global_store_dwordx2 v[4:5], v[6:7], off
.LBB48_1970:
	s_mov_b32 s3, 0
.LBB48_1971:
	s_and_b32 vcc_lo, exec_lo, s3
	s_cbranch_vccz .LBB48_1986
; %bb.1972:
	s_cmp_lt_i32 s1, 27
	s_mov_b32 s3, -1
	s_cbranch_scc1 .LBB48_1978
; %bb.1973:
	v_cvt_u32_f64_e32 v2, v[0:1]
	s_cmp_gt_i32 s1, 27
	s_cbranch_scc0 .LBB48_1975
; %bb.1974:
	s_mov_b32 s3, 0
	global_store_dword v[4:5], v2, off
.LBB48_1975:
	s_andn2_b32 vcc_lo, exec_lo, s3
	s_cbranch_vccnz .LBB48_1977
; %bb.1976:
	global_store_short v[4:5], v2, off
.LBB48_1977:
	s_mov_b32 s3, 0
.LBB48_1978:
	s_andn2_b32 vcc_lo, exec_lo, s3
	s_cbranch_vccnz .LBB48_1986
; %bb.1979:
	v_cvt_f32_f64_e32 v2, v[0:1]
	v_mov_b32_e32 v6, 0x80
	s_mov_b32 s3, exec_lo
	v_and_b32_e32 v3, 0x7fffffff, v2
	v_cmpx_gt_u32_e32 0x43800000, v3
	s_cbranch_execz .LBB48_1985
; %bb.1980:
	v_cmp_lt_u32_e32 vcc_lo, 0x3bffffff, v3
	s_mov_b32 s4, 0
                                        ; implicit-def: $vgpr3
	s_and_saveexec_b32 s5, vcc_lo
	s_xor_b32 s5, exec_lo, s5
	s_cbranch_execz .LBB48_2091
; %bb.1981:
	v_bfe_u32 v3, v2, 20, 1
	s_mov_b32 s4, exec_lo
	v_add3_u32 v3, v2, v3, 0x487ffff
	v_lshrrev_b32_e32 v3, 20, v3
	s_andn2_saveexec_b32 s5, s5
	s_cbranch_execnz .LBB48_2092
.LBB48_1982:
	s_or_b32 exec_lo, exec_lo, s5
	v_mov_b32_e32 v6, 0
	s_and_saveexec_b32 s5, s4
.LBB48_1983:
	v_lshrrev_b32_e32 v2, 24, v2
	v_and_or_b32 v6, 0x80, v2, v3
.LBB48_1984:
	s_or_b32 exec_lo, exec_lo, s5
.LBB48_1985:
	s_or_b32 exec_lo, exec_lo, s3
	global_store_byte v[4:5], v6, off
.LBB48_1986:
	s_mov_b32 s3, 0
.LBB48_1987:
	s_and_b32 vcc_lo, exec_lo, s3
	s_cbranch_vccz .LBB48_2027
; %bb.1988:
	s_cmp_gt_i32 s1, 22
	s_mov_b32 s2, -1
	s_cbranch_scc0 .LBB48_2020
; %bb.1989:
	s_cmp_lt_i32 s1, 24
	s_cbranch_scc1 .LBB48_2009
; %bb.1990:
	s_cmp_gt_i32 s1, 24
	s_cbranch_scc0 .LBB48_1998
; %bb.1991:
	v_cvt_f32_f64_e32 v2, v[0:1]
	v_mov_b32_e32 v6, 0x80
	s_mov_b32 s2, exec_lo
	v_and_b32_e32 v3, 0x7fffffff, v2
	v_cmpx_gt_u32_e32 0x47800000, v3
	s_cbranch_execz .LBB48_1997
; %bb.1992:
	v_cmp_lt_u32_e32 vcc_lo, 0x37ffffff, v3
	s_mov_b32 s3, 0
                                        ; implicit-def: $vgpr3
	s_and_saveexec_b32 s4, vcc_lo
	s_xor_b32 s4, exec_lo, s4
	s_cbranch_execz .LBB48_2094
; %bb.1993:
	v_bfe_u32 v3, v2, 21, 1
	s_mov_b32 s3, exec_lo
	v_add3_u32 v3, v2, v3, 0x88fffff
	v_lshrrev_b32_e32 v3, 21, v3
	s_andn2_saveexec_b32 s4, s4
	s_cbranch_execnz .LBB48_2095
.LBB48_1994:
	s_or_b32 exec_lo, exec_lo, s4
	v_mov_b32_e32 v6, 0
	s_and_saveexec_b32 s4, s3
.LBB48_1995:
	v_lshrrev_b32_e32 v2, 24, v2
	v_and_or_b32 v6, 0x80, v2, v3
.LBB48_1996:
	s_or_b32 exec_lo, exec_lo, s4
.LBB48_1997:
	s_or_b32 exec_lo, exec_lo, s2
	s_mov_b32 s2, 0
	global_store_byte v[4:5], v6, off
.LBB48_1998:
	s_and_b32 vcc_lo, exec_lo, s2
	s_cbranch_vccz .LBB48_2008
; %bb.1999:
	v_cvt_f32_f64_e32 v2, v[0:1]
	s_mov_b32 s2, exec_lo
                                        ; implicit-def: $vgpr3
	v_and_b32_e32 v6, 0x7fffffff, v2
	v_cmpx_gt_u32_e32 0x43f00000, v6
	s_xor_b32 s2, exec_lo, s2
	s_cbranch_execz .LBB48_2005
; %bb.2000:
	s_mov_b32 s3, exec_lo
                                        ; implicit-def: $vgpr3
	v_cmpx_lt_u32_e32 0x3c7fffff, v6
	s_xor_b32 s3, exec_lo, s3
; %bb.2001:
	v_bfe_u32 v3, v2, 20, 1
	v_add3_u32 v3, v2, v3, 0x407ffff
	v_and_b32_e32 v6, 0xff00000, v3
	v_lshrrev_b32_e32 v3, 20, v3
	v_cmp_ne_u32_e32 vcc_lo, 0x7f00000, v6
	v_cndmask_b32_e32 v3, 0x7e, v3, vcc_lo
; %bb.2002:
	s_andn2_saveexec_b32 s3, s3
; %bb.2003:
	v_add_f32_e64 v3, 0x46800000, |v2|
; %bb.2004:
	s_or_b32 exec_lo, exec_lo, s3
                                        ; implicit-def: $vgpr6
.LBB48_2005:
	s_andn2_saveexec_b32 s2, s2
; %bb.2006:
	v_mov_b32_e32 v3, 0x7f
	v_cmp_lt_u32_e32 vcc_lo, 0x7f800000, v6
	v_cndmask_b32_e32 v3, 0x7e, v3, vcc_lo
; %bb.2007:
	s_or_b32 exec_lo, exec_lo, s2
	v_lshrrev_b32_e32 v2, 24, v2
	v_and_or_b32 v2, 0x80, v2, v3
	global_store_byte v[4:5], v2, off
.LBB48_2008:
	s_mov_b32 s2, 0
.LBB48_2009:
	s_andn2_b32 vcc_lo, exec_lo, s2
	s_cbranch_vccnz .LBB48_2019
; %bb.2010:
	v_cvt_f32_f64_e32 v2, v[0:1]
	s_mov_b32 s2, exec_lo
                                        ; implicit-def: $vgpr3
	v_and_b32_e32 v6, 0x7fffffff, v2
	v_cmpx_gt_u32_e32 0x47800000, v6
	s_xor_b32 s2, exec_lo, s2
	s_cbranch_execz .LBB48_2016
; %bb.2011:
	s_mov_b32 s3, exec_lo
                                        ; implicit-def: $vgpr3
	v_cmpx_lt_u32_e32 0x387fffff, v6
	s_xor_b32 s3, exec_lo, s3
; %bb.2012:
	v_bfe_u32 v3, v2, 21, 1
	v_add3_u32 v3, v2, v3, 0x80fffff
	v_lshrrev_b32_e32 v3, 21, v3
; %bb.2013:
	s_andn2_saveexec_b32 s3, s3
; %bb.2014:
	v_add_f32_e64 v3, 0x43000000, |v2|
; %bb.2015:
	s_or_b32 exec_lo, exec_lo, s3
                                        ; implicit-def: $vgpr6
.LBB48_2016:
	s_andn2_saveexec_b32 s2, s2
; %bb.2017:
	v_mov_b32_e32 v3, 0x7f
	v_cmp_lt_u32_e32 vcc_lo, 0x7f800000, v6
	v_cndmask_b32_e32 v3, 0x7c, v3, vcc_lo
; %bb.2018:
	s_or_b32 exec_lo, exec_lo, s2
	v_lshrrev_b32_e32 v2, 24, v2
	v_and_or_b32 v2, 0x80, v2, v3
	global_store_byte v[4:5], v2, off
.LBB48_2019:
	s_mov_b32 s2, 0
.LBB48_2020:
	s_andn2_b32 vcc_lo, exec_lo, s2
	s_mov_b32 s2, 0
	s_cbranch_vccnz .LBB48_2027
; %bb.2021:
	s_cmp_gt_i32 s1, 14
	s_mov_b32 s2, -1
	s_cbranch_scc0 .LBB48_2025
; %bb.2022:
	s_cmp_eq_u32 s1, 15
	s_mov_b32 s0, -1
	s_cbranch_scc0 .LBB48_2024
; %bb.2023:
	v_cvt_f32_f64_e32 v2, v[0:1]
	s_mov_b32 s0, 0
	v_bfe_u32 v3, v2, 16, 1
	v_cmp_o_f32_e32 vcc_lo, v2, v2
	v_add3_u32 v2, v2, v3, 0x7fff
	v_mov_b32_e32 v3, 0x7fc0
	v_cndmask_b32_sdwa v2, v3, v2, vcc_lo dst_sel:DWORD dst_unused:UNUSED_PAD src0_sel:DWORD src1_sel:WORD_1
	global_store_short v[4:5], v2, off
.LBB48_2024:
	s_mov_b32 s2, 0
.LBB48_2025:
	s_and_b32 vcc_lo, exec_lo, s2
	s_mov_b32 s2, 0
	s_cbranch_vccz .LBB48_2027
; %bb.2026:
	s_cmp_lg_u32 s1, 11
	s_mov_b32 s2, -1
	s_cselect_b32 s0, -1, 0
.LBB48_2027:
	s_and_b32 vcc_lo, exec_lo, s0
	s_cbranch_vccnz .LBB48_2093
.LBB48_2028:
	s_mov_b32 s0, 0
	s_branch .LBB48_2030
.LBB48_2029:
	s_mov_b32 s0, 0
	s_mov_b32 s2, 0
                                        ; implicit-def: $sgpr18
                                        ; implicit-def: $vgpr4_vgpr5
                                        ; implicit-def: $vgpr0_vgpr1
.LBB48_2030:
	s_andn2_b32 s1, s17, exec_lo
	s_and_b32 s3, s14, exec_lo
	s_and_b32 s0, s0, exec_lo
	;; [unrolled: 1-line block ×3, first 2 shown]
	s_or_b32 s17, s1, s3
.LBB48_2031:
	s_or_b32 exec_lo, exec_lo, s16
	s_and_saveexec_b32 s1, s17
	s_cbranch_execz .LBB48_2034
; %bb.2032:
	; divergent unreachable
	s_or_b32 exec_lo, exec_lo, s1
	s_and_saveexec_b32 s1, s14
	s_xor_b32 s1, exec_lo, s1
	s_cbranch_execnz .LBB48_2035
.LBB48_2033:
	s_or_b32 exec_lo, exec_lo, s1
	s_and_saveexec_b32 s1, s0
	s_cbranch_execnz .LBB48_2036
	s_branch .LBB48_2073
.LBB48_2034:
	s_or_b32 exec_lo, exec_lo, s1
	s_and_saveexec_b32 s1, s14
	s_xor_b32 s1, exec_lo, s1
	s_cbranch_execz .LBB48_2033
.LBB48_2035:
	s_waitcnt vmcnt(0)
	v_cmp_neq_f64_e32 vcc_lo, 0, v[0:1]
	v_cndmask_b32_e64 v2, 0, 1, vcc_lo
	global_store_byte v[4:5], v2, off
	s_or_b32 exec_lo, exec_lo, s1
	s_and_saveexec_b32 s1, s0
	s_cbranch_execz .LBB48_2073
.LBB48_2036:
	s_sext_i32_i16 s1, s18
	s_mov_b32 s0, -1
	s_cmp_lt_i32 s1, 5
	s_cbranch_scc1 .LBB48_2057
; %bb.2037:
	s_cmp_lt_i32 s1, 8
	s_cbranch_scc1 .LBB48_2047
; %bb.2038:
	;; [unrolled: 3-line block ×3, first 2 shown]
	s_cmp_gt_i32 s1, 9
	s_cbranch_scc0 .LBB48_2041
; %bb.2040:
	s_waitcnt vmcnt(0)
	v_mov_b32_e32 v2, 0
	s_mov_b32 s0, 0
	v_mov_b32_e32 v3, v2
	global_store_dwordx4 v[4:5], v[0:3], off
.LBB48_2041:
	s_andn2_b32 vcc_lo, exec_lo, s0
	s_cbranch_vccnz .LBB48_2043
; %bb.2042:
	s_waitcnt vmcnt(0)
	v_cvt_f32_f64_e32 v2, v[0:1]
	v_mov_b32_e32 v3, 0
	global_store_dwordx2 v[4:5], v[2:3], off
.LBB48_2043:
	s_mov_b32 s0, 0
.LBB48_2044:
	s_andn2_b32 vcc_lo, exec_lo, s0
	s_cbranch_vccnz .LBB48_2046
; %bb.2045:
	s_waitcnt vmcnt(0)
	v_and_or_b32 v2, 0x1ff, v1, v0
	v_lshrrev_b32_e32 v3, 8, v1
	v_bfe_u32 v6, v1, 20, 11
	v_cmp_ne_u32_e32 vcc_lo, 0, v2
	v_sub_nc_u32_e32 v7, 0x3f1, v6
	v_add_nc_u32_e32 v6, 0xfffffc10, v6
	v_cndmask_b32_e64 v2, 0, 1, vcc_lo
	v_and_or_b32 v2, 0xffe, v3, v2
	v_med3_i32 v3, v7, 0, 13
	v_or_b32_e32 v7, 0x1000, v2
	v_lshrrev_b32_e32 v8, v3, v7
	v_lshlrev_b32_e32 v3, v3, v8
	v_cmp_ne_u32_e32 vcc_lo, v3, v7
	v_lshl_or_b32 v7, v6, 12, v2
	v_cndmask_b32_e64 v3, 0, 1, vcc_lo
	v_cmp_gt_i32_e32 vcc_lo, 1, v6
	v_or_b32_e32 v3, v8, v3
	v_cndmask_b32_e32 v3, v7, v3, vcc_lo
	v_and_b32_e32 v7, 7, v3
	v_lshrrev_b32_e32 v3, 2, v3
	v_cmp_lt_i32_e32 vcc_lo, 5, v7
	v_cndmask_b32_e64 v8, 0, 1, vcc_lo
	v_cmp_eq_u32_e32 vcc_lo, 3, v7
	v_cndmask_b32_e64 v7, 0, 1, vcc_lo
	v_cmp_ne_u32_e32 vcc_lo, 0, v2
	v_or_b32_e32 v7, v7, v8
	v_mov_b32_e32 v8, 0x7e00
	v_add_nc_u32_e32 v3, v3, v7
	v_cndmask_b32_e32 v2, 0x7c00, v8, vcc_lo
	v_cmp_gt_i32_e32 vcc_lo, 31, v6
	v_cndmask_b32_e32 v3, 0x7c00, v3, vcc_lo
	v_cmp_eq_u32_e32 vcc_lo, 0x40f, v6
	v_cndmask_b32_e32 v2, v3, v2, vcc_lo
	v_lshrrev_b32_e32 v3, 16, v1
	v_and_or_b32 v2, 0x8000, v3, v2
	v_and_b32_e32 v2, 0xffff, v2
	global_store_dword v[4:5], v2, off
.LBB48_2046:
	s_mov_b32 s0, 0
.LBB48_2047:
	s_andn2_b32 vcc_lo, exec_lo, s0
	s_cbranch_vccnz .LBB48_2056
; %bb.2048:
	s_sext_i32_i16 s1, s18
	s_mov_b32 s0, -1
	s_cmp_lt_i32 s1, 6
	s_cbranch_scc1 .LBB48_2054
; %bb.2049:
	s_cmp_gt_i32 s1, 6
	s_cbranch_scc0 .LBB48_2051
; %bb.2050:
	s_mov_b32 s0, 0
	s_waitcnt vmcnt(0)
	global_store_dwordx2 v[4:5], v[0:1], off
.LBB48_2051:
	s_andn2_b32 vcc_lo, exec_lo, s0
	s_cbranch_vccnz .LBB48_2053
; %bb.2052:
	s_waitcnt vmcnt(0)
	v_cvt_f32_f64_e32 v2, v[0:1]
	global_store_dword v[4:5], v2, off
.LBB48_2053:
	s_mov_b32 s0, 0
.LBB48_2054:
	s_andn2_b32 vcc_lo, exec_lo, s0
	s_cbranch_vccnz .LBB48_2056
; %bb.2055:
	s_waitcnt vmcnt(0)
	v_and_or_b32 v2, 0x1ff, v1, v0
	v_lshrrev_b32_e32 v3, 8, v1
	v_bfe_u32 v6, v1, 20, 11
	v_cmp_ne_u32_e32 vcc_lo, 0, v2
	v_sub_nc_u32_e32 v7, 0x3f1, v6
	v_add_nc_u32_e32 v6, 0xfffffc10, v6
	v_cndmask_b32_e64 v2, 0, 1, vcc_lo
	v_and_or_b32 v2, 0xffe, v3, v2
	v_med3_i32 v3, v7, 0, 13
	v_or_b32_e32 v7, 0x1000, v2
	v_lshrrev_b32_e32 v8, v3, v7
	v_lshlrev_b32_e32 v3, v3, v8
	v_cmp_ne_u32_e32 vcc_lo, v3, v7
	v_lshl_or_b32 v7, v6, 12, v2
	v_cndmask_b32_e64 v3, 0, 1, vcc_lo
	v_cmp_gt_i32_e32 vcc_lo, 1, v6
	v_or_b32_e32 v3, v8, v3
	v_cndmask_b32_e32 v3, v7, v3, vcc_lo
	v_and_b32_e32 v7, 7, v3
	v_lshrrev_b32_e32 v3, 2, v3
	v_cmp_lt_i32_e32 vcc_lo, 5, v7
	v_cndmask_b32_e64 v8, 0, 1, vcc_lo
	v_cmp_eq_u32_e32 vcc_lo, 3, v7
	v_cndmask_b32_e64 v7, 0, 1, vcc_lo
	v_cmp_ne_u32_e32 vcc_lo, 0, v2
	v_or_b32_e32 v7, v7, v8
	v_mov_b32_e32 v8, 0x7e00
	v_add_nc_u32_e32 v3, v3, v7
	v_cndmask_b32_e32 v2, 0x7c00, v8, vcc_lo
	v_cmp_gt_i32_e32 vcc_lo, 31, v6
	v_cndmask_b32_e32 v3, 0x7c00, v3, vcc_lo
	v_cmp_eq_u32_e32 vcc_lo, 0x40f, v6
	v_cndmask_b32_e32 v2, v3, v2, vcc_lo
	v_lshrrev_b32_e32 v3, 16, v1
	v_and_or_b32 v2, 0x8000, v3, v2
	global_store_short v[4:5], v2, off
.LBB48_2056:
	s_mov_b32 s0, 0
.LBB48_2057:
	s_andn2_b32 vcc_lo, exec_lo, s0
	s_cbranch_vccnz .LBB48_2073
; %bb.2058:
	s_sext_i32_i16 s1, s18
	s_mov_b32 s0, -1
	s_cmp_lt_i32 s1, 2
	s_cbranch_scc1 .LBB48_2068
; %bb.2059:
	s_cmp_lt_i32 s1, 3
	s_cbranch_scc1 .LBB48_2065
; %bb.2060:
	s_cmp_gt_i32 s1, 3
	s_cbranch_scc0 .LBB48_2062
; %bb.2061:
	s_waitcnt vmcnt(0)
	v_trunc_f64_e32 v[2:3], v[0:1]
	s_mov_b32 s0, 0
	v_ldexp_f64 v[6:7], v[2:3], 0xffffffe0
	v_floor_f64_e32 v[6:7], v[6:7]
	v_fma_f64 v[2:3], 0xc1f00000, v[6:7], v[2:3]
	v_cvt_i32_f64_e32 v7, v[6:7]
	v_cvt_u32_f64_e32 v6, v[2:3]
	global_store_dwordx2 v[4:5], v[6:7], off
.LBB48_2062:
	s_andn2_b32 vcc_lo, exec_lo, s0
	s_cbranch_vccnz .LBB48_2064
; %bb.2063:
	s_waitcnt vmcnt(0)
	v_cvt_i32_f64_e32 v2, v[0:1]
	global_store_dword v[4:5], v2, off
.LBB48_2064:
	s_mov_b32 s0, 0
.LBB48_2065:
	s_andn2_b32 vcc_lo, exec_lo, s0
	s_cbranch_vccnz .LBB48_2067
; %bb.2066:
	s_waitcnt vmcnt(0)
	v_cvt_i32_f64_e32 v2, v[0:1]
	global_store_short v[4:5], v2, off
.LBB48_2067:
	s_mov_b32 s0, 0
.LBB48_2068:
	s_andn2_b32 vcc_lo, exec_lo, s0
	s_cbranch_vccnz .LBB48_2073
; %bb.2069:
	s_sext_i32_i16 s0, s18
	s_cmp_gt_i32 s0, 0
	s_mov_b32 s0, -1
	s_cbranch_scc0 .LBB48_2071
; %bb.2070:
	s_waitcnt vmcnt(0)
	v_cvt_i32_f64_e32 v2, v[0:1]
	s_mov_b32 s0, 0
	global_store_byte v[4:5], v2, off
.LBB48_2071:
	s_andn2_b32 vcc_lo, exec_lo, s0
	s_cbranch_vccnz .LBB48_2073
; %bb.2072:
	s_waitcnt vmcnt(0)
	v_trunc_f64_e32 v[0:1], v[0:1]
	v_ldexp_f64 v[2:3], v[0:1], 0xffffffe0
	v_floor_f64_e32 v[2:3], v[2:3]
	v_fma_f64 v[0:1], 0xc1f00000, v[2:3], v[0:1]
	v_cvt_u32_f64_e32 v0, v[0:1]
	global_store_byte v[4:5], v0, off
	s_endpgm
.LBB48_2073:
	s_endpgm
.LBB48_2074:
	s_mov_b32 s2, 0
	s_mov_b32 s0, -1
	s_branch .LBB48_2030
.LBB48_2075:
	s_or_b32 s14, s14, exec_lo
	s_trap 2
	s_cbranch_execz .LBB48_1538
	s_branch .LBB48_1539
.LBB48_2076:
	s_andn2_saveexec_b32 s5, s5
	s_cbranch_execz .LBB48_1624
.LBB48_2077:
	v_add_f32_e64 v3, 0x46000000, |v2|
	s_andn2_b32 s4, s4, exec_lo
	v_and_b32_e32 v3, 0xff, v3
	v_cmp_ne_u32_e32 vcc_lo, 0, v3
	s_and_b32 s6, vcc_lo, exec_lo
	s_or_b32 s4, s4, s6
	s_or_b32 exec_lo, exec_lo, s5
	v_mov_b32_e32 v25, 0
	s_and_saveexec_b32 s5, s4
	s_cbranch_execnz .LBB48_1625
	s_branch .LBB48_1626
.LBB48_2078:
	s_or_b32 s14, s14, exec_lo
	s_trap 2
	s_cbranch_execz .LBB48_1672
	s_branch .LBB48_1673
.LBB48_2079:
	s_andn2_saveexec_b32 s4, s4
	s_cbranch_execz .LBB48_1637
.LBB48_2080:
	v_add_f32_e64 v3, 0x42800000, |v2|
	s_andn2_b32 s3, s3, exec_lo
	v_and_b32_e32 v3, 0xff, v3
	v_cmp_ne_u32_e32 vcc_lo, 0, v3
	s_and_b32 s5, vcc_lo, exec_lo
	s_or_b32 s3, s3, s5
	s_or_b32 exec_lo, exec_lo, s4
	v_mov_b32_e32 v25, 0
	s_and_saveexec_b32 s4, s3
	s_cbranch_execnz .LBB48_1638
	s_branch .LBB48_1639
.LBB48_2081:
	s_andn2_saveexec_b32 s5, s5
	s_cbranch_execz .LBB48_1743
.LBB48_2082:
	v_add_f32_e64 v3, 0x46000000, |v2|
	s_andn2_b32 s4, s4, exec_lo
	v_and_b32_e32 v3, 0xff, v3
	v_cmp_ne_u32_e32 vcc_lo, 0, v3
	s_and_b32 s6, vcc_lo, exec_lo
	s_or_b32 s4, s4, s6
	s_or_b32 exec_lo, exec_lo, s5
	v_mov_b32_e32 v11, 0
	s_and_saveexec_b32 s5, s4
	s_cbranch_execnz .LBB48_1744
	s_branch .LBB48_1745
.LBB48_2083:
	s_or_b32 s14, s14, exec_lo
	s_trap 2
	s_cbranch_execz .LBB48_1791
	s_branch .LBB48_1792
.LBB48_2084:
	s_andn2_saveexec_b32 s4, s4
	s_cbranch_execz .LBB48_1756
.LBB48_2085:
	v_add_f32_e64 v3, 0x42800000, |v2|
	s_andn2_b32 s3, s3, exec_lo
	v_and_b32_e32 v3, 0xff, v3
	v_cmp_ne_u32_e32 vcc_lo, 0, v3
	s_and_b32 s5, vcc_lo, exec_lo
	s_or_b32 s3, s3, s5
	s_or_b32 exec_lo, exec_lo, s4
	v_mov_b32_e32 v11, 0
	s_and_saveexec_b32 s4, s3
	s_cbranch_execnz .LBB48_1757
	s_branch .LBB48_1758
.LBB48_2086:
	s_andn2_saveexec_b32 s5, s5
	s_cbranch_execz .LBB48_1862
.LBB48_2087:
	v_add_f32_e64 v3, 0x46000000, |v2|
	s_andn2_b32 s4, s4, exec_lo
	v_and_b32_e32 v3, 0xff, v3
	v_cmp_ne_u32_e32 vcc_lo, 0, v3
	s_and_b32 s6, vcc_lo, exec_lo
	s_or_b32 s4, s4, s6
	s_or_b32 exec_lo, exec_lo, s5
	v_mov_b32_e32 v7, 0
	s_and_saveexec_b32 s5, s4
	s_cbranch_execnz .LBB48_1863
	s_branch .LBB48_1864
.LBB48_2088:
	s_or_b32 s14, s14, exec_lo
	s_trap 2
	s_cbranch_execz .LBB48_1910
	s_branch .LBB48_1911
.LBB48_2089:
	s_andn2_saveexec_b32 s4, s4
	s_cbranch_execz .LBB48_1875
.LBB48_2090:
	v_add_f32_e64 v3, 0x42800000, |v2|
	s_andn2_b32 s3, s3, exec_lo
	v_and_b32_e32 v3, 0xff, v3
	v_cmp_ne_u32_e32 vcc_lo, 0, v3
	s_and_b32 s5, vcc_lo, exec_lo
	s_or_b32 s3, s3, s5
	s_or_b32 exec_lo, exec_lo, s4
	v_mov_b32_e32 v7, 0
	s_and_saveexec_b32 s4, s3
	s_cbranch_execnz .LBB48_1876
	s_branch .LBB48_1877
.LBB48_2091:
	s_andn2_saveexec_b32 s5, s5
	s_cbranch_execz .LBB48_1982
.LBB48_2092:
	v_add_f32_e64 v3, 0x46000000, |v2|
	s_andn2_b32 s4, s4, exec_lo
	v_and_b32_e32 v3, 0xff, v3
	v_cmp_ne_u32_e32 vcc_lo, 0, v3
	s_and_b32 s6, vcc_lo, exec_lo
	s_or_b32 s4, s4, s6
	s_or_b32 exec_lo, exec_lo, s5
	v_mov_b32_e32 v6, 0
	s_and_saveexec_b32 s5, s4
	s_cbranch_execnz .LBB48_1983
	s_branch .LBB48_1984
.LBB48_2093:
	s_mov_b32 s2, 0
	s_or_b32 s14, s14, exec_lo
	s_trap 2
	s_branch .LBB48_2028
.LBB48_2094:
	s_andn2_saveexec_b32 s4, s4
	s_cbranch_execz .LBB48_1994
.LBB48_2095:
	v_add_f32_e64 v3, 0x42800000, |v2|
	s_andn2_b32 s3, s3, exec_lo
	v_and_b32_e32 v3, 0xff, v3
	v_cmp_ne_u32_e32 vcc_lo, 0, v3
	s_and_b32 s5, vcc_lo, exec_lo
	s_or_b32 s3, s3, s5
	s_or_b32 exec_lo, exec_lo, s4
	v_mov_b32_e32 v6, 0
	s_and_saveexec_b32 s4, s3
	s_cbranch_execnz .LBB48_1995
	s_branch .LBB48_1996
	.section	.rodata,"a",@progbits
	.p2align	6, 0x0
	.amdhsa_kernel _ZN2at6native32elementwise_kernel_manual_unrollILi128ELi4EZNS0_15gpu_kernel_implIZZZNS0_20trigamma_kernel_cudaERNS_18TensorIteratorBaseEENKUlvE_clEvENKUlvE_clEvEUldE_EEvS4_RKT_EUlibE_EEviT1_
		.amdhsa_group_segment_fixed_size 0
		.amdhsa_private_segment_fixed_size 0
		.amdhsa_kernarg_size 40
		.amdhsa_user_sgpr_count 6
		.amdhsa_user_sgpr_private_segment_buffer 1
		.amdhsa_user_sgpr_dispatch_ptr 0
		.amdhsa_user_sgpr_queue_ptr 0
		.amdhsa_user_sgpr_kernarg_segment_ptr 1
		.amdhsa_user_sgpr_dispatch_id 0
		.amdhsa_user_sgpr_flat_scratch_init 0
		.amdhsa_user_sgpr_private_segment_size 0
		.amdhsa_wavefront_size32 1
		.amdhsa_uses_dynamic_stack 0
		.amdhsa_system_sgpr_private_segment_wavefront_offset 0
		.amdhsa_system_sgpr_workgroup_id_x 1
		.amdhsa_system_sgpr_workgroup_id_y 0
		.amdhsa_system_sgpr_workgroup_id_z 0
		.amdhsa_system_sgpr_workgroup_info 0
		.amdhsa_system_vgpr_workitem_id 0
		.amdhsa_next_free_vgpr 103
		.amdhsa_next_free_sgpr 28
		.amdhsa_reserve_vcc 1
		.amdhsa_reserve_flat_scratch 0
		.amdhsa_float_round_mode_32 0
		.amdhsa_float_round_mode_16_64 0
		.amdhsa_float_denorm_mode_32 3
		.amdhsa_float_denorm_mode_16_64 3
		.amdhsa_dx10_clamp 1
		.amdhsa_ieee_mode 1
		.amdhsa_fp16_overflow 0
		.amdhsa_workgroup_processor_mode 1
		.amdhsa_memory_ordered 1
		.amdhsa_forward_progress 1
		.amdhsa_shared_vgpr_count 0
		.amdhsa_exception_fp_ieee_invalid_op 0
		.amdhsa_exception_fp_denorm_src 0
		.amdhsa_exception_fp_ieee_div_zero 0
		.amdhsa_exception_fp_ieee_overflow 0
		.amdhsa_exception_fp_ieee_underflow 0
		.amdhsa_exception_fp_ieee_inexact 0
		.amdhsa_exception_int_div_zero 0
	.end_amdhsa_kernel
	.section	.text._ZN2at6native32elementwise_kernel_manual_unrollILi128ELi4EZNS0_15gpu_kernel_implIZZZNS0_20trigamma_kernel_cudaERNS_18TensorIteratorBaseEENKUlvE_clEvENKUlvE_clEvEUldE_EEvS4_RKT_EUlibE_EEviT1_,"axG",@progbits,_ZN2at6native32elementwise_kernel_manual_unrollILi128ELi4EZNS0_15gpu_kernel_implIZZZNS0_20trigamma_kernel_cudaERNS_18TensorIteratorBaseEENKUlvE_clEvENKUlvE_clEvEUldE_EEvS4_RKT_EUlibE_EEviT1_,comdat
.Lfunc_end48:
	.size	_ZN2at6native32elementwise_kernel_manual_unrollILi128ELi4EZNS0_15gpu_kernel_implIZZZNS0_20trigamma_kernel_cudaERNS_18TensorIteratorBaseEENKUlvE_clEvENKUlvE_clEvEUldE_EEvS4_RKT_EUlibE_EEviT1_, .Lfunc_end48-_ZN2at6native32elementwise_kernel_manual_unrollILi128ELi4EZNS0_15gpu_kernel_implIZZZNS0_20trigamma_kernel_cudaERNS_18TensorIteratorBaseEENKUlvE_clEvENKUlvE_clEvEUldE_EEvS4_RKT_EUlibE_EEviT1_
                                        ; -- End function
	.set _ZN2at6native32elementwise_kernel_manual_unrollILi128ELi4EZNS0_15gpu_kernel_implIZZZNS0_20trigamma_kernel_cudaERNS_18TensorIteratorBaseEENKUlvE_clEvENKUlvE_clEvEUldE_EEvS4_RKT_EUlibE_EEviT1_.num_vgpr, 103
	.set _ZN2at6native32elementwise_kernel_manual_unrollILi128ELi4EZNS0_15gpu_kernel_implIZZZNS0_20trigamma_kernel_cudaERNS_18TensorIteratorBaseEENKUlvE_clEvENKUlvE_clEvEUldE_EEvS4_RKT_EUlibE_EEviT1_.num_agpr, 0
	.set _ZN2at6native32elementwise_kernel_manual_unrollILi128ELi4EZNS0_15gpu_kernel_implIZZZNS0_20trigamma_kernel_cudaERNS_18TensorIteratorBaseEENKUlvE_clEvENKUlvE_clEvEUldE_EEvS4_RKT_EUlibE_EEviT1_.numbered_sgpr, 28
	.set _ZN2at6native32elementwise_kernel_manual_unrollILi128ELi4EZNS0_15gpu_kernel_implIZZZNS0_20trigamma_kernel_cudaERNS_18TensorIteratorBaseEENKUlvE_clEvENKUlvE_clEvEUldE_EEvS4_RKT_EUlibE_EEviT1_.num_named_barrier, 0
	.set _ZN2at6native32elementwise_kernel_manual_unrollILi128ELi4EZNS0_15gpu_kernel_implIZZZNS0_20trigamma_kernel_cudaERNS_18TensorIteratorBaseEENKUlvE_clEvENKUlvE_clEvEUldE_EEvS4_RKT_EUlibE_EEviT1_.private_seg_size, 0
	.set _ZN2at6native32elementwise_kernel_manual_unrollILi128ELi4EZNS0_15gpu_kernel_implIZZZNS0_20trigamma_kernel_cudaERNS_18TensorIteratorBaseEENKUlvE_clEvENKUlvE_clEvEUldE_EEvS4_RKT_EUlibE_EEviT1_.uses_vcc, 1
	.set _ZN2at6native32elementwise_kernel_manual_unrollILi128ELi4EZNS0_15gpu_kernel_implIZZZNS0_20trigamma_kernel_cudaERNS_18TensorIteratorBaseEENKUlvE_clEvENKUlvE_clEvEUldE_EEvS4_RKT_EUlibE_EEviT1_.uses_flat_scratch, 0
	.set _ZN2at6native32elementwise_kernel_manual_unrollILi128ELi4EZNS0_15gpu_kernel_implIZZZNS0_20trigamma_kernel_cudaERNS_18TensorIteratorBaseEENKUlvE_clEvENKUlvE_clEvEUldE_EEvS4_RKT_EUlibE_EEviT1_.has_dyn_sized_stack, 0
	.set _ZN2at6native32elementwise_kernel_manual_unrollILi128ELi4EZNS0_15gpu_kernel_implIZZZNS0_20trigamma_kernel_cudaERNS_18TensorIteratorBaseEENKUlvE_clEvENKUlvE_clEvEUldE_EEvS4_RKT_EUlibE_EEviT1_.has_recursion, 0
	.set _ZN2at6native32elementwise_kernel_manual_unrollILi128ELi4EZNS0_15gpu_kernel_implIZZZNS0_20trigamma_kernel_cudaERNS_18TensorIteratorBaseEENKUlvE_clEvENKUlvE_clEvEUldE_EEvS4_RKT_EUlibE_EEviT1_.has_indirect_call, 0
	.section	.AMDGPU.csdata,"",@progbits
; Kernel info:
; codeLenInByte = 54576
; TotalNumSgprs: 30
; NumVgprs: 103
; ScratchSize: 0
; MemoryBound: 1
; FloatMode: 240
; IeeeMode: 1
; LDSByteSize: 0 bytes/workgroup (compile time only)
; SGPRBlocks: 0
; VGPRBlocks: 12
; NumSGPRsForWavesPerEU: 30
; NumVGPRsForWavesPerEU: 103
; Occupancy: 9
; WaveLimiterHint : 0
; COMPUTE_PGM_RSRC2:SCRATCH_EN: 0
; COMPUTE_PGM_RSRC2:USER_SGPR: 6
; COMPUTE_PGM_RSRC2:TRAP_HANDLER: 0
; COMPUTE_PGM_RSRC2:TGID_X_EN: 1
; COMPUTE_PGM_RSRC2:TGID_Y_EN: 0
; COMPUTE_PGM_RSRC2:TGID_Z_EN: 0
; COMPUTE_PGM_RSRC2:TIDIG_COMP_CNT: 0
	.section	.text._ZN2at6native32elementwise_kernel_manual_unrollILi128ELi4EZNS0_15gpu_kernel_implIZZZNS0_20trigamma_kernel_cudaERNS_18TensorIteratorBaseEENKUlvE_clEvENKUlvE_clEvEUldE_EEvS4_RKT_EUlibE0_EEviT1_,"axG",@progbits,_ZN2at6native32elementwise_kernel_manual_unrollILi128ELi4EZNS0_15gpu_kernel_implIZZZNS0_20trigamma_kernel_cudaERNS_18TensorIteratorBaseEENKUlvE_clEvENKUlvE_clEvEUldE_EEvS4_RKT_EUlibE0_EEviT1_,comdat
	.globl	_ZN2at6native32elementwise_kernel_manual_unrollILi128ELi4EZNS0_15gpu_kernel_implIZZZNS0_20trigamma_kernel_cudaERNS_18TensorIteratorBaseEENKUlvE_clEvENKUlvE_clEvEUldE_EEvS4_RKT_EUlibE0_EEviT1_ ; -- Begin function _ZN2at6native32elementwise_kernel_manual_unrollILi128ELi4EZNS0_15gpu_kernel_implIZZZNS0_20trigamma_kernel_cudaERNS_18TensorIteratorBaseEENKUlvE_clEvENKUlvE_clEvEUldE_EEvS4_RKT_EUlibE0_EEviT1_
	.p2align	8
	.type	_ZN2at6native32elementwise_kernel_manual_unrollILi128ELi4EZNS0_15gpu_kernel_implIZZZNS0_20trigamma_kernel_cudaERNS_18TensorIteratorBaseEENKUlvE_clEvENKUlvE_clEvEUldE_EEvS4_RKT_EUlibE0_EEviT1_,@function
_ZN2at6native32elementwise_kernel_manual_unrollILi128ELi4EZNS0_15gpu_kernel_implIZZZNS0_20trigamma_kernel_cudaERNS_18TensorIteratorBaseEENKUlvE_clEvENKUlvE_clEvEUldE_EEvS4_RKT_EUlibE0_EEviT1_: ; @_ZN2at6native32elementwise_kernel_manual_unrollILi128ELi4EZNS0_15gpu_kernel_implIZZZNS0_20trigamma_kernel_cudaERNS_18TensorIteratorBaseEENKUlvE_clEvENKUlvE_clEvEUldE_EEvS4_RKT_EUlibE0_EEviT1_
; %bb.0:
	s_clause 0x1
	s_load_dword s9, s[4:5], 0x8
	s_load_dword s36, s[4:5], 0x0
	v_lshl_or_b32 v12, s6, 9, v0
	s_add_u32 s10, s4, 8
	s_addc_u32 s11, s5, 0
	s_mov_b32 s1, -1
	s_mov_b32 s29, 0
	v_or_b32_e32 v15, 0x180, v12
	s_mov_b32 s7, 0
	s_mov_b32 s0, exec_lo
	s_waitcnt lgkmcnt(0)
	s_add_i32 s28, s9, -1
	s_cmp_gt_u32 s28, 1
	s_cselect_b32 s30, -1, 0
	v_cmpx_le_i32_e64 s36, v15
	s_xor_b32 s31, exec_lo, s0
	s_cbranch_execz .LBB49_1113
; %bb.1:
	v_mov_b32_e32 v0, 0
	s_clause 0x3
	s_load_dwordx4 s[20:23], s[10:11], 0x4
	s_load_dwordx2 s[24:25], s[10:11], 0x14
	s_load_dwordx4 s[16:19], s[10:11], 0xc4
	s_load_dwordx4 s[12:15], s[10:11], 0x148
	s_cmp_lg_u32 s9, 0
	s_mov_b32 s42, 0
	s_cselect_b32 s37, -1, 0
	global_load_ushort v0, v0, s[10:11] offset:345
	s_add_u32 s26, s10, 0xc4
	s_addc_u32 s27, s11, 0
	s_min_u32 s38, s28, 15
	s_cmp_gt_u32 s9, 1
	s_mov_b32 s40, 0
	s_cselect_b32 s35, -1, 0
	s_mov_b32 s39, 0
	s_mov_b32 s41, exec_lo
	s_waitcnt vmcnt(0)
	v_readfirstlane_b32 s33, v0
	s_and_b32 s0, 0xffff, s33
	s_lshr_b32 s34, s0, 8
	v_cmpx_gt_i32_e64 s36, v12
	s_cbranch_execz .LBB49_272
; %bb.2:
	s_andn2_b32 vcc_lo, exec_lo, s30
	s_cbranch_vccnz .LBB49_7
; %bb.3:
	s_andn2_b32 vcc_lo, exec_lo, s37
	s_cbranch_vccnz .LBB49_8
; %bb.4:
	s_add_i32 s7, s38, 1
	s_cmp_eq_u32 s28, 2
	s_cbranch_scc1 .LBB49_9
; %bb.5:
	v_mov_b32_e32 v0, 0
	v_mov_b32_e32 v2, 0
	;; [unrolled: 1-line block ×3, first 2 shown]
	s_and_b32 s6, s7, 28
	s_mov_b32 s8, 0
	s_mov_b64 s[0:1], s[10:11]
	s_mov_b64 s[2:3], s[26:27]
.LBB49_6:                               ; =>This Inner Loop Header: Depth=1
	s_clause 0x1
	s_load_dwordx8 s[44:51], s[0:1], 0x4
	s_load_dwordx4 s[60:63], s[0:1], 0x24
	s_load_dwordx8 s[52:59], s[2:3], 0x0
	s_add_u32 s0, s0, 48
	s_addc_u32 s1, s1, 0
	s_add_i32 s8, s8, 4
	s_add_u32 s2, s2, 32
	s_addc_u32 s3, s3, 0
	s_cmp_lg_u32 s6, s8
	s_waitcnt lgkmcnt(0)
	v_mul_hi_u32 v3, s45, v1
	v_add_nc_u32_e32 v3, v1, v3
	v_lshrrev_b32_e32 v3, s46, v3
	v_mul_hi_u32 v4, s48, v3
	v_mul_lo_u32 v6, v3, s44
	v_add_nc_u32_e32 v4, v3, v4
	v_sub_nc_u32_e32 v1, v1, v6
	v_lshrrev_b32_e32 v4, s49, v4
	v_mul_lo_u32 v6, v1, s52
	v_mul_lo_u32 v8, v1, s53
	v_mul_hi_u32 v5, s51, v4
	v_add_nc_u32_e32 v5, v4, v5
	v_lshrrev_b32_e32 v5, s60, v5
	v_mul_hi_u32 v7, s62, v5
	v_mul_lo_u32 v9, v5, s50
	v_add_nc_u32_e32 v1, v5, v7
	v_mul_lo_u32 v7, v4, s47
	v_sub_nc_u32_e32 v4, v4, v9
	v_lshrrev_b32_e32 v1, s63, v1
	v_mul_lo_u32 v9, v4, s56
	v_mul_lo_u32 v4, v4, s57
	v_sub_nc_u32_e32 v3, v3, v7
	v_mul_lo_u32 v10, v1, s61
	v_mul_lo_u32 v7, v3, s54
	;; [unrolled: 1-line block ×3, first 2 shown]
	v_sub_nc_u32_e32 v5, v5, v10
	v_add3_u32 v2, v6, v2, v7
	v_mul_lo_u32 v10, v5, s58
	v_mul_lo_u32 v5, v5, s59
	v_add3_u32 v0, v8, v0, v3
	v_add3_u32 v2, v9, v2, v10
	;; [unrolled: 1-line block ×3, first 2 shown]
	s_cbranch_scc1 .LBB49_6
	s_branch .LBB49_10
.LBB49_7:
                                        ; implicit-def: $vgpr2
                                        ; implicit-def: $vgpr0
	s_branch .LBB49_14
.LBB49_8:
	v_mov_b32_e32 v2, 0
	v_mov_b32_e32 v0, 0
	s_branch .LBB49_13
.LBB49_9:
	v_mov_b32_e32 v2, 0
	v_mov_b32_e32 v0, 0
	;; [unrolled: 1-line block ×3, first 2 shown]
	s_mov_b32 s6, 0
.LBB49_10:
	s_and_b32 s7, s7, 3
	s_cmp_eq_u32 s7, 0
	s_cbranch_scc1 .LBB49_13
; %bb.11:
	s_lshl_b32 s0, s6, 3
	s_mul_i32 s2, s6, 12
	s_add_u32 s0, s10, s0
	s_addc_u32 s1, s11, 0
	s_add_u32 s0, s0, 0xc4
	s_addc_u32 s1, s1, 0
	;; [unrolled: 2-line block ×3, first 2 shown]
	.p2align	6
.LBB49_12:                              ; =>This Inner Loop Header: Depth=1
	s_clause 0x1
	s_load_dwordx2 s[44:45], s[2:3], 0x4
	s_load_dword s6, s[2:3], 0xc
	s_load_dwordx2 s[46:47], s[0:1], 0x0
	s_add_u32 s2, s2, 12
	s_addc_u32 s3, s3, 0
	s_add_u32 s0, s0, 8
	s_addc_u32 s1, s1, 0
	s_add_i32 s7, s7, -1
	s_cmp_lg_u32 s7, 0
	s_waitcnt lgkmcnt(0)
	v_mul_hi_u32 v3, s45, v1
	v_add_nc_u32_e32 v3, v1, v3
	v_lshrrev_b32_e32 v4, s6, v3
	v_mul_lo_u32 v3, v4, s44
	v_sub_nc_u32_e32 v1, v1, v3
	v_mad_u64_u32 v[2:3], null, v1, s46, v[2:3]
	v_mad_u64_u32 v[0:1], null, v1, s47, v[0:1]
	v_mov_b32_e32 v1, v4
	s_cbranch_scc1 .LBB49_12
.LBB49_13:
	s_cbranch_execnz .LBB49_16
.LBB49_14:
	s_waitcnt lgkmcnt(0)
	v_mul_hi_u32 v0, s21, v12
	s_andn2_b32 vcc_lo, exec_lo, s35
	v_add_nc_u32_e32 v0, v12, v0
	v_lshrrev_b32_e32 v1, s22, v0
	v_mul_lo_u32 v0, v1, s20
	v_sub_nc_u32_e32 v0, v12, v0
	v_mul_lo_u32 v2, v0, s16
	v_mul_lo_u32 v0, v0, s17
	s_cbranch_vccnz .LBB49_16
; %bb.15:
	v_mul_hi_u32 v3, s24, v1
	v_add_nc_u32_e32 v3, v1, v3
	v_lshrrev_b32_e32 v3, s25, v3
	v_mul_lo_u32 v3, v3, s23
	v_sub_nc_u32_e32 v1, v1, v3
	v_mad_u64_u32 v[2:3], null, v1, s18, v[2:3]
	v_mad_u64_u32 v[0:1], null, v1, s19, v[0:1]
.LBB49_16:
	s_waitcnt lgkmcnt(0)
	v_add_co_u32 v3, s0, s14, v0
	v_add_co_ci_u32_e64 v4, null, s15, 0, s0
	s_and_b32 s0, 0xffff, s34
	s_cmp_lt_i32 s0, 11
	s_cbranch_scc1 .LBB49_23
; %bb.17:
	s_cmp_gt_i32 s0, 25
	s_cbranch_scc0 .LBB49_38
; %bb.18:
	s_cmp_gt_i32 s0, 28
	s_cbranch_scc0 .LBB49_41
; %bb.19:
	s_cmp_gt_i32 s0, 43
	s_cbranch_scc0 .LBB49_43
; %bb.20:
	s_cmp_gt_i32 s0, 45
	s_cbranch_scc0 .LBB49_45
; %bb.21:
	s_cmp_eq_u32 s0, 46
	s_mov_b32 s2, 0
	s_cbranch_scc0 .LBB49_47
; %bb.22:
	global_load_dword v0, v[3:4], off
	s_mov_b32 s1, -1
	s_mov_b32 s40, 0
	s_waitcnt vmcnt(0)
	v_lshlrev_b32_e32 v0, 16, v0
	v_cvt_f64_f32_e32 v[0:1], v0
	s_branch .LBB49_49
.LBB49_23:
	s_mov_b32 s40, 0
	s_mov_b32 s1, 0
                                        ; implicit-def: $vgpr0_vgpr1
	s_cbranch_execnz .LBB49_222
.LBB49_24:
	s_andn2_b32 vcc_lo, exec_lo, s1
	s_cbranch_vccnz .LBB49_269
.LBB49_25:
	v_mov_b32_e32 v5, 0
	v_mov_b32_e32 v3, 0
	;; [unrolled: 1-line block ×4, first 2 shown]
	s_mov_b32 s2, exec_lo
	s_waitcnt vmcnt(0)
	v_cmpx_gt_f64_e32 0.5, v[0:1]
	s_cbranch_execz .LBB49_31
; %bb.26:
	s_mov_b32 s1, 0x400921fb
	s_mov_b32 s0, 0x54442d18
	s_mov_b32 s3, exec_lo
	v_mul_f64 v[3:4], v[0:1], s[0:1]
                                        ; implicit-def: $vgpr9
                                        ; implicit-def: $vgpr5_vgpr6
                                        ; implicit-def: $vgpr7_vgpr8
	v_cmpx_ngt_f64_e64 0x41d00000, |v[3:4]|
	s_xor_b32 s3, exec_lo, s3
	s_cbranch_execz .LBB49_28
; %bb.27:
	v_ldexp_f64 v[5:6], |v[3:4]|, 0xffffff80
	v_cmp_le_f64_e64 vcc_lo, 0x7b000000, |v[3:4]|
	v_trig_preop_f64 v[7:8], |v[3:4]|, 0
	v_and_b32_e32 v9, 0x7fffffff, v4
	v_trig_preop_f64 v[21:22], |v[3:4]|, 2
	v_mov_b32_e32 v29, 0
	s_mov_b32 s1, 0x3ff921fb
	s_mov_b32 s6, 0x33145c07
	;; [unrolled: 1-line block ×3, first 2 shown]
	v_cndmask_b32_e32 v6, v9, v6, vcc_lo
	v_cndmask_b32_e32 v5, v3, v5, vcc_lo
	v_trig_preop_f64 v[9:10], |v[3:4]|, 1
	v_mul_f64 v[13:14], v[7:8], v[5:6]
	v_mul_f64 v[27:28], v[21:22], v[5:6]
	;; [unrolled: 1-line block ×3, first 2 shown]
	v_fma_f64 v[7:8], v[7:8], v[5:6], -v[13:14]
	v_fma_f64 v[9:10], v[9:10], v[5:6], -v[15:16]
	;; [unrolled: 1-line block ×3, first 2 shown]
	v_add_f64 v[17:18], v[15:16], v[7:8]
	v_add_f64 v[19:20], v[17:18], -v[15:16]
	v_add_f64 v[25:26], v[13:14], v[17:18]
	v_add_f64 v[23:24], v[17:18], -v[19:20]
	v_add_f64 v[7:8], v[7:8], -v[19:20]
	v_ldexp_f64 v[19:20], v[25:26], -2
	v_add_f64 v[13:14], v[25:26], -v[13:14]
	v_add_f64 v[15:16], v[15:16], -v[23:24]
	v_add_f64 v[23:24], v[27:28], v[9:10]
	v_cmp_neq_f64_e64 vcc_lo, 0x7ff00000, |v[19:20]|
	v_add_f64 v[13:14], v[17:18], -v[13:14]
	v_add_f64 v[7:8], v[7:8], v[15:16]
	v_fract_f64_e32 v[15:16], v[19:20]
	v_add_f64 v[17:18], v[23:24], v[7:8]
	v_ldexp_f64 v[15:16], v[15:16], 2
	v_add_f64 v[19:20], v[13:14], v[17:18]
	v_cndmask_b32_e32 v16, 0, v16, vcc_lo
	v_cndmask_b32_e32 v15, 0, v15, vcc_lo
	v_add_f64 v[25:26], v[19:20], v[15:16]
	v_add_f64 v[13:14], v[19:20], -v[13:14]
	v_cmp_gt_f64_e32 vcc_lo, 0, v[25:26]
	v_add_f64 v[25:26], v[23:24], -v[27:28]
	v_add_f64 v[13:14], v[17:18], -v[13:14]
	v_cndmask_b32_e64 v30, 0, 0x40100000, vcc_lo
	v_add_f64 v[34:35], v[23:24], -v[25:26]
	v_add_f64 v[9:10], v[9:10], -v[25:26]
	v_add_f64 v[15:16], v[15:16], v[29:30]
	v_add_f64 v[30:31], v[17:18], -v[23:24]
	v_add_f64 v[25:26], v[27:28], -v[34:35]
	v_add_f64 v[32:33], v[19:20], v[15:16]
	;; [unrolled: 3-line block ×3, first 2 shown]
	v_cvt_i32_f64_e32 v32, v[32:33]
	v_add_f64 v[23:24], v[23:24], -v[36:37]
	v_cvt_f64_i32_e32 v[30:31], v32
	v_add_f64 v[7:8], v[7:8], v[23:24]
	v_add_f64 v[15:16], v[15:16], -v[30:31]
	v_add_f64 v[7:8], v[9:10], v[7:8]
	v_add_f64 v[10:11], v[19:20], v[15:16]
	;; [unrolled: 1-line block ×3, first 2 shown]
	v_add_f64 v[7:8], v[10:11], -v[15:16]
	v_cmp_le_f64_e32 vcc_lo, 0.5, v[10:11]
	v_add_f64 v[5:6], v[13:14], v[5:6]
	v_add_f64 v[7:8], v[19:20], -v[7:8]
	v_cndmask_b32_e64 v30, 0, 0x3ff00000, vcc_lo
	v_add_co_ci_u32_e64 v9, null, 0, v32, vcc_lo
	v_add_f64 v[5:6], v[5:6], v[7:8]
	v_add_f64 v[7:8], v[10:11], -v[29:30]
	v_add_f64 v[10:11], v[7:8], v[5:6]
	v_mul_f64 v[13:14], v[10:11], s[0:1]
	v_add_f64 v[7:8], v[10:11], -v[7:8]
	v_fma_f64 v[15:16], v[10:11], s[0:1], -v[13:14]
	v_add_f64 v[5:6], v[5:6], -v[7:8]
	v_fma_f64 v[7:8], v[10:11], s[6:7], v[15:16]
	v_fma_f64 v[7:8], v[5:6], s[0:1], v[7:8]
	v_add_f64 v[5:6], v[13:14], v[7:8]
	v_add_f64 v[10:11], v[5:6], -v[13:14]
	v_add_f64 v[7:8], v[7:8], -v[10:11]
.LBB49_28:
	s_andn2_saveexec_b32 s0, s3
	s_cbranch_execz .LBB49_30
; %bb.29:
	s_mov_b32 s6, 0x6dc9c883
	s_mov_b32 s7, 0x3fe45f30
	;; [unrolled: 1-line block ×3, first 2 shown]
	v_mul_f64 v[5:6], |v[3:4]|, s[6:7]
	s_mov_b32 s6, 0x54442d18
	s_mov_b32 s7, 0xbff921fb
	;; [unrolled: 1-line block ×3, first 2 shown]
	v_rndne_f64_e32 v[9:10], v[5:6]
	v_fma_f64 v[5:6], v[9:10], s[6:7], |v[3:4]|
	v_mul_f64 v[7:8], v[9:10], s[44:45]
	s_mov_b32 s6, 0x252049c0
	s_mov_b32 s7, 0xb97b839a
	v_fma_f64 v[15:16], v[9:10], s[44:45], v[5:6]
	v_add_f64 v[13:14], v[5:6], v[7:8]
	s_mov_b32 s45, 0x3c91a626
	v_add_f64 v[5:6], v[5:6], -v[13:14]
	v_add_f64 v[13:14], v[13:14], -v[15:16]
	v_add_f64 v[5:6], v[5:6], v[7:8]
	v_fma_f64 v[7:8], v[9:10], s[44:45], v[7:8]
	v_add_f64 v[5:6], v[13:14], v[5:6]
	v_add_f64 v[5:6], v[5:6], -v[7:8]
	v_fma_f64 v[7:8], v[9:10], s[6:7], v[5:6]
	v_cvt_i32_f64_e32 v9, v[9:10]
	v_add_f64 v[5:6], v[15:16], v[7:8]
	v_add_f64 v[13:14], v[5:6], -v[15:16]
	v_add_f64 v[7:8], v[7:8], -v[13:14]
.LBB49_30:
	s_or_b32 exec_lo, exec_lo, s0
	v_mul_f64 v[10:11], v[5:6], v[5:6]
	s_mov_b32 s0, 0xb42fdfa7
	s_mov_b32 s6, 0xf9a43bb8
	;; [unrolled: 1-line block ×6, first 2 shown]
	v_mul_f64 v[21:22], v[7:8], 0.5
	v_add_f64 v[0:1], -v[0:1], 1.0
	v_fma_f64 v[13:14], v[10:11], s[6:7], s[0:1]
	s_mov_b32 s0, 0x9037ab78
	s_mov_b32 s6, 0x46cc5e42
	s_mov_b32 s1, 0x3e21eeb6
	s_mov_b32 s7, 0xbda907db
	v_mul_f64 v[17:18], v[10:11], 0.5
	v_fma_f64 v[15:16], v[10:11], s[6:7], s[0:1]
	s_mov_b32 s0, 0xa17f65f6
	s_mov_b32 s6, 0x19e83e5c
	;; [unrolled: 1-line block ×4, first 2 shown]
	v_mul_f64 v[23:24], v[5:6], -v[10:11]
	v_fma_f64 v[13:14], v[10:11], v[13:14], s[44:45]
	v_add_f64 v[19:20], -v[17:18], 1.0
	v_fma_f64 v[15:16], v[10:11], v[15:16], s[0:1]
	s_mov_b32 s0, 0x19f4ec90
	s_mov_b32 s1, 0x3efa01a0
	v_fma_f64 v[13:14], v[10:11], v[13:14], s[6:7]
	s_mov_b32 s6, 0x11110bb3
	s_mov_b32 s7, 0x3f811111
	v_add_f64 v[25:26], -v[19:20], 1.0
	v_fma_f64 v[15:16], v[10:11], v[15:16], s[0:1]
	s_mov_b32 s0, 0x16c16967
	s_mov_b32 s1, 0xbf56c16c
	v_fma_f64 v[13:14], v[10:11], v[13:14], s[6:7]
	v_add_f64 v[17:18], v[25:26], -v[17:18]
	v_fma_f64 v[15:16], v[10:11], v[15:16], s[0:1]
	s_mov_b32 s1, 0x3fa55555
	s_mov_b32 s0, 0x55555555
	v_fma_f64 v[13:14], v[23:24], v[13:14], v[21:22]
	v_mul_f64 v[21:22], v[10:11], v[10:11]
	v_fma_f64 v[17:18], v[5:6], -v[7:8], v[17:18]
	v_fma_f64 v[15:16], v[10:11], v[15:16], s[0:1]
	s_mov_b32 s1, 0xbfc55555
	v_fma_f64 v[7:8], v[10:11], v[13:14], -v[7:8]
	v_fma_f64 v[10:11], v[21:22], v[15:16], v[17:18]
	v_fma_f64 v[7:8], v[23:24], s[0:1], v[7:8]
	v_cmp_class_f64_e64 s0, v[3:4], 0x1f8
	v_lshlrev_b32_e32 v3, 30, v9
	v_add_f64 v[10:11], v[19:20], v[10:11]
	v_xor_b32_e32 v3, v3, v4
	v_and_b32_e32 v3, 0x80000000, v3
	v_add_f64 v[5:6], v[5:6], -v[7:8]
	v_and_b32_e32 v7, 1, v9
	v_cmp_eq_u32_e32 vcc_lo, 0, v7
	v_cndmask_b32_e32 v4, v11, v6, vcc_lo
	v_cndmask_b32_e32 v5, v10, v5, vcc_lo
	v_xor_b32_e32 v4, v4, v3
	v_cndmask_b32_e64 v3, 0, v5, s0
	v_cndmask_b32_e64 v4, 0x7ff80000, v4, s0
	s_mov_b32 s0, 0xc9be45de
	s_mov_b32 s1, 0xc023bd3c
	v_mul_f64 v[3:4], v[3:4], v[3:4]
	v_div_scale_f64 v[5:6], null, v[3:4], v[3:4], s[0:1]
	v_div_scale_f64 v[13:14], vcc_lo, s[0:1], v[3:4], s[0:1]
	v_rcp_f64_e32 v[7:8], v[5:6]
	v_fma_f64 v[9:10], -v[5:6], v[7:8], 1.0
	v_fma_f64 v[7:8], v[7:8], v[9:10], v[7:8]
	v_fma_f64 v[9:10], -v[5:6], v[7:8], 1.0
	v_fma_f64 v[7:8], v[7:8], v[9:10], v[7:8]
	v_mul_f64 v[9:10], v[13:14], v[7:8]
	v_fma_f64 v[5:6], -v[5:6], v[9:10], v[13:14]
	v_div_fmas_f64 v[5:6], v[5:6], v[7:8], v[9:10]
	v_div_fixup_f64 v[3:4], v[5:6], v[3:4], s[0:1]
	v_add_f64 v[5:6], v[3:4], 0
	v_mov_b32_e32 v3, 0
	v_mov_b32_e32 v4, 0xbff00000
.LBB49_31:
	s_or_b32 exec_lo, exec_lo, s2
	v_add_f64 v[7:8], v[0:1], 1.0
	v_mul_f64 v[0:1], v[0:1], v[0:1]
	v_add_f64 v[9:10], v[7:8], 1.0
	v_mul_f64 v[7:8], v[7:8], v[7:8]
	v_div_scale_f64 v[23:24], null, v[0:1], v[0:1], 1.0
	v_div_scale_f64 v[71:72], vcc_lo, 1.0, v[0:1], 1.0
	v_add_f64 v[13:14], v[9:10], 1.0
	v_mul_f64 v[9:10], v[9:10], v[9:10]
	v_div_scale_f64 v[25:26], null, v[7:8], v[7:8], 1.0
	v_rcp_f64_e32 v[39:40], v[23:24]
	v_add_f64 v[15:16], v[13:14], 1.0
	v_mul_f64 v[13:14], v[13:14], v[13:14]
	v_div_scale_f64 v[27:28], null, v[9:10], v[9:10], 1.0
	v_rcp_f64_e32 v[41:42], v[25:26]
	v_fma_f64 v[55:56], -v[23:24], v[39:40], 1.0
	v_add_f64 v[17:18], v[15:16], 1.0
	v_mul_f64 v[15:16], v[15:16], v[15:16]
	v_div_scale_f64 v[29:30], null, v[13:14], v[13:14], 1.0
	v_rcp_f64_e32 v[43:44], v[27:28]
	v_fma_f64 v[57:58], -v[25:26], v[41:42], 1.0
	v_fma_f64 v[39:40], v[39:40], v[55:56], v[39:40]
	v_add_f64 v[19:20], v[17:18], 1.0
	v_mul_f64 v[17:18], v[17:18], v[17:18]
	v_div_scale_f64 v[31:32], null, v[15:16], v[15:16], 1.0
	v_rcp_f64_e32 v[45:46], v[29:30]
	v_fma_f64 v[59:60], -v[27:28], v[43:44], 1.0
	v_fma_f64 v[41:42], v[41:42], v[57:58], v[41:42]
	v_fma_f64 v[57:58], -v[23:24], v[39:40], 1.0
	v_mul_f64 v[21:22], v[19:20], v[19:20]
	v_div_scale_f64 v[33:34], null, v[17:18], v[17:18], 1.0
	v_add_f64 v[35:36], v[19:20], v[19:20]
	v_rcp_f64_e32 v[47:48], v[31:32]
	v_fma_f64 v[61:62], -v[29:30], v[45:46], 1.0
	v_fma_f64 v[43:44], v[43:44], v[59:60], v[43:44]
	v_fma_f64 v[59:60], -v[25:26], v[41:42], 1.0
	v_fma_f64 v[39:40], v[39:40], v[57:58], v[39:40]
	v_div_scale_f64 v[57:58], s0, 1.0, v[7:8], 1.0
	v_div_scale_f64 v[37:38], null, v[21:22], v[21:22], 1.0
	v_rcp_f64_e32 v[49:50], v[33:34]
	v_div_scale_f64 v[51:52], null, v[35:36], v[35:36], 1.0
	v_div_scale_f64 v[73:74], s7, 1.0, v[21:22], 1.0
	v_fma_f64 v[63:64], -v[31:32], v[47:48], 1.0
	v_fma_f64 v[45:46], v[45:46], v[61:62], v[45:46]
	v_fma_f64 v[61:62], -v[27:28], v[43:44], 1.0
	v_fma_f64 v[41:42], v[41:42], v[59:60], v[41:42]
	v_div_scale_f64 v[59:60], s1, 1.0, v[9:10], 1.0
	v_div_scale_f64 v[83:84], s8, 1.0, v[35:36], 1.0
	v_rcp_f64_e32 v[53:54], v[37:38]
	v_rcp_f64_e32 v[65:66], v[51:52]
	v_fma_f64 v[67:68], -v[33:34], v[49:50], 1.0
	v_fma_f64 v[47:48], v[47:48], v[63:64], v[47:48]
	v_fma_f64 v[63:64], -v[29:30], v[45:46], 1.0
	v_fma_f64 v[43:44], v[43:44], v[61:62], v[43:44]
	v_div_scale_f64 v[61:62], s2, 1.0, v[13:14], 1.0
	v_mul_f64 v[75:76], v[57:58], v[41:42]
	v_fma_f64 v[69:70], -v[37:38], v[53:54], 1.0
	v_fma_f64 v[49:50], v[49:50], v[67:68], v[49:50]
	v_fma_f64 v[55:56], -v[51:52], v[65:66], 1.0
	v_fma_f64 v[67:68], -v[31:32], v[47:48], 1.0
	v_fma_f64 v[45:46], v[45:46], v[63:64], v[45:46]
	v_div_scale_f64 v[63:64], s3, 1.0, v[15:16], 1.0
	v_mul_f64 v[77:78], v[59:60], v[43:44]
	v_fma_f64 v[25:26], -v[25:26], v[75:76], v[57:58]
	v_fma_f64 v[53:54], v[53:54], v[69:70], v[53:54]
	v_fma_f64 v[69:70], -v[33:34], v[49:50], 1.0
	v_fma_f64 v[55:56], v[65:66], v[55:56], v[65:66]
	v_fma_f64 v[47:48], v[47:48], v[67:68], v[47:48]
	v_div_scale_f64 v[67:68], s6, 1.0, v[17:18], 1.0
	v_mul_f64 v[79:80], v[61:62], v[45:46]
	v_fma_f64 v[27:28], -v[27:28], v[77:78], v[59:60]
	v_fma_f64 v[65:66], -v[37:38], v[53:54], 1.0
	v_fma_f64 v[49:50], v[49:50], v[69:70], v[49:50]
	v_fma_f64 v[69:70], -v[51:52], v[55:56], 1.0
	v_mul_f64 v[81:82], v[63:64], v[47:48]
	v_fma_f64 v[29:30], -v[29:30], v[79:80], v[61:62]
	v_fma_f64 v[53:54], v[53:54], v[65:66], v[53:54]
	v_mul_f64 v[65:66], v[71:72], v[39:40]
	v_mul_f64 v[85:86], v[67:68], v[49:50]
	v_fma_f64 v[55:56], v[55:56], v[69:70], v[55:56]
	v_fma_f64 v[31:32], -v[31:32], v[81:82], v[63:64]
	v_mul_f64 v[69:70], v[73:74], v[53:54]
	v_fma_f64 v[23:24], -v[23:24], v[65:66], v[71:72]
	v_fma_f64 v[33:34], -v[33:34], v[85:86], v[67:68]
	v_mul_f64 v[57:58], v[83:84], v[55:56]
	v_fma_f64 v[37:38], -v[37:38], v[69:70], v[73:74]
	v_div_fmas_f64 v[23:24], v[23:24], v[39:40], v[65:66]
	s_mov_b32 vcc_lo, s0
	v_fma_f64 v[39:40], -v[51:52], v[57:58], v[83:84]
	v_div_fmas_f64 v[25:26], v[25:26], v[41:42], v[75:76]
	s_mov_b32 vcc_lo, s1
	s_mov_b32 s0, 0x11111111
	v_div_fmas_f64 v[27:28], v[27:28], v[43:44], v[77:78]
	s_mov_b32 vcc_lo, s2
	s_mov_b32 s1, 0x3fa11111
	;; [unrolled: 3-line block ×4, first 2 shown]
	v_div_fmas_f64 v[33:34], v[33:34], v[49:50], v[85:86]
	s_mov_b32 vcc_lo, s7
	v_div_fmas_f64 v[37:38], v[37:38], v[53:54], v[69:70]
	s_mov_b32 vcc_lo, s8
	v_div_fixup_f64 v[0:1], v[23:24], v[0:1], 1.0
	v_div_fmas_f64 v[39:40], v[39:40], v[55:56], v[57:58]
	v_div_fixup_f64 v[21:22], v[37:38], v[21:22], 1.0
	v_add_f64 v[0:1], v[5:6], v[0:1]
	v_div_fixup_f64 v[35:36], v[39:40], v[35:36], 1.0
	v_div_fixup_f64 v[5:6], v[25:26], v[7:8], 1.0
	v_fma_f64 v[37:38], v[21:22], s[2:3], s[0:1]
	s_mov_b32 s0, 0x55555555
	s_mov_b32 s1, 0x3fc55555
	v_add_f64 v[35:36], v[35:36], 1.0
	v_add_f64 v[0:1], v[0:1], v[5:6]
	v_div_fixup_f64 v[5:6], v[27:28], v[9:10], 1.0
	v_fma_f64 v[37:38], -v[21:22], v[37:38], s[0:1]
	s_and_b32 s1, s33, 0xff
	s_cmp_lt_i32 s1, 11
	v_add_f64 v[0:1], v[0:1], v[5:6]
	v_div_fixup_f64 v[5:6], v[29:30], v[13:14], 1.0
	v_fma_f64 v[21:22], v[21:22], v[37:38], v[35:36]
	v_add_f64 v[0:1], v[0:1], v[5:6]
	v_div_fixup_f64 v[5:6], v[31:32], v[15:16], 1.0
	v_div_scale_f64 v[35:36], null, v[19:20], v[19:20], v[21:22]
	v_div_scale_f64 v[9:10], vcc_lo, v[21:22], v[19:20], v[21:22]
	v_add_f64 v[0:1], v[0:1], v[5:6]
	v_div_fixup_f64 v[5:6], v[33:34], v[17:18], 1.0
	v_rcp_f64_e32 v[37:38], v[35:36]
	v_add_f64 v[0:1], v[0:1], v[5:6]
	v_fma_f64 v[39:40], -v[35:36], v[37:38], 1.0
	v_fma_f64 v[23:24], v[37:38], v[39:40], v[37:38]
	v_fma_f64 v[7:8], -v[35:36], v[23:24], 1.0
	v_fma_f64 v[7:8], v[23:24], v[7:8], v[23:24]
	v_mul_f64 v[13:14], v[9:10], v[7:8]
	v_fma_f64 v[9:10], -v[35:36], v[13:14], v[9:10]
	v_div_fmas_f64 v[7:8], v[9:10], v[7:8], v[13:14]
	v_div_fixup_f64 v[5:6], v[7:8], v[19:20], v[21:22]
	v_add_f64 v[0:1], v[0:1], v[5:6]
	v_mul_f64 v[0:1], v[3:4], v[0:1]
	v_add_co_u32 v4, s0, s12, v2
	v_add_co_ci_u32_e64 v5, null, s13, 0, s0
	s_cbranch_scc1 .LBB49_39
; %bb.32:
	s_and_b32 s2, 0xffff, s1
	s_cmp_gt_i32 s2, 25
	s_cbranch_scc0 .LBB49_42
; %bb.33:
	s_cmp_gt_i32 s2, 28
	s_cbranch_scc0 .LBB49_44
; %bb.34:
	;; [unrolled: 3-line block ×4, first 2 shown]
	s_mov_b32 s6, 0
	s_mov_b32 s0, -1
	s_cmp_eq_u32 s2, 46
	s_mov_b32 s3, 0
	s_cbranch_scc0 .LBB49_53
; %bb.37:
	v_cvt_f32_f64_e32 v2, v[0:1]
	s_mov_b32 s3, -1
	s_mov_b32 s0, 0
	v_bfe_u32 v3, v2, 16, 1
	v_cmp_o_f32_e32 vcc_lo, v2, v2
	v_add3_u32 v2, v2, v3, 0x7fff
	v_mov_b32_e32 v3, 0x7fc0
	v_cndmask_b32_sdwa v2, v3, v2, vcc_lo dst_sel:DWORD dst_unused:UNUSED_PAD src0_sel:DWORD src1_sel:WORD_1
	global_store_dword v[4:5], v2, off
	s_branch .LBB49_53
.LBB49_38:
	s_mov_b32 s40, 0
	s_mov_b32 s1, 0
                                        ; implicit-def: $vgpr0_vgpr1
	s_cbranch_execnz .LBB49_189
	s_branch .LBB49_221
.LBB49_39:
	s_mov_b32 s0, 0
	s_mov_b32 s3, 0
	s_cbranch_execnz .LBB49_122
.LBB49_40:
	s_andn2_b32 vcc_lo, exec_lo, s3
	s_cbranch_vccz .LBB49_160
	s_branch .LBB49_270
.LBB49_41:
	s_mov_b32 s2, -1
	s_mov_b32 s40, 0
	s_mov_b32 s1, 0
                                        ; implicit-def: $vgpr0_vgpr1
	s_branch .LBB49_168
.LBB49_42:
	s_mov_b32 s6, -1
	s_mov_b32 s0, 0
	s_mov_b32 s3, 0
	s_branch .LBB49_80
.LBB49_43:
	s_mov_b32 s2, -1
	s_mov_b32 s40, 0
	s_mov_b32 s1, 0
                                        ; implicit-def: $vgpr0_vgpr1
	s_branch .LBB49_163
.LBB49_44:
	s_mov_b32 s6, -1
	s_mov_b32 s0, 0
	s_mov_b32 s3, 0
	s_branch .LBB49_63
.LBB49_45:
	s_mov_b32 s2, -1
	s_mov_b32 s40, 0
	s_branch .LBB49_48
.LBB49_46:
	s_mov_b32 s6, -1
	s_mov_b32 s0, 0
	s_mov_b32 s3, 0
	s_branch .LBB49_59
.LBB49_47:
	s_mov_b32 s40, -1
.LBB49_48:
	s_mov_b32 s1, 0
                                        ; implicit-def: $vgpr0_vgpr1
.LBB49_49:
	s_and_b32 vcc_lo, exec_lo, s2
	s_cbranch_vccz .LBB49_162
; %bb.50:
	s_cmp_eq_u32 s0, 44
	s_cbranch_scc0 .LBB49_161
; %bb.51:
	global_load_ubyte v5, v[3:4], off
	s_mov_b32 s40, 0
	s_mov_b32 s1, -1
	s_waitcnt vmcnt(0)
	v_lshlrev_b32_e32 v0, 23, v5
	v_cmp_ne_u32_e32 vcc_lo, 0xff, v5
	v_cvt_f64_f32_e32 v[0:1], v0
	v_cndmask_b32_e32 v0, 0x20000000, v0, vcc_lo
	v_cndmask_b32_e32 v1, 0x7ff80000, v1, vcc_lo
	v_cmp_ne_u32_e32 vcc_lo, 0, v5
	v_cndmask_b32_e32 v1, 0x38000000, v1, vcc_lo
	v_cndmask_b32_e32 v0, 0, v0, vcc_lo
	s_branch .LBB49_162
.LBB49_52:
	s_mov_b32 s6, -1
	s_mov_b32 s0, 0
	s_mov_b32 s3, 0
.LBB49_53:
	s_and_b32 vcc_lo, exec_lo, s6
	s_cbranch_vccz .LBB49_58
; %bb.54:
	s_cmp_eq_u32 s2, 44
	s_mov_b32 s0, -1
	s_cbranch_scc0 .LBB49_58
; %bb.55:
	v_cvt_f32_f64_e32 v2, v[0:1]
	v_mov_b32_e32 v3, 0xff
	s_mov_b32 s3, exec_lo
	v_bfe_u32 v6, v2, 23, 8
	v_cmpx_ne_u32_e32 0xff, v6
	s_cbranch_execz .LBB49_57
; %bb.56:
	v_and_b32_e32 v3, 0x400000, v2
	v_and_or_b32 v6, 0x3fffff, v2, v6
	v_lshrrev_b32_e32 v2, 23, v2
	v_cmp_ne_u32_e32 vcc_lo, 0, v3
	v_cmp_ne_u32_e64 s0, 0, v6
	s_and_b32 s0, vcc_lo, s0
	v_cndmask_b32_e64 v3, 0, 1, s0
	v_add_nc_u32_e32 v3, v2, v3
.LBB49_57:
	s_or_b32 exec_lo, exec_lo, s3
	s_mov_b32 s3, -1
	s_mov_b32 s0, 0
	global_store_byte v[4:5], v3, off
.LBB49_58:
	s_mov_b32 s6, 0
.LBB49_59:
	s_and_b32 vcc_lo, exec_lo, s6
	s_cbranch_vccz .LBB49_62
; %bb.60:
	s_cmp_eq_u32 s2, 29
	s_mov_b32 s0, -1
	s_cbranch_scc0 .LBB49_62
; %bb.61:
	v_trunc_f64_e32 v[2:3], v[0:1]
	s_mov_b32 s3, -1
	s_mov_b32 s0, 0
	s_mov_b32 s6, 0
	v_ldexp_f64 v[6:7], v[2:3], 0xffffffe0
	v_floor_f64_e32 v[6:7], v[6:7]
	v_fma_f64 v[2:3], 0xc1f00000, v[6:7], v[2:3]
	v_cvt_u32_f64_e32 v7, v[6:7]
	v_cvt_u32_f64_e32 v6, v[2:3]
	global_store_dwordx2 v[4:5], v[6:7], off
	s_branch .LBB49_63
.LBB49_62:
	s_mov_b32 s6, 0
.LBB49_63:
	s_and_b32 vcc_lo, exec_lo, s6
	s_cbranch_vccz .LBB49_79
; %bb.64:
	s_cmp_lt_i32 s2, 27
	s_mov_b32 s3, -1
	s_cbranch_scc1 .LBB49_70
; %bb.65:
	v_cvt_u32_f64_e32 v2, v[0:1]
	s_cmp_gt_i32 s2, 27
	s_cbranch_scc0 .LBB49_67
; %bb.66:
	s_mov_b32 s3, 0
	global_store_dword v[4:5], v2, off
.LBB49_67:
	s_andn2_b32 vcc_lo, exec_lo, s3
	s_cbranch_vccnz .LBB49_69
; %bb.68:
	global_store_short v[4:5], v2, off
.LBB49_69:
	s_mov_b32 s3, 0
.LBB49_70:
	s_andn2_b32 vcc_lo, exec_lo, s3
	s_cbranch_vccnz .LBB49_78
; %bb.71:
	v_cvt_f32_f64_e32 v2, v[0:1]
	v_mov_b32_e32 v6, 0x80
	s_mov_b32 s3, exec_lo
	v_and_b32_e32 v3, 0x7fffffff, v2
	v_cmpx_gt_u32_e32 0x43800000, v3
	s_cbranch_execz .LBB49_77
; %bb.72:
	v_cmp_lt_u32_e32 vcc_lo, 0x3bffffff, v3
	s_mov_b32 s6, 0
                                        ; implicit-def: $vgpr3
	s_and_saveexec_b32 s7, vcc_lo
	s_xor_b32 s7, exec_lo, s7
	s_cbranch_execz .LBB49_319
; %bb.73:
	v_bfe_u32 v3, v2, 20, 1
	s_mov_b32 s6, exec_lo
	v_add3_u32 v3, v2, v3, 0x487ffff
	v_lshrrev_b32_e32 v3, 20, v3
	s_andn2_saveexec_b32 s7, s7
	s_cbranch_execnz .LBB49_320
.LBB49_74:
	s_or_b32 exec_lo, exec_lo, s7
	v_mov_b32_e32 v6, 0
	s_and_saveexec_b32 s7, s6
.LBB49_75:
	v_lshrrev_b32_e32 v2, 24, v2
	v_and_or_b32 v6, 0x80, v2, v3
.LBB49_76:
	s_or_b32 exec_lo, exec_lo, s7
.LBB49_77:
	s_or_b32 exec_lo, exec_lo, s3
	global_store_byte v[4:5], v6, off
.LBB49_78:
	s_mov_b32 s3, -1
.LBB49_79:
	s_mov_b32 s6, 0
.LBB49_80:
	s_and_b32 vcc_lo, exec_lo, s6
	s_cbranch_vccz .LBB49_121
; %bb.81:
	s_cmp_gt_i32 s2, 22
	s_mov_b32 s6, -1
	s_cbranch_scc0 .LBB49_113
; %bb.82:
	s_cmp_lt_i32 s2, 24
	s_mov_b32 s3, -1
	s_cbranch_scc1 .LBB49_102
; %bb.83:
	s_cmp_gt_i32 s2, 24
	s_cbranch_scc0 .LBB49_91
; %bb.84:
	v_cvt_f32_f64_e32 v2, v[0:1]
	v_mov_b32_e32 v6, 0x80
	s_mov_b32 s3, exec_lo
	v_and_b32_e32 v3, 0x7fffffff, v2
	v_cmpx_gt_u32_e32 0x47800000, v3
	s_cbranch_execz .LBB49_90
; %bb.85:
	v_cmp_lt_u32_e32 vcc_lo, 0x37ffffff, v3
	s_mov_b32 s6, 0
                                        ; implicit-def: $vgpr3
	s_and_saveexec_b32 s7, vcc_lo
	s_xor_b32 s7, exec_lo, s7
	s_cbranch_execz .LBB49_323
; %bb.86:
	v_bfe_u32 v3, v2, 21, 1
	s_mov_b32 s6, exec_lo
	v_add3_u32 v3, v2, v3, 0x88fffff
	v_lshrrev_b32_e32 v3, 21, v3
	s_andn2_saveexec_b32 s7, s7
	s_cbranch_execnz .LBB49_324
.LBB49_87:
	s_or_b32 exec_lo, exec_lo, s7
	v_mov_b32_e32 v6, 0
	s_and_saveexec_b32 s7, s6
.LBB49_88:
	v_lshrrev_b32_e32 v2, 24, v2
	v_and_or_b32 v6, 0x80, v2, v3
.LBB49_89:
	s_or_b32 exec_lo, exec_lo, s7
.LBB49_90:
	s_or_b32 exec_lo, exec_lo, s3
	s_mov_b32 s3, 0
	global_store_byte v[4:5], v6, off
.LBB49_91:
	s_and_b32 vcc_lo, exec_lo, s3
	s_cbranch_vccz .LBB49_101
; %bb.92:
	v_cvt_f32_f64_e32 v2, v[0:1]
	s_mov_b32 s3, exec_lo
                                        ; implicit-def: $vgpr3
	v_and_b32_e32 v6, 0x7fffffff, v2
	v_cmpx_gt_u32_e32 0x43f00000, v6
	s_xor_b32 s3, exec_lo, s3
	s_cbranch_execz .LBB49_98
; %bb.93:
	s_mov_b32 s6, exec_lo
                                        ; implicit-def: $vgpr3
	v_cmpx_lt_u32_e32 0x3c7fffff, v6
	s_xor_b32 s6, exec_lo, s6
; %bb.94:
	v_bfe_u32 v3, v2, 20, 1
	v_add3_u32 v3, v2, v3, 0x407ffff
	v_and_b32_e32 v6, 0xff00000, v3
	v_lshrrev_b32_e32 v3, 20, v3
	v_cmp_ne_u32_e32 vcc_lo, 0x7f00000, v6
	v_cndmask_b32_e32 v3, 0x7e, v3, vcc_lo
; %bb.95:
	s_andn2_saveexec_b32 s6, s6
; %bb.96:
	v_add_f32_e64 v3, 0x46800000, |v2|
; %bb.97:
	s_or_b32 exec_lo, exec_lo, s6
                                        ; implicit-def: $vgpr6
.LBB49_98:
	s_andn2_saveexec_b32 s3, s3
; %bb.99:
	v_mov_b32_e32 v3, 0x7f
	v_cmp_lt_u32_e32 vcc_lo, 0x7f800000, v6
	v_cndmask_b32_e32 v3, 0x7e, v3, vcc_lo
; %bb.100:
	s_or_b32 exec_lo, exec_lo, s3
	v_lshrrev_b32_e32 v2, 24, v2
	v_and_or_b32 v2, 0x80, v2, v3
	global_store_byte v[4:5], v2, off
.LBB49_101:
	s_mov_b32 s3, 0
.LBB49_102:
	s_andn2_b32 vcc_lo, exec_lo, s3
	s_cbranch_vccnz .LBB49_112
; %bb.103:
	v_cvt_f32_f64_e32 v2, v[0:1]
	s_mov_b32 s3, exec_lo
                                        ; implicit-def: $vgpr3
	v_and_b32_e32 v6, 0x7fffffff, v2
	v_cmpx_gt_u32_e32 0x47800000, v6
	s_xor_b32 s3, exec_lo, s3
	s_cbranch_execz .LBB49_109
; %bb.104:
	s_mov_b32 s6, exec_lo
                                        ; implicit-def: $vgpr3
	v_cmpx_lt_u32_e32 0x387fffff, v6
	s_xor_b32 s6, exec_lo, s6
; %bb.105:
	v_bfe_u32 v3, v2, 21, 1
	v_add3_u32 v3, v2, v3, 0x80fffff
	v_lshrrev_b32_e32 v3, 21, v3
; %bb.106:
	s_andn2_saveexec_b32 s6, s6
; %bb.107:
	v_add_f32_e64 v3, 0x43000000, |v2|
; %bb.108:
	s_or_b32 exec_lo, exec_lo, s6
                                        ; implicit-def: $vgpr6
.LBB49_109:
	s_andn2_saveexec_b32 s3, s3
; %bb.110:
	v_mov_b32_e32 v3, 0x7f
	v_cmp_lt_u32_e32 vcc_lo, 0x7f800000, v6
	v_cndmask_b32_e32 v3, 0x7c, v3, vcc_lo
; %bb.111:
	s_or_b32 exec_lo, exec_lo, s3
	v_lshrrev_b32_e32 v2, 24, v2
	v_and_or_b32 v2, 0x80, v2, v3
	global_store_byte v[4:5], v2, off
.LBB49_112:
	s_mov_b32 s6, 0
	s_mov_b32 s3, -1
.LBB49_113:
	s_andn2_b32 vcc_lo, exec_lo, s6
	s_cbranch_vccnz .LBB49_121
; %bb.114:
	s_cmp_gt_i32 s2, 14
	s_mov_b32 s6, -1
	s_cbranch_scc0 .LBB49_118
; %bb.115:
	s_cmp_eq_u32 s2, 15
	s_mov_b32 s0, -1
	s_cbranch_scc0 .LBB49_117
; %bb.116:
	v_cvt_f32_f64_e32 v2, v[0:1]
	s_mov_b32 s3, -1
	s_mov_b32 s0, 0
	v_bfe_u32 v3, v2, 16, 1
	v_cmp_o_f32_e32 vcc_lo, v2, v2
	v_add3_u32 v2, v2, v3, 0x7fff
	v_mov_b32_e32 v3, 0x7fc0
	v_cndmask_b32_sdwa v2, v3, v2, vcc_lo dst_sel:DWORD dst_unused:UNUSED_PAD src0_sel:DWORD src1_sel:WORD_1
	global_store_short v[4:5], v2, off
.LBB49_117:
	s_mov_b32 s6, 0
.LBB49_118:
	s_and_b32 vcc_lo, exec_lo, s6
	s_cbranch_vccz .LBB49_121
; %bb.119:
	s_cmp_eq_u32 s2, 11
	s_mov_b32 s0, -1
	s_cbranch_scc0 .LBB49_121
; %bb.120:
	v_cmp_neq_f64_e32 vcc_lo, 0, v[0:1]
	s_mov_b32 s3, -1
	s_mov_b32 s0, 0
	v_cndmask_b32_e64 v2, 0, 1, vcc_lo
	global_store_byte v[4:5], v2, off
.LBB49_121:
	s_branch .LBB49_40
.LBB49_122:
	s_and_b32 s1, 0xffff, s1
	s_mov_b32 s2, -1
	s_cmp_lt_i32 s1, 5
	s_cbranch_scc1 .LBB49_143
; %bb.123:
	s_cmp_lt_i32 s1, 8
	s_cbranch_scc1 .LBB49_133
; %bb.124:
	;; [unrolled: 3-line block ×3, first 2 shown]
	s_cmp_gt_i32 s1, 9
	s_cbranch_scc0 .LBB49_127
; %bb.126:
	v_mov_b32_e32 v2, 0
	s_mov_b32 s2, 0
	v_mov_b32_e32 v3, v2
	global_store_dwordx4 v[4:5], v[0:3], off
.LBB49_127:
	s_andn2_b32 vcc_lo, exec_lo, s2
	s_cbranch_vccnz .LBB49_129
; %bb.128:
	v_cvt_f32_f64_e32 v2, v[0:1]
	v_mov_b32_e32 v3, 0
	global_store_dwordx2 v[4:5], v[2:3], off
.LBB49_129:
	s_mov_b32 s2, 0
.LBB49_130:
	s_andn2_b32 vcc_lo, exec_lo, s2
	s_cbranch_vccnz .LBB49_132
; %bb.131:
	v_and_or_b32 v2, 0x1ff, v1, v0
	v_lshrrev_b32_e32 v3, 8, v1
	v_bfe_u32 v6, v1, 20, 11
	v_cmp_ne_u32_e32 vcc_lo, 0, v2
	v_sub_nc_u32_e32 v7, 0x3f1, v6
	v_add_nc_u32_e32 v6, 0xfffffc10, v6
	v_cndmask_b32_e64 v2, 0, 1, vcc_lo
	v_and_or_b32 v2, 0xffe, v3, v2
	v_med3_i32 v3, v7, 0, 13
	v_or_b32_e32 v7, 0x1000, v2
	v_lshrrev_b32_e32 v8, v3, v7
	v_lshlrev_b32_e32 v3, v3, v8
	v_cmp_ne_u32_e32 vcc_lo, v3, v7
	v_lshl_or_b32 v7, v6, 12, v2
	v_cndmask_b32_e64 v3, 0, 1, vcc_lo
	v_cmp_gt_i32_e32 vcc_lo, 1, v6
	v_or_b32_e32 v3, v8, v3
	v_cndmask_b32_e32 v3, v7, v3, vcc_lo
	v_and_b32_e32 v7, 7, v3
	v_lshrrev_b32_e32 v3, 2, v3
	v_cmp_lt_i32_e32 vcc_lo, 5, v7
	v_cndmask_b32_e64 v8, 0, 1, vcc_lo
	v_cmp_eq_u32_e32 vcc_lo, 3, v7
	v_cndmask_b32_e64 v7, 0, 1, vcc_lo
	v_cmp_ne_u32_e32 vcc_lo, 0, v2
	v_or_b32_e32 v7, v7, v8
	v_mov_b32_e32 v8, 0x7e00
	v_add_nc_u32_e32 v3, v3, v7
	v_cndmask_b32_e32 v2, 0x7c00, v8, vcc_lo
	v_cmp_gt_i32_e32 vcc_lo, 31, v6
	v_cndmask_b32_e32 v3, 0x7c00, v3, vcc_lo
	v_cmp_eq_u32_e32 vcc_lo, 0x40f, v6
	v_cndmask_b32_e32 v2, v3, v2, vcc_lo
	v_lshrrev_b32_e32 v3, 16, v1
	v_and_or_b32 v2, 0x8000, v3, v2
	v_and_b32_e32 v2, 0xffff, v2
	global_store_dword v[4:5], v2, off
.LBB49_132:
	s_mov_b32 s2, 0
.LBB49_133:
	s_andn2_b32 vcc_lo, exec_lo, s2
	s_cbranch_vccnz .LBB49_142
; %bb.134:
	s_cmp_lt_i32 s1, 6
	s_mov_b32 s2, -1
	s_cbranch_scc1 .LBB49_140
; %bb.135:
	s_cmp_gt_i32 s1, 6
	s_cbranch_scc0 .LBB49_137
; %bb.136:
	s_mov_b32 s2, 0
	global_store_dwordx2 v[4:5], v[0:1], off
.LBB49_137:
	s_andn2_b32 vcc_lo, exec_lo, s2
	s_cbranch_vccnz .LBB49_139
; %bb.138:
	v_cvt_f32_f64_e32 v2, v[0:1]
	global_store_dword v[4:5], v2, off
.LBB49_139:
	s_mov_b32 s2, 0
.LBB49_140:
	s_andn2_b32 vcc_lo, exec_lo, s2
	s_cbranch_vccnz .LBB49_142
; %bb.141:
	v_and_or_b32 v2, 0x1ff, v1, v0
	v_lshrrev_b32_e32 v3, 8, v1
	v_bfe_u32 v6, v1, 20, 11
	v_cmp_ne_u32_e32 vcc_lo, 0, v2
	v_sub_nc_u32_e32 v7, 0x3f1, v6
	v_add_nc_u32_e32 v6, 0xfffffc10, v6
	v_cndmask_b32_e64 v2, 0, 1, vcc_lo
	v_and_or_b32 v2, 0xffe, v3, v2
	v_med3_i32 v3, v7, 0, 13
	v_or_b32_e32 v7, 0x1000, v2
	v_lshrrev_b32_e32 v8, v3, v7
	v_lshlrev_b32_e32 v3, v3, v8
	v_cmp_ne_u32_e32 vcc_lo, v3, v7
	v_lshl_or_b32 v7, v6, 12, v2
	v_cndmask_b32_e64 v3, 0, 1, vcc_lo
	v_cmp_gt_i32_e32 vcc_lo, 1, v6
	v_or_b32_e32 v3, v8, v3
	v_cndmask_b32_e32 v3, v7, v3, vcc_lo
	v_and_b32_e32 v7, 7, v3
	v_lshrrev_b32_e32 v3, 2, v3
	v_cmp_lt_i32_e32 vcc_lo, 5, v7
	v_cndmask_b32_e64 v8, 0, 1, vcc_lo
	v_cmp_eq_u32_e32 vcc_lo, 3, v7
	v_cndmask_b32_e64 v7, 0, 1, vcc_lo
	v_cmp_ne_u32_e32 vcc_lo, 0, v2
	v_or_b32_e32 v7, v7, v8
	v_mov_b32_e32 v8, 0x7e00
	v_add_nc_u32_e32 v3, v3, v7
	v_cndmask_b32_e32 v2, 0x7c00, v8, vcc_lo
	v_cmp_gt_i32_e32 vcc_lo, 31, v6
	v_cndmask_b32_e32 v3, 0x7c00, v3, vcc_lo
	v_cmp_eq_u32_e32 vcc_lo, 0x40f, v6
	v_cndmask_b32_e32 v2, v3, v2, vcc_lo
	v_lshrrev_b32_e32 v3, 16, v1
	v_and_or_b32 v2, 0x8000, v3, v2
	global_store_short v[4:5], v2, off
.LBB49_142:
	s_mov_b32 s2, 0
.LBB49_143:
	s_andn2_b32 vcc_lo, exec_lo, s2
	s_cbranch_vccnz .LBB49_159
; %bb.144:
	s_cmp_lt_i32 s1, 2
	s_mov_b32 s2, -1
	s_cbranch_scc1 .LBB49_154
; %bb.145:
	s_cmp_lt_i32 s1, 3
	s_cbranch_scc1 .LBB49_151
; %bb.146:
	s_cmp_gt_i32 s1, 3
	s_cbranch_scc0 .LBB49_148
; %bb.147:
	v_trunc_f64_e32 v[2:3], v[0:1]
	s_mov_b32 s2, 0
	v_ldexp_f64 v[6:7], v[2:3], 0xffffffe0
	v_floor_f64_e32 v[6:7], v[6:7]
	v_fma_f64 v[2:3], 0xc1f00000, v[6:7], v[2:3]
	v_cvt_i32_f64_e32 v7, v[6:7]
	v_cvt_u32_f64_e32 v6, v[2:3]
	global_store_dwordx2 v[4:5], v[6:7], off
.LBB49_148:
	s_andn2_b32 vcc_lo, exec_lo, s2
	s_cbranch_vccnz .LBB49_150
; %bb.149:
	v_cvt_i32_f64_e32 v2, v[0:1]
	global_store_dword v[4:5], v2, off
.LBB49_150:
	s_mov_b32 s2, 0
.LBB49_151:
	s_andn2_b32 vcc_lo, exec_lo, s2
	s_cbranch_vccnz .LBB49_153
; %bb.152:
	v_cvt_i32_f64_e32 v2, v[0:1]
	global_store_short v[4:5], v2, off
.LBB49_153:
	s_mov_b32 s2, 0
.LBB49_154:
	s_andn2_b32 vcc_lo, exec_lo, s2
	s_cbranch_vccnz .LBB49_159
; %bb.155:
	s_cmp_gt_i32 s1, 0
	s_mov_b32 s1, -1
	s_cbranch_scc0 .LBB49_157
; %bb.156:
	v_cvt_i32_f64_e32 v2, v[0:1]
	s_mov_b32 s1, 0
	global_store_byte v[4:5], v2, off
.LBB49_157:
	s_andn2_b32 vcc_lo, exec_lo, s1
	s_cbranch_vccnz .LBB49_159
; %bb.158:
	v_trunc_f64_e32 v[0:1], v[0:1]
	v_ldexp_f64 v[2:3], v[0:1], 0xffffffe0
	v_floor_f64_e32 v[2:3], v[2:3]
	v_fma_f64 v[0:1], 0xc1f00000, v[2:3], v[0:1]
	v_cvt_u32_f64_e32 v0, v[0:1]
	global_store_byte v[4:5], v0, off
.LBB49_159:
.LBB49_160:
	v_add_nc_u32_e32 v12, 0x80, v12
	s_mov_b32 s1, -1
	s_branch .LBB49_271
.LBB49_161:
	s_mov_b32 s40, -1
                                        ; implicit-def: $vgpr0_vgpr1
.LBB49_162:
	s_mov_b32 s2, 0
.LBB49_163:
	s_and_b32 vcc_lo, exec_lo, s2
	s_cbranch_vccz .LBB49_167
; %bb.164:
	s_cmp_eq_u32 s0, 29
	s_cbranch_scc0 .LBB49_166
; %bb.165:
	global_load_dwordx2 v[0:1], v[3:4], off
	s_mov_b32 s1, -1
	s_mov_b32 s40, 0
	s_mov_b32 s2, 0
	s_waitcnt vmcnt(0)
	v_cvt_f64_u32_e32 v[5:6], v1
	v_cvt_f64_u32_e32 v[0:1], v0
	v_ldexp_f64 v[5:6], v[5:6], 32
	v_add_f64 v[0:1], v[5:6], v[0:1]
	s_branch .LBB49_168
.LBB49_166:
	s_mov_b32 s40, -1
                                        ; implicit-def: $vgpr0_vgpr1
.LBB49_167:
	s_mov_b32 s2, 0
.LBB49_168:
	s_and_b32 vcc_lo, exec_lo, s2
	s_cbranch_vccz .LBB49_188
; %bb.169:
	s_cmp_lt_i32 s0, 27
	s_cbranch_scc1 .LBB49_172
; %bb.170:
	s_cmp_gt_i32 s0, 27
	s_cbranch_scc0 .LBB49_173
; %bb.171:
	global_load_dword v0, v[3:4], off
	s_mov_b32 s1, 0
	s_waitcnt vmcnt(0)
	v_cvt_f64_u32_e32 v[0:1], v0
	s_branch .LBB49_174
.LBB49_172:
	s_mov_b32 s1, -1
                                        ; implicit-def: $vgpr0_vgpr1
	s_branch .LBB49_177
.LBB49_173:
	s_mov_b32 s1, -1
                                        ; implicit-def: $vgpr0_vgpr1
.LBB49_174:
	s_andn2_b32 vcc_lo, exec_lo, s1
	s_cbranch_vccnz .LBB49_176
; %bb.175:
	global_load_ushort v0, v[3:4], off
	s_waitcnt vmcnt(0)
	v_cvt_f64_u32_e32 v[0:1], v0
.LBB49_176:
	s_mov_b32 s1, 0
.LBB49_177:
	s_andn2_b32 vcc_lo, exec_lo, s1
	s_cbranch_vccnz .LBB49_187
; %bb.178:
	global_load_ubyte v5, v[3:4], off
	s_mov_b32 s1, 0
	s_mov_b32 s2, exec_lo
	s_waitcnt vmcnt(0)
	v_cmpx_lt_i16_e32 0x7f, v5
	s_xor_b32 s2, exec_lo, s2
	s_cbranch_execz .LBB49_182
; %bb.179:
	s_mov_b32 s1, -1
	s_mov_b32 s3, exec_lo
	v_cmpx_eq_u16_e32 0x80, v5
; %bb.180:
	s_xor_b32 s1, exec_lo, -1
; %bb.181:
	s_or_b32 exec_lo, exec_lo, s3
	s_and_b32 s1, s1, exec_lo
.LBB49_182:
	s_or_saveexec_b32 s2, s2
	v_bfrev_b32_e32 v0, 4
	v_mov_b32_e32 v1, 0x7ff80000
	s_xor_b32 exec_lo, exec_lo, s2
; %bb.183:
	v_cmp_ne_u16_e32 vcc_lo, 0, v5
	v_mov_b32_e32 v0, 0
	v_mov_b32_e32 v1, 0
	s_andn2_b32 s1, s1, exec_lo
	s_and_b32 s3, vcc_lo, exec_lo
	s_or_b32 s1, s1, s3
; %bb.184:
	s_or_b32 exec_lo, exec_lo, s2
	s_and_saveexec_b32 s2, s1
	s_cbranch_execz .LBB49_186
; %bb.185:
	v_and_b32_e32 v0, 0xffff, v5
	v_lshlrev_b32_e32 v5, 24, v5
	v_and_b32_e32 v1, 7, v0
	v_bfe_u32 v8, v0, 3, 4
	v_ffbh_u32_e32 v6, v1
	v_cmp_eq_u32_e32 vcc_lo, 0, v8
	v_min_u32_e32 v6, 32, v6
	v_subrev_nc_u32_e32 v7, 28, v6
	v_sub_nc_u32_e32 v6, 29, v6
	v_lshlrev_b32_e32 v0, v7, v0
	v_cndmask_b32_e32 v6, v8, v6, vcc_lo
	v_and_b32_e32 v0, 7, v0
	v_cndmask_b32_e32 v0, v1, v0, vcc_lo
	v_and_b32_e32 v1, 0x80000000, v5
	v_lshl_add_u32 v5, v6, 23, 0x3b800000
	v_lshlrev_b32_e32 v0, 20, v0
	v_or3_b32 v0, v1, v5, v0
	v_cvt_f64_f32_e32 v[0:1], v0
.LBB49_186:
	s_or_b32 exec_lo, exec_lo, s2
.LBB49_187:
	s_mov_b32 s1, -1
.LBB49_188:
	s_branch .LBB49_221
.LBB49_189:
	s_cmp_gt_i32 s0, 22
	s_cbranch_scc0 .LBB49_201
; %bb.190:
	s_cmp_lt_i32 s0, 24
	s_cbranch_scc1 .LBB49_202
; %bb.191:
	s_cmp_gt_i32 s0, 24
	s_cbranch_scc0 .LBB49_203
; %bb.192:
	global_load_ubyte v5, v[3:4], off
	s_mov_b32 s1, 0
	s_mov_b32 s2, exec_lo
	s_waitcnt vmcnt(0)
	v_cmpx_lt_i16_e32 0x7f, v5
	s_xor_b32 s2, exec_lo, s2
	s_cbranch_execz .LBB49_196
; %bb.193:
	s_mov_b32 s1, -1
	s_mov_b32 s3, exec_lo
	v_cmpx_eq_u16_e32 0x80, v5
; %bb.194:
	s_xor_b32 s1, exec_lo, -1
; %bb.195:
	s_or_b32 exec_lo, exec_lo, s3
	s_and_b32 s1, s1, exec_lo
.LBB49_196:
	s_or_saveexec_b32 s2, s2
	v_bfrev_b32_e32 v0, 4
	v_mov_b32_e32 v1, 0x7ff80000
	s_xor_b32 exec_lo, exec_lo, s2
; %bb.197:
	v_cmp_ne_u16_e32 vcc_lo, 0, v5
	v_mov_b32_e32 v0, 0
	v_mov_b32_e32 v1, 0
	s_andn2_b32 s1, s1, exec_lo
	s_and_b32 s3, vcc_lo, exec_lo
	s_or_b32 s1, s1, s3
; %bb.198:
	s_or_b32 exec_lo, exec_lo, s2
	s_and_saveexec_b32 s2, s1
	s_cbranch_execz .LBB49_200
; %bb.199:
	v_and_b32_e32 v0, 0xffff, v5
	v_lshlrev_b32_e32 v5, 24, v5
	v_and_b32_e32 v1, 3, v0
	v_bfe_u32 v8, v0, 2, 5
	v_ffbh_u32_e32 v6, v1
	v_cmp_eq_u32_e32 vcc_lo, 0, v8
	v_min_u32_e32 v6, 32, v6
	v_subrev_nc_u32_e32 v7, 29, v6
	v_sub_nc_u32_e32 v6, 30, v6
	v_lshlrev_b32_e32 v0, v7, v0
	v_cndmask_b32_e32 v6, v8, v6, vcc_lo
	v_and_b32_e32 v0, 3, v0
	v_cndmask_b32_e32 v0, v1, v0, vcc_lo
	v_and_b32_e32 v1, 0x80000000, v5
	v_lshl_add_u32 v5, v6, 23, 0x37800000
	v_lshlrev_b32_e32 v0, 21, v0
	v_or3_b32 v0, v1, v5, v0
	v_cvt_f64_f32_e32 v[0:1], v0
.LBB49_200:
	s_or_b32 exec_lo, exec_lo, s2
	s_mov_b32 s1, 0
	s_branch .LBB49_204
.LBB49_201:
	s_mov_b32 s2, -1
                                        ; implicit-def: $vgpr0_vgpr1
	s_branch .LBB49_210
.LBB49_202:
	s_mov_b32 s1, -1
                                        ; implicit-def: $vgpr0_vgpr1
	s_branch .LBB49_207
.LBB49_203:
	s_mov_b32 s1, -1
                                        ; implicit-def: $vgpr0_vgpr1
.LBB49_204:
	s_and_b32 vcc_lo, exec_lo, s1
	s_cbranch_vccz .LBB49_206
; %bb.205:
	global_load_ubyte v0, v[3:4], off
	s_waitcnt vmcnt(0)
	v_lshlrev_b32_e32 v0, 24, v0
	v_and_b32_e32 v1, 0x7f000000, v0
	v_ffbh_u32_e32 v5, v1
	v_add_nc_u32_e32 v7, 0x1000000, v1
	v_cmp_ne_u32_e32 vcc_lo, 0, v1
	v_min_u32_e32 v5, 32, v5
	v_sub_nc_u32_e64 v5, v5, 4 clamp
	v_lshlrev_b32_e32 v6, v5, v1
	v_lshlrev_b32_e32 v5, 23, v5
	v_lshrrev_b32_e32 v6, 4, v6
	v_sub_nc_u32_e32 v5, v6, v5
	v_ashrrev_i32_e32 v6, 8, v7
	v_add_nc_u32_e32 v5, 0x3c000000, v5
	v_and_or_b32 v5, 0x7f800000, v6, v5
	v_cndmask_b32_e32 v1, 0, v5, vcc_lo
	v_and_or_b32 v0, 0x80000000, v0, v1
	v_cvt_f64_f32_e32 v[0:1], v0
.LBB49_206:
	s_mov_b32 s1, 0
.LBB49_207:
	s_andn2_b32 vcc_lo, exec_lo, s1
	s_cbranch_vccnz .LBB49_209
; %bb.208:
	global_load_ubyte v0, v[3:4], off
	s_waitcnt vmcnt(0)
	v_lshlrev_b32_e32 v1, 25, v0
	v_lshlrev_b16 v0, 8, v0
	v_lshrrev_b32_e32 v5, 4, v1
	v_and_or_b32 v6, 0x7f00, v0, 0.5
	v_cmp_gt_u32_e32 vcc_lo, 0x8000000, v1
	v_bfe_i32 v0, v0, 0, 16
	v_or_b32_e32 v5, 0x70000000, v5
	v_add_f32_e32 v6, -0.5, v6
	v_mul_f32_e32 v5, 0x7800000, v5
	v_cndmask_b32_e32 v1, v5, v6, vcc_lo
	v_and_or_b32 v0, 0x80000000, v0, v1
	v_cvt_f64_f32_e32 v[0:1], v0
.LBB49_209:
	s_mov_b32 s2, 0
	s_mov_b32 s1, -1
.LBB49_210:
	s_andn2_b32 vcc_lo, exec_lo, s2
	s_cbranch_vccnz .LBB49_221
; %bb.211:
	s_cmp_gt_i32 s0, 14
	s_cbranch_scc0 .LBB49_214
; %bb.212:
	s_cmp_eq_u32 s0, 15
	s_cbranch_scc0 .LBB49_215
; %bb.213:
	global_load_ushort v0, v[3:4], off
	s_mov_b32 s1, -1
	s_mov_b32 s40, 0
	s_waitcnt vmcnt(0)
	v_lshlrev_b32_e32 v0, 16, v0
	v_cvt_f64_f32_e32 v[0:1], v0
	s_branch .LBB49_216
.LBB49_214:
	s_mov_b32 s2, -1
                                        ; implicit-def: $vgpr0_vgpr1
	s_branch .LBB49_217
.LBB49_215:
	s_mov_b32 s40, -1
                                        ; implicit-def: $vgpr0_vgpr1
.LBB49_216:
	s_mov_b32 s2, 0
.LBB49_217:
	s_and_b32 vcc_lo, exec_lo, s2
	s_cbranch_vccz .LBB49_221
; %bb.218:
	s_cmp_eq_u32 s0, 11
	s_cbranch_scc0 .LBB49_220
; %bb.219:
	global_load_ubyte v0, v[3:4], off
	s_mov_b32 s40, 0
	s_mov_b32 s1, -1
	s_waitcnt vmcnt(0)
	v_cmp_ne_u16_e32 vcc_lo, 0, v0
	v_mov_b32_e32 v0, 0
	v_cndmask_b32_e64 v1, 0, 0x3ff00000, vcc_lo
	s_branch .LBB49_221
.LBB49_220:
	s_mov_b32 s40, -1
                                        ; implicit-def: $vgpr0_vgpr1
.LBB49_221:
	s_branch .LBB49_24
.LBB49_222:
	s_cmp_lt_i32 s0, 5
	s_cbranch_scc1 .LBB49_227
; %bb.223:
	s_cmp_lt_i32 s0, 8
	s_cbranch_scc1 .LBB49_228
; %bb.224:
	;; [unrolled: 3-line block ×3, first 2 shown]
	s_cmp_gt_i32 s0, 9
	s_cbranch_scc0 .LBB49_230
; %bb.226:
	global_load_dwordx2 v[0:1], v[3:4], off
	s_mov_b32 s1, 0
	s_branch .LBB49_231
.LBB49_227:
                                        ; implicit-def: $vgpr0_vgpr1
	s_branch .LBB49_249
.LBB49_228:
	s_mov_b32 s1, -1
                                        ; implicit-def: $vgpr0_vgpr1
	s_branch .LBB49_237
.LBB49_229:
	s_mov_b32 s1, -1
                                        ; implicit-def: $vgpr0_vgpr1
	s_branch .LBB49_234
.LBB49_230:
	s_mov_b32 s1, -1
                                        ; implicit-def: $vgpr0_vgpr1
.LBB49_231:
	s_andn2_b32 vcc_lo, exec_lo, s1
	s_cbranch_vccnz .LBB49_233
; %bb.232:
	global_load_dword v0, v[3:4], off
	s_waitcnt vmcnt(0)
	v_cvt_f64_f32_e32 v[0:1], v0
.LBB49_233:
	s_mov_b32 s1, 0
.LBB49_234:
	s_andn2_b32 vcc_lo, exec_lo, s1
	s_cbranch_vccnz .LBB49_236
; %bb.235:
	global_load_dword v0, v[3:4], off
	s_waitcnt vmcnt(0)
	v_cvt_f32_f16_e32 v0, v0
	v_cvt_f64_f32_e32 v[0:1], v0
.LBB49_236:
	s_mov_b32 s1, 0
.LBB49_237:
	s_andn2_b32 vcc_lo, exec_lo, s1
	s_cbranch_vccnz .LBB49_248
; %bb.238:
	s_cmp_lt_i32 s0, 6
	s_cbranch_scc1 .LBB49_241
; %bb.239:
	s_cmp_gt_i32 s0, 6
	s_cbranch_scc0 .LBB49_242
; %bb.240:
	global_load_dwordx2 v[0:1], v[3:4], off
	s_mov_b32 s1, 0
	s_branch .LBB49_243
.LBB49_241:
	s_mov_b32 s1, -1
                                        ; implicit-def: $vgpr0_vgpr1
	s_branch .LBB49_246
.LBB49_242:
	s_mov_b32 s1, -1
                                        ; implicit-def: $vgpr0_vgpr1
.LBB49_243:
	s_andn2_b32 vcc_lo, exec_lo, s1
	s_cbranch_vccnz .LBB49_245
; %bb.244:
	global_load_dword v0, v[3:4], off
	s_waitcnt vmcnt(0)
	v_cvt_f64_f32_e32 v[0:1], v0
.LBB49_245:
	s_mov_b32 s1, 0
.LBB49_246:
	s_andn2_b32 vcc_lo, exec_lo, s1
	s_cbranch_vccnz .LBB49_248
; %bb.247:
	global_load_ushort v0, v[3:4], off
	s_waitcnt vmcnt(0)
	v_cvt_f32_f16_e32 v0, v0
	v_cvt_f64_f32_e32 v[0:1], v0
.LBB49_248:
	s_cbranch_execnz .LBB49_268
.LBB49_249:
	s_cmp_lt_i32 s0, 2
	s_cbranch_scc1 .LBB49_253
; %bb.250:
	s_cmp_lt_i32 s0, 3
	s_cbranch_scc1 .LBB49_254
; %bb.251:
	s_cmp_gt_i32 s0, 3
	s_cbranch_scc0 .LBB49_255
; %bb.252:
	global_load_dwordx2 v[0:1], v[3:4], off
	s_mov_b32 s1, 0
	s_waitcnt vmcnt(0)
	v_cvt_f64_i32_e32 v[5:6], v1
	v_cvt_f64_u32_e32 v[0:1], v0
	v_ldexp_f64 v[5:6], v[5:6], 32
	v_add_f64 v[0:1], v[5:6], v[0:1]
	s_branch .LBB49_256
.LBB49_253:
	s_mov_b32 s1, -1
                                        ; implicit-def: $vgpr0_vgpr1
	s_branch .LBB49_262
.LBB49_254:
	s_mov_b32 s1, -1
                                        ; implicit-def: $vgpr0_vgpr1
	s_branch .LBB49_259
.LBB49_255:
	s_mov_b32 s1, -1
                                        ; implicit-def: $vgpr0_vgpr1
.LBB49_256:
	s_andn2_b32 vcc_lo, exec_lo, s1
	s_cbranch_vccnz .LBB49_258
; %bb.257:
	global_load_dword v0, v[3:4], off
	s_waitcnt vmcnt(0)
	v_cvt_f64_i32_e32 v[0:1], v0
.LBB49_258:
	s_mov_b32 s1, 0
.LBB49_259:
	s_andn2_b32 vcc_lo, exec_lo, s1
	s_cbranch_vccnz .LBB49_261
; %bb.260:
	global_load_sshort v0, v[3:4], off
	s_waitcnt vmcnt(0)
	v_cvt_f64_i32_e32 v[0:1], v0
.LBB49_261:
	s_mov_b32 s1, 0
.LBB49_262:
	s_andn2_b32 vcc_lo, exec_lo, s1
	s_cbranch_vccnz .LBB49_268
; %bb.263:
	s_cmp_gt_i32 s0, 0
	s_mov_b32 s0, 0
	s_cbranch_scc0 .LBB49_265
; %bb.264:
	global_load_sbyte v0, v[3:4], off
	s_waitcnt vmcnt(0)
	v_cvt_f64_i32_e32 v[0:1], v0
	s_branch .LBB49_266
.LBB49_265:
	s_mov_b32 s0, -1
                                        ; implicit-def: $vgpr0_vgpr1
.LBB49_266:
	s_andn2_b32 vcc_lo, exec_lo, s0
	s_cbranch_vccnz .LBB49_268
; %bb.267:
	global_load_ubyte v0, v[3:4], off
	s_waitcnt vmcnt(0)
	v_cvt_f64_u32_e32 v[0:1], v0
.LBB49_268:
	s_branch .LBB49_25
.LBB49_269:
	s_mov_b32 s0, 0
.LBB49_270:
	s_mov_b32 s1, 0
                                        ; implicit-def: $vgpr12
.LBB49_271:
	s_and_b32 s39, s0, exec_lo
	s_and_b32 s40, s40, exec_lo
	s_orn2_b32 s1, s1, exec_lo
.LBB49_272:
	s_or_b32 exec_lo, exec_lo, s41
	s_mov_b32 s2, 0
	s_mov_b32 s0, 0
                                        ; implicit-def: $vgpr0_vgpr1
                                        ; implicit-def: $vgpr2
                                        ; implicit-def: $vgpr3_vgpr4
	s_and_saveexec_b32 s41, s1
	s_cbranch_execz .LBB49_279
; %bb.273:
	s_mov_b32 s0, -1
	s_mov_b32 s42, s40
	s_mov_b32 s43, s39
	s_mov_b32 s44, exec_lo
	v_cmpx_gt_i32_e64 s36, v12
	s_cbranch_execz .LBB49_555
; %bb.274:
	s_andn2_b32 vcc_lo, exec_lo, s30
	s_cbranch_vccnz .LBB49_282
; %bb.275:
	s_andn2_b32 vcc_lo, exec_lo, s37
	s_cbranch_vccnz .LBB49_283
; %bb.276:
	s_add_i32 s7, s38, 1
	s_cmp_eq_u32 s28, 2
	s_cbranch_scc1 .LBB49_284
; %bb.277:
	s_waitcnt vmcnt(0)
	v_mov_b32_e32 v0, 0
	v_mov_b32_e32 v2, 0
	;; [unrolled: 1-line block ×3, first 2 shown]
	s_and_b32 s6, s7, 28
	s_mov_b32 s8, 0
	s_mov_b64 s[0:1], s[10:11]
	s_mov_b64 s[2:3], s[26:27]
.LBB49_278:                             ; =>This Inner Loop Header: Depth=1
	s_clause 0x1
	s_load_dwordx8 s[48:55], s[0:1], 0x4
	s_load_dwordx4 s[64:67], s[0:1], 0x24
	s_load_dwordx8 s[56:63], s[2:3], 0x0
	s_add_u32 s0, s0, 48
	s_addc_u32 s1, s1, 0
	s_add_i32 s8, s8, 4
	s_add_u32 s2, s2, 32
	s_addc_u32 s3, s3, 0
	s_cmp_eq_u32 s6, s8
	s_waitcnt lgkmcnt(0)
	v_mul_hi_u32 v3, s49, v1
	v_add_nc_u32_e32 v3, v1, v3
	v_lshrrev_b32_e32 v3, s50, v3
	v_mul_hi_u32 v4, s52, v3
	v_mul_lo_u32 v6, v3, s48
	v_add_nc_u32_e32 v4, v3, v4
	v_sub_nc_u32_e32 v1, v1, v6
	v_lshrrev_b32_e32 v4, s53, v4
	v_mul_lo_u32 v6, v1, s56
	v_mul_lo_u32 v8, v1, s57
	v_mul_hi_u32 v5, s55, v4
	v_add_nc_u32_e32 v5, v4, v5
	v_lshrrev_b32_e32 v5, s64, v5
	v_mul_hi_u32 v7, s66, v5
	v_mul_lo_u32 v9, v5, s54
	v_add_nc_u32_e32 v1, v5, v7
	v_mul_lo_u32 v7, v4, s51
	v_sub_nc_u32_e32 v4, v4, v9
	v_lshrrev_b32_e32 v1, s67, v1
	v_mul_lo_u32 v9, v4, s60
	v_mul_lo_u32 v4, v4, s61
	v_sub_nc_u32_e32 v3, v3, v7
	v_mul_lo_u32 v10, v1, s65
	v_mul_lo_u32 v7, v3, s58
	;; [unrolled: 1-line block ×3, first 2 shown]
	v_sub_nc_u32_e32 v5, v5, v10
	v_add3_u32 v2, v6, v2, v7
	v_mul_lo_u32 v10, v5, s62
	v_mul_lo_u32 v5, v5, s63
	v_add3_u32 v0, v8, v0, v3
	v_add3_u32 v2, v9, v2, v10
	;; [unrolled: 1-line block ×3, first 2 shown]
	s_cbranch_scc0 .LBB49_278
	s_branch .LBB49_285
.LBB49_279:
	s_or_b32 exec_lo, exec_lo, s41
	s_waitcnt lgkmcnt(0)
	s_mov_b32 s14, 0
	s_and_saveexec_b32 s1, s40
	s_cbranch_execnz .LBB49_939
.LBB49_280:
	s_or_b32 exec_lo, exec_lo, s1
	s_and_saveexec_b32 s1, s42
	s_xor_b32 s1, exec_lo, s1
	s_cbranch_execz .LBB49_940
.LBB49_281:
	s_waitcnt vmcnt(0)
	global_load_ubyte v3, v[0:1], off
	s_or_b32 s0, s0, exec_lo
	s_waitcnt vmcnt(0)
	v_cmp_ne_u16_e32 vcc_lo, 0, v3
	v_mov_b32_e32 v3, 0
	v_cndmask_b32_e64 v4, 0, 0x3ff00000, vcc_lo
	s_or_b32 exec_lo, exec_lo, s1
	s_and_saveexec_b32 s1, s2
	s_cbranch_execz .LBB49_986
	s_branch .LBB49_941
.LBB49_282:
                                        ; implicit-def: $vgpr2
                                        ; implicit-def: $vgpr0
	s_andn2_b32 vcc_lo, exec_lo, s0
	s_cbranch_vccz .LBB49_289
	s_branch .LBB49_291
.LBB49_283:
	v_mov_b32_e32 v2, 0
	s_waitcnt vmcnt(0)
	v_mov_b32_e32 v0, 0
	s_branch .LBB49_288
.LBB49_284:
	v_mov_b32_e32 v2, 0
	s_waitcnt vmcnt(0)
	v_mov_b32_e32 v0, 0
	v_mov_b32_e32 v1, v12
	s_mov_b32 s6, 0
.LBB49_285:
	s_and_b32 s7, s7, 3
	s_cmp_eq_u32 s7, 0
	s_cbranch_scc1 .LBB49_288
; %bb.286:
	s_lshl_b32 s0, s6, 3
	s_mul_i32 s2, s6, 12
	s_add_u32 s0, s10, s0
	s_addc_u32 s1, s11, 0
	s_add_u32 s0, s0, 0xc4
	s_addc_u32 s1, s1, 0
	;; [unrolled: 2-line block ×3, first 2 shown]
	.p2align	6
.LBB49_287:                             ; =>This Inner Loop Header: Depth=1
	s_clause 0x1
	s_load_dwordx2 s[42:43], s[2:3], 0x4
	s_load_dword s6, s[2:3], 0xc
	s_load_dwordx2 s[46:47], s[0:1], 0x0
	s_add_u32 s2, s2, 12
	s_addc_u32 s3, s3, 0
	s_add_u32 s0, s0, 8
	s_addc_u32 s1, s1, 0
	s_add_i32 s7, s7, -1
	s_cmp_lg_u32 s7, 0
	s_waitcnt lgkmcnt(0)
	v_mul_hi_u32 v3, s43, v1
	v_add_nc_u32_e32 v3, v1, v3
	v_lshrrev_b32_e32 v4, s6, v3
	v_mul_lo_u32 v3, v4, s42
	v_sub_nc_u32_e32 v1, v1, v3
	v_mad_u64_u32 v[2:3], null, v1, s46, v[2:3]
	v_mad_u64_u32 v[0:1], null, v1, s47, v[0:1]
	v_mov_b32_e32 v1, v4
	s_cbranch_scc1 .LBB49_287
.LBB49_288:
	s_cbranch_execnz .LBB49_291
.LBB49_289:
	s_waitcnt vmcnt(0) lgkmcnt(0)
	v_mul_hi_u32 v0, s21, v12
	s_andn2_b32 vcc_lo, exec_lo, s35
	v_add_nc_u32_e32 v0, v12, v0
	v_lshrrev_b32_e32 v1, s22, v0
	v_mul_lo_u32 v0, v1, s20
	v_sub_nc_u32_e32 v0, v12, v0
	v_mul_lo_u32 v2, v0, s16
	v_mul_lo_u32 v0, v0, s17
	s_cbranch_vccnz .LBB49_291
; %bb.290:
	v_mul_hi_u32 v3, s24, v1
	v_add_nc_u32_e32 v3, v1, v3
	v_lshrrev_b32_e32 v3, s25, v3
	v_mul_lo_u32 v3, v3, s23
	v_sub_nc_u32_e32 v1, v1, v3
	v_mad_u64_u32 v[2:3], null, v1, s18, v[2:3]
	v_mad_u64_u32 v[0:1], null, v1, s19, v[0:1]
.LBB49_291:
	s_waitcnt vmcnt(0) lgkmcnt(0)
	v_add_co_u32 v3, s0, s14, v0
	v_add_co_ci_u32_e64 v4, null, s15, 0, s0
	s_and_b32 s0, 0xffff, s34
	s_cmp_lt_i32 s0, 11
	s_cbranch_scc1 .LBB49_298
; %bb.292:
	s_cmp_gt_i32 s0, 25
	s_cbranch_scc0 .LBB49_313
; %bb.293:
	s_cmp_gt_i32 s0, 28
	s_cbranch_scc0 .LBB49_315
	;; [unrolled: 3-line block ×4, first 2 shown]
; %bb.296:
	s_cmp_eq_u32 s0, 46
	s_mov_b32 s2, 0
	s_cbranch_scc0 .LBB49_325
; %bb.297:
	global_load_dword v0, v[3:4], off
	s_mov_b32 s1, -1
	s_mov_b32 s42, 0
	s_waitcnt vmcnt(0)
	v_lshlrev_b32_e32 v0, 16, v0
	v_cvt_f64_f32_e32 v[0:1], v0
	s_branch .LBB49_327
.LBB49_298:
	s_mov_b32 s1, 0
	s_mov_b32 s42, s40
                                        ; implicit-def: $vgpr0_vgpr1
	s_cbranch_execnz .LBB49_504
.LBB49_299:
	s_andn2_b32 vcc_lo, exec_lo, s1
	s_cbranch_vccnz .LBB49_552
.LBB49_300:
	v_mov_b32_e32 v5, 0
	v_mov_b32_e32 v3, 0
	;; [unrolled: 1-line block ×4, first 2 shown]
	s_mov_b32 s2, exec_lo
	s_waitcnt vmcnt(0)
	v_cmpx_gt_f64_e32 0.5, v[0:1]
	s_cbranch_execz .LBB49_306
; %bb.301:
	s_mov_b32 s1, 0x400921fb
	s_mov_b32 s0, 0x54442d18
	s_mov_b32 s3, exec_lo
	v_mul_f64 v[3:4], v[0:1], s[0:1]
                                        ; implicit-def: $vgpr9
                                        ; implicit-def: $vgpr5_vgpr6
                                        ; implicit-def: $vgpr7_vgpr8
	v_cmpx_ngt_f64_e64 0x41d00000, |v[3:4]|
	s_xor_b32 s3, exec_lo, s3
	s_cbranch_execz .LBB49_303
; %bb.302:
	v_ldexp_f64 v[5:6], |v[3:4]|, 0xffffff80
	v_cmp_le_f64_e64 vcc_lo, 0x7b000000, |v[3:4]|
	v_trig_preop_f64 v[7:8], |v[3:4]|, 0
	v_and_b32_e32 v9, 0x7fffffff, v4
	v_trig_preop_f64 v[21:22], |v[3:4]|, 2
	v_mov_b32_e32 v29, 0
	s_mov_b32 s1, 0x3ff921fb
	s_mov_b32 s6, 0x33145c07
	;; [unrolled: 1-line block ×3, first 2 shown]
	v_cndmask_b32_e32 v6, v9, v6, vcc_lo
	v_cndmask_b32_e32 v5, v3, v5, vcc_lo
	v_trig_preop_f64 v[9:10], |v[3:4]|, 1
	v_mul_f64 v[13:14], v[7:8], v[5:6]
	v_mul_f64 v[27:28], v[21:22], v[5:6]
	;; [unrolled: 1-line block ×3, first 2 shown]
	v_fma_f64 v[7:8], v[7:8], v[5:6], -v[13:14]
	v_fma_f64 v[9:10], v[9:10], v[5:6], -v[15:16]
	;; [unrolled: 1-line block ×3, first 2 shown]
	v_add_f64 v[17:18], v[15:16], v[7:8]
	v_add_f64 v[19:20], v[17:18], -v[15:16]
	v_add_f64 v[25:26], v[13:14], v[17:18]
	v_add_f64 v[23:24], v[17:18], -v[19:20]
	v_add_f64 v[7:8], v[7:8], -v[19:20]
	v_ldexp_f64 v[19:20], v[25:26], -2
	v_add_f64 v[13:14], v[25:26], -v[13:14]
	v_add_f64 v[15:16], v[15:16], -v[23:24]
	v_add_f64 v[23:24], v[27:28], v[9:10]
	v_cmp_neq_f64_e64 vcc_lo, 0x7ff00000, |v[19:20]|
	v_add_f64 v[13:14], v[17:18], -v[13:14]
	v_add_f64 v[7:8], v[7:8], v[15:16]
	v_fract_f64_e32 v[15:16], v[19:20]
	v_add_f64 v[17:18], v[23:24], v[7:8]
	v_ldexp_f64 v[15:16], v[15:16], 2
	v_add_f64 v[19:20], v[13:14], v[17:18]
	v_cndmask_b32_e32 v16, 0, v16, vcc_lo
	v_cndmask_b32_e32 v15, 0, v15, vcc_lo
	v_add_f64 v[25:26], v[19:20], v[15:16]
	v_add_f64 v[13:14], v[19:20], -v[13:14]
	v_cmp_gt_f64_e32 vcc_lo, 0, v[25:26]
	v_add_f64 v[25:26], v[23:24], -v[27:28]
	v_add_f64 v[13:14], v[17:18], -v[13:14]
	v_cndmask_b32_e64 v30, 0, 0x40100000, vcc_lo
	v_add_f64 v[34:35], v[23:24], -v[25:26]
	v_add_f64 v[9:10], v[9:10], -v[25:26]
	v_add_f64 v[15:16], v[15:16], v[29:30]
	v_add_f64 v[30:31], v[17:18], -v[23:24]
	v_add_f64 v[25:26], v[27:28], -v[34:35]
	v_add_f64 v[32:33], v[19:20], v[15:16]
	;; [unrolled: 3-line block ×3, first 2 shown]
	v_cvt_i32_f64_e32 v32, v[32:33]
	v_add_f64 v[23:24], v[23:24], -v[36:37]
	v_cvt_f64_i32_e32 v[30:31], v32
	v_add_f64 v[7:8], v[7:8], v[23:24]
	v_add_f64 v[15:16], v[15:16], -v[30:31]
	v_add_f64 v[7:8], v[9:10], v[7:8]
	v_add_f64 v[10:11], v[19:20], v[15:16]
	v_add_f64 v[5:6], v[5:6], v[7:8]
	v_add_f64 v[7:8], v[10:11], -v[15:16]
	v_cmp_le_f64_e32 vcc_lo, 0.5, v[10:11]
	v_add_f64 v[5:6], v[13:14], v[5:6]
	v_add_f64 v[7:8], v[19:20], -v[7:8]
	v_cndmask_b32_e64 v30, 0, 0x3ff00000, vcc_lo
	v_add_co_ci_u32_e64 v9, null, 0, v32, vcc_lo
	v_add_f64 v[5:6], v[5:6], v[7:8]
	v_add_f64 v[7:8], v[10:11], -v[29:30]
	v_add_f64 v[10:11], v[7:8], v[5:6]
	v_mul_f64 v[13:14], v[10:11], s[0:1]
	v_add_f64 v[7:8], v[10:11], -v[7:8]
	v_fma_f64 v[15:16], v[10:11], s[0:1], -v[13:14]
	v_add_f64 v[5:6], v[5:6], -v[7:8]
	v_fma_f64 v[7:8], v[10:11], s[6:7], v[15:16]
	v_fma_f64 v[7:8], v[5:6], s[0:1], v[7:8]
	v_add_f64 v[5:6], v[13:14], v[7:8]
	v_add_f64 v[10:11], v[5:6], -v[13:14]
	v_add_f64 v[7:8], v[7:8], -v[10:11]
.LBB49_303:
	s_andn2_saveexec_b32 s0, s3
	s_cbranch_execz .LBB49_305
; %bb.304:
	s_mov_b32 s6, 0x6dc9c883
	s_mov_b32 s7, 0x3fe45f30
	;; [unrolled: 1-line block ×3, first 2 shown]
	v_mul_f64 v[5:6], |v[3:4]|, s[6:7]
	s_mov_b32 s6, 0x54442d18
	s_mov_b32 s7, 0xbff921fb
	;; [unrolled: 1-line block ×3, first 2 shown]
	v_rndne_f64_e32 v[9:10], v[5:6]
	v_fma_f64 v[5:6], v[9:10], s[6:7], |v[3:4]|
	v_mul_f64 v[7:8], v[9:10], s[46:47]
	s_mov_b32 s6, 0x252049c0
	s_mov_b32 s7, 0xb97b839a
	v_fma_f64 v[15:16], v[9:10], s[46:47], v[5:6]
	v_add_f64 v[13:14], v[5:6], v[7:8]
	s_mov_b32 s47, 0x3c91a626
	v_add_f64 v[5:6], v[5:6], -v[13:14]
	v_add_f64 v[13:14], v[13:14], -v[15:16]
	v_add_f64 v[5:6], v[5:6], v[7:8]
	v_fma_f64 v[7:8], v[9:10], s[46:47], v[7:8]
	v_add_f64 v[5:6], v[13:14], v[5:6]
	v_add_f64 v[5:6], v[5:6], -v[7:8]
	v_fma_f64 v[7:8], v[9:10], s[6:7], v[5:6]
	v_cvt_i32_f64_e32 v9, v[9:10]
	v_add_f64 v[5:6], v[15:16], v[7:8]
	v_add_f64 v[13:14], v[5:6], -v[15:16]
	v_add_f64 v[7:8], v[7:8], -v[13:14]
.LBB49_305:
	s_or_b32 exec_lo, exec_lo, s0
	v_mul_f64 v[10:11], v[5:6], v[5:6]
	s_mov_b32 s0, 0xb42fdfa7
	s_mov_b32 s6, 0xf9a43bb8
	;; [unrolled: 1-line block ×6, first 2 shown]
	v_mul_f64 v[21:22], v[7:8], 0.5
	v_add_f64 v[0:1], -v[0:1], 1.0
	v_fma_f64 v[13:14], v[10:11], s[6:7], s[0:1]
	s_mov_b32 s0, 0x9037ab78
	s_mov_b32 s6, 0x46cc5e42
	;; [unrolled: 1-line block ×4, first 2 shown]
	v_mul_f64 v[17:18], v[10:11], 0.5
	v_fma_f64 v[15:16], v[10:11], s[6:7], s[0:1]
	s_mov_b32 s0, 0xa17f65f6
	s_mov_b32 s6, 0x19e83e5c
	s_mov_b32 s1, 0xbe927e4f
	s_mov_b32 s7, 0xbf2a01a0
	v_mul_f64 v[23:24], v[5:6], -v[10:11]
	v_fma_f64 v[13:14], v[10:11], v[13:14], s[46:47]
	v_add_f64 v[19:20], -v[17:18], 1.0
	v_fma_f64 v[15:16], v[10:11], v[15:16], s[0:1]
	s_mov_b32 s0, 0x19f4ec90
	s_mov_b32 s1, 0x3efa01a0
	v_fma_f64 v[13:14], v[10:11], v[13:14], s[6:7]
	s_mov_b32 s6, 0x11110bb3
	s_mov_b32 s7, 0x3f811111
	v_add_f64 v[25:26], -v[19:20], 1.0
	v_fma_f64 v[15:16], v[10:11], v[15:16], s[0:1]
	s_mov_b32 s0, 0x16c16967
	s_mov_b32 s1, 0xbf56c16c
	v_fma_f64 v[13:14], v[10:11], v[13:14], s[6:7]
	v_add_f64 v[17:18], v[25:26], -v[17:18]
	v_fma_f64 v[15:16], v[10:11], v[15:16], s[0:1]
	s_mov_b32 s1, 0x3fa55555
	s_mov_b32 s0, 0x55555555
	v_fma_f64 v[13:14], v[23:24], v[13:14], v[21:22]
	v_mul_f64 v[21:22], v[10:11], v[10:11]
	v_fma_f64 v[17:18], v[5:6], -v[7:8], v[17:18]
	v_fma_f64 v[15:16], v[10:11], v[15:16], s[0:1]
	s_mov_b32 s1, 0xbfc55555
	v_fma_f64 v[7:8], v[10:11], v[13:14], -v[7:8]
	v_fma_f64 v[10:11], v[21:22], v[15:16], v[17:18]
	v_fma_f64 v[7:8], v[23:24], s[0:1], v[7:8]
	v_cmp_class_f64_e64 s0, v[3:4], 0x1f8
	v_lshlrev_b32_e32 v3, 30, v9
	v_add_f64 v[10:11], v[19:20], v[10:11]
	v_xor_b32_e32 v3, v3, v4
	v_and_b32_e32 v3, 0x80000000, v3
	v_add_f64 v[5:6], v[5:6], -v[7:8]
	v_and_b32_e32 v7, 1, v9
	v_cmp_eq_u32_e32 vcc_lo, 0, v7
	v_cndmask_b32_e32 v4, v11, v6, vcc_lo
	v_cndmask_b32_e32 v5, v10, v5, vcc_lo
	v_xor_b32_e32 v4, v4, v3
	v_cndmask_b32_e64 v3, 0, v5, s0
	v_cndmask_b32_e64 v4, 0x7ff80000, v4, s0
	s_mov_b32 s0, 0xc9be45de
	s_mov_b32 s1, 0xc023bd3c
	v_mul_f64 v[3:4], v[3:4], v[3:4]
	v_div_scale_f64 v[5:6], null, v[3:4], v[3:4], s[0:1]
	v_div_scale_f64 v[13:14], vcc_lo, s[0:1], v[3:4], s[0:1]
	v_rcp_f64_e32 v[7:8], v[5:6]
	v_fma_f64 v[9:10], -v[5:6], v[7:8], 1.0
	v_fma_f64 v[7:8], v[7:8], v[9:10], v[7:8]
	v_fma_f64 v[9:10], -v[5:6], v[7:8], 1.0
	v_fma_f64 v[7:8], v[7:8], v[9:10], v[7:8]
	v_mul_f64 v[9:10], v[13:14], v[7:8]
	v_fma_f64 v[5:6], -v[5:6], v[9:10], v[13:14]
	v_div_fmas_f64 v[5:6], v[5:6], v[7:8], v[9:10]
	v_div_fixup_f64 v[3:4], v[5:6], v[3:4], s[0:1]
	v_add_f64 v[5:6], v[3:4], 0
	v_mov_b32_e32 v3, 0
	v_mov_b32_e32 v4, 0xbff00000
.LBB49_306:
	s_or_b32 exec_lo, exec_lo, s2
	v_add_f64 v[7:8], v[0:1], 1.0
	v_mul_f64 v[0:1], v[0:1], v[0:1]
	v_add_f64 v[9:10], v[7:8], 1.0
	v_mul_f64 v[7:8], v[7:8], v[7:8]
	v_div_scale_f64 v[23:24], null, v[0:1], v[0:1], 1.0
	v_div_scale_f64 v[71:72], vcc_lo, 1.0, v[0:1], 1.0
	v_add_f64 v[13:14], v[9:10], 1.0
	v_mul_f64 v[9:10], v[9:10], v[9:10]
	v_div_scale_f64 v[25:26], null, v[7:8], v[7:8], 1.0
	v_rcp_f64_e32 v[39:40], v[23:24]
	v_add_f64 v[15:16], v[13:14], 1.0
	v_mul_f64 v[13:14], v[13:14], v[13:14]
	v_div_scale_f64 v[27:28], null, v[9:10], v[9:10], 1.0
	v_rcp_f64_e32 v[41:42], v[25:26]
	v_fma_f64 v[55:56], -v[23:24], v[39:40], 1.0
	v_add_f64 v[17:18], v[15:16], 1.0
	v_mul_f64 v[15:16], v[15:16], v[15:16]
	v_div_scale_f64 v[29:30], null, v[13:14], v[13:14], 1.0
	v_rcp_f64_e32 v[43:44], v[27:28]
	v_fma_f64 v[57:58], -v[25:26], v[41:42], 1.0
	v_fma_f64 v[39:40], v[39:40], v[55:56], v[39:40]
	v_add_f64 v[19:20], v[17:18], 1.0
	v_mul_f64 v[17:18], v[17:18], v[17:18]
	v_div_scale_f64 v[31:32], null, v[15:16], v[15:16], 1.0
	v_rcp_f64_e32 v[45:46], v[29:30]
	v_fma_f64 v[59:60], -v[27:28], v[43:44], 1.0
	v_fma_f64 v[41:42], v[41:42], v[57:58], v[41:42]
	v_fma_f64 v[57:58], -v[23:24], v[39:40], 1.0
	v_mul_f64 v[21:22], v[19:20], v[19:20]
	v_div_scale_f64 v[33:34], null, v[17:18], v[17:18], 1.0
	v_add_f64 v[35:36], v[19:20], v[19:20]
	v_rcp_f64_e32 v[47:48], v[31:32]
	v_fma_f64 v[61:62], -v[29:30], v[45:46], 1.0
	v_fma_f64 v[43:44], v[43:44], v[59:60], v[43:44]
	v_fma_f64 v[59:60], -v[25:26], v[41:42], 1.0
	v_fma_f64 v[39:40], v[39:40], v[57:58], v[39:40]
	v_div_scale_f64 v[57:58], s0, 1.0, v[7:8], 1.0
	v_div_scale_f64 v[37:38], null, v[21:22], v[21:22], 1.0
	v_rcp_f64_e32 v[49:50], v[33:34]
	v_div_scale_f64 v[51:52], null, v[35:36], v[35:36], 1.0
	v_div_scale_f64 v[73:74], s7, 1.0, v[21:22], 1.0
	v_fma_f64 v[63:64], -v[31:32], v[47:48], 1.0
	v_fma_f64 v[45:46], v[45:46], v[61:62], v[45:46]
	v_fma_f64 v[61:62], -v[27:28], v[43:44], 1.0
	v_fma_f64 v[41:42], v[41:42], v[59:60], v[41:42]
	v_div_scale_f64 v[59:60], s1, 1.0, v[9:10], 1.0
	v_div_scale_f64 v[83:84], s8, 1.0, v[35:36], 1.0
	v_rcp_f64_e32 v[53:54], v[37:38]
	v_rcp_f64_e32 v[65:66], v[51:52]
	v_fma_f64 v[67:68], -v[33:34], v[49:50], 1.0
	v_fma_f64 v[47:48], v[47:48], v[63:64], v[47:48]
	v_fma_f64 v[63:64], -v[29:30], v[45:46], 1.0
	v_fma_f64 v[43:44], v[43:44], v[61:62], v[43:44]
	v_div_scale_f64 v[61:62], s2, 1.0, v[13:14], 1.0
	v_mul_f64 v[75:76], v[57:58], v[41:42]
	v_fma_f64 v[69:70], -v[37:38], v[53:54], 1.0
	v_fma_f64 v[49:50], v[49:50], v[67:68], v[49:50]
	v_fma_f64 v[55:56], -v[51:52], v[65:66], 1.0
	v_fma_f64 v[67:68], -v[31:32], v[47:48], 1.0
	v_fma_f64 v[45:46], v[45:46], v[63:64], v[45:46]
	v_div_scale_f64 v[63:64], s3, 1.0, v[15:16], 1.0
	v_mul_f64 v[77:78], v[59:60], v[43:44]
	v_fma_f64 v[25:26], -v[25:26], v[75:76], v[57:58]
	v_fma_f64 v[53:54], v[53:54], v[69:70], v[53:54]
	v_fma_f64 v[69:70], -v[33:34], v[49:50], 1.0
	v_fma_f64 v[55:56], v[65:66], v[55:56], v[65:66]
	v_fma_f64 v[47:48], v[47:48], v[67:68], v[47:48]
	v_div_scale_f64 v[67:68], s6, 1.0, v[17:18], 1.0
	v_mul_f64 v[79:80], v[61:62], v[45:46]
	v_fma_f64 v[27:28], -v[27:28], v[77:78], v[59:60]
	v_fma_f64 v[65:66], -v[37:38], v[53:54], 1.0
	v_fma_f64 v[49:50], v[49:50], v[69:70], v[49:50]
	v_fma_f64 v[69:70], -v[51:52], v[55:56], 1.0
	v_mul_f64 v[81:82], v[63:64], v[47:48]
	v_fma_f64 v[29:30], -v[29:30], v[79:80], v[61:62]
	v_fma_f64 v[53:54], v[53:54], v[65:66], v[53:54]
	v_mul_f64 v[65:66], v[71:72], v[39:40]
	v_mul_f64 v[85:86], v[67:68], v[49:50]
	v_fma_f64 v[55:56], v[55:56], v[69:70], v[55:56]
	v_fma_f64 v[31:32], -v[31:32], v[81:82], v[63:64]
	v_mul_f64 v[69:70], v[73:74], v[53:54]
	v_fma_f64 v[23:24], -v[23:24], v[65:66], v[71:72]
	v_fma_f64 v[33:34], -v[33:34], v[85:86], v[67:68]
	v_mul_f64 v[57:58], v[83:84], v[55:56]
	v_fma_f64 v[37:38], -v[37:38], v[69:70], v[73:74]
	v_div_fmas_f64 v[23:24], v[23:24], v[39:40], v[65:66]
	s_mov_b32 vcc_lo, s0
	v_fma_f64 v[39:40], -v[51:52], v[57:58], v[83:84]
	v_div_fmas_f64 v[25:26], v[25:26], v[41:42], v[75:76]
	s_mov_b32 vcc_lo, s1
	s_mov_b32 s0, 0x11111111
	v_div_fmas_f64 v[27:28], v[27:28], v[43:44], v[77:78]
	s_mov_b32 vcc_lo, s2
	s_mov_b32 s1, 0x3fa11111
	;; [unrolled: 3-line block ×4, first 2 shown]
	v_div_fmas_f64 v[33:34], v[33:34], v[49:50], v[85:86]
	s_mov_b32 vcc_lo, s7
	v_div_fmas_f64 v[37:38], v[37:38], v[53:54], v[69:70]
	s_mov_b32 vcc_lo, s8
	v_div_fixup_f64 v[0:1], v[23:24], v[0:1], 1.0
	v_div_fmas_f64 v[39:40], v[39:40], v[55:56], v[57:58]
	v_div_fixup_f64 v[21:22], v[37:38], v[21:22], 1.0
	v_add_f64 v[0:1], v[5:6], v[0:1]
	v_div_fixup_f64 v[35:36], v[39:40], v[35:36], 1.0
	v_div_fixup_f64 v[5:6], v[25:26], v[7:8], 1.0
	v_fma_f64 v[37:38], v[21:22], s[2:3], s[0:1]
	s_mov_b32 s0, 0x55555555
	s_mov_b32 s1, 0x3fc55555
	v_add_f64 v[35:36], v[35:36], 1.0
	v_add_f64 v[0:1], v[0:1], v[5:6]
	v_div_fixup_f64 v[5:6], v[27:28], v[9:10], 1.0
	v_fma_f64 v[37:38], -v[21:22], v[37:38], s[0:1]
	s_and_b32 s1, s33, 0xff
	s_cmp_lt_i32 s1, 11
	v_add_f64 v[0:1], v[0:1], v[5:6]
	v_div_fixup_f64 v[5:6], v[29:30], v[13:14], 1.0
	v_fma_f64 v[21:22], v[21:22], v[37:38], v[35:36]
	v_add_f64 v[0:1], v[0:1], v[5:6]
	v_div_fixup_f64 v[5:6], v[31:32], v[15:16], 1.0
	v_div_scale_f64 v[35:36], null, v[19:20], v[19:20], v[21:22]
	v_div_scale_f64 v[9:10], vcc_lo, v[21:22], v[19:20], v[21:22]
	v_add_f64 v[0:1], v[0:1], v[5:6]
	v_div_fixup_f64 v[5:6], v[33:34], v[17:18], 1.0
	v_rcp_f64_e32 v[37:38], v[35:36]
	v_add_f64 v[0:1], v[0:1], v[5:6]
	v_fma_f64 v[39:40], -v[35:36], v[37:38], 1.0
	v_fma_f64 v[23:24], v[37:38], v[39:40], v[37:38]
	v_fma_f64 v[7:8], -v[35:36], v[23:24], 1.0
	v_fma_f64 v[7:8], v[23:24], v[7:8], v[23:24]
	v_mul_f64 v[13:14], v[9:10], v[7:8]
	v_fma_f64 v[9:10], -v[35:36], v[13:14], v[9:10]
	v_div_fmas_f64 v[7:8], v[9:10], v[7:8], v[13:14]
	v_div_fixup_f64 v[5:6], v[7:8], v[19:20], v[21:22]
	v_add_f64 v[0:1], v[0:1], v[5:6]
	v_mul_f64 v[0:1], v[3:4], v[0:1]
	v_add_co_u32 v4, s0, s12, v2
	v_add_co_ci_u32_e64 v5, null, s13, 0, s0
	s_cbranch_scc1 .LBB49_314
; %bb.307:
	s_and_b32 s2, 0xffff, s1
	s_cmp_gt_i32 s2, 25
	s_cbranch_scc0 .LBB49_316
; %bb.308:
	s_cmp_gt_i32 s2, 28
	s_cbranch_scc0 .LBB49_318
; %bb.309:
	;; [unrolled: 3-line block ×4, first 2 shown]
	s_mov_b32 s6, 0
	s_mov_b32 s0, -1
	s_cmp_eq_u32 s2, 46
	s_mov_b32 s3, 0
	s_cbranch_scc0 .LBB49_331
; %bb.312:
	v_cvt_f32_f64_e32 v2, v[0:1]
	s_mov_b32 s3, -1
	s_mov_b32 s0, 0
	v_bfe_u32 v3, v2, 16, 1
	v_cmp_o_f32_e32 vcc_lo, v2, v2
	v_add3_u32 v2, v2, v3, 0x7fff
	v_mov_b32_e32 v3, 0x7fc0
	v_cndmask_b32_sdwa v2, v3, v2, vcc_lo dst_sel:DWORD dst_unused:UNUSED_PAD src0_sel:DWORD src1_sel:WORD_1
	global_store_dword v[4:5], v2, off
	s_branch .LBB49_331
.LBB49_313:
	s_mov_b32 s2, -1
	s_mov_b32 s1, 0
	s_mov_b32 s42, s40
                                        ; implicit-def: $vgpr0_vgpr1
	s_branch .LBB49_470
.LBB49_314:
	s_mov_b32 s2, -1
	s_mov_b32 s3, 0
	s_mov_b32 s0, s39
	s_branch .LBB49_400
.LBB49_315:
	s_mov_b32 s2, -1
	s_mov_b32 s1, 0
	s_mov_b32 s42, s40
                                        ; implicit-def: $vgpr0_vgpr1
	s_branch .LBB49_449
.LBB49_316:
	s_mov_b32 s6, -1
	s_mov_b32 s3, 0
	s_mov_b32 s0, s39
	s_branch .LBB49_358
.LBB49_317:
	s_mov_b32 s2, -1
	s_mov_b32 s1, 0
	s_mov_b32 s42, s40
                                        ; implicit-def: $vgpr0_vgpr1
	s_branch .LBB49_444
.LBB49_318:
	s_mov_b32 s6, -1
	s_mov_b32 s3, 0
	s_mov_b32 s0, s39
	s_branch .LBB49_341
.LBB49_319:
	s_andn2_saveexec_b32 s7, s7
	s_cbranch_execz .LBB49_74
.LBB49_320:
	v_add_f32_e64 v3, 0x46000000, |v2|
	s_andn2_b32 s6, s6, exec_lo
	v_and_b32_e32 v3, 0xff, v3
	v_cmp_ne_u32_e32 vcc_lo, 0, v3
	s_and_b32 s8, vcc_lo, exec_lo
	s_or_b32 s6, s6, s8
	s_or_b32 exec_lo, exec_lo, s7
	v_mov_b32_e32 v6, 0
	s_and_saveexec_b32 s7, s6
	s_cbranch_execnz .LBB49_75
	s_branch .LBB49_76
.LBB49_321:
	s_mov_b32 s2, -1
	s_mov_b32 s1, 0
	s_mov_b32 s42, s40
	s_branch .LBB49_326
.LBB49_322:
	s_mov_b32 s6, -1
	s_mov_b32 s3, 0
	s_mov_b32 s0, s39
	s_branch .LBB49_337
.LBB49_323:
	s_andn2_saveexec_b32 s7, s7
	s_cbranch_execz .LBB49_87
.LBB49_324:
	v_add_f32_e64 v3, 0x42800000, |v2|
	s_andn2_b32 s6, s6, exec_lo
	v_and_b32_e32 v3, 0xff, v3
	v_cmp_ne_u32_e32 vcc_lo, 0, v3
	s_and_b32 s8, vcc_lo, exec_lo
	s_or_b32 s6, s6, s8
	s_or_b32 exec_lo, exec_lo, s7
	v_mov_b32_e32 v6, 0
	s_and_saveexec_b32 s7, s6
	s_cbranch_execnz .LBB49_88
	s_branch .LBB49_89
.LBB49_325:
	s_mov_b32 s42, -1
	s_mov_b32 s1, 0
.LBB49_326:
                                        ; implicit-def: $vgpr0_vgpr1
.LBB49_327:
	s_and_b32 vcc_lo, exec_lo, s2
	s_cbranch_vccz .LBB49_443
; %bb.328:
	s_cmp_eq_u32 s0, 44
	s_cbranch_scc0 .LBB49_442
; %bb.329:
	global_load_ubyte v5, v[3:4], off
	s_mov_b32 s42, 0
	s_mov_b32 s1, -1
	s_waitcnt vmcnt(0)
	v_lshlrev_b32_e32 v0, 23, v5
	v_cmp_ne_u32_e32 vcc_lo, 0xff, v5
	v_cvt_f64_f32_e32 v[0:1], v0
	v_cndmask_b32_e32 v0, 0x20000000, v0, vcc_lo
	v_cndmask_b32_e32 v1, 0x7ff80000, v1, vcc_lo
	v_cmp_ne_u32_e32 vcc_lo, 0, v5
	v_cndmask_b32_e32 v1, 0x38000000, v1, vcc_lo
	v_cndmask_b32_e32 v0, 0, v0, vcc_lo
	s_branch .LBB49_443
.LBB49_330:
	s_mov_b32 s6, -1
	s_mov_b32 s3, 0
	s_mov_b32 s0, s39
.LBB49_331:
	s_and_b32 vcc_lo, exec_lo, s6
	s_cbranch_vccz .LBB49_336
; %bb.332:
	s_cmp_eq_u32 s2, 44
	s_mov_b32 s0, -1
	s_cbranch_scc0 .LBB49_336
; %bb.333:
	v_cvt_f32_f64_e32 v2, v[0:1]
	v_mov_b32_e32 v3, 0xff
	s_mov_b32 s3, exec_lo
	v_bfe_u32 v6, v2, 23, 8
	v_cmpx_ne_u32_e32 0xff, v6
	s_cbranch_execz .LBB49_335
; %bb.334:
	v_and_b32_e32 v3, 0x400000, v2
	v_and_or_b32 v6, 0x3fffff, v2, v6
	v_lshrrev_b32_e32 v2, 23, v2
	v_cmp_ne_u32_e32 vcc_lo, 0, v3
	v_cmp_ne_u32_e64 s0, 0, v6
	s_and_b32 s0, vcc_lo, s0
	v_cndmask_b32_e64 v3, 0, 1, s0
	v_add_nc_u32_e32 v3, v2, v3
.LBB49_335:
	s_or_b32 exec_lo, exec_lo, s3
	s_mov_b32 s3, -1
	s_mov_b32 s0, 0
	global_store_byte v[4:5], v3, off
.LBB49_336:
	s_mov_b32 s6, 0
.LBB49_337:
	s_and_b32 vcc_lo, exec_lo, s6
	s_cbranch_vccz .LBB49_340
; %bb.338:
	s_cmp_eq_u32 s2, 29
	s_mov_b32 s0, -1
	s_cbranch_scc0 .LBB49_340
; %bb.339:
	v_trunc_f64_e32 v[2:3], v[0:1]
	s_mov_b32 s3, -1
	s_mov_b32 s0, 0
	s_mov_b32 s6, 0
	v_ldexp_f64 v[6:7], v[2:3], 0xffffffe0
	v_floor_f64_e32 v[6:7], v[6:7]
	v_fma_f64 v[2:3], 0xc1f00000, v[6:7], v[2:3]
	v_cvt_u32_f64_e32 v7, v[6:7]
	v_cvt_u32_f64_e32 v6, v[2:3]
	global_store_dwordx2 v[4:5], v[6:7], off
	s_branch .LBB49_341
.LBB49_340:
	s_mov_b32 s6, 0
.LBB49_341:
	s_and_b32 vcc_lo, exec_lo, s6
	s_cbranch_vccz .LBB49_357
; %bb.342:
	s_cmp_lt_i32 s2, 27
	s_mov_b32 s3, -1
	s_cbranch_scc1 .LBB49_348
; %bb.343:
	v_cvt_u32_f64_e32 v2, v[0:1]
	s_cmp_gt_i32 s2, 27
	s_cbranch_scc0 .LBB49_345
; %bb.344:
	s_mov_b32 s3, 0
	global_store_dword v[4:5], v2, off
.LBB49_345:
	s_andn2_b32 vcc_lo, exec_lo, s3
	s_cbranch_vccnz .LBB49_347
; %bb.346:
	global_store_short v[4:5], v2, off
.LBB49_347:
	s_mov_b32 s3, 0
.LBB49_348:
	s_andn2_b32 vcc_lo, exec_lo, s3
	s_cbranch_vccnz .LBB49_356
; %bb.349:
	v_cvt_f32_f64_e32 v2, v[0:1]
	v_mov_b32_e32 v6, 0x80
	s_mov_b32 s3, exec_lo
	v_and_b32_e32 v3, 0x7fffffff, v2
	v_cmpx_gt_u32_e32 0x43800000, v3
	s_cbranch_execz .LBB49_355
; %bb.350:
	v_cmp_lt_u32_e32 vcc_lo, 0x3bffffff, v3
	s_mov_b32 s6, 0
                                        ; implicit-def: $vgpr3
	s_and_saveexec_b32 s7, vcc_lo
	s_xor_b32 s7, exec_lo, s7
	s_cbranch_execz .LBB49_583
; %bb.351:
	v_bfe_u32 v3, v2, 20, 1
	s_mov_b32 s6, exec_lo
	v_add3_u32 v3, v2, v3, 0x487ffff
	v_lshrrev_b32_e32 v3, 20, v3
	s_andn2_saveexec_b32 s7, s7
	s_cbranch_execnz .LBB49_584
.LBB49_352:
	s_or_b32 exec_lo, exec_lo, s7
	v_mov_b32_e32 v6, 0
	s_and_saveexec_b32 s7, s6
.LBB49_353:
	v_lshrrev_b32_e32 v2, 24, v2
	v_and_or_b32 v6, 0x80, v2, v3
.LBB49_354:
	s_or_b32 exec_lo, exec_lo, s7
.LBB49_355:
	s_or_b32 exec_lo, exec_lo, s3
	global_store_byte v[4:5], v6, off
.LBB49_356:
	s_mov_b32 s3, -1
.LBB49_357:
	s_mov_b32 s6, 0
.LBB49_358:
	s_and_b32 vcc_lo, exec_lo, s6
	s_cbranch_vccz .LBB49_399
; %bb.359:
	s_cmp_gt_i32 s2, 22
	s_mov_b32 s6, -1
	s_cbranch_scc0 .LBB49_391
; %bb.360:
	s_cmp_lt_i32 s2, 24
	s_mov_b32 s3, -1
	s_cbranch_scc1 .LBB49_380
; %bb.361:
	s_cmp_gt_i32 s2, 24
	s_cbranch_scc0 .LBB49_369
; %bb.362:
	v_cvt_f32_f64_e32 v2, v[0:1]
	v_mov_b32_e32 v6, 0x80
	s_mov_b32 s3, exec_lo
	v_and_b32_e32 v3, 0x7fffffff, v2
	v_cmpx_gt_u32_e32 0x47800000, v3
	s_cbranch_execz .LBB49_368
; %bb.363:
	v_cmp_lt_u32_e32 vcc_lo, 0x37ffffff, v3
	s_mov_b32 s6, 0
                                        ; implicit-def: $vgpr3
	s_and_saveexec_b32 s7, vcc_lo
	s_xor_b32 s7, exec_lo, s7
	s_cbranch_execz .LBB49_586
; %bb.364:
	v_bfe_u32 v3, v2, 21, 1
	s_mov_b32 s6, exec_lo
	v_add3_u32 v3, v2, v3, 0x88fffff
	v_lshrrev_b32_e32 v3, 21, v3
	s_andn2_saveexec_b32 s7, s7
	s_cbranch_execnz .LBB49_587
.LBB49_365:
	s_or_b32 exec_lo, exec_lo, s7
	v_mov_b32_e32 v6, 0
	s_and_saveexec_b32 s7, s6
.LBB49_366:
	v_lshrrev_b32_e32 v2, 24, v2
	v_and_or_b32 v6, 0x80, v2, v3
.LBB49_367:
	s_or_b32 exec_lo, exec_lo, s7
.LBB49_368:
	s_or_b32 exec_lo, exec_lo, s3
	s_mov_b32 s3, 0
	global_store_byte v[4:5], v6, off
.LBB49_369:
	s_and_b32 vcc_lo, exec_lo, s3
	s_cbranch_vccz .LBB49_379
; %bb.370:
	v_cvt_f32_f64_e32 v2, v[0:1]
	s_mov_b32 s3, exec_lo
                                        ; implicit-def: $vgpr3
	v_and_b32_e32 v6, 0x7fffffff, v2
	v_cmpx_gt_u32_e32 0x43f00000, v6
	s_xor_b32 s3, exec_lo, s3
	s_cbranch_execz .LBB49_376
; %bb.371:
	s_mov_b32 s6, exec_lo
                                        ; implicit-def: $vgpr3
	v_cmpx_lt_u32_e32 0x3c7fffff, v6
	s_xor_b32 s6, exec_lo, s6
; %bb.372:
	v_bfe_u32 v3, v2, 20, 1
	v_add3_u32 v3, v2, v3, 0x407ffff
	v_and_b32_e32 v6, 0xff00000, v3
	v_lshrrev_b32_e32 v3, 20, v3
	v_cmp_ne_u32_e32 vcc_lo, 0x7f00000, v6
	v_cndmask_b32_e32 v3, 0x7e, v3, vcc_lo
; %bb.373:
	s_andn2_saveexec_b32 s6, s6
; %bb.374:
	v_add_f32_e64 v3, 0x46800000, |v2|
; %bb.375:
	s_or_b32 exec_lo, exec_lo, s6
                                        ; implicit-def: $vgpr6
.LBB49_376:
	s_andn2_saveexec_b32 s3, s3
; %bb.377:
	v_mov_b32_e32 v3, 0x7f
	v_cmp_lt_u32_e32 vcc_lo, 0x7f800000, v6
	v_cndmask_b32_e32 v3, 0x7e, v3, vcc_lo
; %bb.378:
	s_or_b32 exec_lo, exec_lo, s3
	v_lshrrev_b32_e32 v2, 24, v2
	v_and_or_b32 v2, 0x80, v2, v3
	global_store_byte v[4:5], v2, off
.LBB49_379:
	s_mov_b32 s3, 0
.LBB49_380:
	s_andn2_b32 vcc_lo, exec_lo, s3
	s_cbranch_vccnz .LBB49_390
; %bb.381:
	v_cvt_f32_f64_e32 v2, v[0:1]
	s_mov_b32 s3, exec_lo
                                        ; implicit-def: $vgpr3
	v_and_b32_e32 v6, 0x7fffffff, v2
	v_cmpx_gt_u32_e32 0x47800000, v6
	s_xor_b32 s3, exec_lo, s3
	s_cbranch_execz .LBB49_387
; %bb.382:
	s_mov_b32 s6, exec_lo
                                        ; implicit-def: $vgpr3
	v_cmpx_lt_u32_e32 0x387fffff, v6
	s_xor_b32 s6, exec_lo, s6
; %bb.383:
	v_bfe_u32 v3, v2, 21, 1
	v_add3_u32 v3, v2, v3, 0x80fffff
	v_lshrrev_b32_e32 v3, 21, v3
; %bb.384:
	s_andn2_saveexec_b32 s6, s6
; %bb.385:
	v_add_f32_e64 v3, 0x43000000, |v2|
; %bb.386:
	s_or_b32 exec_lo, exec_lo, s6
                                        ; implicit-def: $vgpr6
.LBB49_387:
	s_andn2_saveexec_b32 s3, s3
; %bb.388:
	v_mov_b32_e32 v3, 0x7f
	v_cmp_lt_u32_e32 vcc_lo, 0x7f800000, v6
	v_cndmask_b32_e32 v3, 0x7c, v3, vcc_lo
; %bb.389:
	s_or_b32 exec_lo, exec_lo, s3
	v_lshrrev_b32_e32 v2, 24, v2
	v_and_or_b32 v2, 0x80, v2, v3
	global_store_byte v[4:5], v2, off
.LBB49_390:
	s_mov_b32 s6, 0
	s_mov_b32 s3, -1
.LBB49_391:
	s_andn2_b32 vcc_lo, exec_lo, s6
	s_cbranch_vccnz .LBB49_399
; %bb.392:
	s_cmp_gt_i32 s2, 14
	s_mov_b32 s6, -1
	s_cbranch_scc0 .LBB49_396
; %bb.393:
	s_cmp_eq_u32 s2, 15
	s_mov_b32 s0, -1
	s_cbranch_scc0 .LBB49_395
; %bb.394:
	v_cvt_f32_f64_e32 v2, v[0:1]
	s_mov_b32 s3, -1
	s_mov_b32 s0, 0
	v_bfe_u32 v3, v2, 16, 1
	v_cmp_o_f32_e32 vcc_lo, v2, v2
	v_add3_u32 v2, v2, v3, 0x7fff
	v_mov_b32_e32 v3, 0x7fc0
	v_cndmask_b32_sdwa v2, v3, v2, vcc_lo dst_sel:DWORD dst_unused:UNUSED_PAD src0_sel:DWORD src1_sel:WORD_1
	global_store_short v[4:5], v2, off
.LBB49_395:
	s_mov_b32 s6, 0
.LBB49_396:
	s_and_b32 vcc_lo, exec_lo, s6
	s_cbranch_vccz .LBB49_399
; %bb.397:
	s_cmp_eq_u32 s2, 11
	s_mov_b32 s0, -1
	s_cbranch_scc0 .LBB49_399
; %bb.398:
	v_cmp_neq_f64_e32 vcc_lo, 0, v[0:1]
	s_mov_b32 s3, -1
	s_mov_b32 s0, 0
	v_cndmask_b32_e64 v2, 0, 1, vcc_lo
	global_store_byte v[4:5], v2, off
.LBB49_399:
	s_mov_b32 s2, 0
.LBB49_400:
	s_and_b32 vcc_lo, exec_lo, s2
	s_cbranch_vccz .LBB49_439
; %bb.401:
	s_and_b32 s1, 0xffff, s1
	s_mov_b32 s2, -1
	s_cmp_lt_i32 s1, 5
	s_cbranch_scc1 .LBB49_422
; %bb.402:
	s_cmp_lt_i32 s1, 8
	s_cbranch_scc1 .LBB49_412
; %bb.403:
	;; [unrolled: 3-line block ×3, first 2 shown]
	s_cmp_gt_i32 s1, 9
	s_cbranch_scc0 .LBB49_406
; %bb.405:
	v_mov_b32_e32 v2, 0
	s_mov_b32 s2, 0
	v_mov_b32_e32 v3, v2
	global_store_dwordx4 v[4:5], v[0:3], off
.LBB49_406:
	s_andn2_b32 vcc_lo, exec_lo, s2
	s_cbranch_vccnz .LBB49_408
; %bb.407:
	v_cvt_f32_f64_e32 v2, v[0:1]
	v_mov_b32_e32 v3, 0
	global_store_dwordx2 v[4:5], v[2:3], off
.LBB49_408:
	s_mov_b32 s2, 0
.LBB49_409:
	s_andn2_b32 vcc_lo, exec_lo, s2
	s_cbranch_vccnz .LBB49_411
; %bb.410:
	v_and_or_b32 v2, 0x1ff, v1, v0
	v_lshrrev_b32_e32 v3, 8, v1
	v_bfe_u32 v6, v1, 20, 11
	v_cmp_ne_u32_e32 vcc_lo, 0, v2
	v_sub_nc_u32_e32 v7, 0x3f1, v6
	v_add_nc_u32_e32 v6, 0xfffffc10, v6
	v_cndmask_b32_e64 v2, 0, 1, vcc_lo
	v_and_or_b32 v2, 0xffe, v3, v2
	v_med3_i32 v3, v7, 0, 13
	v_or_b32_e32 v7, 0x1000, v2
	v_lshrrev_b32_e32 v8, v3, v7
	v_lshlrev_b32_e32 v3, v3, v8
	v_cmp_ne_u32_e32 vcc_lo, v3, v7
	v_lshl_or_b32 v7, v6, 12, v2
	v_cndmask_b32_e64 v3, 0, 1, vcc_lo
	v_cmp_gt_i32_e32 vcc_lo, 1, v6
	v_or_b32_e32 v3, v8, v3
	v_cndmask_b32_e32 v3, v7, v3, vcc_lo
	v_and_b32_e32 v7, 7, v3
	v_lshrrev_b32_e32 v3, 2, v3
	v_cmp_lt_i32_e32 vcc_lo, 5, v7
	v_cndmask_b32_e64 v8, 0, 1, vcc_lo
	v_cmp_eq_u32_e32 vcc_lo, 3, v7
	v_cndmask_b32_e64 v7, 0, 1, vcc_lo
	v_cmp_ne_u32_e32 vcc_lo, 0, v2
	v_or_b32_e32 v7, v7, v8
	v_mov_b32_e32 v8, 0x7e00
	v_add_nc_u32_e32 v3, v3, v7
	v_cndmask_b32_e32 v2, 0x7c00, v8, vcc_lo
	v_cmp_gt_i32_e32 vcc_lo, 31, v6
	v_cndmask_b32_e32 v3, 0x7c00, v3, vcc_lo
	v_cmp_eq_u32_e32 vcc_lo, 0x40f, v6
	v_cndmask_b32_e32 v2, v3, v2, vcc_lo
	v_lshrrev_b32_e32 v3, 16, v1
	v_and_or_b32 v2, 0x8000, v3, v2
	v_and_b32_e32 v2, 0xffff, v2
	global_store_dword v[4:5], v2, off
.LBB49_411:
	s_mov_b32 s2, 0
.LBB49_412:
	s_andn2_b32 vcc_lo, exec_lo, s2
	s_cbranch_vccnz .LBB49_421
; %bb.413:
	s_cmp_lt_i32 s1, 6
	s_mov_b32 s2, -1
	s_cbranch_scc1 .LBB49_419
; %bb.414:
	s_cmp_gt_i32 s1, 6
	s_cbranch_scc0 .LBB49_416
; %bb.415:
	s_mov_b32 s2, 0
	global_store_dwordx2 v[4:5], v[0:1], off
.LBB49_416:
	s_andn2_b32 vcc_lo, exec_lo, s2
	s_cbranch_vccnz .LBB49_418
; %bb.417:
	v_cvt_f32_f64_e32 v2, v[0:1]
	global_store_dword v[4:5], v2, off
.LBB49_418:
	s_mov_b32 s2, 0
.LBB49_419:
	s_andn2_b32 vcc_lo, exec_lo, s2
	s_cbranch_vccnz .LBB49_421
; %bb.420:
	v_and_or_b32 v2, 0x1ff, v1, v0
	v_lshrrev_b32_e32 v3, 8, v1
	v_bfe_u32 v6, v1, 20, 11
	v_cmp_ne_u32_e32 vcc_lo, 0, v2
	v_sub_nc_u32_e32 v7, 0x3f1, v6
	v_add_nc_u32_e32 v6, 0xfffffc10, v6
	v_cndmask_b32_e64 v2, 0, 1, vcc_lo
	v_and_or_b32 v2, 0xffe, v3, v2
	v_med3_i32 v3, v7, 0, 13
	v_or_b32_e32 v7, 0x1000, v2
	v_lshrrev_b32_e32 v8, v3, v7
	v_lshlrev_b32_e32 v3, v3, v8
	v_cmp_ne_u32_e32 vcc_lo, v3, v7
	v_lshl_or_b32 v7, v6, 12, v2
	v_cndmask_b32_e64 v3, 0, 1, vcc_lo
	v_cmp_gt_i32_e32 vcc_lo, 1, v6
	v_or_b32_e32 v3, v8, v3
	v_cndmask_b32_e32 v3, v7, v3, vcc_lo
	v_and_b32_e32 v7, 7, v3
	v_lshrrev_b32_e32 v3, 2, v3
	v_cmp_lt_i32_e32 vcc_lo, 5, v7
	v_cndmask_b32_e64 v8, 0, 1, vcc_lo
	v_cmp_eq_u32_e32 vcc_lo, 3, v7
	v_cndmask_b32_e64 v7, 0, 1, vcc_lo
	v_cmp_ne_u32_e32 vcc_lo, 0, v2
	v_or_b32_e32 v7, v7, v8
	v_mov_b32_e32 v8, 0x7e00
	v_add_nc_u32_e32 v3, v3, v7
	v_cndmask_b32_e32 v2, 0x7c00, v8, vcc_lo
	v_cmp_gt_i32_e32 vcc_lo, 31, v6
	v_cndmask_b32_e32 v3, 0x7c00, v3, vcc_lo
	v_cmp_eq_u32_e32 vcc_lo, 0x40f, v6
	v_cndmask_b32_e32 v2, v3, v2, vcc_lo
	v_lshrrev_b32_e32 v3, 16, v1
	v_and_or_b32 v2, 0x8000, v3, v2
	global_store_short v[4:5], v2, off
.LBB49_421:
	s_mov_b32 s2, 0
.LBB49_422:
	s_andn2_b32 vcc_lo, exec_lo, s2
	s_cbranch_vccnz .LBB49_438
; %bb.423:
	s_cmp_lt_i32 s1, 2
	s_mov_b32 s2, -1
	s_cbranch_scc1 .LBB49_433
; %bb.424:
	s_cmp_lt_i32 s1, 3
	s_cbranch_scc1 .LBB49_430
; %bb.425:
	s_cmp_gt_i32 s1, 3
	s_cbranch_scc0 .LBB49_427
; %bb.426:
	v_trunc_f64_e32 v[2:3], v[0:1]
	s_mov_b32 s2, 0
	v_ldexp_f64 v[6:7], v[2:3], 0xffffffe0
	v_floor_f64_e32 v[6:7], v[6:7]
	v_fma_f64 v[2:3], 0xc1f00000, v[6:7], v[2:3]
	v_cvt_i32_f64_e32 v7, v[6:7]
	v_cvt_u32_f64_e32 v6, v[2:3]
	global_store_dwordx2 v[4:5], v[6:7], off
.LBB49_427:
	s_andn2_b32 vcc_lo, exec_lo, s2
	s_cbranch_vccnz .LBB49_429
; %bb.428:
	v_cvt_i32_f64_e32 v2, v[0:1]
	global_store_dword v[4:5], v2, off
.LBB49_429:
	s_mov_b32 s2, 0
.LBB49_430:
	s_andn2_b32 vcc_lo, exec_lo, s2
	s_cbranch_vccnz .LBB49_432
; %bb.431:
	v_cvt_i32_f64_e32 v2, v[0:1]
	global_store_short v[4:5], v2, off
.LBB49_432:
	s_mov_b32 s2, 0
.LBB49_433:
	s_andn2_b32 vcc_lo, exec_lo, s2
	s_cbranch_vccnz .LBB49_438
; %bb.434:
	s_cmp_gt_i32 s1, 0
	s_mov_b32 s1, -1
	s_cbranch_scc0 .LBB49_436
; %bb.435:
	v_cvt_i32_f64_e32 v2, v[0:1]
	s_mov_b32 s1, 0
	global_store_byte v[4:5], v2, off
.LBB49_436:
	s_andn2_b32 vcc_lo, exec_lo, s1
	s_cbranch_vccnz .LBB49_438
; %bb.437:
	v_trunc_f64_e32 v[0:1], v[0:1]
	v_ldexp_f64 v[2:3], v[0:1], 0xffffffe0
	v_floor_f64_e32 v[2:3], v[2:3]
	v_fma_f64 v[0:1], 0xc1f00000, v[2:3], v[0:1]
	v_cvt_u32_f64_e32 v0, v[0:1]
	global_store_byte v[4:5], v0, off
.LBB49_438:
	s_mov_b32 s3, -1
.LBB49_439:
	s_andn2_b32 vcc_lo, exec_lo, s3
	s_cbranch_vccnz .LBB49_441
; %bb.440:
	v_add_nc_u32_e32 v12, 0x80, v12
	s_mov_b32 s1, -1
	s_branch .LBB49_554
.LBB49_441:
	s_mov_b32 s1, 0
	s_branch .LBB49_553
.LBB49_442:
	s_mov_b32 s42, -1
                                        ; implicit-def: $vgpr0_vgpr1
.LBB49_443:
	s_mov_b32 s2, 0
.LBB49_444:
	s_and_b32 vcc_lo, exec_lo, s2
	s_cbranch_vccz .LBB49_448
; %bb.445:
	s_cmp_eq_u32 s0, 29
	s_cbranch_scc0 .LBB49_447
; %bb.446:
	global_load_dwordx2 v[0:1], v[3:4], off
	s_mov_b32 s1, -1
	s_mov_b32 s42, 0
	s_mov_b32 s2, 0
	s_waitcnt vmcnt(0)
	v_cvt_f64_u32_e32 v[5:6], v1
	v_cvt_f64_u32_e32 v[0:1], v0
	v_ldexp_f64 v[5:6], v[5:6], 32
	v_add_f64 v[0:1], v[5:6], v[0:1]
	s_branch .LBB49_449
.LBB49_447:
	s_mov_b32 s42, -1
                                        ; implicit-def: $vgpr0_vgpr1
.LBB49_448:
	s_mov_b32 s2, 0
.LBB49_449:
	s_and_b32 vcc_lo, exec_lo, s2
	s_cbranch_vccz .LBB49_469
; %bb.450:
	s_cmp_lt_i32 s0, 27
	s_cbranch_scc1 .LBB49_453
; %bb.451:
	s_cmp_gt_i32 s0, 27
	s_cbranch_scc0 .LBB49_454
; %bb.452:
	global_load_dword v0, v[3:4], off
	s_mov_b32 s1, 0
	s_waitcnt vmcnt(0)
	v_cvt_f64_u32_e32 v[0:1], v0
	s_branch .LBB49_455
.LBB49_453:
	s_mov_b32 s1, -1
                                        ; implicit-def: $vgpr0_vgpr1
	s_branch .LBB49_458
.LBB49_454:
	s_mov_b32 s1, -1
                                        ; implicit-def: $vgpr0_vgpr1
.LBB49_455:
	s_andn2_b32 vcc_lo, exec_lo, s1
	s_cbranch_vccnz .LBB49_457
; %bb.456:
	global_load_ushort v0, v[3:4], off
	s_waitcnt vmcnt(0)
	v_cvt_f64_u32_e32 v[0:1], v0
.LBB49_457:
	s_mov_b32 s1, 0
.LBB49_458:
	s_andn2_b32 vcc_lo, exec_lo, s1
	s_cbranch_vccnz .LBB49_468
; %bb.459:
	global_load_ubyte v5, v[3:4], off
	s_mov_b32 s1, 0
	s_mov_b32 s2, exec_lo
	s_waitcnt vmcnt(0)
	v_cmpx_lt_i16_e32 0x7f, v5
	s_xor_b32 s2, exec_lo, s2
	s_cbranch_execz .LBB49_463
; %bb.460:
	s_mov_b32 s1, -1
	s_mov_b32 s3, exec_lo
	v_cmpx_eq_u16_e32 0x80, v5
; %bb.461:
	s_xor_b32 s1, exec_lo, -1
; %bb.462:
	s_or_b32 exec_lo, exec_lo, s3
	s_and_b32 s1, s1, exec_lo
.LBB49_463:
	s_or_saveexec_b32 s2, s2
	v_bfrev_b32_e32 v0, 4
	v_mov_b32_e32 v1, 0x7ff80000
	s_xor_b32 exec_lo, exec_lo, s2
; %bb.464:
	v_cmp_ne_u16_e32 vcc_lo, 0, v5
	v_mov_b32_e32 v0, 0
	v_mov_b32_e32 v1, 0
	s_andn2_b32 s1, s1, exec_lo
	s_and_b32 s3, vcc_lo, exec_lo
	s_or_b32 s1, s1, s3
; %bb.465:
	s_or_b32 exec_lo, exec_lo, s2
	s_and_saveexec_b32 s2, s1
	s_cbranch_execz .LBB49_467
; %bb.466:
	v_and_b32_e32 v0, 0xffff, v5
	v_lshlrev_b32_e32 v5, 24, v5
	v_and_b32_e32 v1, 7, v0
	v_bfe_u32 v8, v0, 3, 4
	v_ffbh_u32_e32 v6, v1
	v_cmp_eq_u32_e32 vcc_lo, 0, v8
	v_min_u32_e32 v6, 32, v6
	v_subrev_nc_u32_e32 v7, 28, v6
	v_sub_nc_u32_e32 v6, 29, v6
	v_lshlrev_b32_e32 v0, v7, v0
	v_cndmask_b32_e32 v6, v8, v6, vcc_lo
	v_and_b32_e32 v0, 7, v0
	v_cndmask_b32_e32 v0, v1, v0, vcc_lo
	v_and_b32_e32 v1, 0x80000000, v5
	v_lshl_add_u32 v5, v6, 23, 0x3b800000
	v_lshlrev_b32_e32 v0, 20, v0
	v_or3_b32 v0, v1, v5, v0
	v_cvt_f64_f32_e32 v[0:1], v0
.LBB49_467:
	s_or_b32 exec_lo, exec_lo, s2
.LBB49_468:
	s_mov_b32 s1, -1
.LBB49_469:
	s_mov_b32 s2, 0
.LBB49_470:
	s_and_b32 vcc_lo, exec_lo, s2
	s_cbranch_vccz .LBB49_503
; %bb.471:
	s_cmp_gt_i32 s0, 22
	s_cbranch_scc0 .LBB49_483
; %bb.472:
	s_cmp_lt_i32 s0, 24
	s_cbranch_scc1 .LBB49_484
; %bb.473:
	s_cmp_gt_i32 s0, 24
	s_cbranch_scc0 .LBB49_485
; %bb.474:
	global_load_ubyte v5, v[3:4], off
	s_mov_b32 s1, 0
	s_mov_b32 s2, exec_lo
	s_waitcnt vmcnt(0)
	v_cmpx_lt_i16_e32 0x7f, v5
	s_xor_b32 s2, exec_lo, s2
	s_cbranch_execz .LBB49_478
; %bb.475:
	s_mov_b32 s1, -1
	s_mov_b32 s3, exec_lo
	v_cmpx_eq_u16_e32 0x80, v5
; %bb.476:
	s_xor_b32 s1, exec_lo, -1
; %bb.477:
	s_or_b32 exec_lo, exec_lo, s3
	s_and_b32 s1, s1, exec_lo
.LBB49_478:
	s_or_saveexec_b32 s2, s2
	v_bfrev_b32_e32 v0, 4
	v_mov_b32_e32 v1, 0x7ff80000
	s_xor_b32 exec_lo, exec_lo, s2
; %bb.479:
	v_cmp_ne_u16_e32 vcc_lo, 0, v5
	v_mov_b32_e32 v0, 0
	v_mov_b32_e32 v1, 0
	s_andn2_b32 s1, s1, exec_lo
	s_and_b32 s3, vcc_lo, exec_lo
	s_or_b32 s1, s1, s3
; %bb.480:
	s_or_b32 exec_lo, exec_lo, s2
	s_and_saveexec_b32 s2, s1
	s_cbranch_execz .LBB49_482
; %bb.481:
	v_and_b32_e32 v0, 0xffff, v5
	v_lshlrev_b32_e32 v5, 24, v5
	v_and_b32_e32 v1, 3, v0
	v_bfe_u32 v8, v0, 2, 5
	v_ffbh_u32_e32 v6, v1
	v_cmp_eq_u32_e32 vcc_lo, 0, v8
	v_min_u32_e32 v6, 32, v6
	v_subrev_nc_u32_e32 v7, 29, v6
	v_sub_nc_u32_e32 v6, 30, v6
	v_lshlrev_b32_e32 v0, v7, v0
	v_cndmask_b32_e32 v6, v8, v6, vcc_lo
	v_and_b32_e32 v0, 3, v0
	v_cndmask_b32_e32 v0, v1, v0, vcc_lo
	v_and_b32_e32 v1, 0x80000000, v5
	v_lshl_add_u32 v5, v6, 23, 0x37800000
	v_lshlrev_b32_e32 v0, 21, v0
	v_or3_b32 v0, v1, v5, v0
	v_cvt_f64_f32_e32 v[0:1], v0
.LBB49_482:
	s_or_b32 exec_lo, exec_lo, s2
	s_mov_b32 s1, 0
	s_branch .LBB49_486
.LBB49_483:
	s_mov_b32 s2, -1
                                        ; implicit-def: $vgpr0_vgpr1
	s_branch .LBB49_492
.LBB49_484:
	s_mov_b32 s1, -1
                                        ; implicit-def: $vgpr0_vgpr1
	s_branch .LBB49_489
.LBB49_485:
	s_mov_b32 s1, -1
                                        ; implicit-def: $vgpr0_vgpr1
.LBB49_486:
	s_and_b32 vcc_lo, exec_lo, s1
	s_cbranch_vccz .LBB49_488
; %bb.487:
	global_load_ubyte v0, v[3:4], off
	s_waitcnt vmcnt(0)
	v_lshlrev_b32_e32 v0, 24, v0
	v_and_b32_e32 v1, 0x7f000000, v0
	v_ffbh_u32_e32 v5, v1
	v_add_nc_u32_e32 v7, 0x1000000, v1
	v_cmp_ne_u32_e32 vcc_lo, 0, v1
	v_min_u32_e32 v5, 32, v5
	v_sub_nc_u32_e64 v5, v5, 4 clamp
	v_lshlrev_b32_e32 v6, v5, v1
	v_lshlrev_b32_e32 v5, 23, v5
	v_lshrrev_b32_e32 v6, 4, v6
	v_sub_nc_u32_e32 v5, v6, v5
	v_ashrrev_i32_e32 v6, 8, v7
	v_add_nc_u32_e32 v5, 0x3c000000, v5
	v_and_or_b32 v5, 0x7f800000, v6, v5
	v_cndmask_b32_e32 v1, 0, v5, vcc_lo
	v_and_or_b32 v0, 0x80000000, v0, v1
	v_cvt_f64_f32_e32 v[0:1], v0
.LBB49_488:
	s_mov_b32 s1, 0
.LBB49_489:
	s_andn2_b32 vcc_lo, exec_lo, s1
	s_cbranch_vccnz .LBB49_491
; %bb.490:
	global_load_ubyte v0, v[3:4], off
	s_waitcnt vmcnt(0)
	v_lshlrev_b32_e32 v1, 25, v0
	v_lshlrev_b16 v0, 8, v0
	v_lshrrev_b32_e32 v5, 4, v1
	v_and_or_b32 v6, 0x7f00, v0, 0.5
	v_cmp_gt_u32_e32 vcc_lo, 0x8000000, v1
	v_bfe_i32 v0, v0, 0, 16
	v_or_b32_e32 v5, 0x70000000, v5
	v_add_f32_e32 v6, -0.5, v6
	v_mul_f32_e32 v5, 0x7800000, v5
	v_cndmask_b32_e32 v1, v5, v6, vcc_lo
	v_and_or_b32 v0, 0x80000000, v0, v1
	v_cvt_f64_f32_e32 v[0:1], v0
.LBB49_491:
	s_mov_b32 s2, 0
	s_mov_b32 s1, -1
.LBB49_492:
	s_andn2_b32 vcc_lo, exec_lo, s2
	s_cbranch_vccnz .LBB49_503
; %bb.493:
	s_cmp_gt_i32 s0, 14
	s_cbranch_scc0 .LBB49_496
; %bb.494:
	s_cmp_eq_u32 s0, 15
	s_cbranch_scc0 .LBB49_497
; %bb.495:
	global_load_ushort v0, v[3:4], off
	s_mov_b32 s1, -1
	s_mov_b32 s42, 0
	s_waitcnt vmcnt(0)
	v_lshlrev_b32_e32 v0, 16, v0
	v_cvt_f64_f32_e32 v[0:1], v0
	s_branch .LBB49_498
.LBB49_496:
	s_mov_b32 s2, -1
                                        ; implicit-def: $vgpr0_vgpr1
	s_branch .LBB49_499
.LBB49_497:
	s_mov_b32 s42, -1
                                        ; implicit-def: $vgpr0_vgpr1
.LBB49_498:
	s_mov_b32 s2, 0
.LBB49_499:
	s_and_b32 vcc_lo, exec_lo, s2
	s_cbranch_vccz .LBB49_503
; %bb.500:
	s_cmp_eq_u32 s0, 11
	s_cbranch_scc0 .LBB49_502
; %bb.501:
	global_load_ubyte v0, v[3:4], off
	s_mov_b32 s42, 0
	s_mov_b32 s1, -1
	s_waitcnt vmcnt(0)
	v_cmp_ne_u16_e32 vcc_lo, 0, v0
	v_mov_b32_e32 v0, 0
	v_cndmask_b32_e64 v1, 0, 0x3ff00000, vcc_lo
	s_branch .LBB49_503
.LBB49_502:
	s_mov_b32 s42, -1
                                        ; implicit-def: $vgpr0_vgpr1
.LBB49_503:
	s_branch .LBB49_299
.LBB49_504:
	s_cmp_lt_i32 s0, 5
	s_cbranch_scc1 .LBB49_509
; %bb.505:
	s_cmp_lt_i32 s0, 8
	s_cbranch_scc1 .LBB49_510
; %bb.506:
	s_cmp_lt_i32 s0, 9
	s_cbranch_scc1 .LBB49_511
; %bb.507:
	s_cmp_gt_i32 s0, 9
	s_cbranch_scc0 .LBB49_512
; %bb.508:
	global_load_dwordx2 v[0:1], v[3:4], off
	s_mov_b32 s1, 0
	s_branch .LBB49_513
.LBB49_509:
	s_mov_b32 s1, -1
                                        ; implicit-def: $vgpr0_vgpr1
	s_branch .LBB49_531
.LBB49_510:
	s_mov_b32 s1, -1
                                        ; implicit-def: $vgpr0_vgpr1
	s_branch .LBB49_519
.LBB49_511:
	s_mov_b32 s1, -1
                                        ; implicit-def: $vgpr0_vgpr1
	s_branch .LBB49_516
.LBB49_512:
	s_mov_b32 s1, -1
                                        ; implicit-def: $vgpr0_vgpr1
.LBB49_513:
	s_andn2_b32 vcc_lo, exec_lo, s1
	s_cbranch_vccnz .LBB49_515
; %bb.514:
	global_load_dword v0, v[3:4], off
	s_waitcnt vmcnt(0)
	v_cvt_f64_f32_e32 v[0:1], v0
.LBB49_515:
	s_mov_b32 s1, 0
.LBB49_516:
	s_andn2_b32 vcc_lo, exec_lo, s1
	s_cbranch_vccnz .LBB49_518
; %bb.517:
	global_load_dword v0, v[3:4], off
	s_waitcnt vmcnt(0)
	v_cvt_f32_f16_e32 v0, v0
	v_cvt_f64_f32_e32 v[0:1], v0
.LBB49_518:
	s_mov_b32 s1, 0
.LBB49_519:
	s_andn2_b32 vcc_lo, exec_lo, s1
	s_cbranch_vccnz .LBB49_530
; %bb.520:
	s_cmp_lt_i32 s0, 6
	s_cbranch_scc1 .LBB49_523
; %bb.521:
	s_cmp_gt_i32 s0, 6
	s_cbranch_scc0 .LBB49_524
; %bb.522:
	global_load_dwordx2 v[0:1], v[3:4], off
	s_mov_b32 s1, 0
	s_branch .LBB49_525
.LBB49_523:
	s_mov_b32 s1, -1
                                        ; implicit-def: $vgpr0_vgpr1
	s_branch .LBB49_528
.LBB49_524:
	s_mov_b32 s1, -1
                                        ; implicit-def: $vgpr0_vgpr1
.LBB49_525:
	s_andn2_b32 vcc_lo, exec_lo, s1
	s_cbranch_vccnz .LBB49_527
; %bb.526:
	global_load_dword v0, v[3:4], off
	s_waitcnt vmcnt(0)
	v_cvt_f64_f32_e32 v[0:1], v0
.LBB49_527:
	s_mov_b32 s1, 0
.LBB49_528:
	s_andn2_b32 vcc_lo, exec_lo, s1
	s_cbranch_vccnz .LBB49_530
; %bb.529:
	global_load_ushort v0, v[3:4], off
	s_waitcnt vmcnt(0)
	v_cvt_f32_f16_e32 v0, v0
	v_cvt_f64_f32_e32 v[0:1], v0
.LBB49_530:
	s_mov_b32 s1, 0
.LBB49_531:
	s_andn2_b32 vcc_lo, exec_lo, s1
	s_cbranch_vccnz .LBB49_551
; %bb.532:
	s_cmp_lt_i32 s0, 2
	s_cbranch_scc1 .LBB49_536
; %bb.533:
	s_cmp_lt_i32 s0, 3
	s_cbranch_scc1 .LBB49_537
; %bb.534:
	s_cmp_gt_i32 s0, 3
	s_cbranch_scc0 .LBB49_538
; %bb.535:
	global_load_dwordx2 v[0:1], v[3:4], off
	s_mov_b32 s1, 0
	s_waitcnt vmcnt(0)
	v_cvt_f64_i32_e32 v[5:6], v1
	v_cvt_f64_u32_e32 v[0:1], v0
	v_ldexp_f64 v[5:6], v[5:6], 32
	v_add_f64 v[0:1], v[5:6], v[0:1]
	s_branch .LBB49_539
.LBB49_536:
	s_mov_b32 s1, -1
                                        ; implicit-def: $vgpr0_vgpr1
	s_branch .LBB49_545
.LBB49_537:
	s_mov_b32 s1, -1
                                        ; implicit-def: $vgpr0_vgpr1
	s_branch .LBB49_542
.LBB49_538:
	s_mov_b32 s1, -1
                                        ; implicit-def: $vgpr0_vgpr1
.LBB49_539:
	s_andn2_b32 vcc_lo, exec_lo, s1
	s_cbranch_vccnz .LBB49_541
; %bb.540:
	global_load_dword v0, v[3:4], off
	s_waitcnt vmcnt(0)
	v_cvt_f64_i32_e32 v[0:1], v0
.LBB49_541:
	s_mov_b32 s1, 0
.LBB49_542:
	s_andn2_b32 vcc_lo, exec_lo, s1
	s_cbranch_vccnz .LBB49_544
; %bb.543:
	global_load_sshort v0, v[3:4], off
	s_waitcnt vmcnt(0)
	v_cvt_f64_i32_e32 v[0:1], v0
.LBB49_544:
	s_mov_b32 s1, 0
.LBB49_545:
	s_andn2_b32 vcc_lo, exec_lo, s1
	s_cbranch_vccnz .LBB49_551
; %bb.546:
	s_cmp_gt_i32 s0, 0
	s_mov_b32 s0, 0
	s_cbranch_scc0 .LBB49_548
; %bb.547:
	global_load_sbyte v0, v[3:4], off
	s_waitcnt vmcnt(0)
	v_cvt_f64_i32_e32 v[0:1], v0
	s_branch .LBB49_549
.LBB49_548:
	s_mov_b32 s0, -1
                                        ; implicit-def: $vgpr0_vgpr1
.LBB49_549:
	s_andn2_b32 vcc_lo, exec_lo, s0
	s_cbranch_vccnz .LBB49_551
; %bb.550:
	global_load_ubyte v0, v[3:4], off
	s_waitcnt vmcnt(0)
	v_cvt_f64_u32_e32 v[0:1], v0
.LBB49_551:
	s_branch .LBB49_300
.LBB49_552:
	s_mov_b32 s1, 0
	s_mov_b32 s0, s39
.LBB49_553:
                                        ; implicit-def: $vgpr12
.LBB49_554:
	s_andn2_b32 s2, s39, exec_lo
	s_and_b32 s0, s0, exec_lo
	s_andn2_b32 s3, s40, exec_lo
	s_and_b32 s6, s42, exec_lo
	s_or_b32 s43, s2, s0
	s_or_b32 s42, s3, s6
	s_orn2_b32 s0, s1, exec_lo
.LBB49_555:
	s_or_b32 exec_lo, exec_lo, s44
	s_mov_b32 s1, 0
	s_mov_b32 s2, 0
	;; [unrolled: 1-line block ×3, first 2 shown]
                                        ; implicit-def: $vgpr0_vgpr1
                                        ; implicit-def: $vgpr2
                                        ; implicit-def: $vgpr3_vgpr4
	s_and_saveexec_b32 s44, s0
	s_cbranch_execz .LBB49_938
; %bb.556:
	s_mov_b32 s3, -1
	s_mov_b32 s6, s42
	s_mov_b32 s7, s43
	s_mov_b32 s45, exec_lo
	v_cmpx_gt_i32_e64 s36, v12
	s_cbranch_execz .LBB49_837
; %bb.557:
	s_andn2_b32 vcc_lo, exec_lo, s30
	s_cbranch_vccnz .LBB49_562
; %bb.558:
	s_andn2_b32 vcc_lo, exec_lo, s37
	s_cbranch_vccnz .LBB49_563
; %bb.559:
	s_add_i32 s7, s38, 1
	s_cmp_eq_u32 s28, 2
	s_cbranch_scc1 .LBB49_564
; %bb.560:
	s_waitcnt vmcnt(0)
	v_mov_b32_e32 v0, 0
	v_mov_b32_e32 v2, 0
	;; [unrolled: 1-line block ×3, first 2 shown]
	s_and_b32 s6, s7, 28
	s_mov_b32 s8, 0
	s_mov_b64 s[0:1], s[10:11]
	s_mov_b64 s[2:3], s[26:27]
.LBB49_561:                             ; =>This Inner Loop Header: Depth=1
	s_clause 0x1
	s_load_dwordx8 s[48:55], s[0:1], 0x4
	s_load_dwordx4 s[64:67], s[0:1], 0x24
	s_load_dwordx8 s[56:63], s[2:3], 0x0
	s_add_u32 s0, s0, 48
	s_addc_u32 s1, s1, 0
	s_add_i32 s8, s8, 4
	s_add_u32 s2, s2, 32
	s_addc_u32 s3, s3, 0
	s_cmp_eq_u32 s6, s8
	s_waitcnt lgkmcnt(0)
	v_mul_hi_u32 v3, s49, v1
	v_add_nc_u32_e32 v3, v1, v3
	v_lshrrev_b32_e32 v3, s50, v3
	v_mul_hi_u32 v4, s52, v3
	v_mul_lo_u32 v6, v3, s48
	v_add_nc_u32_e32 v4, v3, v4
	v_sub_nc_u32_e32 v1, v1, v6
	v_lshrrev_b32_e32 v4, s53, v4
	v_mul_lo_u32 v6, v1, s56
	v_mul_lo_u32 v8, v1, s57
	v_mul_hi_u32 v5, s55, v4
	v_add_nc_u32_e32 v5, v4, v5
	v_lshrrev_b32_e32 v5, s64, v5
	v_mul_hi_u32 v7, s66, v5
	v_mul_lo_u32 v9, v5, s54
	v_add_nc_u32_e32 v1, v5, v7
	v_mul_lo_u32 v7, v4, s51
	v_sub_nc_u32_e32 v4, v4, v9
	v_lshrrev_b32_e32 v1, s67, v1
	v_mul_lo_u32 v9, v4, s60
	v_mul_lo_u32 v4, v4, s61
	v_sub_nc_u32_e32 v3, v3, v7
	v_mul_lo_u32 v10, v1, s65
	v_mul_lo_u32 v7, v3, s58
	;; [unrolled: 1-line block ×3, first 2 shown]
	v_sub_nc_u32_e32 v5, v5, v10
	v_add3_u32 v2, v6, v2, v7
	v_mul_lo_u32 v10, v5, s62
	v_mul_lo_u32 v5, v5, s63
	v_add3_u32 v0, v8, v0, v3
	v_add3_u32 v2, v9, v2, v10
	;; [unrolled: 1-line block ×3, first 2 shown]
	s_cbranch_scc0 .LBB49_561
	s_branch .LBB49_565
.LBB49_562:
	s_mov_b32 s0, -1
                                        ; implicit-def: $vgpr2
                                        ; implicit-def: $vgpr0
	s_branch .LBB49_569
.LBB49_563:
	v_mov_b32_e32 v2, 0
	s_waitcnt vmcnt(0)
	v_mov_b32_e32 v0, 0
	s_branch .LBB49_568
.LBB49_564:
	v_mov_b32_e32 v2, 0
	s_waitcnt vmcnt(0)
	v_mov_b32_e32 v0, 0
	v_mov_b32_e32 v1, v12
	s_mov_b32 s6, 0
.LBB49_565:
	s_and_b32 s7, s7, 3
	s_cmp_eq_u32 s7, 0
	s_cbranch_scc1 .LBB49_568
; %bb.566:
	s_lshl_b32 s0, s6, 3
	s_mul_i32 s2, s6, 12
	s_add_u32 s0, s10, s0
	s_addc_u32 s1, s11, 0
	s_add_u32 s0, s0, 0xc4
	s_addc_u32 s1, s1, 0
	;; [unrolled: 2-line block ×3, first 2 shown]
	.p2align	6
.LBB49_567:                             ; =>This Inner Loop Header: Depth=1
	s_clause 0x1
	s_load_dwordx2 s[46:47], s[2:3], 0x4
	s_load_dword s6, s[2:3], 0xc
	s_load_dwordx2 s[48:49], s[0:1], 0x0
	s_add_u32 s2, s2, 12
	s_addc_u32 s3, s3, 0
	s_add_u32 s0, s0, 8
	s_addc_u32 s1, s1, 0
	s_add_i32 s7, s7, -1
	s_cmp_lg_u32 s7, 0
	s_waitcnt lgkmcnt(0)
	v_mul_hi_u32 v3, s47, v1
	v_add_nc_u32_e32 v3, v1, v3
	v_lshrrev_b32_e32 v4, s6, v3
	v_mul_lo_u32 v3, v4, s46
	v_sub_nc_u32_e32 v1, v1, v3
	v_mad_u64_u32 v[2:3], null, v1, s48, v[2:3]
	v_mad_u64_u32 v[0:1], null, v1, s49, v[0:1]
	v_mov_b32_e32 v1, v4
	s_cbranch_scc1 .LBB49_567
.LBB49_568:
	s_mov_b32 s0, 0
.LBB49_569:
	s_andn2_b32 vcc_lo, exec_lo, s0
	s_cbranch_vccnz .LBB49_572
; %bb.570:
	s_waitcnt vmcnt(0) lgkmcnt(0)
	v_mul_hi_u32 v0, s21, v12
	s_andn2_b32 vcc_lo, exec_lo, s35
	v_add_nc_u32_e32 v0, v12, v0
	v_lshrrev_b32_e32 v1, s22, v0
	v_mul_lo_u32 v0, v1, s20
	v_sub_nc_u32_e32 v0, v12, v0
	v_mul_lo_u32 v2, v0, s16
	v_mul_lo_u32 v0, v0, s17
	s_cbranch_vccnz .LBB49_572
; %bb.571:
	v_mul_hi_u32 v3, s24, v1
	v_add_nc_u32_e32 v3, v1, v3
	v_lshrrev_b32_e32 v3, s25, v3
	v_mul_lo_u32 v3, v3, s23
	v_sub_nc_u32_e32 v1, v1, v3
	v_mad_u64_u32 v[2:3], null, v1, s18, v[2:3]
	v_mad_u64_u32 v[0:1], null, v1, s19, v[0:1]
.LBB49_572:
	s_waitcnt vmcnt(0) lgkmcnt(0)
	v_add_co_u32 v3, s0, s14, v0
	v_add_co_ci_u32_e64 v4, null, s15, 0, s0
	s_and_b32 s0, 0xffff, s34
	s_cmp_lt_i32 s0, 11
	s_cbranch_scc1 .LBB49_579
; %bb.573:
	s_cmp_gt_i32 s0, 25
	s_cbranch_scc0 .LBB49_580
; %bb.574:
	s_cmp_gt_i32 s0, 28
	s_cbranch_scc0 .LBB49_581
	;; [unrolled: 3-line block ×4, first 2 shown]
; %bb.577:
	s_cmp_eq_u32 s0, 46
	s_mov_b32 s2, 0
	s_cbranch_scc0 .LBB49_588
; %bb.578:
	global_load_dword v0, v[3:4], off
	s_mov_b32 s1, -1
	s_mov_b32 s46, 0
	s_waitcnt vmcnt(0)
	v_lshlrev_b32_e32 v0, 16, v0
	v_cvt_f64_f32_e32 v[0:1], v0
	s_branch .LBB49_590
.LBB49_579:
	s_mov_b32 s2, -1
	s_mov_b32 s1, 0
	s_mov_b32 s46, s42
                                        ; implicit-def: $vgpr0_vgpr1
	s_branch .LBB49_655
.LBB49_580:
	s_mov_b32 s2, -1
	s_mov_b32 s1, 0
	s_mov_b32 s46, s42
                                        ; implicit-def: $vgpr0_vgpr1
	s_branch .LBB49_621
.LBB49_581:
	s_mov_b32 s2, -1
	s_mov_b32 s1, 0
	s_mov_b32 s46, s42
                                        ; implicit-def: $vgpr0_vgpr1
	s_branch .LBB49_600
.LBB49_582:
	s_mov_b32 s2, -1
	s_mov_b32 s1, 0
	s_mov_b32 s46, s42
                                        ; implicit-def: $vgpr0_vgpr1
	s_branch .LBB49_595
.LBB49_583:
	s_andn2_saveexec_b32 s7, s7
	s_cbranch_execz .LBB49_352
.LBB49_584:
	v_add_f32_e64 v3, 0x46000000, |v2|
	s_andn2_b32 s6, s6, exec_lo
	v_and_b32_e32 v3, 0xff, v3
	v_cmp_ne_u32_e32 vcc_lo, 0, v3
	s_and_b32 s8, vcc_lo, exec_lo
	s_or_b32 s6, s6, s8
	s_or_b32 exec_lo, exec_lo, s7
	v_mov_b32_e32 v6, 0
	s_and_saveexec_b32 s7, s6
	s_cbranch_execnz .LBB49_353
	s_branch .LBB49_354
.LBB49_585:
	s_mov_b32 s2, -1
	s_mov_b32 s1, 0
	s_mov_b32 s46, s42
	s_branch .LBB49_589
.LBB49_586:
	s_andn2_saveexec_b32 s7, s7
	s_cbranch_execz .LBB49_365
.LBB49_587:
	v_add_f32_e64 v3, 0x42800000, |v2|
	s_andn2_b32 s6, s6, exec_lo
	v_and_b32_e32 v3, 0xff, v3
	v_cmp_ne_u32_e32 vcc_lo, 0, v3
	s_and_b32 s8, vcc_lo, exec_lo
	s_or_b32 s6, s6, s8
	s_or_b32 exec_lo, exec_lo, s7
	v_mov_b32_e32 v6, 0
	s_and_saveexec_b32 s7, s6
	s_cbranch_execnz .LBB49_366
	s_branch .LBB49_367
.LBB49_588:
	s_mov_b32 s46, -1
	s_mov_b32 s1, 0
.LBB49_589:
                                        ; implicit-def: $vgpr0_vgpr1
.LBB49_590:
	s_and_b32 vcc_lo, exec_lo, s2
	s_cbranch_vccz .LBB49_594
; %bb.591:
	s_cmp_eq_u32 s0, 44
	s_cbranch_scc0 .LBB49_593
; %bb.592:
	global_load_ubyte v5, v[3:4], off
	s_mov_b32 s46, 0
	s_mov_b32 s1, -1
	s_waitcnt vmcnt(0)
	v_lshlrev_b32_e32 v0, 23, v5
	v_cmp_ne_u32_e32 vcc_lo, 0xff, v5
	v_cvt_f64_f32_e32 v[0:1], v0
	v_cndmask_b32_e32 v0, 0x20000000, v0, vcc_lo
	v_cndmask_b32_e32 v1, 0x7ff80000, v1, vcc_lo
	v_cmp_ne_u32_e32 vcc_lo, 0, v5
	v_cndmask_b32_e32 v1, 0x38000000, v1, vcc_lo
	v_cndmask_b32_e32 v0, 0, v0, vcc_lo
	s_branch .LBB49_594
.LBB49_593:
	s_mov_b32 s46, -1
                                        ; implicit-def: $vgpr0_vgpr1
.LBB49_594:
	s_mov_b32 s2, 0
.LBB49_595:
	s_and_b32 vcc_lo, exec_lo, s2
	s_cbranch_vccz .LBB49_599
; %bb.596:
	s_cmp_eq_u32 s0, 29
	s_cbranch_scc0 .LBB49_598
; %bb.597:
	global_load_dwordx2 v[0:1], v[3:4], off
	s_mov_b32 s1, -1
	s_mov_b32 s46, 0
	s_mov_b32 s2, 0
	s_waitcnt vmcnt(0)
	v_cvt_f64_u32_e32 v[5:6], v1
	v_cvt_f64_u32_e32 v[0:1], v0
	v_ldexp_f64 v[5:6], v[5:6], 32
	v_add_f64 v[0:1], v[5:6], v[0:1]
	s_branch .LBB49_600
.LBB49_598:
	s_mov_b32 s46, -1
                                        ; implicit-def: $vgpr0_vgpr1
.LBB49_599:
	s_mov_b32 s2, 0
.LBB49_600:
	s_and_b32 vcc_lo, exec_lo, s2
	s_cbranch_vccz .LBB49_620
; %bb.601:
	s_cmp_lt_i32 s0, 27
	s_cbranch_scc1 .LBB49_604
; %bb.602:
	s_cmp_gt_i32 s0, 27
	s_cbranch_scc0 .LBB49_605
; %bb.603:
	global_load_dword v0, v[3:4], off
	s_mov_b32 s1, 0
	s_waitcnt vmcnt(0)
	v_cvt_f64_u32_e32 v[0:1], v0
	s_branch .LBB49_606
.LBB49_604:
	s_mov_b32 s1, -1
                                        ; implicit-def: $vgpr0_vgpr1
	s_branch .LBB49_609
.LBB49_605:
	s_mov_b32 s1, -1
                                        ; implicit-def: $vgpr0_vgpr1
.LBB49_606:
	s_andn2_b32 vcc_lo, exec_lo, s1
	s_cbranch_vccnz .LBB49_608
; %bb.607:
	global_load_ushort v0, v[3:4], off
	s_waitcnt vmcnt(0)
	v_cvt_f64_u32_e32 v[0:1], v0
.LBB49_608:
	s_mov_b32 s1, 0
.LBB49_609:
	s_andn2_b32 vcc_lo, exec_lo, s1
	s_cbranch_vccnz .LBB49_619
; %bb.610:
	global_load_ubyte v5, v[3:4], off
	s_mov_b32 s1, 0
	s_mov_b32 s2, exec_lo
	s_waitcnt vmcnt(0)
	v_cmpx_lt_i16_e32 0x7f, v5
	s_xor_b32 s2, exec_lo, s2
	s_cbranch_execz .LBB49_614
; %bb.611:
	s_mov_b32 s1, -1
	s_mov_b32 s3, exec_lo
	v_cmpx_eq_u16_e32 0x80, v5
; %bb.612:
	s_xor_b32 s1, exec_lo, -1
; %bb.613:
	s_or_b32 exec_lo, exec_lo, s3
	s_and_b32 s1, s1, exec_lo
.LBB49_614:
	s_or_saveexec_b32 s2, s2
	v_bfrev_b32_e32 v0, 4
	v_mov_b32_e32 v1, 0x7ff80000
	s_xor_b32 exec_lo, exec_lo, s2
; %bb.615:
	v_cmp_ne_u16_e32 vcc_lo, 0, v5
	v_mov_b32_e32 v0, 0
	v_mov_b32_e32 v1, 0
	s_andn2_b32 s1, s1, exec_lo
	s_and_b32 s3, vcc_lo, exec_lo
	s_or_b32 s1, s1, s3
; %bb.616:
	s_or_b32 exec_lo, exec_lo, s2
	s_and_saveexec_b32 s2, s1
	s_cbranch_execz .LBB49_618
; %bb.617:
	v_and_b32_e32 v0, 0xffff, v5
	v_lshlrev_b32_e32 v5, 24, v5
	v_and_b32_e32 v1, 7, v0
	v_bfe_u32 v8, v0, 3, 4
	v_ffbh_u32_e32 v6, v1
	v_cmp_eq_u32_e32 vcc_lo, 0, v8
	v_min_u32_e32 v6, 32, v6
	v_subrev_nc_u32_e32 v7, 28, v6
	v_sub_nc_u32_e32 v6, 29, v6
	v_lshlrev_b32_e32 v0, v7, v0
	v_cndmask_b32_e32 v6, v8, v6, vcc_lo
	v_and_b32_e32 v0, 7, v0
	v_cndmask_b32_e32 v0, v1, v0, vcc_lo
	v_and_b32_e32 v1, 0x80000000, v5
	v_lshl_add_u32 v5, v6, 23, 0x3b800000
	v_lshlrev_b32_e32 v0, 20, v0
	v_or3_b32 v0, v1, v5, v0
	v_cvt_f64_f32_e32 v[0:1], v0
.LBB49_618:
	s_or_b32 exec_lo, exec_lo, s2
.LBB49_619:
	s_mov_b32 s1, -1
.LBB49_620:
	s_mov_b32 s2, 0
.LBB49_621:
	s_and_b32 vcc_lo, exec_lo, s2
	s_cbranch_vccz .LBB49_654
; %bb.622:
	s_cmp_gt_i32 s0, 22
	s_cbranch_scc0 .LBB49_634
; %bb.623:
	s_cmp_lt_i32 s0, 24
	s_cbranch_scc1 .LBB49_635
; %bb.624:
	s_cmp_gt_i32 s0, 24
	s_cbranch_scc0 .LBB49_636
; %bb.625:
	global_load_ubyte v5, v[3:4], off
	s_mov_b32 s1, 0
	s_mov_b32 s2, exec_lo
	s_waitcnt vmcnt(0)
	v_cmpx_lt_i16_e32 0x7f, v5
	s_xor_b32 s2, exec_lo, s2
	s_cbranch_execz .LBB49_629
; %bb.626:
	s_mov_b32 s1, -1
	s_mov_b32 s3, exec_lo
	v_cmpx_eq_u16_e32 0x80, v5
; %bb.627:
	s_xor_b32 s1, exec_lo, -1
; %bb.628:
	s_or_b32 exec_lo, exec_lo, s3
	s_and_b32 s1, s1, exec_lo
.LBB49_629:
	s_or_saveexec_b32 s2, s2
	v_bfrev_b32_e32 v0, 4
	v_mov_b32_e32 v1, 0x7ff80000
	s_xor_b32 exec_lo, exec_lo, s2
; %bb.630:
	v_cmp_ne_u16_e32 vcc_lo, 0, v5
	v_mov_b32_e32 v0, 0
	v_mov_b32_e32 v1, 0
	s_andn2_b32 s1, s1, exec_lo
	s_and_b32 s3, vcc_lo, exec_lo
	s_or_b32 s1, s1, s3
; %bb.631:
	s_or_b32 exec_lo, exec_lo, s2
	s_and_saveexec_b32 s2, s1
	s_cbranch_execz .LBB49_633
; %bb.632:
	v_and_b32_e32 v0, 0xffff, v5
	v_lshlrev_b32_e32 v5, 24, v5
	v_and_b32_e32 v1, 3, v0
	v_bfe_u32 v8, v0, 2, 5
	v_ffbh_u32_e32 v6, v1
	v_cmp_eq_u32_e32 vcc_lo, 0, v8
	v_min_u32_e32 v6, 32, v6
	v_subrev_nc_u32_e32 v7, 29, v6
	v_sub_nc_u32_e32 v6, 30, v6
	v_lshlrev_b32_e32 v0, v7, v0
	v_cndmask_b32_e32 v6, v8, v6, vcc_lo
	v_and_b32_e32 v0, 3, v0
	v_cndmask_b32_e32 v0, v1, v0, vcc_lo
	v_and_b32_e32 v1, 0x80000000, v5
	v_lshl_add_u32 v5, v6, 23, 0x37800000
	v_lshlrev_b32_e32 v0, 21, v0
	v_or3_b32 v0, v1, v5, v0
	v_cvt_f64_f32_e32 v[0:1], v0
.LBB49_633:
	s_or_b32 exec_lo, exec_lo, s2
	s_mov_b32 s1, 0
	s_branch .LBB49_637
.LBB49_634:
	s_mov_b32 s2, -1
                                        ; implicit-def: $vgpr0_vgpr1
	s_branch .LBB49_643
.LBB49_635:
	s_mov_b32 s1, -1
                                        ; implicit-def: $vgpr0_vgpr1
	s_branch .LBB49_640
.LBB49_636:
	s_mov_b32 s1, -1
                                        ; implicit-def: $vgpr0_vgpr1
.LBB49_637:
	s_and_b32 vcc_lo, exec_lo, s1
	s_cbranch_vccz .LBB49_639
; %bb.638:
	global_load_ubyte v0, v[3:4], off
	s_waitcnt vmcnt(0)
	v_lshlrev_b32_e32 v0, 24, v0
	v_and_b32_e32 v1, 0x7f000000, v0
	v_ffbh_u32_e32 v5, v1
	v_add_nc_u32_e32 v7, 0x1000000, v1
	v_cmp_ne_u32_e32 vcc_lo, 0, v1
	v_min_u32_e32 v5, 32, v5
	v_sub_nc_u32_e64 v5, v5, 4 clamp
	v_lshlrev_b32_e32 v6, v5, v1
	v_lshlrev_b32_e32 v5, 23, v5
	v_lshrrev_b32_e32 v6, 4, v6
	v_sub_nc_u32_e32 v5, v6, v5
	v_ashrrev_i32_e32 v6, 8, v7
	v_add_nc_u32_e32 v5, 0x3c000000, v5
	v_and_or_b32 v5, 0x7f800000, v6, v5
	v_cndmask_b32_e32 v1, 0, v5, vcc_lo
	v_and_or_b32 v0, 0x80000000, v0, v1
	v_cvt_f64_f32_e32 v[0:1], v0
.LBB49_639:
	s_mov_b32 s1, 0
.LBB49_640:
	s_andn2_b32 vcc_lo, exec_lo, s1
	s_cbranch_vccnz .LBB49_642
; %bb.641:
	global_load_ubyte v0, v[3:4], off
	s_waitcnt vmcnt(0)
	v_lshlrev_b32_e32 v1, 25, v0
	v_lshlrev_b16 v0, 8, v0
	v_lshrrev_b32_e32 v5, 4, v1
	v_and_or_b32 v6, 0x7f00, v0, 0.5
	v_cmp_gt_u32_e32 vcc_lo, 0x8000000, v1
	v_bfe_i32 v0, v0, 0, 16
	v_or_b32_e32 v5, 0x70000000, v5
	v_add_f32_e32 v6, -0.5, v6
	v_mul_f32_e32 v5, 0x7800000, v5
	v_cndmask_b32_e32 v1, v5, v6, vcc_lo
	v_and_or_b32 v0, 0x80000000, v0, v1
	v_cvt_f64_f32_e32 v[0:1], v0
.LBB49_642:
	s_mov_b32 s2, 0
	s_mov_b32 s1, -1
.LBB49_643:
	s_andn2_b32 vcc_lo, exec_lo, s2
	s_cbranch_vccnz .LBB49_654
; %bb.644:
	s_cmp_gt_i32 s0, 14
	s_cbranch_scc0 .LBB49_647
; %bb.645:
	s_cmp_eq_u32 s0, 15
	s_cbranch_scc0 .LBB49_648
; %bb.646:
	global_load_ushort v0, v[3:4], off
	s_mov_b32 s1, -1
	s_mov_b32 s46, 0
	s_waitcnt vmcnt(0)
	v_lshlrev_b32_e32 v0, 16, v0
	v_cvt_f64_f32_e32 v[0:1], v0
	s_branch .LBB49_649
.LBB49_647:
	s_mov_b32 s2, -1
                                        ; implicit-def: $vgpr0_vgpr1
	s_branch .LBB49_650
.LBB49_648:
	s_mov_b32 s46, -1
                                        ; implicit-def: $vgpr0_vgpr1
.LBB49_649:
	s_mov_b32 s2, 0
.LBB49_650:
	s_and_b32 vcc_lo, exec_lo, s2
	s_cbranch_vccz .LBB49_654
; %bb.651:
	s_cmp_eq_u32 s0, 11
	s_cbranch_scc0 .LBB49_653
; %bb.652:
	global_load_ubyte v0, v[3:4], off
	s_mov_b32 s46, 0
	s_mov_b32 s1, -1
	s_waitcnt vmcnt(0)
	v_cmp_ne_u16_e32 vcc_lo, 0, v0
	v_mov_b32_e32 v0, 0
	v_cndmask_b32_e64 v1, 0, 0x3ff00000, vcc_lo
	s_branch .LBB49_654
.LBB49_653:
	s_mov_b32 s46, -1
                                        ; implicit-def: $vgpr0_vgpr1
.LBB49_654:
	s_mov_b32 s2, 0
.LBB49_655:
	s_and_b32 vcc_lo, exec_lo, s2
	s_cbranch_vccz .LBB49_704
; %bb.656:
	s_cmp_lt_i32 s0, 5
	s_cbranch_scc1 .LBB49_661
; %bb.657:
	s_cmp_lt_i32 s0, 8
	s_cbranch_scc1 .LBB49_662
	;; [unrolled: 3-line block ×3, first 2 shown]
; %bb.659:
	s_cmp_gt_i32 s0, 9
	s_cbranch_scc0 .LBB49_664
; %bb.660:
	global_load_dwordx2 v[0:1], v[3:4], off
	s_mov_b32 s1, 0
	s_branch .LBB49_665
.LBB49_661:
	s_mov_b32 s1, -1
                                        ; implicit-def: $vgpr0_vgpr1
	s_branch .LBB49_683
.LBB49_662:
	s_mov_b32 s1, -1
                                        ; implicit-def: $vgpr0_vgpr1
	s_branch .LBB49_671
.LBB49_663:
	s_mov_b32 s1, -1
                                        ; implicit-def: $vgpr0_vgpr1
	s_branch .LBB49_668
.LBB49_664:
	s_mov_b32 s1, -1
                                        ; implicit-def: $vgpr0_vgpr1
.LBB49_665:
	s_andn2_b32 vcc_lo, exec_lo, s1
	s_cbranch_vccnz .LBB49_667
; %bb.666:
	global_load_dword v0, v[3:4], off
	s_waitcnt vmcnt(0)
	v_cvt_f64_f32_e32 v[0:1], v0
.LBB49_667:
	s_mov_b32 s1, 0
.LBB49_668:
	s_andn2_b32 vcc_lo, exec_lo, s1
	s_cbranch_vccnz .LBB49_670
; %bb.669:
	global_load_dword v0, v[3:4], off
	s_waitcnt vmcnt(0)
	v_cvt_f32_f16_e32 v0, v0
	v_cvt_f64_f32_e32 v[0:1], v0
.LBB49_670:
	s_mov_b32 s1, 0
.LBB49_671:
	s_andn2_b32 vcc_lo, exec_lo, s1
	s_cbranch_vccnz .LBB49_682
; %bb.672:
	s_cmp_lt_i32 s0, 6
	s_cbranch_scc1 .LBB49_675
; %bb.673:
	s_cmp_gt_i32 s0, 6
	s_cbranch_scc0 .LBB49_676
; %bb.674:
	global_load_dwordx2 v[0:1], v[3:4], off
	s_mov_b32 s1, 0
	s_branch .LBB49_677
.LBB49_675:
	s_mov_b32 s1, -1
                                        ; implicit-def: $vgpr0_vgpr1
	s_branch .LBB49_680
.LBB49_676:
	s_mov_b32 s1, -1
                                        ; implicit-def: $vgpr0_vgpr1
.LBB49_677:
	s_andn2_b32 vcc_lo, exec_lo, s1
	s_cbranch_vccnz .LBB49_679
; %bb.678:
	global_load_dword v0, v[3:4], off
	s_waitcnt vmcnt(0)
	v_cvt_f64_f32_e32 v[0:1], v0
.LBB49_679:
	s_mov_b32 s1, 0
.LBB49_680:
	s_andn2_b32 vcc_lo, exec_lo, s1
	s_cbranch_vccnz .LBB49_682
; %bb.681:
	global_load_ushort v0, v[3:4], off
	s_waitcnt vmcnt(0)
	v_cvt_f32_f16_e32 v0, v0
	v_cvt_f64_f32_e32 v[0:1], v0
.LBB49_682:
	s_mov_b32 s1, 0
.LBB49_683:
	s_andn2_b32 vcc_lo, exec_lo, s1
	s_cbranch_vccnz .LBB49_703
; %bb.684:
	s_cmp_lt_i32 s0, 2
	s_cbranch_scc1 .LBB49_688
; %bb.685:
	s_cmp_lt_i32 s0, 3
	s_cbranch_scc1 .LBB49_689
; %bb.686:
	s_cmp_gt_i32 s0, 3
	s_cbranch_scc0 .LBB49_690
; %bb.687:
	global_load_dwordx2 v[0:1], v[3:4], off
	s_mov_b32 s1, 0
	s_waitcnt vmcnt(0)
	v_cvt_f64_i32_e32 v[5:6], v1
	v_cvt_f64_u32_e32 v[0:1], v0
	v_ldexp_f64 v[5:6], v[5:6], 32
	v_add_f64 v[0:1], v[5:6], v[0:1]
	s_branch .LBB49_691
.LBB49_688:
	s_mov_b32 s1, -1
                                        ; implicit-def: $vgpr0_vgpr1
	s_branch .LBB49_697
.LBB49_689:
	s_mov_b32 s1, -1
                                        ; implicit-def: $vgpr0_vgpr1
	s_branch .LBB49_694
.LBB49_690:
	s_mov_b32 s1, -1
                                        ; implicit-def: $vgpr0_vgpr1
.LBB49_691:
	s_andn2_b32 vcc_lo, exec_lo, s1
	s_cbranch_vccnz .LBB49_693
; %bb.692:
	global_load_dword v0, v[3:4], off
	s_waitcnt vmcnt(0)
	v_cvt_f64_i32_e32 v[0:1], v0
.LBB49_693:
	s_mov_b32 s1, 0
.LBB49_694:
	s_andn2_b32 vcc_lo, exec_lo, s1
	s_cbranch_vccnz .LBB49_696
; %bb.695:
	global_load_sshort v0, v[3:4], off
	s_waitcnt vmcnt(0)
	v_cvt_f64_i32_e32 v[0:1], v0
.LBB49_696:
	s_mov_b32 s1, 0
.LBB49_697:
	s_andn2_b32 vcc_lo, exec_lo, s1
	s_cbranch_vccnz .LBB49_703
; %bb.698:
	s_cmp_gt_i32 s0, 0
	s_mov_b32 s0, 0
	s_cbranch_scc0 .LBB49_700
; %bb.699:
	global_load_sbyte v0, v[3:4], off
	s_waitcnt vmcnt(0)
	v_cvt_f64_i32_e32 v[0:1], v0
	s_branch .LBB49_701
.LBB49_700:
	s_mov_b32 s0, -1
                                        ; implicit-def: $vgpr0_vgpr1
.LBB49_701:
	s_andn2_b32 vcc_lo, exec_lo, s0
	s_cbranch_vccnz .LBB49_703
; %bb.702:
	global_load_ubyte v0, v[3:4], off
	s_waitcnt vmcnt(0)
	v_cvt_f64_u32_e32 v[0:1], v0
.LBB49_703:
	s_mov_b32 s1, -1
.LBB49_704:
	s_andn2_b32 vcc_lo, exec_lo, s1
	s_cbranch_vccnz .LBB49_718
; %bb.705:
	v_mov_b32_e32 v5, 0
	v_mov_b32_e32 v3, 0
	;; [unrolled: 1-line block ×4, first 2 shown]
	s_mov_b32 s2, exec_lo
	s_waitcnt vmcnt(0)
	v_cmpx_gt_f64_e32 0.5, v[0:1]
	s_cbranch_execz .LBB49_711
; %bb.706:
	s_mov_b32 s1, 0x400921fb
	s_mov_b32 s0, 0x54442d18
	s_mov_b32 s3, exec_lo
	v_mul_f64 v[3:4], v[0:1], s[0:1]
                                        ; implicit-def: $vgpr9
                                        ; implicit-def: $vgpr5_vgpr6
                                        ; implicit-def: $vgpr7_vgpr8
	v_cmpx_ngt_f64_e64 0x41d00000, |v[3:4]|
	s_xor_b32 s3, exec_lo, s3
	s_cbranch_execz .LBB49_708
; %bb.707:
	v_ldexp_f64 v[5:6], |v[3:4]|, 0xffffff80
	v_cmp_le_f64_e64 vcc_lo, 0x7b000000, |v[3:4]|
	v_trig_preop_f64 v[7:8], |v[3:4]|, 0
	v_and_b32_e32 v9, 0x7fffffff, v4
	v_trig_preop_f64 v[21:22], |v[3:4]|, 2
	v_mov_b32_e32 v29, 0
	s_mov_b32 s1, 0x3ff921fb
	s_mov_b32 s6, 0x33145c07
	;; [unrolled: 1-line block ×3, first 2 shown]
	v_cndmask_b32_e32 v6, v9, v6, vcc_lo
	v_cndmask_b32_e32 v5, v3, v5, vcc_lo
	v_trig_preop_f64 v[9:10], |v[3:4]|, 1
	v_mul_f64 v[13:14], v[7:8], v[5:6]
	v_mul_f64 v[27:28], v[21:22], v[5:6]
	;; [unrolled: 1-line block ×3, first 2 shown]
	v_fma_f64 v[7:8], v[7:8], v[5:6], -v[13:14]
	v_fma_f64 v[9:10], v[9:10], v[5:6], -v[15:16]
	;; [unrolled: 1-line block ×3, first 2 shown]
	v_add_f64 v[17:18], v[15:16], v[7:8]
	v_add_f64 v[19:20], v[17:18], -v[15:16]
	v_add_f64 v[25:26], v[13:14], v[17:18]
	v_add_f64 v[23:24], v[17:18], -v[19:20]
	v_add_f64 v[7:8], v[7:8], -v[19:20]
	v_ldexp_f64 v[19:20], v[25:26], -2
	v_add_f64 v[13:14], v[25:26], -v[13:14]
	v_add_f64 v[15:16], v[15:16], -v[23:24]
	v_add_f64 v[23:24], v[27:28], v[9:10]
	v_cmp_neq_f64_e64 vcc_lo, 0x7ff00000, |v[19:20]|
	v_add_f64 v[13:14], v[17:18], -v[13:14]
	v_add_f64 v[7:8], v[7:8], v[15:16]
	v_fract_f64_e32 v[15:16], v[19:20]
	v_add_f64 v[17:18], v[23:24], v[7:8]
	v_ldexp_f64 v[15:16], v[15:16], 2
	v_add_f64 v[19:20], v[13:14], v[17:18]
	v_cndmask_b32_e32 v16, 0, v16, vcc_lo
	v_cndmask_b32_e32 v15, 0, v15, vcc_lo
	v_add_f64 v[25:26], v[19:20], v[15:16]
	v_add_f64 v[13:14], v[19:20], -v[13:14]
	v_cmp_gt_f64_e32 vcc_lo, 0, v[25:26]
	v_add_f64 v[25:26], v[23:24], -v[27:28]
	v_add_f64 v[13:14], v[17:18], -v[13:14]
	v_cndmask_b32_e64 v30, 0, 0x40100000, vcc_lo
	v_add_f64 v[34:35], v[23:24], -v[25:26]
	v_add_f64 v[9:10], v[9:10], -v[25:26]
	v_add_f64 v[15:16], v[15:16], v[29:30]
	v_add_f64 v[30:31], v[17:18], -v[23:24]
	v_add_f64 v[25:26], v[27:28], -v[34:35]
	v_add_f64 v[32:33], v[19:20], v[15:16]
	;; [unrolled: 3-line block ×3, first 2 shown]
	v_cvt_i32_f64_e32 v32, v[32:33]
	v_add_f64 v[23:24], v[23:24], -v[36:37]
	v_cvt_f64_i32_e32 v[30:31], v32
	v_add_f64 v[7:8], v[7:8], v[23:24]
	v_add_f64 v[15:16], v[15:16], -v[30:31]
	v_add_f64 v[7:8], v[9:10], v[7:8]
	v_add_f64 v[10:11], v[19:20], v[15:16]
	v_add_f64 v[5:6], v[5:6], v[7:8]
	v_add_f64 v[7:8], v[10:11], -v[15:16]
	v_cmp_le_f64_e32 vcc_lo, 0.5, v[10:11]
	v_add_f64 v[5:6], v[13:14], v[5:6]
	v_add_f64 v[7:8], v[19:20], -v[7:8]
	v_cndmask_b32_e64 v30, 0, 0x3ff00000, vcc_lo
	v_add_co_ci_u32_e64 v9, null, 0, v32, vcc_lo
	v_add_f64 v[5:6], v[5:6], v[7:8]
	v_add_f64 v[7:8], v[10:11], -v[29:30]
	v_add_f64 v[10:11], v[7:8], v[5:6]
	v_mul_f64 v[13:14], v[10:11], s[0:1]
	v_add_f64 v[7:8], v[10:11], -v[7:8]
	v_fma_f64 v[15:16], v[10:11], s[0:1], -v[13:14]
	v_add_f64 v[5:6], v[5:6], -v[7:8]
	v_fma_f64 v[7:8], v[10:11], s[6:7], v[15:16]
	v_fma_f64 v[7:8], v[5:6], s[0:1], v[7:8]
	v_add_f64 v[5:6], v[13:14], v[7:8]
	v_add_f64 v[10:11], v[5:6], -v[13:14]
	v_add_f64 v[7:8], v[7:8], -v[10:11]
.LBB49_708:
	s_andn2_saveexec_b32 s0, s3
	s_cbranch_execz .LBB49_710
; %bb.709:
	s_mov_b32 s6, 0x6dc9c883
	s_mov_b32 s7, 0x3fe45f30
	;; [unrolled: 1-line block ×3, first 2 shown]
	v_mul_f64 v[5:6], |v[3:4]|, s[6:7]
	s_mov_b32 s6, 0x54442d18
	s_mov_b32 s7, 0xbff921fb
	;; [unrolled: 1-line block ×3, first 2 shown]
	v_rndne_f64_e32 v[9:10], v[5:6]
	v_fma_f64 v[5:6], v[9:10], s[6:7], |v[3:4]|
	v_mul_f64 v[7:8], v[9:10], s[48:49]
	s_mov_b32 s6, 0x252049c0
	s_mov_b32 s7, 0xb97b839a
	v_fma_f64 v[15:16], v[9:10], s[48:49], v[5:6]
	v_add_f64 v[13:14], v[5:6], v[7:8]
	s_mov_b32 s49, 0x3c91a626
	v_add_f64 v[5:6], v[5:6], -v[13:14]
	v_add_f64 v[13:14], v[13:14], -v[15:16]
	v_add_f64 v[5:6], v[5:6], v[7:8]
	v_fma_f64 v[7:8], v[9:10], s[48:49], v[7:8]
	v_add_f64 v[5:6], v[13:14], v[5:6]
	v_add_f64 v[5:6], v[5:6], -v[7:8]
	v_fma_f64 v[7:8], v[9:10], s[6:7], v[5:6]
	v_cvt_i32_f64_e32 v9, v[9:10]
	v_add_f64 v[5:6], v[15:16], v[7:8]
	v_add_f64 v[13:14], v[5:6], -v[15:16]
	v_add_f64 v[7:8], v[7:8], -v[13:14]
.LBB49_710:
	s_or_b32 exec_lo, exec_lo, s0
	v_mul_f64 v[10:11], v[5:6], v[5:6]
	s_mov_b32 s0, 0xb42fdfa7
	s_mov_b32 s6, 0xf9a43bb8
	;; [unrolled: 1-line block ×6, first 2 shown]
	v_mul_f64 v[21:22], v[7:8], 0.5
	v_add_f64 v[0:1], -v[0:1], 1.0
	v_fma_f64 v[13:14], v[10:11], s[6:7], s[0:1]
	s_mov_b32 s0, 0x9037ab78
	s_mov_b32 s6, 0x46cc5e42
	;; [unrolled: 1-line block ×4, first 2 shown]
	v_mul_f64 v[17:18], v[10:11], 0.5
	v_fma_f64 v[15:16], v[10:11], s[6:7], s[0:1]
	s_mov_b32 s0, 0xa17f65f6
	s_mov_b32 s6, 0x19e83e5c
	s_mov_b32 s1, 0xbe927e4f
	s_mov_b32 s7, 0xbf2a01a0
	v_mul_f64 v[23:24], v[5:6], -v[10:11]
	v_fma_f64 v[13:14], v[10:11], v[13:14], s[48:49]
	v_add_f64 v[19:20], -v[17:18], 1.0
	v_fma_f64 v[15:16], v[10:11], v[15:16], s[0:1]
	s_mov_b32 s0, 0x19f4ec90
	s_mov_b32 s1, 0x3efa01a0
	v_fma_f64 v[13:14], v[10:11], v[13:14], s[6:7]
	s_mov_b32 s6, 0x11110bb3
	s_mov_b32 s7, 0x3f811111
	v_add_f64 v[25:26], -v[19:20], 1.0
	v_fma_f64 v[15:16], v[10:11], v[15:16], s[0:1]
	s_mov_b32 s0, 0x16c16967
	s_mov_b32 s1, 0xbf56c16c
	v_fma_f64 v[13:14], v[10:11], v[13:14], s[6:7]
	v_add_f64 v[17:18], v[25:26], -v[17:18]
	v_fma_f64 v[15:16], v[10:11], v[15:16], s[0:1]
	s_mov_b32 s1, 0x3fa55555
	s_mov_b32 s0, 0x55555555
	v_fma_f64 v[13:14], v[23:24], v[13:14], v[21:22]
	v_mul_f64 v[21:22], v[10:11], v[10:11]
	v_fma_f64 v[17:18], v[5:6], -v[7:8], v[17:18]
	v_fma_f64 v[15:16], v[10:11], v[15:16], s[0:1]
	s_mov_b32 s1, 0xbfc55555
	v_fma_f64 v[7:8], v[10:11], v[13:14], -v[7:8]
	v_fma_f64 v[10:11], v[21:22], v[15:16], v[17:18]
	v_fma_f64 v[7:8], v[23:24], s[0:1], v[7:8]
	v_cmp_class_f64_e64 s0, v[3:4], 0x1f8
	v_lshlrev_b32_e32 v3, 30, v9
	v_add_f64 v[10:11], v[19:20], v[10:11]
	v_xor_b32_e32 v3, v3, v4
	v_and_b32_e32 v3, 0x80000000, v3
	v_add_f64 v[5:6], v[5:6], -v[7:8]
	v_and_b32_e32 v7, 1, v9
	v_cmp_eq_u32_e32 vcc_lo, 0, v7
	v_cndmask_b32_e32 v4, v11, v6, vcc_lo
	v_cndmask_b32_e32 v5, v10, v5, vcc_lo
	v_xor_b32_e32 v4, v4, v3
	v_cndmask_b32_e64 v3, 0, v5, s0
	v_cndmask_b32_e64 v4, 0x7ff80000, v4, s0
	s_mov_b32 s0, 0xc9be45de
	s_mov_b32 s1, 0xc023bd3c
	v_mul_f64 v[3:4], v[3:4], v[3:4]
	v_div_scale_f64 v[5:6], null, v[3:4], v[3:4], s[0:1]
	v_div_scale_f64 v[13:14], vcc_lo, s[0:1], v[3:4], s[0:1]
	v_rcp_f64_e32 v[7:8], v[5:6]
	v_fma_f64 v[9:10], -v[5:6], v[7:8], 1.0
	v_fma_f64 v[7:8], v[7:8], v[9:10], v[7:8]
	v_fma_f64 v[9:10], -v[5:6], v[7:8], 1.0
	v_fma_f64 v[7:8], v[7:8], v[9:10], v[7:8]
	v_mul_f64 v[9:10], v[13:14], v[7:8]
	v_fma_f64 v[5:6], -v[5:6], v[9:10], v[13:14]
	v_div_fmas_f64 v[5:6], v[5:6], v[7:8], v[9:10]
	v_div_fixup_f64 v[3:4], v[5:6], v[3:4], s[0:1]
	v_add_f64 v[5:6], v[3:4], 0
	v_mov_b32_e32 v3, 0
	v_mov_b32_e32 v4, 0xbff00000
.LBB49_711:
	s_or_b32 exec_lo, exec_lo, s2
	v_add_f64 v[7:8], v[0:1], 1.0
	v_mul_f64 v[0:1], v[0:1], v[0:1]
	v_add_f64 v[9:10], v[7:8], 1.0
	v_mul_f64 v[7:8], v[7:8], v[7:8]
	v_div_scale_f64 v[23:24], null, v[0:1], v[0:1], 1.0
	v_div_scale_f64 v[71:72], vcc_lo, 1.0, v[0:1], 1.0
	v_add_f64 v[13:14], v[9:10], 1.0
	v_mul_f64 v[9:10], v[9:10], v[9:10]
	v_div_scale_f64 v[25:26], null, v[7:8], v[7:8], 1.0
	v_rcp_f64_e32 v[39:40], v[23:24]
	v_add_f64 v[15:16], v[13:14], 1.0
	v_mul_f64 v[13:14], v[13:14], v[13:14]
	v_div_scale_f64 v[27:28], null, v[9:10], v[9:10], 1.0
	v_rcp_f64_e32 v[41:42], v[25:26]
	v_fma_f64 v[55:56], -v[23:24], v[39:40], 1.0
	v_add_f64 v[17:18], v[15:16], 1.0
	v_mul_f64 v[15:16], v[15:16], v[15:16]
	v_div_scale_f64 v[29:30], null, v[13:14], v[13:14], 1.0
	v_rcp_f64_e32 v[43:44], v[27:28]
	v_fma_f64 v[57:58], -v[25:26], v[41:42], 1.0
	v_fma_f64 v[39:40], v[39:40], v[55:56], v[39:40]
	v_add_f64 v[19:20], v[17:18], 1.0
	v_mul_f64 v[17:18], v[17:18], v[17:18]
	v_div_scale_f64 v[31:32], null, v[15:16], v[15:16], 1.0
	v_rcp_f64_e32 v[45:46], v[29:30]
	v_fma_f64 v[59:60], -v[27:28], v[43:44], 1.0
	v_fma_f64 v[41:42], v[41:42], v[57:58], v[41:42]
	v_fma_f64 v[57:58], -v[23:24], v[39:40], 1.0
	v_mul_f64 v[21:22], v[19:20], v[19:20]
	v_div_scale_f64 v[33:34], null, v[17:18], v[17:18], 1.0
	v_add_f64 v[35:36], v[19:20], v[19:20]
	v_rcp_f64_e32 v[47:48], v[31:32]
	v_fma_f64 v[61:62], -v[29:30], v[45:46], 1.0
	v_fma_f64 v[43:44], v[43:44], v[59:60], v[43:44]
	v_fma_f64 v[59:60], -v[25:26], v[41:42], 1.0
	v_fma_f64 v[39:40], v[39:40], v[57:58], v[39:40]
	v_div_scale_f64 v[57:58], s0, 1.0, v[7:8], 1.0
	v_div_scale_f64 v[37:38], null, v[21:22], v[21:22], 1.0
	v_rcp_f64_e32 v[49:50], v[33:34]
	v_div_scale_f64 v[51:52], null, v[35:36], v[35:36], 1.0
	v_div_scale_f64 v[73:74], s7, 1.0, v[21:22], 1.0
	v_fma_f64 v[63:64], -v[31:32], v[47:48], 1.0
	v_fma_f64 v[45:46], v[45:46], v[61:62], v[45:46]
	v_fma_f64 v[61:62], -v[27:28], v[43:44], 1.0
	v_fma_f64 v[41:42], v[41:42], v[59:60], v[41:42]
	v_div_scale_f64 v[59:60], s1, 1.0, v[9:10], 1.0
	v_div_scale_f64 v[83:84], s8, 1.0, v[35:36], 1.0
	v_rcp_f64_e32 v[53:54], v[37:38]
	v_rcp_f64_e32 v[65:66], v[51:52]
	v_fma_f64 v[67:68], -v[33:34], v[49:50], 1.0
	v_fma_f64 v[47:48], v[47:48], v[63:64], v[47:48]
	v_fma_f64 v[63:64], -v[29:30], v[45:46], 1.0
	v_fma_f64 v[43:44], v[43:44], v[61:62], v[43:44]
	v_div_scale_f64 v[61:62], s2, 1.0, v[13:14], 1.0
	v_mul_f64 v[75:76], v[57:58], v[41:42]
	v_fma_f64 v[69:70], -v[37:38], v[53:54], 1.0
	v_fma_f64 v[49:50], v[49:50], v[67:68], v[49:50]
	v_fma_f64 v[55:56], -v[51:52], v[65:66], 1.0
	v_fma_f64 v[67:68], -v[31:32], v[47:48], 1.0
	v_fma_f64 v[45:46], v[45:46], v[63:64], v[45:46]
	v_div_scale_f64 v[63:64], s3, 1.0, v[15:16], 1.0
	v_mul_f64 v[77:78], v[59:60], v[43:44]
	v_fma_f64 v[25:26], -v[25:26], v[75:76], v[57:58]
	v_fma_f64 v[53:54], v[53:54], v[69:70], v[53:54]
	v_fma_f64 v[69:70], -v[33:34], v[49:50], 1.0
	v_fma_f64 v[55:56], v[65:66], v[55:56], v[65:66]
	v_fma_f64 v[47:48], v[47:48], v[67:68], v[47:48]
	v_div_scale_f64 v[67:68], s6, 1.0, v[17:18], 1.0
	v_mul_f64 v[79:80], v[61:62], v[45:46]
	v_fma_f64 v[27:28], -v[27:28], v[77:78], v[59:60]
	v_fma_f64 v[65:66], -v[37:38], v[53:54], 1.0
	v_fma_f64 v[49:50], v[49:50], v[69:70], v[49:50]
	v_fma_f64 v[69:70], -v[51:52], v[55:56], 1.0
	v_mul_f64 v[81:82], v[63:64], v[47:48]
	v_fma_f64 v[29:30], -v[29:30], v[79:80], v[61:62]
	v_fma_f64 v[53:54], v[53:54], v[65:66], v[53:54]
	v_mul_f64 v[65:66], v[71:72], v[39:40]
	v_mul_f64 v[85:86], v[67:68], v[49:50]
	v_fma_f64 v[55:56], v[55:56], v[69:70], v[55:56]
	v_fma_f64 v[31:32], -v[31:32], v[81:82], v[63:64]
	v_mul_f64 v[69:70], v[73:74], v[53:54]
	v_fma_f64 v[23:24], -v[23:24], v[65:66], v[71:72]
	v_fma_f64 v[33:34], -v[33:34], v[85:86], v[67:68]
	v_mul_f64 v[57:58], v[83:84], v[55:56]
	v_fma_f64 v[37:38], -v[37:38], v[69:70], v[73:74]
	v_div_fmas_f64 v[23:24], v[23:24], v[39:40], v[65:66]
	s_mov_b32 vcc_lo, s0
	v_fma_f64 v[39:40], -v[51:52], v[57:58], v[83:84]
	v_div_fmas_f64 v[25:26], v[25:26], v[41:42], v[75:76]
	s_mov_b32 vcc_lo, s1
	s_mov_b32 s0, 0x11111111
	v_div_fmas_f64 v[27:28], v[27:28], v[43:44], v[77:78]
	s_mov_b32 vcc_lo, s2
	s_mov_b32 s1, 0x3fa11111
	;; [unrolled: 3-line block ×4, first 2 shown]
	v_div_fmas_f64 v[33:34], v[33:34], v[49:50], v[85:86]
	s_mov_b32 vcc_lo, s7
	v_div_fmas_f64 v[37:38], v[37:38], v[53:54], v[69:70]
	s_mov_b32 vcc_lo, s8
	v_div_fixup_f64 v[0:1], v[23:24], v[0:1], 1.0
	v_div_fmas_f64 v[39:40], v[39:40], v[55:56], v[57:58]
	v_div_fixup_f64 v[21:22], v[37:38], v[21:22], 1.0
	v_add_f64 v[0:1], v[5:6], v[0:1]
	v_div_fixup_f64 v[35:36], v[39:40], v[35:36], 1.0
	v_div_fixup_f64 v[5:6], v[25:26], v[7:8], 1.0
	v_fma_f64 v[37:38], v[21:22], s[2:3], s[0:1]
	s_mov_b32 s0, 0x55555555
	s_mov_b32 s1, 0x3fc55555
	v_add_f64 v[35:36], v[35:36], 1.0
	v_add_f64 v[0:1], v[0:1], v[5:6]
	v_div_fixup_f64 v[5:6], v[27:28], v[9:10], 1.0
	v_fma_f64 v[37:38], -v[21:22], v[37:38], s[0:1]
	s_and_b32 s1, s33, 0xff
	s_cmp_lt_i32 s1, 11
	v_add_f64 v[0:1], v[0:1], v[5:6]
	v_div_fixup_f64 v[5:6], v[29:30], v[13:14], 1.0
	v_fma_f64 v[21:22], v[21:22], v[37:38], v[35:36]
	v_add_f64 v[0:1], v[0:1], v[5:6]
	v_div_fixup_f64 v[5:6], v[31:32], v[15:16], 1.0
	v_div_scale_f64 v[35:36], null, v[19:20], v[19:20], v[21:22]
	v_div_scale_f64 v[9:10], vcc_lo, v[21:22], v[19:20], v[21:22]
	v_add_f64 v[0:1], v[0:1], v[5:6]
	v_div_fixup_f64 v[5:6], v[33:34], v[17:18], 1.0
	v_rcp_f64_e32 v[37:38], v[35:36]
	v_add_f64 v[0:1], v[0:1], v[5:6]
	v_fma_f64 v[39:40], -v[35:36], v[37:38], 1.0
	v_fma_f64 v[23:24], v[37:38], v[39:40], v[37:38]
	v_fma_f64 v[7:8], -v[35:36], v[23:24], 1.0
	v_fma_f64 v[7:8], v[23:24], v[7:8], v[23:24]
	v_mul_f64 v[13:14], v[9:10], v[7:8]
	v_fma_f64 v[9:10], -v[35:36], v[13:14], v[9:10]
	v_div_fmas_f64 v[7:8], v[9:10], v[7:8], v[13:14]
	v_div_fixup_f64 v[5:6], v[7:8], v[19:20], v[21:22]
	v_add_f64 v[0:1], v[0:1], v[5:6]
	v_mul_f64 v[0:1], v[3:4], v[0:1]
	v_add_co_u32 v4, s0, s12, v2
	v_add_co_ci_u32_e64 v5, null, s13, 0, s0
	s_cbranch_scc1 .LBB49_719
; %bb.712:
	s_and_b32 s2, 0xffff, s1
	s_cmp_gt_i32 s2, 25
	s_cbranch_scc0 .LBB49_720
; %bb.713:
	s_cmp_gt_i32 s2, 28
	s_cbranch_scc0 .LBB49_721
; %bb.714:
	;; [unrolled: 3-line block ×4, first 2 shown]
	s_mov_b32 s6, 0
	s_mov_b32 s0, -1
	s_cmp_eq_u32 s2, 46
	s_mov_b32 s3, 0
	s_cbranch_scc0 .LBB49_724
; %bb.717:
	v_cvt_f32_f64_e32 v2, v[0:1]
	s_mov_b32 s3, -1
	s_mov_b32 s0, 0
	v_bfe_u32 v3, v2, 16, 1
	v_cmp_o_f32_e32 vcc_lo, v2, v2
	v_add3_u32 v2, v2, v3, 0x7fff
	v_mov_b32_e32 v3, 0x7fc0
	v_cndmask_b32_sdwa v2, v3, v2, vcc_lo dst_sel:DWORD dst_unused:UNUSED_PAD src0_sel:DWORD src1_sel:WORD_1
	global_store_dword v[4:5], v2, off
	s_branch .LBB49_724
.LBB49_718:
	s_mov_b32 s1, 0
	s_mov_b32 s0, s43
	s_branch .LBB49_835
.LBB49_719:
	s_mov_b32 s2, -1
	s_mov_b32 s3, 0
	s_mov_b32 s0, s43
	s_branch .LBB49_793
.LBB49_720:
	s_mov_b32 s6, -1
	s_mov_b32 s3, 0
	s_mov_b32 s0, s43
	s_branch .LBB49_751
.LBB49_721:
	s_mov_b32 s6, -1
	s_mov_b32 s3, 0
	s_mov_b32 s0, s43
	s_branch .LBB49_734
.LBB49_722:
	s_mov_b32 s6, -1
	s_mov_b32 s3, 0
	s_mov_b32 s0, s43
	s_branch .LBB49_730
.LBB49_723:
	s_mov_b32 s6, -1
	s_mov_b32 s3, 0
	s_mov_b32 s0, s43
.LBB49_724:
	s_and_b32 vcc_lo, exec_lo, s6
	s_cbranch_vccz .LBB49_729
; %bb.725:
	s_cmp_eq_u32 s2, 44
	s_mov_b32 s0, -1
	s_cbranch_scc0 .LBB49_729
; %bb.726:
	v_cvt_f32_f64_e32 v2, v[0:1]
	v_mov_b32_e32 v3, 0xff
	s_mov_b32 s3, exec_lo
	v_bfe_u32 v6, v2, 23, 8
	v_cmpx_ne_u32_e32 0xff, v6
	s_cbranch_execz .LBB49_728
; %bb.727:
	v_and_b32_e32 v3, 0x400000, v2
	v_and_or_b32 v6, 0x3fffff, v2, v6
	v_lshrrev_b32_e32 v2, 23, v2
	v_cmp_ne_u32_e32 vcc_lo, 0, v3
	v_cmp_ne_u32_e64 s0, 0, v6
	s_and_b32 s0, vcc_lo, s0
	v_cndmask_b32_e64 v3, 0, 1, s0
	v_add_nc_u32_e32 v3, v2, v3
.LBB49_728:
	s_or_b32 exec_lo, exec_lo, s3
	s_mov_b32 s3, -1
	s_mov_b32 s0, 0
	global_store_byte v[4:5], v3, off
.LBB49_729:
	s_mov_b32 s6, 0
.LBB49_730:
	s_and_b32 vcc_lo, exec_lo, s6
	s_cbranch_vccz .LBB49_733
; %bb.731:
	s_cmp_eq_u32 s2, 29
	s_mov_b32 s0, -1
	s_cbranch_scc0 .LBB49_733
; %bb.732:
	v_trunc_f64_e32 v[2:3], v[0:1]
	s_mov_b32 s3, -1
	s_mov_b32 s0, 0
	s_mov_b32 s6, 0
	v_ldexp_f64 v[6:7], v[2:3], 0xffffffe0
	v_floor_f64_e32 v[6:7], v[6:7]
	v_fma_f64 v[2:3], 0xc1f00000, v[6:7], v[2:3]
	v_cvt_u32_f64_e32 v7, v[6:7]
	v_cvt_u32_f64_e32 v6, v[2:3]
	global_store_dwordx2 v[4:5], v[6:7], off
	s_branch .LBB49_734
.LBB49_733:
	s_mov_b32 s6, 0
.LBB49_734:
	s_and_b32 vcc_lo, exec_lo, s6
	s_cbranch_vccz .LBB49_750
; %bb.735:
	s_cmp_lt_i32 s2, 27
	s_mov_b32 s3, -1
	s_cbranch_scc1 .LBB49_741
; %bb.736:
	v_cvt_u32_f64_e32 v2, v[0:1]
	s_cmp_gt_i32 s2, 27
	s_cbranch_scc0 .LBB49_738
; %bb.737:
	s_mov_b32 s3, 0
	global_store_dword v[4:5], v2, off
.LBB49_738:
	s_andn2_b32 vcc_lo, exec_lo, s3
	s_cbranch_vccnz .LBB49_740
; %bb.739:
	global_store_short v[4:5], v2, off
.LBB49_740:
	s_mov_b32 s3, 0
.LBB49_741:
	s_andn2_b32 vcc_lo, exec_lo, s3
	s_cbranch_vccnz .LBB49_749
; %bb.742:
	v_cvt_f32_f64_e32 v2, v[0:1]
	v_mov_b32_e32 v6, 0x80
	s_mov_b32 s3, exec_lo
	v_and_b32_e32 v3, 0x7fffffff, v2
	v_cmpx_gt_u32_e32 0x43800000, v3
	s_cbranch_execz .LBB49_748
; %bb.743:
	v_cmp_lt_u32_e32 vcc_lo, 0x3bffffff, v3
	s_mov_b32 s6, 0
                                        ; implicit-def: $vgpr3
	s_and_saveexec_b32 s7, vcc_lo
	s_xor_b32 s7, exec_lo, s7
	s_cbranch_execz .LBB49_865
; %bb.744:
	v_bfe_u32 v3, v2, 20, 1
	s_mov_b32 s6, exec_lo
	v_add3_u32 v3, v2, v3, 0x487ffff
	v_lshrrev_b32_e32 v3, 20, v3
	s_andn2_saveexec_b32 s7, s7
	s_cbranch_execnz .LBB49_866
.LBB49_745:
	s_or_b32 exec_lo, exec_lo, s7
	v_mov_b32_e32 v6, 0
	s_and_saveexec_b32 s7, s6
.LBB49_746:
	v_lshrrev_b32_e32 v2, 24, v2
	v_and_or_b32 v6, 0x80, v2, v3
.LBB49_747:
	s_or_b32 exec_lo, exec_lo, s7
.LBB49_748:
	s_or_b32 exec_lo, exec_lo, s3
	global_store_byte v[4:5], v6, off
.LBB49_749:
	s_mov_b32 s3, -1
.LBB49_750:
	s_mov_b32 s6, 0
.LBB49_751:
	s_and_b32 vcc_lo, exec_lo, s6
	s_cbranch_vccz .LBB49_792
; %bb.752:
	s_cmp_gt_i32 s2, 22
	s_mov_b32 s6, -1
	s_cbranch_scc0 .LBB49_784
; %bb.753:
	s_cmp_lt_i32 s2, 24
	s_mov_b32 s3, -1
	s_cbranch_scc1 .LBB49_773
; %bb.754:
	s_cmp_gt_i32 s2, 24
	s_cbranch_scc0 .LBB49_762
; %bb.755:
	v_cvt_f32_f64_e32 v2, v[0:1]
	v_mov_b32_e32 v6, 0x80
	s_mov_b32 s3, exec_lo
	v_and_b32_e32 v3, 0x7fffffff, v2
	v_cmpx_gt_u32_e32 0x47800000, v3
	s_cbranch_execz .LBB49_761
; %bb.756:
	v_cmp_lt_u32_e32 vcc_lo, 0x37ffffff, v3
	s_mov_b32 s6, 0
                                        ; implicit-def: $vgpr3
	s_and_saveexec_b32 s7, vcc_lo
	s_xor_b32 s7, exec_lo, s7
	s_cbranch_execz .LBB49_868
; %bb.757:
	v_bfe_u32 v3, v2, 21, 1
	s_mov_b32 s6, exec_lo
	v_add3_u32 v3, v2, v3, 0x88fffff
	v_lshrrev_b32_e32 v3, 21, v3
	s_andn2_saveexec_b32 s7, s7
	s_cbranch_execnz .LBB49_869
.LBB49_758:
	s_or_b32 exec_lo, exec_lo, s7
	v_mov_b32_e32 v6, 0
	s_and_saveexec_b32 s7, s6
.LBB49_759:
	v_lshrrev_b32_e32 v2, 24, v2
	v_and_or_b32 v6, 0x80, v2, v3
.LBB49_760:
	s_or_b32 exec_lo, exec_lo, s7
.LBB49_761:
	s_or_b32 exec_lo, exec_lo, s3
	s_mov_b32 s3, 0
	global_store_byte v[4:5], v6, off
.LBB49_762:
	s_and_b32 vcc_lo, exec_lo, s3
	s_cbranch_vccz .LBB49_772
; %bb.763:
	v_cvt_f32_f64_e32 v2, v[0:1]
	s_mov_b32 s3, exec_lo
                                        ; implicit-def: $vgpr3
	v_and_b32_e32 v6, 0x7fffffff, v2
	v_cmpx_gt_u32_e32 0x43f00000, v6
	s_xor_b32 s3, exec_lo, s3
	s_cbranch_execz .LBB49_769
; %bb.764:
	s_mov_b32 s6, exec_lo
                                        ; implicit-def: $vgpr3
	v_cmpx_lt_u32_e32 0x3c7fffff, v6
	s_xor_b32 s6, exec_lo, s6
; %bb.765:
	v_bfe_u32 v3, v2, 20, 1
	v_add3_u32 v3, v2, v3, 0x407ffff
	v_and_b32_e32 v6, 0xff00000, v3
	v_lshrrev_b32_e32 v3, 20, v3
	v_cmp_ne_u32_e32 vcc_lo, 0x7f00000, v6
	v_cndmask_b32_e32 v3, 0x7e, v3, vcc_lo
; %bb.766:
	s_andn2_saveexec_b32 s6, s6
; %bb.767:
	v_add_f32_e64 v3, 0x46800000, |v2|
; %bb.768:
	s_or_b32 exec_lo, exec_lo, s6
                                        ; implicit-def: $vgpr6
.LBB49_769:
	s_andn2_saveexec_b32 s3, s3
; %bb.770:
	v_mov_b32_e32 v3, 0x7f
	v_cmp_lt_u32_e32 vcc_lo, 0x7f800000, v6
	v_cndmask_b32_e32 v3, 0x7e, v3, vcc_lo
; %bb.771:
	s_or_b32 exec_lo, exec_lo, s3
	v_lshrrev_b32_e32 v2, 24, v2
	v_and_or_b32 v2, 0x80, v2, v3
	global_store_byte v[4:5], v2, off
.LBB49_772:
	s_mov_b32 s3, 0
.LBB49_773:
	s_andn2_b32 vcc_lo, exec_lo, s3
	s_cbranch_vccnz .LBB49_783
; %bb.774:
	v_cvt_f32_f64_e32 v2, v[0:1]
	s_mov_b32 s3, exec_lo
                                        ; implicit-def: $vgpr3
	v_and_b32_e32 v6, 0x7fffffff, v2
	v_cmpx_gt_u32_e32 0x47800000, v6
	s_xor_b32 s3, exec_lo, s3
	s_cbranch_execz .LBB49_780
; %bb.775:
	s_mov_b32 s6, exec_lo
                                        ; implicit-def: $vgpr3
	v_cmpx_lt_u32_e32 0x387fffff, v6
	s_xor_b32 s6, exec_lo, s6
; %bb.776:
	v_bfe_u32 v3, v2, 21, 1
	v_add3_u32 v3, v2, v3, 0x80fffff
	v_lshrrev_b32_e32 v3, 21, v3
; %bb.777:
	s_andn2_saveexec_b32 s6, s6
; %bb.778:
	v_add_f32_e64 v3, 0x43000000, |v2|
; %bb.779:
	s_or_b32 exec_lo, exec_lo, s6
                                        ; implicit-def: $vgpr6
.LBB49_780:
	s_andn2_saveexec_b32 s3, s3
; %bb.781:
	v_mov_b32_e32 v3, 0x7f
	v_cmp_lt_u32_e32 vcc_lo, 0x7f800000, v6
	v_cndmask_b32_e32 v3, 0x7c, v3, vcc_lo
; %bb.782:
	s_or_b32 exec_lo, exec_lo, s3
	v_lshrrev_b32_e32 v2, 24, v2
	v_and_or_b32 v2, 0x80, v2, v3
	global_store_byte v[4:5], v2, off
.LBB49_783:
	s_mov_b32 s6, 0
	s_mov_b32 s3, -1
.LBB49_784:
	s_andn2_b32 vcc_lo, exec_lo, s6
	s_cbranch_vccnz .LBB49_792
; %bb.785:
	s_cmp_gt_i32 s2, 14
	s_mov_b32 s6, -1
	s_cbranch_scc0 .LBB49_789
; %bb.786:
	s_cmp_eq_u32 s2, 15
	s_mov_b32 s0, -1
	s_cbranch_scc0 .LBB49_788
; %bb.787:
	v_cvt_f32_f64_e32 v2, v[0:1]
	s_mov_b32 s3, -1
	s_mov_b32 s0, 0
	v_bfe_u32 v3, v2, 16, 1
	v_cmp_o_f32_e32 vcc_lo, v2, v2
	v_add3_u32 v2, v2, v3, 0x7fff
	v_mov_b32_e32 v3, 0x7fc0
	v_cndmask_b32_sdwa v2, v3, v2, vcc_lo dst_sel:DWORD dst_unused:UNUSED_PAD src0_sel:DWORD src1_sel:WORD_1
	global_store_short v[4:5], v2, off
.LBB49_788:
	s_mov_b32 s6, 0
.LBB49_789:
	s_and_b32 vcc_lo, exec_lo, s6
	s_cbranch_vccz .LBB49_792
; %bb.790:
	s_cmp_eq_u32 s2, 11
	s_mov_b32 s0, -1
	s_cbranch_scc0 .LBB49_792
; %bb.791:
	v_cmp_neq_f64_e32 vcc_lo, 0, v[0:1]
	s_mov_b32 s3, -1
	s_mov_b32 s0, 0
	v_cndmask_b32_e64 v2, 0, 1, vcc_lo
	global_store_byte v[4:5], v2, off
.LBB49_792:
	s_mov_b32 s2, 0
.LBB49_793:
	s_and_b32 vcc_lo, exec_lo, s2
	s_cbranch_vccz .LBB49_832
; %bb.794:
	s_and_b32 s1, 0xffff, s1
	s_mov_b32 s2, -1
	s_cmp_lt_i32 s1, 5
	s_cbranch_scc1 .LBB49_815
; %bb.795:
	s_cmp_lt_i32 s1, 8
	s_cbranch_scc1 .LBB49_805
; %bb.796:
	;; [unrolled: 3-line block ×3, first 2 shown]
	s_cmp_gt_i32 s1, 9
	s_cbranch_scc0 .LBB49_799
; %bb.798:
	v_mov_b32_e32 v2, 0
	s_mov_b32 s2, 0
	v_mov_b32_e32 v3, v2
	global_store_dwordx4 v[4:5], v[0:3], off
.LBB49_799:
	s_andn2_b32 vcc_lo, exec_lo, s2
	s_cbranch_vccnz .LBB49_801
; %bb.800:
	v_cvt_f32_f64_e32 v2, v[0:1]
	v_mov_b32_e32 v3, 0
	global_store_dwordx2 v[4:5], v[2:3], off
.LBB49_801:
	s_mov_b32 s2, 0
.LBB49_802:
	s_andn2_b32 vcc_lo, exec_lo, s2
	s_cbranch_vccnz .LBB49_804
; %bb.803:
	v_and_or_b32 v2, 0x1ff, v1, v0
	v_lshrrev_b32_e32 v3, 8, v1
	v_bfe_u32 v6, v1, 20, 11
	v_cmp_ne_u32_e32 vcc_lo, 0, v2
	v_sub_nc_u32_e32 v7, 0x3f1, v6
	v_add_nc_u32_e32 v6, 0xfffffc10, v6
	v_cndmask_b32_e64 v2, 0, 1, vcc_lo
	v_and_or_b32 v2, 0xffe, v3, v2
	v_med3_i32 v3, v7, 0, 13
	v_or_b32_e32 v7, 0x1000, v2
	v_lshrrev_b32_e32 v8, v3, v7
	v_lshlrev_b32_e32 v3, v3, v8
	v_cmp_ne_u32_e32 vcc_lo, v3, v7
	v_lshl_or_b32 v7, v6, 12, v2
	v_cndmask_b32_e64 v3, 0, 1, vcc_lo
	v_cmp_gt_i32_e32 vcc_lo, 1, v6
	v_or_b32_e32 v3, v8, v3
	v_cndmask_b32_e32 v3, v7, v3, vcc_lo
	v_and_b32_e32 v7, 7, v3
	v_lshrrev_b32_e32 v3, 2, v3
	v_cmp_lt_i32_e32 vcc_lo, 5, v7
	v_cndmask_b32_e64 v8, 0, 1, vcc_lo
	v_cmp_eq_u32_e32 vcc_lo, 3, v7
	v_cndmask_b32_e64 v7, 0, 1, vcc_lo
	v_cmp_ne_u32_e32 vcc_lo, 0, v2
	v_or_b32_e32 v7, v7, v8
	v_mov_b32_e32 v8, 0x7e00
	v_add_nc_u32_e32 v3, v3, v7
	v_cndmask_b32_e32 v2, 0x7c00, v8, vcc_lo
	v_cmp_gt_i32_e32 vcc_lo, 31, v6
	v_cndmask_b32_e32 v3, 0x7c00, v3, vcc_lo
	v_cmp_eq_u32_e32 vcc_lo, 0x40f, v6
	v_cndmask_b32_e32 v2, v3, v2, vcc_lo
	v_lshrrev_b32_e32 v3, 16, v1
	v_and_or_b32 v2, 0x8000, v3, v2
	v_and_b32_e32 v2, 0xffff, v2
	global_store_dword v[4:5], v2, off
.LBB49_804:
	s_mov_b32 s2, 0
.LBB49_805:
	s_andn2_b32 vcc_lo, exec_lo, s2
	s_cbranch_vccnz .LBB49_814
; %bb.806:
	s_cmp_lt_i32 s1, 6
	s_mov_b32 s2, -1
	s_cbranch_scc1 .LBB49_812
; %bb.807:
	s_cmp_gt_i32 s1, 6
	s_cbranch_scc0 .LBB49_809
; %bb.808:
	s_mov_b32 s2, 0
	global_store_dwordx2 v[4:5], v[0:1], off
.LBB49_809:
	s_andn2_b32 vcc_lo, exec_lo, s2
	s_cbranch_vccnz .LBB49_811
; %bb.810:
	v_cvt_f32_f64_e32 v2, v[0:1]
	global_store_dword v[4:5], v2, off
.LBB49_811:
	s_mov_b32 s2, 0
.LBB49_812:
	s_andn2_b32 vcc_lo, exec_lo, s2
	s_cbranch_vccnz .LBB49_814
; %bb.813:
	v_and_or_b32 v2, 0x1ff, v1, v0
	v_lshrrev_b32_e32 v3, 8, v1
	v_bfe_u32 v6, v1, 20, 11
	v_cmp_ne_u32_e32 vcc_lo, 0, v2
	v_sub_nc_u32_e32 v7, 0x3f1, v6
	v_add_nc_u32_e32 v6, 0xfffffc10, v6
	v_cndmask_b32_e64 v2, 0, 1, vcc_lo
	v_and_or_b32 v2, 0xffe, v3, v2
	v_med3_i32 v3, v7, 0, 13
	v_or_b32_e32 v7, 0x1000, v2
	v_lshrrev_b32_e32 v8, v3, v7
	v_lshlrev_b32_e32 v3, v3, v8
	v_cmp_ne_u32_e32 vcc_lo, v3, v7
	v_lshl_or_b32 v7, v6, 12, v2
	v_cndmask_b32_e64 v3, 0, 1, vcc_lo
	v_cmp_gt_i32_e32 vcc_lo, 1, v6
	v_or_b32_e32 v3, v8, v3
	v_cndmask_b32_e32 v3, v7, v3, vcc_lo
	v_and_b32_e32 v7, 7, v3
	v_lshrrev_b32_e32 v3, 2, v3
	v_cmp_lt_i32_e32 vcc_lo, 5, v7
	v_cndmask_b32_e64 v8, 0, 1, vcc_lo
	v_cmp_eq_u32_e32 vcc_lo, 3, v7
	v_cndmask_b32_e64 v7, 0, 1, vcc_lo
	v_cmp_ne_u32_e32 vcc_lo, 0, v2
	v_or_b32_e32 v7, v7, v8
	v_mov_b32_e32 v8, 0x7e00
	v_add_nc_u32_e32 v3, v3, v7
	v_cndmask_b32_e32 v2, 0x7c00, v8, vcc_lo
	v_cmp_gt_i32_e32 vcc_lo, 31, v6
	v_cndmask_b32_e32 v3, 0x7c00, v3, vcc_lo
	v_cmp_eq_u32_e32 vcc_lo, 0x40f, v6
	v_cndmask_b32_e32 v2, v3, v2, vcc_lo
	v_lshrrev_b32_e32 v3, 16, v1
	v_and_or_b32 v2, 0x8000, v3, v2
	global_store_short v[4:5], v2, off
.LBB49_814:
	s_mov_b32 s2, 0
.LBB49_815:
	s_andn2_b32 vcc_lo, exec_lo, s2
	s_cbranch_vccnz .LBB49_831
; %bb.816:
	s_cmp_lt_i32 s1, 2
	s_mov_b32 s2, -1
	s_cbranch_scc1 .LBB49_826
; %bb.817:
	s_cmp_lt_i32 s1, 3
	s_cbranch_scc1 .LBB49_823
; %bb.818:
	s_cmp_gt_i32 s1, 3
	s_cbranch_scc0 .LBB49_820
; %bb.819:
	v_trunc_f64_e32 v[2:3], v[0:1]
	s_mov_b32 s2, 0
	v_ldexp_f64 v[6:7], v[2:3], 0xffffffe0
	v_floor_f64_e32 v[6:7], v[6:7]
	v_fma_f64 v[2:3], 0xc1f00000, v[6:7], v[2:3]
	v_cvt_i32_f64_e32 v7, v[6:7]
	v_cvt_u32_f64_e32 v6, v[2:3]
	global_store_dwordx2 v[4:5], v[6:7], off
.LBB49_820:
	s_andn2_b32 vcc_lo, exec_lo, s2
	s_cbranch_vccnz .LBB49_822
; %bb.821:
	v_cvt_i32_f64_e32 v2, v[0:1]
	global_store_dword v[4:5], v2, off
.LBB49_822:
	s_mov_b32 s2, 0
.LBB49_823:
	s_andn2_b32 vcc_lo, exec_lo, s2
	s_cbranch_vccnz .LBB49_825
; %bb.824:
	v_cvt_i32_f64_e32 v2, v[0:1]
	global_store_short v[4:5], v2, off
.LBB49_825:
	s_mov_b32 s2, 0
.LBB49_826:
	s_andn2_b32 vcc_lo, exec_lo, s2
	s_cbranch_vccnz .LBB49_831
; %bb.827:
	s_cmp_gt_i32 s1, 0
	s_mov_b32 s1, -1
	s_cbranch_scc0 .LBB49_829
; %bb.828:
	v_cvt_i32_f64_e32 v2, v[0:1]
	s_mov_b32 s1, 0
	global_store_byte v[4:5], v2, off
.LBB49_829:
	s_andn2_b32 vcc_lo, exec_lo, s1
	s_cbranch_vccnz .LBB49_831
; %bb.830:
	v_trunc_f64_e32 v[0:1], v[0:1]
	v_ldexp_f64 v[2:3], v[0:1], 0xffffffe0
	v_floor_f64_e32 v[2:3], v[2:3]
	v_fma_f64 v[0:1], 0xc1f00000, v[2:3], v[0:1]
	v_cvt_u32_f64_e32 v0, v[0:1]
	global_store_byte v[4:5], v0, off
.LBB49_831:
	s_mov_b32 s3, -1
.LBB49_832:
	s_andn2_b32 vcc_lo, exec_lo, s3
	s_cbranch_vccnz .LBB49_834
; %bb.833:
	v_add_nc_u32_e32 v12, 0x80, v12
	s_mov_b32 s1, -1
	s_branch .LBB49_836
.LBB49_834:
	s_mov_b32 s1, 0
.LBB49_835:
                                        ; implicit-def: $vgpr12
.LBB49_836:
	s_andn2_b32 s2, s43, exec_lo
	s_and_b32 s0, s0, exec_lo
	s_andn2_b32 s3, s42, exec_lo
	s_and_b32 s6, s46, exec_lo
	s_or_b32 s7, s2, s0
	s_or_b32 s6, s3, s6
	s_orn2_b32 s3, s1, exec_lo
.LBB49_837:
	s_or_b32 exec_lo, exec_lo, s45
	s_mov_b32 s0, 0
	s_mov_b32 s1, 0
	s_mov_b32 s2, 0
                                        ; implicit-def: $vgpr0_vgpr1
                                        ; implicit-def: $vgpr2
                                        ; implicit-def: $vgpr3_vgpr4
	s_and_saveexec_b32 s8, s3
	s_cbranch_execz .LBB49_937
; %bb.838:
	v_cmp_gt_i32_e32 vcc_lo, s36, v12
	s_mov_b32 s45, s6
	s_mov_b32 s3, 0
	;; [unrolled: 1-line block ×3, first 2 shown]
                                        ; implicit-def: $vgpr0_vgpr1
                                        ; implicit-def: $vgpr2
                                        ; implicit-def: $vgpr3_vgpr4
	s_and_saveexec_b32 s36, vcc_lo
	s_cbranch_execz .LBB49_936
; %bb.839:
	s_andn2_b32 vcc_lo, exec_lo, s30
	s_cbranch_vccnz .LBB49_844
; %bb.840:
	s_andn2_b32 vcc_lo, exec_lo, s37
	s_cbranch_vccnz .LBB49_845
; %bb.841:
	s_add_i32 s38, s38, 1
	s_cmp_eq_u32 s28, 2
	s_cbranch_scc1 .LBB49_846
; %bb.842:
	s_waitcnt vmcnt(0)
	v_mov_b32_e32 v0, 0
	v_mov_b32_e32 v2, 0
	;; [unrolled: 1-line block ×3, first 2 shown]
	s_and_b32 s2, s38, 28
	s_mov_b64 s[0:1], s[10:11]
.LBB49_843:                             ; =>This Inner Loop Header: Depth=1
	s_clause 0x1
	s_load_dwordx8 s[48:55], s[0:1], 0x4
	s_load_dwordx4 s[64:67], s[0:1], 0x24
	s_load_dwordx8 s[56:63], s[26:27], 0x0
	s_add_u32 s0, s0, 48
	s_addc_u32 s1, s1, 0
	s_add_i32 s3, s3, 4
	s_add_u32 s26, s26, 32
	s_addc_u32 s27, s27, 0
	s_cmp_eq_u32 s2, s3
	s_waitcnt lgkmcnt(0)
	v_mul_hi_u32 v3, s49, v1
	v_add_nc_u32_e32 v3, v1, v3
	v_lshrrev_b32_e32 v3, s50, v3
	v_mul_hi_u32 v4, s52, v3
	v_mul_lo_u32 v6, v3, s48
	v_add_nc_u32_e32 v4, v3, v4
	v_sub_nc_u32_e32 v1, v1, v6
	v_lshrrev_b32_e32 v4, s53, v4
	v_mul_lo_u32 v6, v1, s56
	v_mul_lo_u32 v8, v1, s57
	v_mul_hi_u32 v5, s55, v4
	v_add_nc_u32_e32 v5, v4, v5
	v_lshrrev_b32_e32 v5, s64, v5
	v_mul_hi_u32 v7, s66, v5
	v_mul_lo_u32 v9, v5, s54
	v_add_nc_u32_e32 v1, v5, v7
	v_mul_lo_u32 v7, v4, s51
	v_sub_nc_u32_e32 v4, v4, v9
	v_lshrrev_b32_e32 v1, s67, v1
	v_mul_lo_u32 v9, v4, s60
	v_mul_lo_u32 v4, v4, s61
	v_sub_nc_u32_e32 v3, v3, v7
	v_mul_lo_u32 v10, v1, s65
	v_mul_lo_u32 v7, v3, s58
	v_mul_lo_u32 v3, v3, s59
	v_sub_nc_u32_e32 v5, v5, v10
	v_add3_u32 v2, v6, v2, v7
	v_mul_lo_u32 v10, v5, s62
	v_mul_lo_u32 v5, v5, s63
	v_add3_u32 v0, v8, v0, v3
	v_add3_u32 v2, v9, v2, v10
	;; [unrolled: 1-line block ×3, first 2 shown]
	s_cbranch_scc0 .LBB49_843
	s_branch .LBB49_847
.LBB49_844:
	s_mov_b32 s0, -1
                                        ; implicit-def: $vgpr2
                                        ; implicit-def: $vgpr0
	s_branch .LBB49_851
.LBB49_845:
	v_mov_b32_e32 v2, 0
	s_waitcnt vmcnt(0)
	v_mov_b32_e32 v0, 0
	s_branch .LBB49_850
.LBB49_846:
	v_mov_b32_e32 v2, 0
	s_waitcnt vmcnt(0)
	v_mov_b32_e32 v0, 0
	v_mov_b32_e32 v1, v12
.LBB49_847:
	s_and_b32 s26, s38, 3
	s_cmp_eq_u32 s26, 0
	s_cbranch_scc1 .LBB49_850
; %bb.848:
	s_lshl_b32 s0, s2, 3
	s_mul_i32 s2, s2, 12
	s_add_u32 s0, s10, s0
	s_addc_u32 s1, s11, 0
	s_add_u32 s0, s0, 0xc4
	s_addc_u32 s1, s1, 0
	;; [unrolled: 2-line block ×3, first 2 shown]
.LBB49_849:                             ; =>This Inner Loop Header: Depth=1
	s_clause 0x1
	s_load_dwordx2 s[46:47], s[2:3], 0x4
	s_load_dword s27, s[2:3], 0xc
	s_load_dwordx2 s[48:49], s[0:1], 0x0
	s_add_u32 s2, s2, 12
	s_addc_u32 s3, s3, 0
	s_add_u32 s0, s0, 8
	s_addc_u32 s1, s1, 0
	s_add_i32 s26, s26, -1
	s_cmp_lg_u32 s26, 0
	s_waitcnt lgkmcnt(0)
	v_mul_hi_u32 v3, s47, v1
	v_add_nc_u32_e32 v3, v1, v3
	v_lshrrev_b32_e32 v4, s27, v3
	v_mul_lo_u32 v3, v4, s46
	v_sub_nc_u32_e32 v1, v1, v3
	v_mad_u64_u32 v[2:3], null, v1, s48, v[2:3]
	v_mad_u64_u32 v[0:1], null, v1, s49, v[0:1]
	v_mov_b32_e32 v1, v4
	s_cbranch_scc1 .LBB49_849
.LBB49_850:
	s_mov_b32 s0, 0
.LBB49_851:
	s_andn2_b32 vcc_lo, exec_lo, s0
	s_cbranch_vccnz .LBB49_854
; %bb.852:
	s_waitcnt vmcnt(0) lgkmcnt(0)
	v_mul_hi_u32 v0, s21, v12
	s_andn2_b32 vcc_lo, exec_lo, s35
	v_add_nc_u32_e32 v0, v12, v0
	v_lshrrev_b32_e32 v1, s22, v0
	v_mul_lo_u32 v0, v1, s20
	v_sub_nc_u32_e32 v0, v12, v0
	v_mul_lo_u32 v2, v0, s16
	v_mul_lo_u32 v0, v0, s17
	s_cbranch_vccnz .LBB49_854
; %bb.853:
	v_mul_hi_u32 v3, s24, v1
	v_add_nc_u32_e32 v3, v1, v3
	v_lshrrev_b32_e32 v3, s25, v3
	v_mul_lo_u32 v3, v3, s23
	v_sub_nc_u32_e32 v1, v1, v3
	v_mad_u64_u32 v[2:3], null, v1, s18, v[2:3]
	v_mad_u64_u32 v[0:1], null, v1, s19, v[0:1]
.LBB49_854:
	s_waitcnt vmcnt(0) lgkmcnt(0)
	v_add_co_u32 v0, s0, s14, v0
	v_add_co_ci_u32_e64 v1, null, s15, 0, s0
	s_and_b32 s0, 0xffff, s34
	s_cmp_lt_i32 s0, 11
	s_cbranch_scc1 .LBB49_861
; %bb.855:
	s_cmp_gt_i32 s0, 25
	s_mov_b32 s2, 0
	s_cbranch_scc0 .LBB49_862
; %bb.856:
	s_cmp_gt_i32 s0, 28
	s_cbranch_scc0 .LBB49_863
; %bb.857:
	s_cmp_gt_i32 s0, 43
	;; [unrolled: 3-line block ×3, first 2 shown]
	s_cbranch_scc0 .LBB49_867
; %bb.859:
	s_cmp_eq_u32 s0, 46
	s_mov_b32 s14, 0
	s_cbranch_scc0 .LBB49_870
; %bb.860:
	global_load_dword v3, v[0:1], off
	s_mov_b32 s1, 0
	s_mov_b32 s3, -1
	s_waitcnt vmcnt(0)
	v_lshlrev_b32_e32 v3, 16, v3
	v_cvt_f64_f32_e32 v[3:4], v3
	s_branch .LBB49_872
.LBB49_861:
	s_mov_b32 s0, -1
	s_mov_b32 s3, 0
	s_mov_b32 s2, 0
	;; [unrolled: 1-line block ×3, first 2 shown]
                                        ; implicit-def: $vgpr3_vgpr4
	s_branch .LBB49_935
.LBB49_862:
	s_mov_b32 s14, -1
	s_mov_b32 s3, 0
	s_mov_b32 s1, s6
                                        ; implicit-def: $vgpr3_vgpr4
	s_branch .LBB49_903
.LBB49_863:
	s_mov_b32 s14, -1
	s_mov_b32 s3, 0
	s_mov_b32 s1, s6
                                        ; implicit-def: $vgpr3_vgpr4
	s_branch .LBB49_882
.LBB49_864:
	s_mov_b32 s14, -1
	s_mov_b32 s3, 0
	s_mov_b32 s1, s6
                                        ; implicit-def: $vgpr3_vgpr4
	s_branch .LBB49_877
.LBB49_865:
	s_andn2_saveexec_b32 s7, s7
	s_cbranch_execz .LBB49_745
.LBB49_866:
	v_add_f32_e64 v3, 0x46000000, |v2|
	s_andn2_b32 s6, s6, exec_lo
	v_and_b32_e32 v3, 0xff, v3
	v_cmp_ne_u32_e32 vcc_lo, 0, v3
	s_and_b32 s8, vcc_lo, exec_lo
	s_or_b32 s6, s6, s8
	s_or_b32 exec_lo, exec_lo, s7
	v_mov_b32_e32 v6, 0
	s_and_saveexec_b32 s7, s6
	s_cbranch_execnz .LBB49_746
	s_branch .LBB49_747
.LBB49_867:
	s_mov_b32 s14, -1
	s_mov_b32 s3, 0
	s_mov_b32 s1, s6
	s_branch .LBB49_871
.LBB49_868:
	s_andn2_saveexec_b32 s7, s7
	s_cbranch_execz .LBB49_758
.LBB49_869:
	v_add_f32_e64 v3, 0x42800000, |v2|
	s_andn2_b32 s6, s6, exec_lo
	v_and_b32_e32 v3, 0xff, v3
	v_cmp_ne_u32_e32 vcc_lo, 0, v3
	s_and_b32 s8, vcc_lo, exec_lo
	s_or_b32 s6, s6, s8
	s_or_b32 exec_lo, exec_lo, s7
	v_mov_b32_e32 v6, 0
	s_and_saveexec_b32 s7, s6
	s_cbranch_execnz .LBB49_759
	s_branch .LBB49_760
.LBB49_870:
	s_mov_b32 s1, -1
	s_mov_b32 s3, 0
.LBB49_871:
                                        ; implicit-def: $vgpr3_vgpr4
.LBB49_872:
	s_and_b32 vcc_lo, exec_lo, s14
	s_cbranch_vccz .LBB49_876
; %bb.873:
	s_cmp_eq_u32 s0, 44
	s_cbranch_scc0 .LBB49_875
; %bb.874:
	global_load_ubyte v5, v[0:1], off
	s_mov_b32 s1, 0
	s_mov_b32 s3, -1
	s_waitcnt vmcnt(0)
	v_lshlrev_b32_e32 v3, 23, v5
	v_cmp_ne_u32_e32 vcc_lo, 0xff, v5
	v_cvt_f64_f32_e32 v[3:4], v3
	v_cndmask_b32_e32 v3, 0x20000000, v3, vcc_lo
	v_cndmask_b32_e32 v4, 0x7ff80000, v4, vcc_lo
	v_cmp_ne_u32_e32 vcc_lo, 0, v5
	v_cndmask_b32_e32 v4, 0x38000000, v4, vcc_lo
	v_cndmask_b32_e32 v3, 0, v3, vcc_lo
	s_branch .LBB49_876
.LBB49_875:
	s_mov_b32 s1, -1
                                        ; implicit-def: $vgpr3_vgpr4
.LBB49_876:
	s_mov_b32 s14, 0
.LBB49_877:
	s_and_b32 vcc_lo, exec_lo, s14
	s_cbranch_vccz .LBB49_881
; %bb.878:
	s_cmp_eq_u32 s0, 29
	s_cbranch_scc0 .LBB49_880
; %bb.879:
	global_load_dwordx2 v[3:4], v[0:1], off
	s_mov_b32 s1, 0
	s_mov_b32 s3, -1
	s_mov_b32 s14, 0
	s_waitcnt vmcnt(0)
	v_cvt_f64_u32_e32 v[4:5], v4
	v_cvt_f64_u32_e32 v[6:7], v3
	v_ldexp_f64 v[4:5], v[4:5], 32
	v_add_f64 v[3:4], v[4:5], v[6:7]
	s_branch .LBB49_882
.LBB49_880:
	s_mov_b32 s1, -1
                                        ; implicit-def: $vgpr3_vgpr4
.LBB49_881:
	s_mov_b32 s14, 0
.LBB49_882:
	s_and_b32 vcc_lo, exec_lo, s14
	s_cbranch_vccz .LBB49_902
; %bb.883:
	s_cmp_lt_i32 s0, 27
	s_cbranch_scc1 .LBB49_886
; %bb.884:
	s_cmp_gt_i32 s0, 27
	s_cbranch_scc0 .LBB49_887
; %bb.885:
	global_load_dword v3, v[0:1], off
	s_mov_b32 s3, 0
	s_waitcnt vmcnt(0)
	v_cvt_f64_u32_e32 v[3:4], v3
	s_branch .LBB49_888
.LBB49_886:
	s_mov_b32 s3, -1
                                        ; implicit-def: $vgpr3_vgpr4
	s_branch .LBB49_891
.LBB49_887:
	s_mov_b32 s3, -1
                                        ; implicit-def: $vgpr3_vgpr4
.LBB49_888:
	s_andn2_b32 vcc_lo, exec_lo, s3
	s_cbranch_vccnz .LBB49_890
; %bb.889:
	global_load_ushort v3, v[0:1], off
	s_waitcnt vmcnt(0)
	v_cvt_f64_u32_e32 v[3:4], v3
.LBB49_890:
	s_mov_b32 s3, 0
.LBB49_891:
	s_andn2_b32 vcc_lo, exec_lo, s3
	s_cbranch_vccnz .LBB49_901
; %bb.892:
	global_load_ubyte v5, v[0:1], off
	s_mov_b32 s3, 0
	s_mov_b32 s14, exec_lo
	s_waitcnt vmcnt(0)
	v_cmpx_lt_i16_e32 0x7f, v5
	s_xor_b32 s14, exec_lo, s14
	s_cbranch_execz .LBB49_896
; %bb.893:
	s_mov_b32 s3, -1
	s_mov_b32 s15, exec_lo
	v_cmpx_eq_u16_e32 0x80, v5
; %bb.894:
	s_xor_b32 s3, exec_lo, -1
; %bb.895:
	s_or_b32 exec_lo, exec_lo, s15
	s_and_b32 s3, s3, exec_lo
.LBB49_896:
	s_or_saveexec_b32 s14, s14
	v_bfrev_b32_e32 v3, 4
	v_mov_b32_e32 v4, 0x7ff80000
	s_xor_b32 exec_lo, exec_lo, s14
; %bb.897:
	v_cmp_ne_u16_e32 vcc_lo, 0, v5
	v_mov_b32_e32 v3, 0
	v_mov_b32_e32 v4, 0
	s_andn2_b32 s3, s3, exec_lo
	s_and_b32 s15, vcc_lo, exec_lo
	s_or_b32 s3, s3, s15
; %bb.898:
	s_or_b32 exec_lo, exec_lo, s14
	s_and_saveexec_b32 s14, s3
	s_cbranch_execz .LBB49_900
; %bb.899:
	v_and_b32_e32 v3, 0xffff, v5
	v_lshlrev_b32_e32 v5, 24, v5
	v_and_b32_e32 v4, 7, v3
	v_bfe_u32 v8, v3, 3, 4
	v_ffbh_u32_e32 v6, v4
	v_cmp_eq_u32_e32 vcc_lo, 0, v8
	v_min_u32_e32 v6, 32, v6
	v_subrev_nc_u32_e32 v7, 28, v6
	v_sub_nc_u32_e32 v6, 29, v6
	v_lshlrev_b32_e32 v3, v7, v3
	v_cndmask_b32_e32 v6, v8, v6, vcc_lo
	v_and_b32_e32 v3, 7, v3
	v_cndmask_b32_e32 v3, v4, v3, vcc_lo
	v_and_b32_e32 v4, 0x80000000, v5
	v_lshl_add_u32 v5, v6, 23, 0x3b800000
	v_lshlrev_b32_e32 v3, 20, v3
	v_or3_b32 v3, v4, v5, v3
	v_cvt_f64_f32_e32 v[3:4], v3
.LBB49_900:
	s_or_b32 exec_lo, exec_lo, s14
.LBB49_901:
	s_mov_b32 s3, -1
.LBB49_902:
	s_mov_b32 s14, 0
.LBB49_903:
	s_and_b32 vcc_lo, exec_lo, s14
	s_cbranch_vccz .LBB49_934
; %bb.904:
	s_cmp_gt_i32 s0, 22
	s_cbranch_scc0 .LBB49_916
; %bb.905:
	s_cmp_lt_i32 s0, 24
	s_cbranch_scc1 .LBB49_917
; %bb.906:
	s_cmp_gt_i32 s0, 24
	s_cbranch_scc0 .LBB49_918
; %bb.907:
	global_load_ubyte v5, v[0:1], off
	s_mov_b32 s3, exec_lo
	s_waitcnt vmcnt(0)
	v_cmpx_lt_i16_e32 0x7f, v5
	s_xor_b32 s3, exec_lo, s3
	s_cbranch_execz .LBB49_911
; %bb.908:
	s_mov_b32 s2, -1
	s_mov_b32 s14, exec_lo
	v_cmpx_eq_u16_e32 0x80, v5
; %bb.909:
	s_xor_b32 s2, exec_lo, -1
; %bb.910:
	s_or_b32 exec_lo, exec_lo, s14
	s_and_b32 s2, s2, exec_lo
.LBB49_911:
	s_or_saveexec_b32 s3, s3
	v_bfrev_b32_e32 v3, 4
	v_mov_b32_e32 v4, 0x7ff80000
	s_xor_b32 exec_lo, exec_lo, s3
; %bb.912:
	v_cmp_ne_u16_e32 vcc_lo, 0, v5
	v_mov_b32_e32 v3, 0
	v_mov_b32_e32 v4, 0
	s_andn2_b32 s2, s2, exec_lo
	s_and_b32 s14, vcc_lo, exec_lo
	s_or_b32 s2, s2, s14
; %bb.913:
	s_or_b32 exec_lo, exec_lo, s3
	s_and_saveexec_b32 s3, s2
	s_cbranch_execz .LBB49_915
; %bb.914:
	v_and_b32_e32 v3, 0xffff, v5
	v_lshlrev_b32_e32 v5, 24, v5
	v_and_b32_e32 v4, 3, v3
	v_bfe_u32 v8, v3, 2, 5
	v_ffbh_u32_e32 v6, v4
	v_cmp_eq_u32_e32 vcc_lo, 0, v8
	v_min_u32_e32 v6, 32, v6
	v_subrev_nc_u32_e32 v7, 29, v6
	v_sub_nc_u32_e32 v6, 30, v6
	v_lshlrev_b32_e32 v3, v7, v3
	v_cndmask_b32_e32 v6, v8, v6, vcc_lo
	v_and_b32_e32 v3, 3, v3
	v_cndmask_b32_e32 v3, v4, v3, vcc_lo
	v_and_b32_e32 v4, 0x80000000, v5
	v_lshl_add_u32 v5, v6, 23, 0x37800000
	v_lshlrev_b32_e32 v3, 21, v3
	v_or3_b32 v3, v4, v5, v3
	v_cvt_f64_f32_e32 v[3:4], v3
.LBB49_915:
	s_or_b32 exec_lo, exec_lo, s3
	s_mov_b32 s2, 0
	s_branch .LBB49_919
.LBB49_916:
	s_mov_b32 s2, -1
                                        ; implicit-def: $vgpr3_vgpr4
	s_branch .LBB49_925
.LBB49_917:
	s_mov_b32 s2, -1
                                        ; implicit-def: $vgpr3_vgpr4
	s_branch .LBB49_922
.LBB49_918:
	s_mov_b32 s2, -1
                                        ; implicit-def: $vgpr3_vgpr4
.LBB49_919:
	s_and_b32 vcc_lo, exec_lo, s2
	s_cbranch_vccz .LBB49_921
; %bb.920:
	global_load_ubyte v3, v[0:1], off
	s_waitcnt vmcnt(0)
	v_lshlrev_b32_e32 v3, 24, v3
	v_and_b32_e32 v4, 0x7f000000, v3
	v_ffbh_u32_e32 v5, v4
	v_add_nc_u32_e32 v7, 0x1000000, v4
	v_cmp_ne_u32_e32 vcc_lo, 0, v4
	v_min_u32_e32 v5, 32, v5
	v_sub_nc_u32_e64 v5, v5, 4 clamp
	v_lshlrev_b32_e32 v6, v5, v4
	v_lshlrev_b32_e32 v5, 23, v5
	v_lshrrev_b32_e32 v6, 4, v6
	v_sub_nc_u32_e32 v5, v6, v5
	v_ashrrev_i32_e32 v6, 8, v7
	v_add_nc_u32_e32 v5, 0x3c000000, v5
	v_and_or_b32 v5, 0x7f800000, v6, v5
	v_cndmask_b32_e32 v4, 0, v5, vcc_lo
	v_and_or_b32 v3, 0x80000000, v3, v4
	v_cvt_f64_f32_e32 v[3:4], v3
.LBB49_921:
	s_mov_b32 s2, 0
.LBB49_922:
	s_andn2_b32 vcc_lo, exec_lo, s2
	s_cbranch_vccnz .LBB49_924
; %bb.923:
	global_load_ubyte v3, v[0:1], off
	s_waitcnt vmcnt(0)
	v_lshlrev_b32_e32 v4, 25, v3
	v_lshlrev_b16 v3, 8, v3
	v_lshrrev_b32_e32 v5, 4, v4
	v_and_or_b32 v6, 0x7f00, v3, 0.5
	v_cmp_gt_u32_e32 vcc_lo, 0x8000000, v4
	v_bfe_i32 v3, v3, 0, 16
	v_or_b32_e32 v5, 0x70000000, v5
	v_add_f32_e32 v6, -0.5, v6
	v_mul_f32_e32 v5, 0x7800000, v5
	v_cndmask_b32_e32 v4, v5, v6, vcc_lo
	v_and_or_b32 v3, 0x80000000, v3, v4
	v_cvt_f64_f32_e32 v[3:4], v3
.LBB49_924:
	s_mov_b32 s2, 0
	s_mov_b32 s3, -1
.LBB49_925:
	s_andn2_b32 vcc_lo, exec_lo, s2
	s_mov_b32 s2, 0
	s_cbranch_vccnz .LBB49_934
; %bb.926:
	s_cmp_gt_i32 s0, 14
	s_cbranch_scc0 .LBB49_929
; %bb.927:
	s_cmp_eq_u32 s0, 15
	s_cbranch_scc0 .LBB49_930
; %bb.928:
	global_load_ushort v3, v[0:1], off
	s_mov_b32 s1, 0
	s_mov_b32 s3, -1
	s_waitcnt vmcnt(0)
	v_lshlrev_b32_e32 v3, 16, v3
	v_cvt_f64_f32_e32 v[3:4], v3
	s_branch .LBB49_932
.LBB49_929:
	s_mov_b32 s2, -1
	s_branch .LBB49_931
.LBB49_930:
	s_mov_b32 s1, -1
.LBB49_931:
                                        ; implicit-def: $vgpr3_vgpr4
.LBB49_932:
	s_and_b32 vcc_lo, exec_lo, s2
	s_mov_b32 s2, 0
	s_cbranch_vccz .LBB49_934
; %bb.933:
	s_cmp_lg_u32 s0, 11
	s_mov_b32 s2, -1
	s_cselect_b32 s0, -1, 0
	s_andn2_b32 s1, s1, exec_lo
	s_and_b32 s0, s0, exec_lo
	s_or_b32 s1, s1, s0
.LBB49_934:
	s_mov_b32 s0, 0
.LBB49_935:
	s_andn2_b32 s14, s6, exec_lo
	s_and_b32 s1, s1, exec_lo
	s_and_b32 s46, s3, exec_lo
	;; [unrolled: 1-line block ×4, first 2 shown]
	s_or_b32 s45, s14, s1
.LBB49_936:
	s_or_b32 exec_lo, exec_lo, s36
	s_and_b32 s1, s3, exec_lo
	s_andn2_b32 s3, s6, exec_lo
	s_and_b32 s6, s45, exec_lo
	s_and_b32 s2, s46, exec_lo
	;; [unrolled: 1-line block ×3, first 2 shown]
	s_or_b32 s6, s3, s6
.LBB49_937:
	s_or_b32 exec_lo, exec_lo, s8
	s_andn2_b32 s3, s43, exec_lo
	s_and_b32 s7, s7, exec_lo
	s_and_b32 s6, s6, exec_lo
	s_or_b32 s43, s3, s7
	s_andn2_b32 s7, s42, exec_lo
	s_and_b32 s3, s2, exec_lo
	s_and_b32 s2, s1, exec_lo
	;; [unrolled: 1-line block ×3, first 2 shown]
	s_or_b32 s42, s7, s6
.LBB49_938:
	s_or_b32 exec_lo, exec_lo, s44
	s_andn2_b32 s0, s39, exec_lo
	s_and_b32 s6, s43, exec_lo
	s_and_b32 s2, s2, exec_lo
	s_or_b32 s39, s0, s6
	s_and_b32 s0, s3, exec_lo
	s_andn2_b32 s3, s40, exec_lo
	s_and_b32 s6, s42, exec_lo
	s_and_b32 s42, s1, exec_lo
	s_or_b32 s40, s3, s6
	s_or_b32 exec_lo, exec_lo, s41
	s_waitcnt lgkmcnt(0)
	s_mov_b32 s14, 0
	s_and_saveexec_b32 s1, s40
	s_cbranch_execz .LBB49_280
.LBB49_939:
	s_mov_b32 s14, exec_lo
	s_andn2_b32 s42, s42, exec_lo
	s_trap 2
	s_or_b32 exec_lo, exec_lo, s1
	s_and_saveexec_b32 s1, s42
	s_xor_b32 s1, exec_lo, s1
	s_cbranch_execnz .LBB49_281
.LBB49_940:
	s_or_b32 exec_lo, exec_lo, s1
	s_and_saveexec_b32 s1, s2
	s_cbranch_execz .LBB49_986
.LBB49_941:
	s_sext_i32_i16 s2, s34
	s_cmp_lt_i32 s2, 5
	s_cbranch_scc1 .LBB49_946
; %bb.942:
	s_cmp_lt_i32 s2, 8
	s_cbranch_scc1 .LBB49_947
; %bb.943:
	;; [unrolled: 3-line block ×3, first 2 shown]
	s_cmp_gt_i32 s2, 9
	s_cbranch_scc0 .LBB49_949
; %bb.945:
	s_waitcnt vmcnt(0)
	global_load_dwordx2 v[3:4], v[0:1], off
	s_mov_b32 s2, 0
	s_branch .LBB49_950
.LBB49_946:
                                        ; implicit-def: $vgpr3_vgpr4
	s_branch .LBB49_967
.LBB49_947:
                                        ; implicit-def: $vgpr3_vgpr4
	s_branch .LBB49_956
.LBB49_948:
	s_mov_b32 s2, -1
                                        ; implicit-def: $vgpr3_vgpr4
	s_branch .LBB49_953
.LBB49_949:
	s_mov_b32 s2, -1
                                        ; implicit-def: $vgpr3_vgpr4
.LBB49_950:
	s_andn2_b32 vcc_lo, exec_lo, s2
	s_cbranch_vccnz .LBB49_952
; %bb.951:
	s_waitcnt vmcnt(0)
	global_load_dword v3, v[0:1], off
	s_waitcnt vmcnt(0)
	v_cvt_f64_f32_e32 v[3:4], v3
.LBB49_952:
	s_mov_b32 s2, 0
.LBB49_953:
	s_andn2_b32 vcc_lo, exec_lo, s2
	s_cbranch_vccnz .LBB49_955
; %bb.954:
	s_waitcnt vmcnt(0)
	global_load_dword v3, v[0:1], off
	s_waitcnt vmcnt(0)
	v_cvt_f32_f16_e32 v3, v3
	v_cvt_f64_f32_e32 v[3:4], v3
.LBB49_955:
	s_cbranch_execnz .LBB49_966
.LBB49_956:
	s_sext_i32_i16 s2, s34
	s_cmp_lt_i32 s2, 6
	s_cbranch_scc1 .LBB49_959
; %bb.957:
	s_cmp_gt_i32 s2, 6
	s_cbranch_scc0 .LBB49_960
; %bb.958:
	s_waitcnt vmcnt(0)
	global_load_dwordx2 v[3:4], v[0:1], off
	s_mov_b32 s2, 0
	s_branch .LBB49_961
.LBB49_959:
	s_mov_b32 s2, -1
                                        ; implicit-def: $vgpr3_vgpr4
	s_branch .LBB49_964
.LBB49_960:
	s_mov_b32 s2, -1
                                        ; implicit-def: $vgpr3_vgpr4
.LBB49_961:
	s_andn2_b32 vcc_lo, exec_lo, s2
	s_cbranch_vccnz .LBB49_963
; %bb.962:
	s_waitcnt vmcnt(0)
	global_load_dword v3, v[0:1], off
	s_waitcnt vmcnt(0)
	v_cvt_f64_f32_e32 v[3:4], v3
.LBB49_963:
	s_mov_b32 s2, 0
.LBB49_964:
	s_andn2_b32 vcc_lo, exec_lo, s2
	s_cbranch_vccnz .LBB49_966
; %bb.965:
	s_waitcnt vmcnt(0)
	global_load_ushort v3, v[0:1], off
	s_waitcnt vmcnt(0)
	v_cvt_f32_f16_e32 v3, v3
	v_cvt_f64_f32_e32 v[3:4], v3
.LBB49_966:
	s_cbranch_execnz .LBB49_985
.LBB49_967:
	s_sext_i32_i16 s2, s34
	s_cmp_lt_i32 s2, 2
	s_cbranch_scc1 .LBB49_971
; %bb.968:
	s_cmp_lt_i32 s2, 3
	s_cbranch_scc1 .LBB49_972
; %bb.969:
	s_cmp_gt_i32 s2, 3
	s_cbranch_scc0 .LBB49_973
; %bb.970:
	s_waitcnt vmcnt(0)
	global_load_dwordx2 v[3:4], v[0:1], off
	s_mov_b32 s2, 0
	s_waitcnt vmcnt(0)
	v_cvt_f64_i32_e32 v[4:5], v4
	v_cvt_f64_u32_e32 v[6:7], v3
	v_ldexp_f64 v[4:5], v[4:5], 32
	v_add_f64 v[3:4], v[4:5], v[6:7]
	s_branch .LBB49_974
.LBB49_971:
                                        ; implicit-def: $vgpr3_vgpr4
	s_branch .LBB49_980
.LBB49_972:
	s_mov_b32 s2, -1
                                        ; implicit-def: $vgpr3_vgpr4
	s_branch .LBB49_977
.LBB49_973:
	s_mov_b32 s2, -1
                                        ; implicit-def: $vgpr3_vgpr4
.LBB49_974:
	s_andn2_b32 vcc_lo, exec_lo, s2
	s_cbranch_vccnz .LBB49_976
; %bb.975:
	s_waitcnt vmcnt(0)
	global_load_dword v3, v[0:1], off
	s_waitcnt vmcnt(0)
	v_cvt_f64_i32_e32 v[3:4], v3
.LBB49_976:
	s_mov_b32 s2, 0
.LBB49_977:
	s_andn2_b32 vcc_lo, exec_lo, s2
	s_cbranch_vccnz .LBB49_979
; %bb.978:
	s_waitcnt vmcnt(0)
	global_load_sshort v3, v[0:1], off
	s_waitcnt vmcnt(0)
	v_cvt_f64_i32_e32 v[3:4], v3
.LBB49_979:
	s_cbranch_execnz .LBB49_985
.LBB49_980:
	s_sext_i32_i16 s2, s34
	s_cmp_gt_i32 s2, 0
	s_mov_b32 s2, 0
	s_cbranch_scc0 .LBB49_982
; %bb.981:
	s_waitcnt vmcnt(0)
	global_load_sbyte v3, v[0:1], off
	s_waitcnt vmcnt(0)
	v_cvt_f64_i32_e32 v[3:4], v3
	s_branch .LBB49_983
.LBB49_982:
	s_mov_b32 s2, -1
                                        ; implicit-def: $vgpr3_vgpr4
.LBB49_983:
	s_andn2_b32 vcc_lo, exec_lo, s2
	s_cbranch_vccnz .LBB49_985
; %bb.984:
	s_waitcnt vmcnt(0)
	global_load_ubyte v0, v[0:1], off
	s_waitcnt vmcnt(0)
	v_cvt_f64_u32_e32 v[3:4], v0
.LBB49_985:
	s_or_b32 s0, s0, exec_lo
.LBB49_986:
	s_or_b32 exec_lo, exec_lo, s1
	s_mov_b32 s3, 0
	s_mov_b32 s2, 0
                                        ; implicit-def: $sgpr1
                                        ; implicit-def: $vgpr5_vgpr6
                                        ; implicit-def: $vgpr0_vgpr1
	s_and_saveexec_b32 s15, s0
	s_cbranch_execz .LBB49_1000
; %bb.987:
	v_mov_b32_e32 v5, 0
	s_waitcnt vmcnt(0)
	v_mov_b32_e32 v0, 0
	v_mov_b32_e32 v6, 0
	;; [unrolled: 1-line block ×3, first 2 shown]
	s_mov_b32 s2, exec_lo
	v_cmpx_gt_f64_e32 0.5, v[3:4]
	s_cbranch_execz .LBB49_993
; %bb.988:
	s_mov_b32 s1, 0x400921fb
	s_mov_b32 s0, 0x54442d18
	s_mov_b32 s3, exec_lo
	v_mul_f64 v[0:1], v[3:4], s[0:1]
                                        ; implicit-def: $vgpr9
                                        ; implicit-def: $vgpr5_vgpr6
                                        ; implicit-def: $vgpr7_vgpr8
	v_cmpx_ngt_f64_e64 0x41d00000, |v[0:1]|
	s_xor_b32 s3, exec_lo, s3
	s_cbranch_execz .LBB49_990
; %bb.989:
	v_ldexp_f64 v[5:6], |v[0:1]|, 0xffffff80
	v_cmp_le_f64_e64 vcc_lo, 0x7b000000, |v[0:1]|
	v_trig_preop_f64 v[7:8], |v[0:1]|, 0
	v_and_b32_e32 v9, 0x7fffffff, v1
	v_trig_preop_f64 v[19:20], |v[0:1]|, 2
	v_mov_b32_e32 v27, 0
	s_mov_b32 s1, 0x3ff921fb
	s_mov_b32 s6, 0x33145c07
	;; [unrolled: 1-line block ×3, first 2 shown]
	v_cndmask_b32_e32 v6, v9, v6, vcc_lo
	v_cndmask_b32_e32 v5, v0, v5, vcc_lo
	v_trig_preop_f64 v[9:10], |v[0:1]|, 1
	v_mul_f64 v[11:12], v[7:8], v[5:6]
	v_mul_f64 v[25:26], v[19:20], v[5:6]
	;; [unrolled: 1-line block ×3, first 2 shown]
	v_fma_f64 v[7:8], v[7:8], v[5:6], -v[11:12]
	v_fma_f64 v[9:10], v[9:10], v[5:6], -v[13:14]
	;; [unrolled: 1-line block ×3, first 2 shown]
	v_add_f64 v[15:16], v[13:14], v[7:8]
	v_add_f64 v[17:18], v[15:16], -v[13:14]
	v_add_f64 v[23:24], v[11:12], v[15:16]
	v_add_f64 v[21:22], v[15:16], -v[17:18]
	v_add_f64 v[7:8], v[7:8], -v[17:18]
	v_ldexp_f64 v[17:18], v[23:24], -2
	v_add_f64 v[11:12], v[23:24], -v[11:12]
	v_add_f64 v[13:14], v[13:14], -v[21:22]
	v_add_f64 v[21:22], v[25:26], v[9:10]
	v_cmp_neq_f64_e64 vcc_lo, 0x7ff00000, |v[17:18]|
	v_add_f64 v[11:12], v[15:16], -v[11:12]
	v_add_f64 v[7:8], v[7:8], v[13:14]
	v_fract_f64_e32 v[13:14], v[17:18]
	v_add_f64 v[15:16], v[21:22], v[7:8]
	v_ldexp_f64 v[13:14], v[13:14], 2
	v_add_f64 v[17:18], v[11:12], v[15:16]
	v_cndmask_b32_e32 v14, 0, v14, vcc_lo
	v_cndmask_b32_e32 v13, 0, v13, vcc_lo
	v_add_f64 v[23:24], v[17:18], v[13:14]
	v_add_f64 v[11:12], v[17:18], -v[11:12]
	v_cmp_gt_f64_e32 vcc_lo, 0, v[23:24]
	v_add_f64 v[23:24], v[21:22], -v[25:26]
	v_cndmask_b32_e64 v28, 0, 0x40100000, vcc_lo
	v_add_f64 v[32:33], v[21:22], -v[23:24]
	v_add_f64 v[9:10], v[9:10], -v[23:24]
	v_add_f64 v[13:14], v[13:14], v[27:28]
	v_add_f64 v[28:29], v[15:16], -v[21:22]
	v_add_f64 v[23:24], v[25:26], -v[32:33]
	v_add_f64 v[30:31], v[17:18], v[13:14]
	;; [unrolled: 3-line block ×3, first 2 shown]
	v_cvt_i32_f64_e32 v30, v[30:31]
	v_add_f64 v[21:22], v[21:22], -v[34:35]
	v_cvt_f64_i32_e32 v[28:29], v30
	v_add_f64 v[7:8], v[7:8], v[21:22]
	v_add_f64 v[13:14], v[13:14], -v[28:29]
	v_add_f64 v[7:8], v[9:10], v[7:8]
	v_add_f64 v[9:10], v[15:16], -v[11:12]
	v_add_f64 v[19:20], v[17:18], v[13:14]
	v_add_f64 v[5:6], v[5:6], v[7:8]
	v_add_f64 v[7:8], v[19:20], -v[13:14]
	v_cmp_le_f64_e32 vcc_lo, 0.5, v[19:20]
	v_add_f64 v[5:6], v[9:10], v[5:6]
	v_add_f64 v[7:8], v[17:18], -v[7:8]
	v_cndmask_b32_e64 v28, 0, 0x3ff00000, vcc_lo
	v_add_co_ci_u32_e64 v9, null, 0, v30, vcc_lo
	v_add_f64 v[5:6], v[5:6], v[7:8]
	v_add_f64 v[7:8], v[19:20], -v[27:28]
	v_add_f64 v[10:11], v[7:8], v[5:6]
	v_mul_f64 v[12:13], v[10:11], s[0:1]
	v_add_f64 v[7:8], v[10:11], -v[7:8]
	v_fma_f64 v[14:15], v[10:11], s[0:1], -v[12:13]
	v_add_f64 v[5:6], v[5:6], -v[7:8]
	v_fma_f64 v[7:8], v[10:11], s[6:7], v[14:15]
	v_fma_f64 v[7:8], v[5:6], s[0:1], v[7:8]
	v_add_f64 v[5:6], v[12:13], v[7:8]
	v_add_f64 v[10:11], v[5:6], -v[12:13]
	v_add_f64 v[7:8], v[7:8], -v[10:11]
.LBB49_990:
	s_andn2_saveexec_b32 s0, s3
	s_cbranch_execz .LBB49_992
; %bb.991:
	s_mov_b32 s6, 0x6dc9c883
	s_mov_b32 s7, 0x3fe45f30
	;; [unrolled: 1-line block ×3, first 2 shown]
	v_mul_f64 v[5:6], |v[0:1]|, s[6:7]
	s_mov_b32 s6, 0x54442d18
	s_mov_b32 s7, 0xbff921fb
	;; [unrolled: 1-line block ×3, first 2 shown]
	v_rndne_f64_e32 v[9:10], v[5:6]
	v_fma_f64 v[5:6], v[9:10], s[6:7], |v[0:1]|
	v_mul_f64 v[7:8], v[9:10], s[16:17]
	s_mov_b32 s6, 0x252049c0
	s_mov_b32 s7, 0xb97b839a
	v_fma_f64 v[13:14], v[9:10], s[16:17], v[5:6]
	v_add_f64 v[11:12], v[5:6], v[7:8]
	s_mov_b32 s17, 0x3c91a626
	v_add_f64 v[5:6], v[5:6], -v[11:12]
	v_add_f64 v[11:12], v[11:12], -v[13:14]
	v_add_f64 v[5:6], v[5:6], v[7:8]
	v_fma_f64 v[7:8], v[9:10], s[16:17], v[7:8]
	v_add_f64 v[5:6], v[11:12], v[5:6]
	v_add_f64 v[5:6], v[5:6], -v[7:8]
	v_fma_f64 v[7:8], v[9:10], s[6:7], v[5:6]
	v_cvt_i32_f64_e32 v9, v[9:10]
	v_add_f64 v[5:6], v[13:14], v[7:8]
	v_add_f64 v[11:12], v[5:6], -v[13:14]
	v_add_f64 v[7:8], v[7:8], -v[11:12]
.LBB49_992:
	s_or_b32 exec_lo, exec_lo, s0
	v_mul_f64 v[10:11], v[5:6], v[5:6]
	s_mov_b32 s0, 0xb42fdfa7
	s_mov_b32 s6, 0xf9a43bb8
	;; [unrolled: 1-line block ×6, first 2 shown]
	v_mul_f64 v[20:21], v[7:8], 0.5
	v_add_f64 v[3:4], -v[3:4], 1.0
	v_fma_f64 v[12:13], v[10:11], s[6:7], s[0:1]
	s_mov_b32 s0, 0x9037ab78
	s_mov_b32 s6, 0x46cc5e42
	;; [unrolled: 1-line block ×4, first 2 shown]
	v_mul_f64 v[16:17], v[10:11], 0.5
	v_fma_f64 v[14:15], v[10:11], s[6:7], s[0:1]
	s_mov_b32 s0, 0xa17f65f6
	s_mov_b32 s6, 0x19e83e5c
	s_mov_b32 s1, 0xbe927e4f
	s_mov_b32 s7, 0xbf2a01a0
	v_mul_f64 v[22:23], v[5:6], -v[10:11]
	v_fma_f64 v[12:13], v[10:11], v[12:13], s[16:17]
	v_add_f64 v[18:19], -v[16:17], 1.0
	v_fma_f64 v[14:15], v[10:11], v[14:15], s[0:1]
	s_mov_b32 s0, 0x19f4ec90
	s_mov_b32 s1, 0x3efa01a0
	v_fma_f64 v[12:13], v[10:11], v[12:13], s[6:7]
	s_mov_b32 s6, 0x11110bb3
	s_mov_b32 s7, 0x3f811111
	v_add_f64 v[24:25], -v[18:19], 1.0
	v_fma_f64 v[14:15], v[10:11], v[14:15], s[0:1]
	s_mov_b32 s0, 0x16c16967
	s_mov_b32 s1, 0xbf56c16c
	v_fma_f64 v[12:13], v[10:11], v[12:13], s[6:7]
	v_add_f64 v[16:17], v[24:25], -v[16:17]
	v_fma_f64 v[14:15], v[10:11], v[14:15], s[0:1]
	s_mov_b32 s1, 0x3fa55555
	s_mov_b32 s0, 0x55555555
	v_fma_f64 v[12:13], v[22:23], v[12:13], v[20:21]
	v_mul_f64 v[20:21], v[10:11], v[10:11]
	v_fma_f64 v[16:17], v[5:6], -v[7:8], v[16:17]
	v_fma_f64 v[14:15], v[10:11], v[14:15], s[0:1]
	s_mov_b32 s1, 0xbfc55555
	v_fma_f64 v[7:8], v[10:11], v[12:13], -v[7:8]
	v_fma_f64 v[10:11], v[20:21], v[14:15], v[16:17]
	v_fma_f64 v[7:8], v[22:23], s[0:1], v[7:8]
	v_cmp_class_f64_e64 s0, v[0:1], 0x1f8
	v_lshlrev_b32_e32 v0, 30, v9
	v_add_f64 v[10:11], v[18:19], v[10:11]
	v_xor_b32_e32 v0, v0, v1
	v_and_b32_e32 v0, 0x80000000, v0
	v_add_f64 v[5:6], v[5:6], -v[7:8]
	v_and_b32_e32 v7, 1, v9
	v_cmp_eq_u32_e32 vcc_lo, 0, v7
	v_cndmask_b32_e32 v1, v11, v6, vcc_lo
	v_cndmask_b32_e32 v5, v10, v5, vcc_lo
	v_xor_b32_e32 v1, v1, v0
	v_cndmask_b32_e64 v0, 0, v5, s0
	v_cndmask_b32_e64 v1, 0x7ff80000, v1, s0
	s_mov_b32 s0, 0xc9be45de
	s_mov_b32 s1, 0xc023bd3c
	v_mul_f64 v[0:1], v[0:1], v[0:1]
	v_div_scale_f64 v[5:6], null, v[0:1], v[0:1], s[0:1]
	v_div_scale_f64 v[11:12], vcc_lo, s[0:1], v[0:1], s[0:1]
	v_rcp_f64_e32 v[7:8], v[5:6]
	v_fma_f64 v[9:10], -v[5:6], v[7:8], 1.0
	v_fma_f64 v[7:8], v[7:8], v[9:10], v[7:8]
	v_fma_f64 v[9:10], -v[5:6], v[7:8], 1.0
	v_fma_f64 v[7:8], v[7:8], v[9:10], v[7:8]
	v_mul_f64 v[9:10], v[11:12], v[7:8]
	v_fma_f64 v[5:6], -v[5:6], v[9:10], v[11:12]
	v_div_fmas_f64 v[5:6], v[5:6], v[7:8], v[9:10]
	v_div_fixup_f64 v[0:1], v[5:6], v[0:1], s[0:1]
	v_add_f64 v[5:6], v[0:1], 0
	v_mov_b32_e32 v0, 0
	v_mov_b32_e32 v1, 0xbff00000
.LBB49_993:
	s_or_b32 exec_lo, exec_lo, s2
	v_add_f64 v[7:8], v[3:4], 1.0
	v_mul_f64 v[3:4], v[3:4], v[3:4]
	v_add_f64 v[9:10], v[7:8], 1.0
	v_mul_f64 v[7:8], v[7:8], v[7:8]
	v_div_scale_f64 v[21:22], null, v[3:4], v[3:4], 1.0
	v_div_scale_f64 v[69:70], vcc_lo, 1.0, v[3:4], 1.0
	v_add_f64 v[11:12], v[9:10], 1.0
	v_mul_f64 v[9:10], v[9:10], v[9:10]
	v_div_scale_f64 v[23:24], null, v[7:8], v[7:8], 1.0
	v_rcp_f64_e32 v[37:38], v[21:22]
	v_add_f64 v[13:14], v[11:12], 1.0
	v_mul_f64 v[11:12], v[11:12], v[11:12]
	v_div_scale_f64 v[25:26], null, v[9:10], v[9:10], 1.0
	v_rcp_f64_e32 v[39:40], v[23:24]
	v_fma_f64 v[53:54], -v[21:22], v[37:38], 1.0
	v_add_f64 v[15:16], v[13:14], 1.0
	v_mul_f64 v[13:14], v[13:14], v[13:14]
	v_div_scale_f64 v[27:28], null, v[11:12], v[11:12], 1.0
	v_rcp_f64_e32 v[41:42], v[25:26]
	v_fma_f64 v[55:56], -v[23:24], v[39:40], 1.0
	v_fma_f64 v[37:38], v[37:38], v[53:54], v[37:38]
	v_add_f64 v[17:18], v[15:16], 1.0
	v_mul_f64 v[15:16], v[15:16], v[15:16]
	v_div_scale_f64 v[29:30], null, v[13:14], v[13:14], 1.0
	v_rcp_f64_e32 v[43:44], v[27:28]
	v_fma_f64 v[57:58], -v[25:26], v[41:42], 1.0
	v_fma_f64 v[39:40], v[39:40], v[55:56], v[39:40]
	v_fma_f64 v[55:56], -v[21:22], v[37:38], 1.0
	v_mul_f64 v[19:20], v[17:18], v[17:18]
	v_div_scale_f64 v[31:32], null, v[15:16], v[15:16], 1.0
	v_add_f64 v[33:34], v[17:18], v[17:18]
	v_rcp_f64_e32 v[45:46], v[29:30]
	v_fma_f64 v[59:60], -v[27:28], v[43:44], 1.0
	v_fma_f64 v[41:42], v[41:42], v[57:58], v[41:42]
	v_fma_f64 v[57:58], -v[23:24], v[39:40], 1.0
	v_fma_f64 v[37:38], v[37:38], v[55:56], v[37:38]
	v_div_scale_f64 v[55:56], s0, 1.0, v[7:8], 1.0
	v_div_scale_f64 v[35:36], null, v[19:20], v[19:20], 1.0
	v_rcp_f64_e32 v[47:48], v[31:32]
	v_div_scale_f64 v[49:50], null, v[33:34], v[33:34], 1.0
	v_div_scale_f64 v[71:72], s7, 1.0, v[19:20], 1.0
	v_fma_f64 v[61:62], -v[29:30], v[45:46], 1.0
	v_fma_f64 v[43:44], v[43:44], v[59:60], v[43:44]
	v_fma_f64 v[59:60], -v[25:26], v[41:42], 1.0
	v_fma_f64 v[39:40], v[39:40], v[57:58], v[39:40]
	v_div_scale_f64 v[57:58], s1, 1.0, v[9:10], 1.0
	v_div_scale_f64 v[81:82], s8, 1.0, v[33:34], 1.0
	v_rcp_f64_e32 v[51:52], v[35:36]
	v_rcp_f64_e32 v[63:64], v[49:50]
	v_fma_f64 v[65:66], -v[31:32], v[47:48], 1.0
	v_fma_f64 v[45:46], v[45:46], v[61:62], v[45:46]
	v_fma_f64 v[61:62], -v[27:28], v[43:44], 1.0
	v_fma_f64 v[41:42], v[41:42], v[59:60], v[41:42]
	v_div_scale_f64 v[59:60], s2, 1.0, v[11:12], 1.0
	v_mul_f64 v[73:74], v[55:56], v[39:40]
	v_fma_f64 v[67:68], -v[35:36], v[51:52], 1.0
	v_fma_f64 v[47:48], v[47:48], v[65:66], v[47:48]
	v_fma_f64 v[53:54], -v[49:50], v[63:64], 1.0
	v_fma_f64 v[65:66], -v[29:30], v[45:46], 1.0
	v_fma_f64 v[43:44], v[43:44], v[61:62], v[43:44]
	v_div_scale_f64 v[61:62], s3, 1.0, v[13:14], 1.0
	v_mul_f64 v[75:76], v[57:58], v[41:42]
	v_fma_f64 v[23:24], -v[23:24], v[73:74], v[55:56]
	v_fma_f64 v[51:52], v[51:52], v[67:68], v[51:52]
	v_fma_f64 v[67:68], -v[31:32], v[47:48], 1.0
	v_fma_f64 v[53:54], v[63:64], v[53:54], v[63:64]
	v_fma_f64 v[45:46], v[45:46], v[65:66], v[45:46]
	v_div_scale_f64 v[65:66], s6, 1.0, v[15:16], 1.0
	v_mul_f64 v[77:78], v[59:60], v[43:44]
	v_fma_f64 v[25:26], -v[25:26], v[75:76], v[57:58]
	v_fma_f64 v[63:64], -v[35:36], v[51:52], 1.0
	v_fma_f64 v[47:48], v[47:48], v[67:68], v[47:48]
	v_fma_f64 v[67:68], -v[49:50], v[53:54], 1.0
	v_mul_f64 v[79:80], v[61:62], v[45:46]
	v_fma_f64 v[27:28], -v[27:28], v[77:78], v[59:60]
	v_fma_f64 v[51:52], v[51:52], v[63:64], v[51:52]
	v_mul_f64 v[63:64], v[69:70], v[37:38]
	v_mul_f64 v[83:84], v[65:66], v[47:48]
	v_fma_f64 v[53:54], v[53:54], v[67:68], v[53:54]
	v_fma_f64 v[29:30], -v[29:30], v[79:80], v[61:62]
	v_mul_f64 v[67:68], v[71:72], v[51:52]
	v_fma_f64 v[21:22], -v[21:22], v[63:64], v[69:70]
	v_fma_f64 v[31:32], -v[31:32], v[83:84], v[65:66]
	v_mul_f64 v[55:56], v[81:82], v[53:54]
	v_fma_f64 v[35:36], -v[35:36], v[67:68], v[71:72]
	v_div_fmas_f64 v[21:22], v[21:22], v[37:38], v[63:64]
	s_mov_b32 vcc_lo, s0
	v_fma_f64 v[37:38], -v[49:50], v[55:56], v[81:82]
	v_div_fmas_f64 v[23:24], v[23:24], v[39:40], v[73:74]
	s_mov_b32 vcc_lo, s1
	s_mov_b32 s0, 0x11111111
	v_div_fmas_f64 v[25:26], v[25:26], v[41:42], v[75:76]
	s_mov_b32 vcc_lo, s2
	s_mov_b32 s1, 0x3fa11111
	;; [unrolled: 3-line block ×4, first 2 shown]
	v_div_fmas_f64 v[31:32], v[31:32], v[47:48], v[83:84]
	s_mov_b32 vcc_lo, s7
	v_div_fmas_f64 v[35:36], v[35:36], v[51:52], v[67:68]
	s_mov_b32 vcc_lo, s8
	v_div_fixup_f64 v[3:4], v[21:22], v[3:4], 1.0
	v_div_fmas_f64 v[37:38], v[37:38], v[53:54], v[55:56]
	v_div_fixup_f64 v[19:20], v[35:36], v[19:20], 1.0
	v_add_f64 v[3:4], v[5:6], v[3:4]
	v_div_fixup_f64 v[33:34], v[37:38], v[33:34], 1.0
	v_div_fixup_f64 v[5:6], v[23:24], v[7:8], 1.0
	v_fma_f64 v[35:36], v[19:20], s[2:3], s[0:1]
	s_mov_b32 s0, 0x55555555
	s_mov_b32 s1, 0x3fc55555
	v_add_f64 v[33:34], v[33:34], 1.0
	v_add_f64 v[3:4], v[3:4], v[5:6]
	v_div_fixup_f64 v[5:6], v[25:26], v[9:10], 1.0
	v_fma_f64 v[35:36], -v[19:20], v[35:36], s[0:1]
	s_and_b32 s1, s33, 0xff
	s_cmp_lt_i32 s1, 11
	v_add_f64 v[3:4], v[3:4], v[5:6]
	v_div_fixup_f64 v[5:6], v[27:28], v[11:12], 1.0
	v_fma_f64 v[19:20], v[19:20], v[35:36], v[33:34]
	v_add_f64 v[3:4], v[3:4], v[5:6]
	v_div_fixup_f64 v[5:6], v[29:30], v[13:14], 1.0
	v_div_scale_f64 v[33:34], null, v[17:18], v[17:18], v[19:20]
	v_div_scale_f64 v[9:10], vcc_lo, v[19:20], v[17:18], v[19:20]
	v_add_f64 v[3:4], v[3:4], v[5:6]
	v_div_fixup_f64 v[5:6], v[31:32], v[15:16], 1.0
	v_rcp_f64_e32 v[35:36], v[33:34]
	v_add_f64 v[3:4], v[3:4], v[5:6]
	v_fma_f64 v[37:38], -v[33:34], v[35:36], 1.0
	v_fma_f64 v[21:22], v[35:36], v[37:38], v[35:36]
	v_fma_f64 v[7:8], -v[33:34], v[21:22], 1.0
	v_fma_f64 v[7:8], v[21:22], v[7:8], v[21:22]
	v_mul_f64 v[11:12], v[9:10], v[7:8]
	v_fma_f64 v[9:10], -v[33:34], v[11:12], v[9:10]
	v_div_fmas_f64 v[7:8], v[9:10], v[7:8], v[11:12]
	v_div_fixup_f64 v[5:6], v[7:8], v[17:18], v[19:20]
	v_add_f64 v[3:4], v[3:4], v[5:6]
	v_add_co_u32 v5, s0, s12, v2
	v_add_co_ci_u32_e64 v6, null, s13, 0, s0
	v_mul_f64 v[0:1], v[0:1], v[3:4]
	s_cbranch_scc1 .LBB49_1003
; %bb.994:
	s_and_b32 s2, 0xffff, s1
	s_mov_b32 s3, -1
	s_cmp_gt_i32 s2, 25
	s_mov_b32 s0, s39
	s_cbranch_scc0 .LBB49_1031
; %bb.995:
	s_cmp_gt_i32 s2, 28
	s_mov_b32 s0, s39
	s_cbranch_scc0 .LBB49_1015
; %bb.996:
	;; [unrolled: 4-line block ×4, first 2 shown]
	s_cmp_eq_u32 s2, 46
	s_mov_b32 s0, -1
	s_cbranch_scc0 .LBB49_1004
; %bb.999:
	v_cvt_f32_f64_e32 v2, v[0:1]
	s_mov_b32 s0, 0
	s_mov_b32 s3, 0
	v_bfe_u32 v3, v2, 16, 1
	v_cmp_o_f32_e32 vcc_lo, v2, v2
	v_add3_u32 v2, v2, v3, 0x7fff
	v_mov_b32_e32 v3, 0x7fc0
	v_cndmask_b32_sdwa v2, v3, v2, vcc_lo dst_sel:DWORD dst_unused:UNUSED_PAD src0_sel:DWORD src1_sel:WORD_1
	global_store_dword v[5:6], v2, off
	s_branch .LBB49_1005
.LBB49_1000:
	s_or_b32 exec_lo, exec_lo, s15
	s_and_saveexec_b32 s0, s39
	s_cbranch_execnz .LBB49_1073
.LBB49_1001:
	s_or_b32 exec_lo, exec_lo, s0
	s_and_saveexec_b32 s0, s3
	s_xor_b32 s0, exec_lo, s0
	s_cbranch_execz .LBB49_1074
.LBB49_1002:
	s_waitcnt vmcnt(0)
	v_cmp_neq_f64_e32 vcc_lo, 0, v[0:1]
	v_cndmask_b32_e64 v2, 0, 1, vcc_lo
	global_store_byte v[5:6], v2, off
	s_or_b32 exec_lo, exec_lo, s0
	s_and_saveexec_b32 s0, s2
	s_xor_b32 s0, exec_lo, s0
	s_cbranch_execz .LBB49_1112
	s_branch .LBB49_1075
.LBB49_1003:
	s_mov_b32 s6, 0
	s_mov_b32 s3, -1
	s_mov_b32 s0, s39
	s_branch .LBB49_1072
.LBB49_1004:
	s_mov_b32 s3, 0
.LBB49_1005:
	s_and_b32 vcc_lo, exec_lo, s3
	s_cbranch_vccz .LBB49_1010
; %bb.1006:
	s_cmp_eq_u32 s2, 44
	s_mov_b32 s0, -1
	s_cbranch_scc0 .LBB49_1010
; %bb.1007:
	v_cvt_f32_f64_e32 v2, v[0:1]
	v_mov_b32_e32 v3, 0xff
	s_mov_b32 s3, exec_lo
	v_bfe_u32 v4, v2, 23, 8
	v_cmpx_ne_u32_e32 0xff, v4
	s_cbranch_execz .LBB49_1009
; %bb.1008:
	v_and_b32_e32 v3, 0x400000, v2
	v_and_or_b32 v4, 0x3fffff, v2, v4
	v_lshrrev_b32_e32 v2, 23, v2
	v_cmp_ne_u32_e32 vcc_lo, 0, v3
	v_cmp_ne_u32_e64 s0, 0, v4
	s_and_b32 s0, vcc_lo, s0
	v_cndmask_b32_e64 v3, 0, 1, s0
	v_add_nc_u32_e32 v3, v2, v3
.LBB49_1009:
	s_or_b32 exec_lo, exec_lo, s3
	s_mov_b32 s0, 0
	global_store_byte v[5:6], v3, off
.LBB49_1010:
	s_mov_b32 s3, 0
.LBB49_1011:
	s_and_b32 vcc_lo, exec_lo, s3
	s_cbranch_vccz .LBB49_1014
; %bb.1012:
	s_cmp_eq_u32 s2, 29
	s_mov_b32 s0, -1
	s_cbranch_scc0 .LBB49_1014
; %bb.1013:
	v_trunc_f64_e32 v[2:3], v[0:1]
	s_mov_b32 s0, 0
	s_mov_b32 s3, 0
	v_ldexp_f64 v[7:8], v[2:3], 0xffffffe0
	v_floor_f64_e32 v[7:8], v[7:8]
	v_fma_f64 v[2:3], 0xc1f00000, v[7:8], v[2:3]
	v_cvt_u32_f64_e32 v4, v[7:8]
	v_cvt_u32_f64_e32 v3, v[2:3]
	global_store_dwordx2 v[5:6], v[3:4], off
	s_branch .LBB49_1015
.LBB49_1014:
	s_mov_b32 s3, 0
.LBB49_1015:
	s_and_b32 vcc_lo, exec_lo, s3
	s_cbranch_vccz .LBB49_1030
; %bb.1016:
	s_cmp_lt_i32 s2, 27
	s_mov_b32 s3, -1
	s_cbranch_scc1 .LBB49_1022
; %bb.1017:
	s_cmp_gt_i32 s2, 27
	s_cbranch_scc0 .LBB49_1019
; %bb.1018:
	v_cvt_u32_f64_e32 v2, v[0:1]
	s_mov_b32 s3, 0
	global_store_dword v[5:6], v2, off
.LBB49_1019:
	s_andn2_b32 vcc_lo, exec_lo, s3
	s_cbranch_vccnz .LBB49_1021
; %bb.1020:
	v_cvt_u32_f64_e32 v2, v[0:1]
	global_store_short v[5:6], v2, off
.LBB49_1021:
	s_mov_b32 s3, 0
.LBB49_1022:
	s_andn2_b32 vcc_lo, exec_lo, s3
	s_cbranch_vccnz .LBB49_1030
; %bb.1023:
	v_cvt_f32_f64_e32 v2, v[0:1]
	v_mov_b32_e32 v4, 0x80
	s_mov_b32 s3, exec_lo
	v_and_b32_e32 v3, 0x7fffffff, v2
	v_cmpx_gt_u32_e32 0x43800000, v3
	s_cbranch_execz .LBB49_1029
; %bb.1024:
	v_cmp_lt_u32_e32 vcc_lo, 0x3bffffff, v3
	s_mov_b32 s6, 0
                                        ; implicit-def: $vgpr3
	s_and_saveexec_b32 s7, vcc_lo
	s_xor_b32 s7, exec_lo, s7
	s_cbranch_execz .LBB49_1183
; %bb.1025:
	v_bfe_u32 v3, v2, 20, 1
	s_mov_b32 s6, exec_lo
	v_add3_u32 v3, v2, v3, 0x487ffff
	v_lshrrev_b32_e32 v3, 20, v3
	s_andn2_saveexec_b32 s7, s7
	s_cbranch_execnz .LBB49_1184
.LBB49_1026:
	s_or_b32 exec_lo, exec_lo, s7
	v_mov_b32_e32 v4, 0
	s_and_saveexec_b32 s7, s6
.LBB49_1027:
	v_lshrrev_b32_e32 v2, 24, v2
	v_and_or_b32 v4, 0x80, v2, v3
.LBB49_1028:
	s_or_b32 exec_lo, exec_lo, s7
.LBB49_1029:
	s_or_b32 exec_lo, exec_lo, s3
	global_store_byte v[5:6], v4, off
.LBB49_1030:
	s_mov_b32 s3, 0
.LBB49_1031:
	s_and_b32 vcc_lo, exec_lo, s3
	s_mov_b32 s3, 0
	s_cbranch_vccz .LBB49_1071
; %bb.1032:
	s_cmp_gt_i32 s2, 22
	s_mov_b32 s6, -1
	s_cbranch_scc0 .LBB49_1064
; %bb.1033:
	s_cmp_lt_i32 s2, 24
	s_cbranch_scc1 .LBB49_1053
; %bb.1034:
	s_cmp_gt_i32 s2, 24
	s_cbranch_scc0 .LBB49_1042
; %bb.1035:
	v_cvt_f32_f64_e32 v2, v[0:1]
	v_mov_b32_e32 v4, 0x80
	s_mov_b32 s6, exec_lo
	v_and_b32_e32 v3, 0x7fffffff, v2
	v_cmpx_gt_u32_e32 0x47800000, v3
	s_cbranch_execz .LBB49_1041
; %bb.1036:
	v_cmp_lt_u32_e32 vcc_lo, 0x37ffffff, v3
	s_mov_b32 s7, 0
                                        ; implicit-def: $vgpr3
	s_and_saveexec_b32 s8, vcc_lo
	s_xor_b32 s8, exec_lo, s8
	s_cbranch_execz .LBB49_1315
; %bb.1037:
	v_bfe_u32 v3, v2, 21, 1
	s_mov_b32 s7, exec_lo
	v_add3_u32 v3, v2, v3, 0x88fffff
	v_lshrrev_b32_e32 v3, 21, v3
	s_andn2_saveexec_b32 s8, s8
	s_cbranch_execnz .LBB49_1316
.LBB49_1038:
	s_or_b32 exec_lo, exec_lo, s8
	v_mov_b32_e32 v4, 0
	s_and_saveexec_b32 s8, s7
.LBB49_1039:
	v_lshrrev_b32_e32 v2, 24, v2
	v_and_or_b32 v4, 0x80, v2, v3
.LBB49_1040:
	s_or_b32 exec_lo, exec_lo, s8
.LBB49_1041:
	s_or_b32 exec_lo, exec_lo, s6
	s_mov_b32 s6, 0
	global_store_byte v[5:6], v4, off
.LBB49_1042:
	s_and_b32 vcc_lo, exec_lo, s6
	s_cbranch_vccz .LBB49_1052
; %bb.1043:
	v_cvt_f32_f64_e32 v2, v[0:1]
	s_mov_b32 s6, exec_lo
                                        ; implicit-def: $vgpr3
	v_and_b32_e32 v4, 0x7fffffff, v2
	v_cmpx_gt_u32_e32 0x43f00000, v4
	s_xor_b32 s6, exec_lo, s6
	s_cbranch_execz .LBB49_1049
; %bb.1044:
	s_mov_b32 s7, exec_lo
                                        ; implicit-def: $vgpr3
	v_cmpx_lt_u32_e32 0x3c7fffff, v4
	s_xor_b32 s7, exec_lo, s7
; %bb.1045:
	v_bfe_u32 v3, v2, 20, 1
	v_add3_u32 v3, v2, v3, 0x407ffff
	v_and_b32_e32 v4, 0xff00000, v3
	v_lshrrev_b32_e32 v3, 20, v3
	v_cmp_ne_u32_e32 vcc_lo, 0x7f00000, v4
	v_cndmask_b32_e32 v3, 0x7e, v3, vcc_lo
; %bb.1046:
	s_andn2_saveexec_b32 s7, s7
; %bb.1047:
	v_add_f32_e64 v3, 0x46800000, |v2|
; %bb.1048:
	s_or_b32 exec_lo, exec_lo, s7
                                        ; implicit-def: $vgpr4
.LBB49_1049:
	s_andn2_saveexec_b32 s6, s6
; %bb.1050:
	v_mov_b32_e32 v3, 0x7f
	v_cmp_lt_u32_e32 vcc_lo, 0x7f800000, v4
	v_cndmask_b32_e32 v3, 0x7e, v3, vcc_lo
; %bb.1051:
	s_or_b32 exec_lo, exec_lo, s6
	v_lshrrev_b32_e32 v2, 24, v2
	v_and_or_b32 v2, 0x80, v2, v3
	global_store_byte v[5:6], v2, off
.LBB49_1052:
	s_mov_b32 s6, 0
.LBB49_1053:
	s_andn2_b32 vcc_lo, exec_lo, s6
	s_cbranch_vccnz .LBB49_1063
; %bb.1054:
	v_cvt_f32_f64_e32 v2, v[0:1]
	s_mov_b32 s6, exec_lo
                                        ; implicit-def: $vgpr3
	v_and_b32_e32 v4, 0x7fffffff, v2
	v_cmpx_gt_u32_e32 0x47800000, v4
	s_xor_b32 s6, exec_lo, s6
	s_cbranch_execz .LBB49_1060
; %bb.1055:
	s_mov_b32 s7, exec_lo
                                        ; implicit-def: $vgpr3
	v_cmpx_lt_u32_e32 0x387fffff, v4
	s_xor_b32 s7, exec_lo, s7
; %bb.1056:
	v_bfe_u32 v3, v2, 21, 1
	v_add3_u32 v3, v2, v3, 0x80fffff
	v_lshrrev_b32_e32 v3, 21, v3
; %bb.1057:
	s_andn2_saveexec_b32 s7, s7
; %bb.1058:
	v_add_f32_e64 v3, 0x43000000, |v2|
; %bb.1059:
	s_or_b32 exec_lo, exec_lo, s7
                                        ; implicit-def: $vgpr4
.LBB49_1060:
	s_andn2_saveexec_b32 s6, s6
; %bb.1061:
	v_mov_b32_e32 v3, 0x7f
	v_cmp_lt_u32_e32 vcc_lo, 0x7f800000, v4
	v_cndmask_b32_e32 v3, 0x7c, v3, vcc_lo
; %bb.1062:
	s_or_b32 exec_lo, exec_lo, s6
	v_lshrrev_b32_e32 v2, 24, v2
	v_and_or_b32 v2, 0x80, v2, v3
	global_store_byte v[5:6], v2, off
.LBB49_1063:
	s_mov_b32 s6, 0
.LBB49_1064:
	s_andn2_b32 vcc_lo, exec_lo, s6
	s_mov_b32 s6, 0
	s_cbranch_vccnz .LBB49_1072
; %bb.1065:
	s_cmp_gt_i32 s2, 14
	s_mov_b32 s6, -1
	s_cbranch_scc0 .LBB49_1069
; %bb.1066:
	s_cmp_eq_u32 s2, 15
	s_mov_b32 s0, -1
	s_cbranch_scc0 .LBB49_1068
; %bb.1067:
	v_cvt_f32_f64_e32 v2, v[0:1]
	s_mov_b32 s0, 0
	v_bfe_u32 v3, v2, 16, 1
	v_cmp_o_f32_e32 vcc_lo, v2, v2
	v_add3_u32 v2, v2, v3, 0x7fff
	v_mov_b32_e32 v3, 0x7fc0
	v_cndmask_b32_sdwa v2, v3, v2, vcc_lo dst_sel:DWORD dst_unused:UNUSED_PAD src0_sel:DWORD src1_sel:WORD_1
	global_store_short v[5:6], v2, off
.LBB49_1068:
	s_mov_b32 s6, 0
.LBB49_1069:
	s_and_b32 vcc_lo, exec_lo, s6
	s_mov_b32 s6, 0
	s_cbranch_vccz .LBB49_1072
; %bb.1070:
	s_cmp_lg_u32 s2, 11
	s_mov_b32 s6, -1
	s_cselect_b32 s2, -1, 0
	s_andn2_b32 s0, s0, exec_lo
	s_and_b32 s2, s2, exec_lo
	s_or_b32 s0, s0, s2
	s_branch .LBB49_1072
.LBB49_1071:
	s_mov_b32 s6, 0
.LBB49_1072:
	s_andn2_b32 s7, s39, exec_lo
	s_and_b32 s0, s0, exec_lo
	s_and_b32 s2, s3, exec_lo
	;; [unrolled: 1-line block ×3, first 2 shown]
	s_or_b32 s39, s7, s0
	s_or_b32 exec_lo, exec_lo, s15
	s_and_saveexec_b32 s0, s39
	s_cbranch_execz .LBB49_1001
.LBB49_1073:
	s_or_b32 s14, s14, exec_lo
	s_andn2_b32 s3, s3, exec_lo
	s_trap 2
	s_or_b32 exec_lo, exec_lo, s0
	s_and_saveexec_b32 s0, s3
	s_xor_b32 s0, exec_lo, s0
	s_cbranch_execnz .LBB49_1002
.LBB49_1074:
	s_or_b32 exec_lo, exec_lo, s0
	s_and_saveexec_b32 s0, s2
	s_xor_b32 s0, exec_lo, s0
	s_cbranch_execz .LBB49_1112
.LBB49_1075:
	s_sext_i32_i16 s3, s1
	s_mov_b32 s2, -1
	s_cmp_lt_i32 s3, 5
	s_cbranch_scc1 .LBB49_1096
; %bb.1076:
	s_cmp_lt_i32 s3, 8
	s_cbranch_scc1 .LBB49_1086
; %bb.1077:
	s_cmp_lt_i32 s3, 9
	s_cbranch_scc1 .LBB49_1083
; %bb.1078:
	s_cmp_gt_i32 s3, 9
	s_cbranch_scc0 .LBB49_1080
; %bb.1079:
	v_mov_b32_e32 v2, 0
	s_mov_b32 s2, 0
	s_waitcnt vmcnt(0)
	v_mov_b32_e32 v3, v2
	global_store_dwordx4 v[5:6], v[0:3], off
.LBB49_1080:
	s_andn2_b32 vcc_lo, exec_lo, s2
	s_cbranch_vccnz .LBB49_1082
; %bb.1081:
	s_waitcnt vmcnt(0)
	v_cvt_f32_f64_e32 v2, v[0:1]
	v_mov_b32_e32 v3, 0
	global_store_dwordx2 v[5:6], v[2:3], off
.LBB49_1082:
	s_mov_b32 s2, 0
.LBB49_1083:
	s_andn2_b32 vcc_lo, exec_lo, s2
	s_cbranch_vccnz .LBB49_1085
; %bb.1084:
	s_waitcnt vmcnt(0)
	v_and_or_b32 v2, 0x1ff, v1, v0
	v_lshrrev_b32_e32 v3, 8, v1
	v_bfe_u32 v4, v1, 20, 11
	v_cmp_ne_u32_e32 vcc_lo, 0, v2
	v_sub_nc_u32_e32 v7, 0x3f1, v4
	v_add_nc_u32_e32 v4, 0xfffffc10, v4
	v_cndmask_b32_e64 v2, 0, 1, vcc_lo
	v_and_or_b32 v2, 0xffe, v3, v2
	v_med3_i32 v3, v7, 0, 13
	v_or_b32_e32 v7, 0x1000, v2
	v_lshrrev_b32_e32 v8, v3, v7
	v_lshlrev_b32_e32 v3, v3, v8
	v_cmp_ne_u32_e32 vcc_lo, v3, v7
	v_lshl_or_b32 v7, v4, 12, v2
	v_cndmask_b32_e64 v3, 0, 1, vcc_lo
	v_cmp_gt_i32_e32 vcc_lo, 1, v4
	v_or_b32_e32 v3, v8, v3
	v_cndmask_b32_e32 v3, v7, v3, vcc_lo
	v_and_b32_e32 v7, 7, v3
	v_lshrrev_b32_e32 v3, 2, v3
	v_cmp_lt_i32_e32 vcc_lo, 5, v7
	v_cndmask_b32_e64 v8, 0, 1, vcc_lo
	v_cmp_eq_u32_e32 vcc_lo, 3, v7
	v_cndmask_b32_e64 v7, 0, 1, vcc_lo
	v_cmp_ne_u32_e32 vcc_lo, 0, v2
	v_or_b32_e32 v7, v7, v8
	v_mov_b32_e32 v8, 0x7e00
	v_add_nc_u32_e32 v3, v3, v7
	v_cndmask_b32_e32 v2, 0x7c00, v8, vcc_lo
	v_cmp_gt_i32_e32 vcc_lo, 31, v4
	v_cndmask_b32_e32 v3, 0x7c00, v3, vcc_lo
	v_cmp_eq_u32_e32 vcc_lo, 0x40f, v4
	v_cndmask_b32_e32 v2, v3, v2, vcc_lo
	v_lshrrev_b32_e32 v3, 16, v1
	v_and_or_b32 v2, 0x8000, v3, v2
	v_and_b32_e32 v2, 0xffff, v2
	global_store_dword v[5:6], v2, off
.LBB49_1085:
	s_mov_b32 s2, 0
.LBB49_1086:
	s_andn2_b32 vcc_lo, exec_lo, s2
	s_cbranch_vccnz .LBB49_1095
; %bb.1087:
	s_sext_i32_i16 s3, s1
	s_mov_b32 s2, -1
	s_cmp_lt_i32 s3, 6
	s_cbranch_scc1 .LBB49_1093
; %bb.1088:
	s_cmp_gt_i32 s3, 6
	s_cbranch_scc0 .LBB49_1090
; %bb.1089:
	s_mov_b32 s2, 0
	s_waitcnt vmcnt(0)
	global_store_dwordx2 v[5:6], v[0:1], off
.LBB49_1090:
	s_andn2_b32 vcc_lo, exec_lo, s2
	s_cbranch_vccnz .LBB49_1092
; %bb.1091:
	s_waitcnt vmcnt(0)
	v_cvt_f32_f64_e32 v2, v[0:1]
	global_store_dword v[5:6], v2, off
.LBB49_1092:
	s_mov_b32 s2, 0
.LBB49_1093:
	s_andn2_b32 vcc_lo, exec_lo, s2
	s_cbranch_vccnz .LBB49_1095
; %bb.1094:
	s_waitcnt vmcnt(0)
	v_and_or_b32 v2, 0x1ff, v1, v0
	v_lshrrev_b32_e32 v3, 8, v1
	v_bfe_u32 v4, v1, 20, 11
	v_cmp_ne_u32_e32 vcc_lo, 0, v2
	v_sub_nc_u32_e32 v7, 0x3f1, v4
	v_add_nc_u32_e32 v4, 0xfffffc10, v4
	v_cndmask_b32_e64 v2, 0, 1, vcc_lo
	v_and_or_b32 v2, 0xffe, v3, v2
	v_med3_i32 v3, v7, 0, 13
	v_or_b32_e32 v7, 0x1000, v2
	v_lshrrev_b32_e32 v8, v3, v7
	v_lshlrev_b32_e32 v3, v3, v8
	v_cmp_ne_u32_e32 vcc_lo, v3, v7
	v_lshl_or_b32 v7, v4, 12, v2
	v_cndmask_b32_e64 v3, 0, 1, vcc_lo
	v_cmp_gt_i32_e32 vcc_lo, 1, v4
	v_or_b32_e32 v3, v8, v3
	v_cndmask_b32_e32 v3, v7, v3, vcc_lo
	v_and_b32_e32 v7, 7, v3
	v_lshrrev_b32_e32 v3, 2, v3
	v_cmp_lt_i32_e32 vcc_lo, 5, v7
	v_cndmask_b32_e64 v8, 0, 1, vcc_lo
	v_cmp_eq_u32_e32 vcc_lo, 3, v7
	v_cndmask_b32_e64 v7, 0, 1, vcc_lo
	v_cmp_ne_u32_e32 vcc_lo, 0, v2
	v_or_b32_e32 v7, v7, v8
	v_mov_b32_e32 v8, 0x7e00
	v_add_nc_u32_e32 v3, v3, v7
	v_cndmask_b32_e32 v2, 0x7c00, v8, vcc_lo
	v_cmp_gt_i32_e32 vcc_lo, 31, v4
	v_cndmask_b32_e32 v3, 0x7c00, v3, vcc_lo
	v_cmp_eq_u32_e32 vcc_lo, 0x40f, v4
	v_cndmask_b32_e32 v2, v3, v2, vcc_lo
	v_lshrrev_b32_e32 v3, 16, v1
	v_and_or_b32 v2, 0x8000, v3, v2
	global_store_short v[5:6], v2, off
.LBB49_1095:
	s_mov_b32 s2, 0
.LBB49_1096:
	s_andn2_b32 vcc_lo, exec_lo, s2
	s_cbranch_vccnz .LBB49_1112
; %bb.1097:
	s_sext_i32_i16 s3, s1
	s_mov_b32 s2, -1
	s_cmp_lt_i32 s3, 2
	s_cbranch_scc1 .LBB49_1107
; %bb.1098:
	s_cmp_lt_i32 s3, 3
	s_cbranch_scc1 .LBB49_1104
; %bb.1099:
	s_cmp_gt_i32 s3, 3
	s_cbranch_scc0 .LBB49_1101
; %bb.1100:
	s_waitcnt vmcnt(0)
	v_trunc_f64_e32 v[2:3], v[0:1]
	s_mov_b32 s2, 0
	v_ldexp_f64 v[7:8], v[2:3], 0xffffffe0
	v_floor_f64_e32 v[7:8], v[7:8]
	v_fma_f64 v[2:3], 0xc1f00000, v[7:8], v[2:3]
	v_cvt_i32_f64_e32 v4, v[7:8]
	v_cvt_u32_f64_e32 v3, v[2:3]
	global_store_dwordx2 v[5:6], v[3:4], off
.LBB49_1101:
	s_andn2_b32 vcc_lo, exec_lo, s2
	s_cbranch_vccnz .LBB49_1103
; %bb.1102:
	s_waitcnt vmcnt(0)
	v_cvt_i32_f64_e32 v2, v[0:1]
	global_store_dword v[5:6], v2, off
.LBB49_1103:
	s_mov_b32 s2, 0
.LBB49_1104:
	s_andn2_b32 vcc_lo, exec_lo, s2
	s_cbranch_vccnz .LBB49_1106
; %bb.1105:
	s_waitcnt vmcnt(0)
	v_cvt_i32_f64_e32 v2, v[0:1]
	global_store_short v[5:6], v2, off
.LBB49_1106:
	s_mov_b32 s2, 0
.LBB49_1107:
	s_andn2_b32 vcc_lo, exec_lo, s2
	s_cbranch_vccnz .LBB49_1112
; %bb.1108:
	s_sext_i32_i16 s1, s1
	s_cmp_gt_i32 s1, 0
	s_mov_b32 s1, -1
	s_cbranch_scc0 .LBB49_1110
; %bb.1109:
	s_waitcnt vmcnt(0)
	v_cvt_i32_f64_e32 v2, v[0:1]
	s_mov_b32 s1, 0
	global_store_byte v[5:6], v2, off
.LBB49_1110:
	s_andn2_b32 vcc_lo, exec_lo, s1
	s_cbranch_vccnz .LBB49_1112
; %bb.1111:
	s_waitcnt vmcnt(0)
	v_trunc_f64_e32 v[0:1], v[0:1]
	v_ldexp_f64 v[2:3], v[0:1], 0xffffffe0
	v_floor_f64_e32 v[2:3], v[2:3]
	v_fma_f64 v[0:1], 0xc1f00000, v[2:3], v[0:1]
	v_cvt_u32_f64_e32 v0, v[0:1]
	global_store_byte v[5:6], v0, off
.LBB49_1112:
	s_or_b32 exec_lo, exec_lo, s0
	s_and_b32 s7, s14, exec_lo
                                        ; implicit-def: $vgpr15
                                        ; implicit-def: $vgpr12
.LBB49_1113:
	s_or_saveexec_b32 s12, s31
	s_mov_b32 s0, 0
                                        ; implicit-def: $vgpr4_vgpr5
                                        ; implicit-def: $sgpr14
                                        ; implicit-def: $vgpr0_vgpr1
	s_xor_b32 exec_lo, exec_lo, s12
	s_cbranch_execz .LBB49_2145
; %bb.1114:
	v_cndmask_b32_e64 v5, 0, 1, s30
	s_andn2_b32 vcc_lo, exec_lo, s30
	s_cbranch_vccnz .LBB49_1120
; %bb.1115:
	s_cmp_lg_u32 s9, 0
	s_mov_b32 s6, 0
	s_cbranch_scc0 .LBB49_1121
; %bb.1116:
	s_min_u32 s13, s28, 15
	s_add_i32 s13, s13, 1
	s_cmp_eq_u32 s28, 2
	s_cbranch_scc1 .LBB49_1122
; %bb.1117:
	s_waitcnt vmcnt(0)
	v_mov_b32_e32 v0, 0
	v_mov_b32_e32 v2, 0
	;; [unrolled: 1-line block ×3, first 2 shown]
	s_and_b32 s8, s13, 28
	s_add_u32 s0, s10, 0xc4
	s_addc_u32 s1, s11, 0
	s_mov_b32 s14, 0
	s_mov_b64 s[2:3], s[10:11]
.LBB49_1118:                            ; =>This Inner Loop Header: Depth=1
	s_clause 0x1
	s_load_dwordx8 s[16:23], s[2:3], 0x4
	s_load_dwordx4 s[24:27], s[2:3], 0x24
	s_load_dwordx8 s[36:43], s[0:1], 0x0
	s_add_u32 s2, s2, 48
	s_addc_u32 s3, s3, 0
	s_add_i32 s14, s14, 4
	s_add_u32 s0, s0, 32
	s_addc_u32 s1, s1, 0
	s_cmp_lg_u32 s8, s14
	s_waitcnt lgkmcnt(0)
	v_mul_hi_u32 v3, s17, v1
	v_add_nc_u32_e32 v3, v1, v3
	v_lshrrev_b32_e32 v3, s18, v3
	v_mul_hi_u32 v4, s20, v3
	v_mul_lo_u32 v7, v3, s16
	v_add_nc_u32_e32 v4, v3, v4
	v_sub_nc_u32_e32 v1, v1, v7
	v_lshrrev_b32_e32 v4, s21, v4
	v_mul_lo_u32 v7, v1, s36
	v_mul_lo_u32 v9, v1, s37
	v_mul_hi_u32 v6, s23, v4
	v_add_nc_u32_e32 v6, v4, v6
	v_lshrrev_b32_e32 v6, s24, v6
	v_mul_hi_u32 v8, s26, v6
	v_mul_lo_u32 v10, v6, s22
	v_add_nc_u32_e32 v1, v6, v8
	v_mul_lo_u32 v8, v4, s19
	v_sub_nc_u32_e32 v4, v4, v10
	v_lshrrev_b32_e32 v1, s27, v1
	v_mul_lo_u32 v10, v4, s40
	v_mul_lo_u32 v4, v4, s41
	v_sub_nc_u32_e32 v3, v3, v8
	v_mul_lo_u32 v11, v1, s25
	v_mul_lo_u32 v8, v3, s38
	v_mul_lo_u32 v3, v3, s39
	v_sub_nc_u32_e32 v6, v6, v11
	v_add3_u32 v2, v7, v2, v8
	v_mul_lo_u32 v11, v6, s42
	v_mul_lo_u32 v6, v6, s43
	v_add3_u32 v0, v9, v0, v3
	v_add3_u32 v2, v10, v2, v11
	;; [unrolled: 1-line block ×3, first 2 shown]
	s_cbranch_scc1 .LBB49_1118
; %bb.1119:
	s_and_b32 s13, s13, 3
	s_cmp_eq_u32 s13, 0
	s_cbranch_scc0 .LBB49_1123
	s_branch .LBB49_1125
.LBB49_1120:
	s_mov_b32 s6, -1
                                        ; implicit-def: $vgpr2
                                        ; implicit-def: $vgpr0
	s_branch .LBB49_1125
.LBB49_1121:
	v_mov_b32_e32 v2, 0
	s_waitcnt vmcnt(0)
	v_mov_b32_e32 v0, 0
	s_branch .LBB49_1125
.LBB49_1122:
	v_mov_b32_e32 v2, 0
	s_waitcnt vmcnt(0)
	v_mov_b32_e32 v0, 0
	v_mov_b32_e32 v1, v12
	s_mov_b32 s8, 0
	s_and_b32 s13, s13, 3
	s_cmp_eq_u32 s13, 0
	s_cbranch_scc1 .LBB49_1125
.LBB49_1123:
	s_lshl_b32 s0, s8, 3
	s_mul_i32 s2, s8, 12
	s_add_u32 s0, s10, s0
	s_addc_u32 s1, s11, 0
	s_add_u32 s0, s0, 0xc4
	s_addc_u32 s1, s1, 0
	;; [unrolled: 2-line block ×3, first 2 shown]
	.p2align	6
.LBB49_1124:                            ; =>This Inner Loop Header: Depth=1
	s_clause 0x1
	s_load_dwordx2 s[14:15], s[2:3], 0x4
	s_load_dword s8, s[2:3], 0xc
	s_load_dwordx2 s[16:17], s[0:1], 0x0
	s_add_u32 s2, s2, 12
	s_addc_u32 s3, s3, 0
	s_add_u32 s0, s0, 8
	s_addc_u32 s1, s1, 0
	s_add_i32 s13, s13, -1
	s_cmp_lg_u32 s13, 0
	s_waitcnt lgkmcnt(0)
	v_mul_hi_u32 v3, s15, v1
	v_add_nc_u32_e32 v3, v1, v3
	v_lshrrev_b32_e32 v4, s8, v3
	v_mul_lo_u32 v3, v4, s14
	v_sub_nc_u32_e32 v1, v1, v3
	v_mad_u64_u32 v[2:3], null, v1, s16, v[2:3]
	v_mad_u64_u32 v[0:1], null, v1, s17, v[0:1]
	v_mov_b32_e32 v1, v4
	s_cbranch_scc1 .LBB49_1124
.LBB49_1125:
	s_andn2_b32 vcc_lo, exec_lo, s6
	s_cbranch_vccnz .LBB49_1128
; %bb.1126:
	s_clause 0x1
	s_load_dwordx4 s[0:3], s[10:11], 0x4
	s_load_dwordx2 s[14:15], s[10:11], 0xc4
	s_cmp_lt_u32 s9, 2
	s_waitcnt vmcnt(0) lgkmcnt(0)
	v_mul_hi_u32 v0, s1, v12
	v_add_nc_u32_e32 v0, v12, v0
	v_lshrrev_b32_e32 v1, s2, v0
	v_mul_lo_u32 v0, v1, s0
	v_sub_nc_u32_e32 v0, v12, v0
	v_mul_lo_u32 v2, v0, s14
	v_mul_lo_u32 v0, v0, s15
	s_cbranch_scc1 .LBB49_1128
; %bb.1127:
	s_clause 0x1
	s_load_dwordx4 s[0:3], s[10:11], 0x10
	s_load_dwordx2 s[14:15], s[10:11], 0xcc
	s_waitcnt lgkmcnt(0)
	v_mul_hi_u32 v3, s1, v1
	v_add_nc_u32_e32 v3, v1, v3
	v_lshrrev_b32_e32 v3, s2, v3
	v_mul_lo_u32 v3, v3, s0
	v_sub_nc_u32_e32 v1, v1, v3
	v_mad_u64_u32 v[2:3], null, v1, s14, v[2:3]
	v_mad_u64_u32 v[0:1], null, v1, s15, v[0:1]
.LBB49_1128:
	v_cmp_ne_u32_e32 vcc_lo, 1, v5
	s_waitcnt vmcnt(0)
	v_add_nc_u32_e32 v1, 0x80, v12
	s_cbranch_vccnz .LBB49_1134
; %bb.1129:
	s_cmp_lg_u32 s9, 0
	s_mov_b32 s6, 0
	s_cbranch_scc0 .LBB49_1135
; %bb.1130:
	s_min_u32 s13, s28, 15
	s_add_i32 s13, s13, 1
	s_cmp_eq_u32 s28, 2
	s_cbranch_scc1 .LBB49_1136
; %bb.1131:
	v_mov_b32_e32 v10, 0
	v_mov_b32_e32 v8, 0
	;; [unrolled: 1-line block ×3, first 2 shown]
	s_and_b32 s8, s13, 28
	s_add_u32 s0, s10, 0xc4
	s_addc_u32 s1, s11, 0
	s_mov_b32 s14, 0
	s_mov_b64 s[2:3], s[10:11]
.LBB49_1132:                            ; =>This Inner Loop Header: Depth=1
	s_clause 0x1
	s_load_dwordx8 s[16:23], s[2:3], 0x4
	s_load_dwordx4 s[24:27], s[2:3], 0x24
	s_load_dwordx8 s[36:43], s[0:1], 0x0
	s_add_u32 s2, s2, 48
	s_addc_u32 s3, s3, 0
	s_add_i32 s14, s14, 4
	s_add_u32 s0, s0, 32
	s_addc_u32 s1, s1, 0
	s_cmp_lg_u32 s8, s14
	s_waitcnt lgkmcnt(0)
	v_mul_hi_u32 v4, s17, v3
	v_add_nc_u32_e32 v4, v3, v4
	v_lshrrev_b32_e32 v4, s18, v4
	v_mul_hi_u32 v6, s20, v4
	v_mul_lo_u32 v9, v4, s16
	v_add_nc_u32_e32 v6, v4, v6
	v_sub_nc_u32_e32 v3, v3, v9
	v_lshrrev_b32_e32 v6, s21, v6
	v_mul_lo_u32 v9, v3, s36
	v_mul_lo_u32 v13, v3, s37
	v_mul_hi_u32 v7, s23, v6
	v_add_nc_u32_e32 v7, v6, v7
	v_lshrrev_b32_e32 v7, s24, v7
	v_mul_hi_u32 v11, s26, v7
	v_mul_lo_u32 v14, v7, s22
	v_add_nc_u32_e32 v3, v7, v11
	v_mul_lo_u32 v11, v6, s19
	v_sub_nc_u32_e32 v6, v6, v14
	v_lshrrev_b32_e32 v3, s27, v3
	v_mul_lo_u32 v14, v6, s40
	v_mul_lo_u32 v6, v6, s41
	v_sub_nc_u32_e32 v4, v4, v11
	v_mul_lo_u32 v16, v3, s25
	v_mul_lo_u32 v11, v4, s38
	;; [unrolled: 1-line block ×3, first 2 shown]
	v_sub_nc_u32_e32 v7, v7, v16
	v_add3_u32 v8, v9, v8, v11
	v_mul_lo_u32 v16, v7, s42
	v_mul_lo_u32 v7, v7, s43
	v_add3_u32 v4, v13, v10, v4
	v_add3_u32 v8, v14, v8, v16
	;; [unrolled: 1-line block ×3, first 2 shown]
	s_cbranch_scc1 .LBB49_1132
; %bb.1133:
	s_and_b32 s13, s13, 3
	s_cmp_eq_u32 s13, 0
	s_cbranch_scc0 .LBB49_1137
	s_branch .LBB49_1139
.LBB49_1134:
	s_mov_b32 s6, -1
                                        ; implicit-def: $vgpr8
                                        ; implicit-def: $vgpr10
	s_branch .LBB49_1139
.LBB49_1135:
	v_mov_b32_e32 v8, 0
	v_mov_b32_e32 v10, 0
	s_branch .LBB49_1139
.LBB49_1136:
	v_mov_b32_e32 v8, 0
	v_mov_b32_e32 v10, 0
	;; [unrolled: 1-line block ×3, first 2 shown]
	s_mov_b32 s8, 0
	s_and_b32 s13, s13, 3
	s_cmp_eq_u32 s13, 0
	s_cbranch_scc1 .LBB49_1139
.LBB49_1137:
	s_lshl_b32 s0, s8, 3
	s_mul_i32 s2, s8, 12
	s_add_u32 s0, s10, s0
	s_addc_u32 s1, s11, 0
	s_add_u32 s0, s0, 0xc4
	s_addc_u32 s1, s1, 0
	;; [unrolled: 2-line block ×3, first 2 shown]
	.p2align	6
.LBB49_1138:                            ; =>This Inner Loop Header: Depth=1
	s_clause 0x1
	s_load_dwordx2 s[14:15], s[2:3], 0x4
	s_load_dword s8, s[2:3], 0xc
	s_load_dwordx2 s[16:17], s[0:1], 0x0
	s_add_u32 s2, s2, 12
	s_addc_u32 s3, s3, 0
	s_add_u32 s0, s0, 8
	s_addc_u32 s1, s1, 0
	s_add_i32 s13, s13, -1
	s_cmp_lg_u32 s13, 0
	s_waitcnt lgkmcnt(0)
	v_mul_hi_u32 v4, s15, v3
	v_add_nc_u32_e32 v4, v3, v4
	v_lshrrev_b32_e32 v4, s8, v4
	v_mul_lo_u32 v6, v4, s14
	v_sub_nc_u32_e32 v3, v3, v6
	v_mad_u64_u32 v[8:9], null, v3, s16, v[8:9]
	v_mad_u64_u32 v[10:11], null, v3, s17, v[10:11]
	v_mov_b32_e32 v3, v4
	s_cbranch_scc1 .LBB49_1138
.LBB49_1139:
	s_andn2_b32 vcc_lo, exec_lo, s6
	s_cbranch_vccnz .LBB49_1142
; %bb.1140:
	s_clause 0x1
	s_load_dwordx4 s[0:3], s[10:11], 0x4
	s_load_dwordx2 s[14:15], s[10:11], 0xc4
	s_cmp_lt_u32 s9, 2
	s_waitcnt lgkmcnt(0)
	v_mul_hi_u32 v3, s1, v1
	v_add_nc_u32_e32 v3, v1, v3
	v_lshrrev_b32_e32 v3, s2, v3
	v_mul_lo_u32 v4, v3, s0
	v_sub_nc_u32_e32 v1, v1, v4
	v_mul_lo_u32 v8, v1, s14
	v_mul_lo_u32 v10, v1, s15
	s_cbranch_scc1 .LBB49_1142
; %bb.1141:
	s_clause 0x1
	s_load_dwordx4 s[0:3], s[10:11], 0x10
	s_load_dwordx2 s[14:15], s[10:11], 0xcc
	s_waitcnt lgkmcnt(0)
	v_mul_hi_u32 v1, s1, v3
	v_add_nc_u32_e32 v1, v3, v1
	v_lshrrev_b32_e32 v1, s2, v1
	v_mul_lo_u32 v1, v1, s0
	v_sub_nc_u32_e32 v1, v3, v1
	v_mad_u64_u32 v[8:9], null, v1, s14, v[8:9]
	v_mad_u64_u32 v[10:11], null, v1, s15, v[10:11]
.LBB49_1142:
	v_cmp_ne_u32_e32 vcc_lo, 1, v5
	v_add_nc_u32_e32 v1, 0x100, v12
	s_cbranch_vccnz .LBB49_1148
; %bb.1143:
	s_cmp_lg_u32 s9, 0
	s_mov_b32 s6, 0
	s_cbranch_scc0 .LBB49_1149
; %bb.1144:
	s_min_u32 s13, s28, 15
	s_add_i32 s13, s13, 1
	s_cmp_eq_u32 s28, 2
	s_cbranch_scc1 .LBB49_1150
; %bb.1145:
	v_mov_b32_e32 v3, 0
	v_mov_b32_e32 v6, 0
	;; [unrolled: 1-line block ×3, first 2 shown]
	s_and_b32 s8, s13, 28
	s_add_u32 s0, s10, 0xc4
	s_addc_u32 s1, s11, 0
	s_mov_b32 s14, 0
	s_mov_b64 s[2:3], s[10:11]
.LBB49_1146:                            ; =>This Inner Loop Header: Depth=1
	s_clause 0x1
	s_load_dwordx8 s[16:23], s[2:3], 0x4
	s_load_dwordx4 s[24:27], s[2:3], 0x24
	s_load_dwordx8 s[36:43], s[0:1], 0x0
	s_add_u32 s2, s2, 48
	s_addc_u32 s3, s3, 0
	s_add_i32 s14, s14, 4
	s_add_u32 s0, s0, 32
	s_addc_u32 s1, s1, 0
	s_cmp_lg_u32 s8, s14
	s_waitcnt lgkmcnt(0)
	v_mul_hi_u32 v7, s17, v4
	v_add_nc_u32_e32 v7, v4, v7
	v_lshrrev_b32_e32 v7, s18, v7
	v_mul_hi_u32 v9, s20, v7
	v_mul_lo_u32 v12, v7, s16
	v_add_nc_u32_e32 v9, v7, v9
	v_sub_nc_u32_e32 v4, v4, v12
	v_lshrrev_b32_e32 v9, s21, v9
	v_mul_lo_u32 v12, v4, s36
	v_mul_lo_u32 v14, v4, s37
	v_mul_hi_u32 v11, s23, v9
	v_add_nc_u32_e32 v11, v9, v11
	v_lshrrev_b32_e32 v11, s24, v11
	v_mul_hi_u32 v13, s26, v11
	v_mul_lo_u32 v16, v11, s22
	v_add_nc_u32_e32 v4, v11, v13
	v_mul_lo_u32 v13, v9, s19
	v_sub_nc_u32_e32 v9, v9, v16
	v_lshrrev_b32_e32 v4, s27, v4
	v_mul_lo_u32 v16, v9, s40
	v_mul_lo_u32 v9, v9, s41
	v_sub_nc_u32_e32 v7, v7, v13
	v_mul_lo_u32 v17, v4, s25
	v_mul_lo_u32 v13, v7, s38
	;; [unrolled: 1-line block ×3, first 2 shown]
	v_sub_nc_u32_e32 v11, v11, v17
	v_add3_u32 v6, v12, v6, v13
	v_mul_lo_u32 v17, v11, s42
	v_mul_lo_u32 v11, v11, s43
	v_add3_u32 v3, v14, v3, v7
	v_add3_u32 v6, v16, v6, v17
	;; [unrolled: 1-line block ×3, first 2 shown]
	s_cbranch_scc1 .LBB49_1146
; %bb.1147:
	s_and_b32 s13, s13, 3
	s_cmp_eq_u32 s13, 0
	s_cbranch_scc0 .LBB49_1151
	s_branch .LBB49_1153
.LBB49_1148:
	s_mov_b32 s6, -1
                                        ; implicit-def: $vgpr6
                                        ; implicit-def: $vgpr3
	s_branch .LBB49_1153
.LBB49_1149:
	v_mov_b32_e32 v6, 0
	v_mov_b32_e32 v3, 0
	s_branch .LBB49_1153
.LBB49_1150:
	v_mov_b32_e32 v6, 0
	v_mov_b32_e32 v3, 0
	;; [unrolled: 1-line block ×3, first 2 shown]
	s_mov_b32 s8, 0
	s_and_b32 s13, s13, 3
	s_cmp_eq_u32 s13, 0
	s_cbranch_scc1 .LBB49_1153
.LBB49_1151:
	s_lshl_b32 s0, s8, 3
	s_mul_i32 s2, s8, 12
	s_add_u32 s0, s10, s0
	s_addc_u32 s1, s11, 0
	s_add_u32 s0, s0, 0xc4
	s_addc_u32 s1, s1, 0
	;; [unrolled: 2-line block ×3, first 2 shown]
	.p2align	6
.LBB49_1152:                            ; =>This Inner Loop Header: Depth=1
	s_clause 0x1
	s_load_dwordx2 s[14:15], s[2:3], 0x4
	s_load_dword s8, s[2:3], 0xc
	s_load_dwordx2 s[16:17], s[0:1], 0x0
	s_add_u32 s2, s2, 12
	s_addc_u32 s3, s3, 0
	s_add_u32 s0, s0, 8
	s_addc_u32 s1, s1, 0
	s_add_i32 s13, s13, -1
	s_cmp_lg_u32 s13, 0
	s_waitcnt lgkmcnt(0)
	v_mul_hi_u32 v7, s15, v4
	v_add_nc_u32_e32 v7, v4, v7
	v_lshrrev_b32_e32 v9, s8, v7
	v_mul_lo_u32 v7, v9, s14
	v_sub_nc_u32_e32 v4, v4, v7
	v_mad_u64_u32 v[6:7], null, v4, s16, v[6:7]
	v_mad_u64_u32 v[3:4], null, v4, s17, v[3:4]
	v_mov_b32_e32 v4, v9
	s_cbranch_scc1 .LBB49_1152
.LBB49_1153:
	s_andn2_b32 vcc_lo, exec_lo, s6
	s_cbranch_vccnz .LBB49_1156
; %bb.1154:
	s_clause 0x1
	s_load_dwordx4 s[0:3], s[10:11], 0x4
	s_load_dwordx2 s[14:15], s[10:11], 0xc4
	s_cmp_lt_u32 s9, 2
	s_waitcnt lgkmcnt(0)
	v_mul_hi_u32 v3, s1, v1
	v_add_nc_u32_e32 v3, v1, v3
	v_lshrrev_b32_e32 v4, s2, v3
	v_mul_lo_u32 v3, v4, s0
	v_sub_nc_u32_e32 v1, v1, v3
	v_mul_lo_u32 v6, v1, s14
	v_mul_lo_u32 v3, v1, s15
	s_cbranch_scc1 .LBB49_1156
; %bb.1155:
	s_clause 0x1
	s_load_dwordx4 s[0:3], s[10:11], 0x10
	s_load_dwordx2 s[14:15], s[10:11], 0xcc
	s_waitcnt lgkmcnt(0)
	v_mul_hi_u32 v1, s1, v4
	v_add_nc_u32_e32 v1, v4, v1
	v_lshrrev_b32_e32 v1, s2, v1
	v_mul_lo_u32 v1, v1, s0
	v_sub_nc_u32_e32 v1, v4, v1
	v_mad_u64_u32 v[6:7], null, v1, s14, v[6:7]
	v_mad_u64_u32 v[3:4], null, v1, s15, v[3:4]
.LBB49_1156:
	v_cmp_ne_u32_e32 vcc_lo, 1, v5
	s_cbranch_vccnz .LBB49_1162
; %bb.1157:
	s_cmp_lg_u32 s9, 0
	s_mov_b32 s6, 0
	s_cbranch_scc0 .LBB49_1163
; %bb.1158:
	s_min_u32 s13, s28, 15
	s_add_i32 s13, s13, 1
	s_cmp_eq_u32 s28, 2
	s_cbranch_scc1 .LBB49_1164
; %bb.1159:
	v_mov_b32_e32 v13, 0
	v_mov_b32_e32 v4, 0
	;; [unrolled: 1-line block ×3, first 2 shown]
	s_and_b32 s8, s13, 28
	s_add_u32 s0, s10, 0xc4
	s_addc_u32 s1, s11, 0
	s_mov_b32 s14, 0
	s_mov_b64 s[2:3], s[10:11]
.LBB49_1160:                            ; =>This Inner Loop Header: Depth=1
	s_clause 0x1
	s_load_dwordx8 s[16:23], s[2:3], 0x4
	s_load_dwordx4 s[36:39], s[2:3], 0x24
	s_load_dwordx8 s[24:31], s[0:1], 0x0
	s_add_u32 s2, s2, 48
	s_addc_u32 s3, s3, 0
	s_add_i32 s14, s14, 4
	s_add_u32 s0, s0, 32
	s_addc_u32 s1, s1, 0
	s_cmp_lg_u32 s8, s14
	s_waitcnt lgkmcnt(0)
	v_mul_hi_u32 v5, s17, v1
	v_add_nc_u32_e32 v5, v1, v5
	v_lshrrev_b32_e32 v5, s18, v5
	v_mul_hi_u32 v7, s20, v5
	v_mul_lo_u32 v11, v5, s16
	v_add_nc_u32_e32 v7, v5, v7
	v_sub_nc_u32_e32 v1, v1, v11
	v_lshrrev_b32_e32 v7, s21, v7
	v_mul_lo_u32 v11, v1, s24
	v_mul_lo_u32 v14, v1, s25
	v_mul_hi_u32 v9, s23, v7
	v_add_nc_u32_e32 v9, v7, v9
	v_lshrrev_b32_e32 v9, s36, v9
	v_mul_hi_u32 v12, s38, v9
	v_mul_lo_u32 v16, v9, s22
	v_add_nc_u32_e32 v1, v9, v12
	v_mul_lo_u32 v12, v7, s19
	v_sub_nc_u32_e32 v7, v7, v16
	v_lshrrev_b32_e32 v1, s39, v1
	v_mul_lo_u32 v16, v7, s28
	v_mul_lo_u32 v7, v7, s29
	v_sub_nc_u32_e32 v5, v5, v12
	v_mul_lo_u32 v17, v1, s37
	v_mul_lo_u32 v12, v5, s26
	;; [unrolled: 1-line block ×3, first 2 shown]
	v_sub_nc_u32_e32 v9, v9, v17
	v_add3_u32 v4, v11, v4, v12
	v_mul_lo_u32 v17, v9, s30
	v_mul_lo_u32 v9, v9, s31
	v_add3_u32 v5, v14, v13, v5
	v_add3_u32 v4, v16, v4, v17
	;; [unrolled: 1-line block ×3, first 2 shown]
	s_cbranch_scc1 .LBB49_1160
; %bb.1161:
	s_and_b32 s13, s13, 3
	s_cmp_eq_u32 s13, 0
	s_cbranch_scc0 .LBB49_1165
	s_branch .LBB49_1167
.LBB49_1162:
	s_mov_b32 s6, -1
                                        ; implicit-def: $vgpr4
                                        ; implicit-def: $vgpr13
	s_branch .LBB49_1167
.LBB49_1163:
	v_mov_b32_e32 v4, 0
	v_mov_b32_e32 v13, 0
	s_branch .LBB49_1167
.LBB49_1164:
	v_mov_b32_e32 v4, 0
	v_mov_b32_e32 v13, 0
	;; [unrolled: 1-line block ×3, first 2 shown]
	s_mov_b32 s8, 0
	s_and_b32 s13, s13, 3
	s_cmp_eq_u32 s13, 0
	s_cbranch_scc1 .LBB49_1167
.LBB49_1165:
	s_lshl_b32 s0, s8, 3
	s_mul_i32 s2, s8, 12
	s_add_u32 s0, s10, s0
	s_addc_u32 s1, s11, 0
	s_add_u32 s0, s0, 0xc4
	s_addc_u32 s1, s1, 0
	;; [unrolled: 2-line block ×3, first 2 shown]
	.p2align	6
.LBB49_1166:                            ; =>This Inner Loop Header: Depth=1
	s_clause 0x1
	s_load_dwordx2 s[14:15], s[2:3], 0x4
	s_load_dword s8, s[2:3], 0xc
	s_load_dwordx2 s[16:17], s[0:1], 0x0
	s_add_u32 s2, s2, 12
	s_addc_u32 s3, s3, 0
	s_add_u32 s0, s0, 8
	s_addc_u32 s1, s1, 0
	s_add_i32 s13, s13, -1
	s_cmp_lg_u32 s13, 0
	s_waitcnt lgkmcnt(0)
	v_mul_hi_u32 v5, s15, v1
	v_add_nc_u32_e32 v5, v1, v5
	v_lshrrev_b32_e32 v7, s8, v5
	v_mul_lo_u32 v5, v7, s14
	v_sub_nc_u32_e32 v1, v1, v5
	v_mad_u64_u32 v[4:5], null, v1, s16, v[4:5]
	v_mad_u64_u32 v[13:14], null, v1, s17, v[13:14]
	v_mov_b32_e32 v1, v7
	s_cbranch_scc1 .LBB49_1166
.LBB49_1167:
	s_andn2_b32 vcc_lo, exec_lo, s6
	s_cbranch_vccnz .LBB49_1170
; %bb.1168:
	s_clause 0x1
	s_load_dwordx4 s[0:3], s[10:11], 0x4
	s_load_dwordx2 s[14:15], s[10:11], 0xc4
	s_cmp_lt_u32 s9, 2
	s_waitcnt lgkmcnt(0)
	v_mul_hi_u32 v1, s1, v15
	v_add_nc_u32_e32 v1, v15, v1
	v_lshrrev_b32_e32 v1, s2, v1
	v_mul_lo_u32 v4, v1, s0
	v_sub_nc_u32_e32 v5, v15, v4
	v_mul_lo_u32 v4, v5, s14
	v_mul_lo_u32 v13, v5, s15
	s_cbranch_scc1 .LBB49_1170
; %bb.1169:
	s_clause 0x1
	s_load_dwordx4 s[0:3], s[10:11], 0x10
	s_load_dwordx2 s[8:9], s[10:11], 0xcc
	s_waitcnt lgkmcnt(0)
	v_mul_hi_u32 v5, s1, v1
	v_add_nc_u32_e32 v5, v1, v5
	v_lshrrev_b32_e32 v5, s2, v5
	v_mul_lo_u32 v5, v5, s0
	v_sub_nc_u32_e32 v1, v1, v5
	v_mad_u64_u32 v[4:5], null, v1, s8, v[4:5]
	v_mad_u64_u32 v[13:14], null, v1, s9, v[13:14]
.LBB49_1170:
	s_clause 0x1
	s_load_dwordx4 s[8:11], s[10:11], 0x148
	s_load_dword s14, s[4:5], 0x160
	s_waitcnt lgkmcnt(0)
	v_add_co_u32 v11, s0, s10, v0
	v_add_co_ci_u32_e64 v12, null, s11, 0, s0
	s_bfe_u32 s0, s14, 0x80010
	s_cmp_lt_i32 s0, 11
	s_cbranch_scc1 .LBB49_1177
; %bb.1171:
	s_and_b32 s1, 0xffff, s0
	s_mov_b32 s3, 0
	s_cmp_gt_i32 s1, 25
	s_cbranch_scc0 .LBB49_1179
; %bb.1172:
	s_cmp_gt_i32 s1, 28
	s_cbranch_scc0 .LBB49_1180
; %bb.1173:
	;; [unrolled: 3-line block ×4, first 2 shown]
	s_cmp_eq_u32 s1, 46
	s_mov_b32 s5, 0
	s_cbranch_scc0 .LBB49_1185
; %bb.1176:
	global_load_dword v0, v[11:12], off
	s_mov_b32 s2, 0
	s_mov_b32 s4, -1
	s_waitcnt vmcnt(0)
	v_lshlrev_b32_e32 v0, 16, v0
	v_cvt_f64_f32_e32 v[0:1], v0
	s_branch .LBB49_1187
.LBB49_1177:
	s_mov_b32 s4, 0
	s_mov_b32 s13, s7
                                        ; implicit-def: $vgpr0_vgpr1
	s_cbranch_execnz .LBB49_1250
.LBB49_1178:
	s_andn2_b32 vcc_lo, exec_lo, s4
	s_cbranch_vccz .LBB49_1295
	s_branch .LBB49_2143
.LBB49_1179:
	s_mov_b32 s4, 0
	s_mov_b32 s2, 0
                                        ; implicit-def: $vgpr0_vgpr1
	s_cbranch_execnz .LBB49_1217
	s_branch .LBB49_1246
.LBB49_1180:
	s_mov_b32 s5, -1
	s_mov_b32 s4, 0
	s_mov_b32 s2, 0
                                        ; implicit-def: $vgpr0_vgpr1
	s_branch .LBB49_1196
.LBB49_1181:
	s_mov_b32 s4, 0
	s_mov_b32 s2, 0
                                        ; implicit-def: $vgpr0_vgpr1
	s_cbranch_execnz .LBB49_1192
	s_branch .LBB49_1195
.LBB49_1182:
	s_mov_b32 s5, -1
	s_mov_b32 s4, 0
	s_mov_b32 s2, 0
	s_branch .LBB49_1186
.LBB49_1183:
	s_andn2_saveexec_b32 s7, s7
	s_cbranch_execz .LBB49_1026
.LBB49_1184:
	v_add_f32_e64 v3, 0x46000000, |v2|
	s_andn2_b32 s6, s6, exec_lo
	v_and_b32_e32 v3, 0xff, v3
	v_cmp_ne_u32_e32 vcc_lo, 0, v3
	s_and_b32 s8, vcc_lo, exec_lo
	s_or_b32 s6, s6, s8
	s_or_b32 exec_lo, exec_lo, s7
	v_mov_b32_e32 v4, 0
	s_and_saveexec_b32 s7, s6
	s_cbranch_execnz .LBB49_1027
	s_branch .LBB49_1028
.LBB49_1185:
	s_mov_b32 s2, -1
	s_mov_b32 s4, 0
.LBB49_1186:
                                        ; implicit-def: $vgpr0_vgpr1
.LBB49_1187:
	s_and_b32 vcc_lo, exec_lo, s5
	s_cbranch_vccz .LBB49_1190
; %bb.1188:
	s_cmp_eq_u32 s1, 44
	s_cbranch_scc0 .LBB49_1191
; %bb.1189:
	global_load_ubyte v5, v[11:12], off
	s_mov_b32 s2, 0
	s_mov_b32 s4, -1
	s_waitcnt vmcnt(0)
	v_lshlrev_b32_e32 v0, 23, v5
	v_cmp_ne_u32_e32 vcc_lo, 0xff, v5
	v_cvt_f64_f32_e32 v[0:1], v0
	v_cndmask_b32_e32 v0, 0x20000000, v0, vcc_lo
	v_cndmask_b32_e32 v1, 0x7ff80000, v1, vcc_lo
	v_cmp_ne_u32_e32 vcc_lo, 0, v5
	v_cndmask_b32_e32 v1, 0x38000000, v1, vcc_lo
	v_cndmask_b32_e32 v0, 0, v0, vcc_lo
.LBB49_1190:
	s_branch .LBB49_1195
.LBB49_1191:
	s_mov_b32 s2, -1
                                        ; implicit-def: $vgpr0_vgpr1
	s_branch .LBB49_1195
.LBB49_1192:
	s_cmp_eq_u32 s1, 29
	s_cbranch_scc0 .LBB49_1194
; %bb.1193:
	global_load_dwordx2 v[0:1], v[11:12], off
	s_mov_b32 s2, 0
	s_mov_b32 s4, -1
	s_mov_b32 s5, 0
	s_waitcnt vmcnt(0)
	v_cvt_f64_u32_e32 v[14:15], v1
	v_cvt_f64_u32_e32 v[0:1], v0
	v_ldexp_f64 v[14:15], v[14:15], 32
	v_add_f64 v[0:1], v[14:15], v[0:1]
	s_branch .LBB49_1196
.LBB49_1194:
	s_mov_b32 s2, -1
                                        ; implicit-def: $vgpr0_vgpr1
.LBB49_1195:
	s_mov_b32 s5, 0
.LBB49_1196:
	s_and_b32 vcc_lo, exec_lo, s5
	s_cbranch_vccz .LBB49_1216
; %bb.1197:
	s_cmp_lt_i32 s1, 27
	s_cbranch_scc1 .LBB49_1200
; %bb.1198:
	s_cmp_gt_i32 s1, 27
	s_cbranch_scc0 .LBB49_1201
; %bb.1199:
	global_load_dword v0, v[11:12], off
	s_mov_b32 s4, 0
	s_waitcnt vmcnt(0)
	v_cvt_f64_u32_e32 v[0:1], v0
	s_branch .LBB49_1202
.LBB49_1200:
	s_mov_b32 s4, -1
                                        ; implicit-def: $vgpr0_vgpr1
	s_branch .LBB49_1205
.LBB49_1201:
	s_mov_b32 s4, -1
                                        ; implicit-def: $vgpr0_vgpr1
.LBB49_1202:
	s_andn2_b32 vcc_lo, exec_lo, s4
	s_cbranch_vccnz .LBB49_1204
; %bb.1203:
	global_load_ushort v0, v[11:12], off
	s_waitcnt vmcnt(0)
	v_cvt_f64_u32_e32 v[0:1], v0
.LBB49_1204:
	s_mov_b32 s4, 0
.LBB49_1205:
	s_andn2_b32 vcc_lo, exec_lo, s4
	s_cbranch_vccnz .LBB49_1215
; %bb.1206:
	global_load_ubyte v5, v[11:12], off
	s_mov_b32 s4, 0
	s_mov_b32 s5, exec_lo
	s_waitcnt vmcnt(0)
	v_cmpx_lt_i16_e32 0x7f, v5
	s_xor_b32 s5, exec_lo, s5
	s_cbranch_execz .LBB49_1210
; %bb.1207:
	s_mov_b32 s4, -1
	s_mov_b32 s6, exec_lo
	v_cmpx_eq_u16_e32 0x80, v5
; %bb.1208:
	s_xor_b32 s4, exec_lo, -1
; %bb.1209:
	s_or_b32 exec_lo, exec_lo, s6
	s_and_b32 s4, s4, exec_lo
.LBB49_1210:
	s_or_saveexec_b32 s5, s5
	v_bfrev_b32_e32 v0, 4
	v_mov_b32_e32 v1, 0x7ff80000
	s_xor_b32 exec_lo, exec_lo, s5
; %bb.1211:
	v_cmp_ne_u16_e32 vcc_lo, 0, v5
	v_mov_b32_e32 v0, 0
	v_mov_b32_e32 v1, 0
	s_andn2_b32 s4, s4, exec_lo
	s_and_b32 s6, vcc_lo, exec_lo
	s_or_b32 s4, s4, s6
; %bb.1212:
	s_or_b32 exec_lo, exec_lo, s5
	s_and_saveexec_b32 s5, s4
	s_cbranch_execz .LBB49_1214
; %bb.1213:
	v_and_b32_e32 v0, 0xffff, v5
	v_lshlrev_b32_e32 v5, 24, v5
	v_and_b32_e32 v1, 7, v0
	v_bfe_u32 v14, v0, 3, 4
	v_ffbh_u32_e32 v7, v1
	v_cmp_eq_u32_e32 vcc_lo, 0, v14
	v_min_u32_e32 v7, 32, v7
	v_subrev_nc_u32_e32 v9, 28, v7
	v_sub_nc_u32_e32 v7, 29, v7
	v_lshlrev_b32_e32 v0, v9, v0
	v_cndmask_b32_e32 v7, v14, v7, vcc_lo
	v_and_b32_e32 v0, 7, v0
	v_cndmask_b32_e32 v0, v1, v0, vcc_lo
	v_and_b32_e32 v1, 0x80000000, v5
	v_lshl_add_u32 v5, v7, 23, 0x3b800000
	v_lshlrev_b32_e32 v0, 20, v0
	v_or3_b32 v0, v1, v5, v0
	v_cvt_f64_f32_e32 v[0:1], v0
.LBB49_1214:
	s_or_b32 exec_lo, exec_lo, s5
.LBB49_1215:
	s_mov_b32 s4, -1
.LBB49_1216:
	s_branch .LBB49_1246
.LBB49_1217:
	s_cmp_gt_i32 s1, 22
	s_cbranch_scc0 .LBB49_1229
; %bb.1218:
	s_cmp_lt_i32 s1, 24
	s_cbranch_scc1 .LBB49_1230
; %bb.1219:
	s_cmp_gt_i32 s1, 24
	s_cbranch_scc0 .LBB49_1231
; %bb.1220:
	global_load_ubyte v5, v[11:12], off
	s_mov_b32 s4, exec_lo
	s_waitcnt vmcnt(0)
	v_cmpx_lt_i16_e32 0x7f, v5
	s_xor_b32 s4, exec_lo, s4
	s_cbranch_execz .LBB49_1224
; %bb.1221:
	s_mov_b32 s3, -1
	s_mov_b32 s5, exec_lo
	v_cmpx_eq_u16_e32 0x80, v5
; %bb.1222:
	s_xor_b32 s3, exec_lo, -1
; %bb.1223:
	s_or_b32 exec_lo, exec_lo, s5
	s_and_b32 s3, s3, exec_lo
.LBB49_1224:
	s_or_saveexec_b32 s4, s4
	v_bfrev_b32_e32 v0, 4
	v_mov_b32_e32 v1, 0x7ff80000
	s_xor_b32 exec_lo, exec_lo, s4
; %bb.1225:
	v_cmp_ne_u16_e32 vcc_lo, 0, v5
	v_mov_b32_e32 v0, 0
	v_mov_b32_e32 v1, 0
	s_andn2_b32 s3, s3, exec_lo
	s_and_b32 s5, vcc_lo, exec_lo
	s_or_b32 s3, s3, s5
; %bb.1226:
	s_or_b32 exec_lo, exec_lo, s4
	s_and_saveexec_b32 s4, s3
	s_cbranch_execz .LBB49_1228
; %bb.1227:
	v_and_b32_e32 v0, 0xffff, v5
	v_lshlrev_b32_e32 v5, 24, v5
	v_and_b32_e32 v1, 3, v0
	v_bfe_u32 v14, v0, 2, 5
	v_ffbh_u32_e32 v7, v1
	v_cmp_eq_u32_e32 vcc_lo, 0, v14
	v_min_u32_e32 v7, 32, v7
	v_subrev_nc_u32_e32 v9, 29, v7
	v_sub_nc_u32_e32 v7, 30, v7
	v_lshlrev_b32_e32 v0, v9, v0
	v_cndmask_b32_e32 v7, v14, v7, vcc_lo
	v_and_b32_e32 v0, 3, v0
	v_cndmask_b32_e32 v0, v1, v0, vcc_lo
	v_and_b32_e32 v1, 0x80000000, v5
	v_lshl_add_u32 v5, v7, 23, 0x37800000
	v_lshlrev_b32_e32 v0, 21, v0
	v_or3_b32 v0, v1, v5, v0
	v_cvt_f64_f32_e32 v[0:1], v0
.LBB49_1228:
	s_or_b32 exec_lo, exec_lo, s4
	s_mov_b32 s3, 0
	s_branch .LBB49_1232
.LBB49_1229:
                                        ; implicit-def: $vgpr0_vgpr1
	s_mov_b32 s3, 0
	s_branch .LBB49_1238
.LBB49_1230:
	s_mov_b32 s3, -1
                                        ; implicit-def: $vgpr0_vgpr1
	s_branch .LBB49_1235
.LBB49_1231:
	s_mov_b32 s3, -1
                                        ; implicit-def: $vgpr0_vgpr1
.LBB49_1232:
	s_and_b32 vcc_lo, exec_lo, s3
	s_cbranch_vccz .LBB49_1234
; %bb.1233:
	global_load_ubyte v0, v[11:12], off
	s_waitcnt vmcnt(0)
	v_lshlrev_b32_e32 v0, 24, v0
	v_and_b32_e32 v1, 0x7f000000, v0
	v_ffbh_u32_e32 v5, v1
	v_add_nc_u32_e32 v9, 0x1000000, v1
	v_cmp_ne_u32_e32 vcc_lo, 0, v1
	v_min_u32_e32 v5, 32, v5
	v_sub_nc_u32_e64 v5, v5, 4 clamp
	v_lshlrev_b32_e32 v7, v5, v1
	v_lshlrev_b32_e32 v5, 23, v5
	v_lshrrev_b32_e32 v7, 4, v7
	v_sub_nc_u32_e32 v5, v7, v5
	v_ashrrev_i32_e32 v7, 8, v9
	v_add_nc_u32_e32 v5, 0x3c000000, v5
	v_and_or_b32 v5, 0x7f800000, v7, v5
	v_cndmask_b32_e32 v1, 0, v5, vcc_lo
	v_and_or_b32 v0, 0x80000000, v0, v1
	v_cvt_f64_f32_e32 v[0:1], v0
.LBB49_1234:
	s_mov_b32 s3, 0
.LBB49_1235:
	s_andn2_b32 vcc_lo, exec_lo, s3
	s_cbranch_vccnz .LBB49_1237
; %bb.1236:
	global_load_ubyte v0, v[11:12], off
	s_waitcnt vmcnt(0)
	v_lshlrev_b32_e32 v1, 25, v0
	v_lshlrev_b16 v0, 8, v0
	v_lshrrev_b32_e32 v5, 4, v1
	v_and_or_b32 v7, 0x7f00, v0, 0.5
	v_cmp_gt_u32_e32 vcc_lo, 0x8000000, v1
	v_bfe_i32 v0, v0, 0, 16
	v_or_b32_e32 v5, 0x70000000, v5
	v_add_f32_e32 v7, -0.5, v7
	v_mul_f32_e32 v5, 0x7800000, v5
	v_cndmask_b32_e32 v1, v5, v7, vcc_lo
	v_and_or_b32 v0, 0x80000000, v0, v1
	v_cvt_f64_f32_e32 v[0:1], v0
.LBB49_1237:
	s_mov_b32 s4, -1
	s_mov_b32 s3, 0
	s_cbranch_execnz .LBB49_1246
.LBB49_1238:
	s_cmp_gt_i32 s1, 14
	s_cbranch_scc0 .LBB49_1241
; %bb.1239:
	s_cmp_eq_u32 s1, 15
	s_cbranch_scc0 .LBB49_1242
; %bb.1240:
	global_load_ushort v0, v[11:12], off
	s_mov_b32 s2, 0
	s_mov_b32 s4, -1
	s_waitcnt vmcnt(0)
	v_lshlrev_b32_e32 v0, 16, v0
	v_cvt_f64_f32_e32 v[0:1], v0
	s_branch .LBB49_1244
.LBB49_1241:
	s_mov_b32 s3, -1
	s_branch .LBB49_1243
.LBB49_1242:
	s_mov_b32 s2, -1
.LBB49_1243:
                                        ; implicit-def: $vgpr0_vgpr1
.LBB49_1244:
	s_and_b32 vcc_lo, exec_lo, s3
	s_mov_b32 s3, 0
	s_cbranch_vccz .LBB49_1246
; %bb.1245:
	s_cmp_lg_u32 s1, 11
	s_mov_b32 s3, -1
	s_cselect_b32 s2, -1, 0
.LBB49_1246:
	s_and_b32 vcc_lo, exec_lo, s2
	s_mov_b32 s13, s7
	s_cbranch_vccnz .LBB49_1313
; %bb.1247:
	s_andn2_b32 vcc_lo, exec_lo, s3
	s_cbranch_vccnz .LBB49_1249
.LBB49_1248:
	global_load_ubyte v0, v[11:12], off
	s_mov_b32 s4, -1
	s_waitcnt vmcnt(0)
	v_cmp_ne_u16_e32 vcc_lo, 0, v0
	v_mov_b32_e32 v0, 0
	v_cndmask_b32_e64 v1, 0, 0x3ff00000, vcc_lo
.LBB49_1249:
	s_branch .LBB49_1178
.LBB49_1250:
	s_and_b32 s0, 0xffff, s0
	s_cmp_lt_i32 s0, 5
	s_cbranch_scc1 .LBB49_1255
; %bb.1251:
	s_cmp_lt_i32 s0, 8
	s_cbranch_scc1 .LBB49_1256
; %bb.1252:
	;; [unrolled: 3-line block ×3, first 2 shown]
	s_cmp_gt_i32 s0, 9
	s_cbranch_scc0 .LBB49_1258
; %bb.1254:
	global_load_dwordx2 v[0:1], v[11:12], off
	s_mov_b32 s1, 0
	s_branch .LBB49_1259
.LBB49_1255:
                                        ; implicit-def: $vgpr0_vgpr1
	s_branch .LBB49_1276
.LBB49_1256:
                                        ; implicit-def: $vgpr0_vgpr1
	s_branch .LBB49_1265
.LBB49_1257:
	s_mov_b32 s1, -1
                                        ; implicit-def: $vgpr0_vgpr1
	s_branch .LBB49_1262
.LBB49_1258:
	s_mov_b32 s1, -1
                                        ; implicit-def: $vgpr0_vgpr1
.LBB49_1259:
	s_andn2_b32 vcc_lo, exec_lo, s1
	s_cbranch_vccnz .LBB49_1261
; %bb.1260:
	global_load_dword v0, v[11:12], off
	s_waitcnt vmcnt(0)
	v_cvt_f64_f32_e32 v[0:1], v0
.LBB49_1261:
	s_mov_b32 s1, 0
.LBB49_1262:
	s_andn2_b32 vcc_lo, exec_lo, s1
	s_cbranch_vccnz .LBB49_1264
; %bb.1263:
	global_load_dword v0, v[11:12], off
	s_waitcnt vmcnt(0)
	v_cvt_f32_f16_e32 v0, v0
	v_cvt_f64_f32_e32 v[0:1], v0
.LBB49_1264:
	s_cbranch_execnz .LBB49_1275
.LBB49_1265:
	s_cmp_lt_i32 s0, 6
	s_cbranch_scc1 .LBB49_1268
; %bb.1266:
	s_cmp_gt_i32 s0, 6
	s_cbranch_scc0 .LBB49_1269
; %bb.1267:
	global_load_dwordx2 v[0:1], v[11:12], off
	s_mov_b32 s1, 0
	s_branch .LBB49_1270
.LBB49_1268:
	s_mov_b32 s1, -1
                                        ; implicit-def: $vgpr0_vgpr1
	s_branch .LBB49_1273
.LBB49_1269:
	s_mov_b32 s1, -1
                                        ; implicit-def: $vgpr0_vgpr1
.LBB49_1270:
	s_andn2_b32 vcc_lo, exec_lo, s1
	s_cbranch_vccnz .LBB49_1272
; %bb.1271:
	global_load_dword v0, v[11:12], off
	s_waitcnt vmcnt(0)
	v_cvt_f64_f32_e32 v[0:1], v0
.LBB49_1272:
	s_mov_b32 s1, 0
.LBB49_1273:
	s_andn2_b32 vcc_lo, exec_lo, s1
	s_cbranch_vccnz .LBB49_1275
; %bb.1274:
	global_load_ushort v0, v[11:12], off
	s_waitcnt vmcnt(0)
	v_cvt_f32_f16_e32 v0, v0
	v_cvt_f64_f32_e32 v[0:1], v0
.LBB49_1275:
	s_cbranch_execnz .LBB49_1294
.LBB49_1276:
	s_cmp_lt_i32 s0, 2
	s_cbranch_scc1 .LBB49_1280
; %bb.1277:
	s_cmp_lt_i32 s0, 3
	s_cbranch_scc1 .LBB49_1281
; %bb.1278:
	s_cmp_gt_i32 s0, 3
	s_cbranch_scc0 .LBB49_1282
; %bb.1279:
	global_load_dwordx2 v[0:1], v[11:12], off
	s_mov_b32 s1, 0
	s_waitcnt vmcnt(0)
	v_cvt_f64_i32_e32 v[14:15], v1
	v_cvt_f64_u32_e32 v[0:1], v0
	v_ldexp_f64 v[14:15], v[14:15], 32
	v_add_f64 v[0:1], v[14:15], v[0:1]
	s_branch .LBB49_1283
.LBB49_1280:
                                        ; implicit-def: $vgpr0_vgpr1
	s_branch .LBB49_1289
.LBB49_1281:
	s_mov_b32 s1, -1
                                        ; implicit-def: $vgpr0_vgpr1
	s_branch .LBB49_1286
.LBB49_1282:
	s_mov_b32 s1, -1
                                        ; implicit-def: $vgpr0_vgpr1
.LBB49_1283:
	s_andn2_b32 vcc_lo, exec_lo, s1
	s_cbranch_vccnz .LBB49_1285
; %bb.1284:
	global_load_dword v0, v[11:12], off
	s_waitcnt vmcnt(0)
	v_cvt_f64_i32_e32 v[0:1], v0
.LBB49_1285:
	s_mov_b32 s1, 0
.LBB49_1286:
	s_andn2_b32 vcc_lo, exec_lo, s1
	s_cbranch_vccnz .LBB49_1288
; %bb.1287:
	global_load_sshort v0, v[11:12], off
	s_waitcnt vmcnt(0)
	v_cvt_f64_i32_e32 v[0:1], v0
.LBB49_1288:
	s_cbranch_execnz .LBB49_1294
.LBB49_1289:
	s_cmp_gt_i32 s0, 0
	s_mov_b32 s0, 0
	s_cbranch_scc0 .LBB49_1291
; %bb.1290:
	global_load_sbyte v0, v[11:12], off
	s_waitcnt vmcnt(0)
	v_cvt_f64_i32_e32 v[0:1], v0
	s_branch .LBB49_1292
.LBB49_1291:
	s_mov_b32 s0, -1
                                        ; implicit-def: $vgpr0_vgpr1
.LBB49_1292:
	s_andn2_b32 vcc_lo, exec_lo, s0
	s_cbranch_vccnz .LBB49_1294
; %bb.1293:
	global_load_ubyte v0, v[11:12], off
	s_waitcnt vmcnt(0)
	v_cvt_f64_u32_e32 v[0:1], v0
.LBB49_1294:
.LBB49_1295:
	v_mov_b32_e32 v17, 0
	v_mov_b32_e32 v15, 0
	;; [unrolled: 1-line block ×4, first 2 shown]
	s_mov_b32 s2, exec_lo
	s_waitcnt vmcnt(0)
	v_cmpx_gt_f64_e32 0.5, v[0:1]
	s_cbranch_execz .LBB49_1301
; %bb.1296:
	s_mov_b32 s1, 0x400921fb
	s_mov_b32 s0, 0x54442d18
	s_mov_b32 s3, exec_lo
	v_mul_f64 v[11:12], v[0:1], s[0:1]
                                        ; implicit-def: $vgpr5
                                        ; implicit-def: $vgpr14_vgpr15
                                        ; implicit-def: $vgpr16_vgpr17
	v_cmpx_ngt_f64_e64 0x41d00000, |v[11:12]|
	s_xor_b32 s3, exec_lo, s3
	s_cbranch_execz .LBB49_1298
; %bb.1297:
	v_ldexp_f64 v[14:15], |v[11:12]|, 0xffffff80
	v_cmp_le_f64_e64 vcc_lo, 0x7b000000, |v[11:12]|
	v_trig_preop_f64 v[16:17], |v[11:12]|, 0
	v_and_b32_e32 v5, 0x7fffffff, v12
	v_trig_preop_f64 v[18:19], |v[11:12]|, 1
	v_trig_preop_f64 v[28:29], |v[11:12]|, 2
	v_mov_b32_e32 v36, 0
	s_mov_b32 s1, 0x3ff921fb
	s_mov_b32 s4, 0x33145c07
	;; [unrolled: 1-line block ×3, first 2 shown]
	v_cndmask_b32_e32 v15, v5, v15, vcc_lo
	v_cndmask_b32_e32 v14, v11, v14, vcc_lo
	v_mul_f64 v[20:21], v[16:17], v[14:15]
	v_mul_f64 v[22:23], v[18:19], v[14:15]
	;; [unrolled: 1-line block ×3, first 2 shown]
	v_fma_f64 v[16:17], v[16:17], v[14:15], -v[20:21]
	v_fma_f64 v[18:19], v[18:19], v[14:15], -v[22:23]
	;; [unrolled: 1-line block ×3, first 2 shown]
	v_add_f64 v[24:25], v[22:23], v[16:17]
	v_add_f64 v[26:27], v[24:25], -v[22:23]
	v_add_f64 v[32:33], v[20:21], v[24:25]
	v_add_f64 v[30:31], v[24:25], -v[26:27]
	v_add_f64 v[16:17], v[16:17], -v[26:27]
	v_ldexp_f64 v[26:27], v[32:33], -2
	v_add_f64 v[20:21], v[32:33], -v[20:21]
	v_add_f64 v[22:23], v[22:23], -v[30:31]
	v_add_f64 v[30:31], v[34:35], v[18:19]
	v_cmp_neq_f64_e64 vcc_lo, 0x7ff00000, |v[26:27]|
	v_add_f64 v[20:21], v[24:25], -v[20:21]
	v_add_f64 v[16:17], v[16:17], v[22:23]
	v_fract_f64_e32 v[22:23], v[26:27]
	v_add_f64 v[24:25], v[30:31], v[16:17]
	v_ldexp_f64 v[22:23], v[22:23], 2
	v_add_f64 v[26:27], v[20:21], v[24:25]
	v_cndmask_b32_e32 v23, 0, v23, vcc_lo
	v_cndmask_b32_e32 v22, 0, v22, vcc_lo
	v_add_f64 v[32:33], v[26:27], v[22:23]
	v_add_f64 v[20:21], v[26:27], -v[20:21]
	v_cmp_gt_f64_e32 vcc_lo, 0, v[32:33]
	v_add_f64 v[32:33], v[30:31], -v[34:35]
	v_add_f64 v[20:21], v[24:25], -v[20:21]
	v_cndmask_b32_e64 v37, 0, 0x40100000, vcc_lo
	v_add_f64 v[41:42], v[30:31], -v[32:33]
	v_add_f64 v[18:19], v[18:19], -v[32:33]
	v_add_f64 v[22:23], v[22:23], v[36:37]
	v_add_f64 v[37:38], v[24:25], -v[30:31]
	v_add_f64 v[32:33], v[34:35], -v[41:42]
	v_add_f64 v[39:40], v[26:27], v[22:23]
	;; [unrolled: 3-line block ×3, first 2 shown]
	v_cvt_i32_f64_e32 v5, v[39:40]
	v_add_f64 v[30:31], v[30:31], -v[43:44]
	v_cvt_f64_i32_e32 v[37:38], v5
	v_add_f64 v[16:17], v[16:17], v[30:31]
	v_add_f64 v[22:23], v[22:23], -v[37:38]
	v_add_f64 v[16:17], v[18:19], v[16:17]
	v_add_f64 v[18:19], v[26:27], v[22:23]
	;; [unrolled: 1-line block ×3, first 2 shown]
	v_add_f64 v[16:17], v[18:19], -v[22:23]
	v_cmp_le_f64_e32 vcc_lo, 0.5, v[18:19]
	v_add_f64 v[14:15], v[20:21], v[14:15]
	v_add_f64 v[16:17], v[26:27], -v[16:17]
	v_cndmask_b32_e64 v37, 0, 0x3ff00000, vcc_lo
	v_add_co_ci_u32_e64 v5, null, 0, v5, vcc_lo
	v_add_f64 v[14:15], v[14:15], v[16:17]
	v_add_f64 v[16:17], v[18:19], -v[36:37]
	v_add_f64 v[18:19], v[16:17], v[14:15]
	v_mul_f64 v[20:21], v[18:19], s[0:1]
	v_add_f64 v[16:17], v[18:19], -v[16:17]
	v_fma_f64 v[22:23], v[18:19], s[0:1], -v[20:21]
	v_add_f64 v[14:15], v[14:15], -v[16:17]
	v_fma_f64 v[16:17], v[18:19], s[4:5], v[22:23]
	v_fma_f64 v[16:17], v[14:15], s[0:1], v[16:17]
	v_add_f64 v[14:15], v[20:21], v[16:17]
	v_add_f64 v[18:19], v[14:15], -v[20:21]
	v_add_f64 v[16:17], v[16:17], -v[18:19]
.LBB49_1298:
	s_andn2_saveexec_b32 s0, s3
	s_cbranch_execz .LBB49_1300
; %bb.1299:
	s_mov_b32 s4, 0x6dc9c883
	s_mov_b32 s5, 0x3fe45f30
	;; [unrolled: 1-line block ×3, first 2 shown]
	v_mul_f64 v[14:15], |v[11:12]|, s[4:5]
	s_mov_b32 s4, 0x54442d18
	s_mov_b32 s5, 0xbff921fb
	;; [unrolled: 1-line block ×3, first 2 shown]
	v_rndne_f64_e32 v[18:19], v[14:15]
	v_fma_f64 v[14:15], v[18:19], s[4:5], |v[11:12]|
	v_mul_f64 v[16:17], v[18:19], s[16:17]
	s_mov_b32 s4, 0x252049c0
	s_mov_b32 s5, 0xb97b839a
	v_cvt_i32_f64_e32 v5, v[18:19]
	v_fma_f64 v[22:23], v[18:19], s[16:17], v[14:15]
	v_add_f64 v[20:21], v[14:15], v[16:17]
	s_mov_b32 s17, 0x3c91a626
	v_add_f64 v[14:15], v[14:15], -v[20:21]
	v_add_f64 v[20:21], v[20:21], -v[22:23]
	v_add_f64 v[14:15], v[14:15], v[16:17]
	v_fma_f64 v[16:17], v[18:19], s[16:17], v[16:17]
	v_add_f64 v[14:15], v[20:21], v[14:15]
	v_add_f64 v[14:15], v[14:15], -v[16:17]
	v_fma_f64 v[16:17], v[18:19], s[4:5], v[14:15]
	v_add_f64 v[14:15], v[22:23], v[16:17]
	v_add_f64 v[20:21], v[14:15], -v[22:23]
	v_add_f64 v[16:17], v[16:17], -v[20:21]
.LBB49_1300:
	s_or_b32 exec_lo, exec_lo, s0
	v_mul_f64 v[18:19], v[14:15], v[14:15]
	s_mov_b32 s0, 0xb42fdfa7
	s_mov_b32 s4, 0xf9a43bb8
	;; [unrolled: 1-line block ×6, first 2 shown]
	v_mul_f64 v[28:29], v[16:17], 0.5
	v_and_b32_e32 v7, 1, v5
	v_lshlrev_b32_e32 v5, 30, v5
	v_add_f64 v[0:1], -v[0:1], 1.0
	v_cmp_eq_u32_e32 vcc_lo, 0, v7
	v_xor_b32_e32 v5, v5, v12
	v_and_b32_e32 v5, 0x80000000, v5
	v_fma_f64 v[20:21], v[18:19], s[4:5], s[0:1]
	s_mov_b32 s0, 0x9037ab78
	s_mov_b32 s4, 0x46cc5e42
	;; [unrolled: 1-line block ×4, first 2 shown]
	v_mul_f64 v[24:25], v[18:19], 0.5
	v_fma_f64 v[22:23], v[18:19], s[4:5], s[0:1]
	s_mov_b32 s0, 0xa17f65f6
	s_mov_b32 s4, 0x19e83e5c
	;; [unrolled: 1-line block ×4, first 2 shown]
	v_mul_f64 v[30:31], v[14:15], -v[18:19]
	v_fma_f64 v[20:21], v[18:19], v[20:21], s[16:17]
	v_add_f64 v[26:27], -v[24:25], 1.0
	v_fma_f64 v[22:23], v[18:19], v[22:23], s[0:1]
	s_mov_b32 s0, 0x19f4ec90
	s_mov_b32 s1, 0x3efa01a0
	v_fma_f64 v[20:21], v[18:19], v[20:21], s[4:5]
	s_mov_b32 s4, 0x11110bb3
	s_mov_b32 s5, 0x3f811111
	v_add_f64 v[32:33], -v[26:27], 1.0
	v_fma_f64 v[22:23], v[18:19], v[22:23], s[0:1]
	s_mov_b32 s0, 0x16c16967
	s_mov_b32 s1, 0xbf56c16c
	v_fma_f64 v[20:21], v[18:19], v[20:21], s[4:5]
	v_add_f64 v[24:25], v[32:33], -v[24:25]
	v_fma_f64 v[22:23], v[18:19], v[22:23], s[0:1]
	s_mov_b32 s1, 0x3fa55555
	s_mov_b32 s0, 0x55555555
	v_fma_f64 v[20:21], v[30:31], v[20:21], v[28:29]
	v_mul_f64 v[28:29], v[18:19], v[18:19]
	v_fma_f64 v[24:25], v[14:15], -v[16:17], v[24:25]
	v_fma_f64 v[22:23], v[18:19], v[22:23], s[0:1]
	s_mov_b32 s1, 0xbfc55555
	v_fma_f64 v[16:17], v[18:19], v[20:21], -v[16:17]
	v_fma_f64 v[18:19], v[28:29], v[22:23], v[24:25]
	v_fma_f64 v[16:17], v[30:31], s[0:1], v[16:17]
	v_cmp_class_f64_e64 s0, v[11:12], 0x1f8
	v_add_f64 v[18:19], v[26:27], v[18:19]
	v_add_f64 v[14:15], v[14:15], -v[16:17]
	v_cndmask_b32_e32 v9, v19, v15, vcc_lo
	v_cndmask_b32_e32 v7, v18, v14, vcc_lo
	v_xor_b32_e32 v5, v9, v5
	v_cndmask_b32_e64 v11, 0, v7, s0
	v_cndmask_b32_e64 v12, 0x7ff80000, v5, s0
	s_mov_b32 s0, 0xc9be45de
	s_mov_b32 s1, 0xc023bd3c
	v_mul_f64 v[11:12], v[11:12], v[11:12]
	v_div_scale_f64 v[14:15], null, v[11:12], v[11:12], s[0:1]
	v_div_scale_f64 v[20:21], vcc_lo, s[0:1], v[11:12], s[0:1]
	v_rcp_f64_e32 v[16:17], v[14:15]
	v_fma_f64 v[18:19], -v[14:15], v[16:17], 1.0
	v_fma_f64 v[16:17], v[16:17], v[18:19], v[16:17]
	v_fma_f64 v[18:19], -v[14:15], v[16:17], 1.0
	v_fma_f64 v[16:17], v[16:17], v[18:19], v[16:17]
	v_mul_f64 v[18:19], v[20:21], v[16:17]
	v_fma_f64 v[14:15], -v[14:15], v[18:19], v[20:21]
	v_div_fmas_f64 v[14:15], v[14:15], v[16:17], v[18:19]
	v_div_fixup_f64 v[11:12], v[14:15], v[11:12], s[0:1]
	v_mov_b32_e32 v15, 0
	v_mov_b32_e32 v16, 0xbff00000
	v_add_f64 v[17:18], v[11:12], 0
.LBB49_1301:
	s_or_b32 exec_lo, exec_lo, s2
	v_add_co_u32 v11, s1, s10, v10
	s_lshr_b32 s0, s14, 16
	v_add_co_ci_u32_e64 v12, null, s11, 0, s1
	s_and_b32 s2, s0, 0xff
	s_cmp_lt_i32 s2, 11
	s_cbranch_scc1 .LBB49_1308
; %bb.1302:
	s_and_b32 s0, 0xffff, s2
	s_mov_b32 s3, 0
	s_cmp_gt_i32 s0, 25
	s_cbranch_scc0 .LBB49_1310
; %bb.1303:
	s_cmp_gt_i32 s0, 28
	s_cbranch_scc0 .LBB49_1311
; %bb.1304:
	;; [unrolled: 3-line block ×4, first 2 shown]
	s_cmp_eq_u32 s0, 46
	s_mov_b32 s5, 0
	s_cbranch_scc0 .LBB49_1317
; %bb.1307:
	global_load_dword v5, v[11:12], off
	s_mov_b32 s1, 0
	s_mov_b32 s4, -1
	s_waitcnt vmcnt(0)
	v_lshlrev_b32_e32 v5, 16, v5
	v_cvt_f64_f32_e32 v[9:10], v5
	s_branch .LBB49_1319
.LBB49_1308:
	s_mov_b32 s4, 0
                                        ; implicit-def: $vgpr9_vgpr10
	s_cbranch_execnz .LBB49_1384
.LBB49_1309:
	s_andn2_b32 vcc_lo, exec_lo, s4
	s_cbranch_vccnz .LBB49_2143
	s_branch .LBB49_1431
.LBB49_1310:
	s_mov_b32 s4, 0
	s_mov_b32 s1, 0
                                        ; implicit-def: $vgpr9_vgpr10
	s_cbranch_execnz .LBB49_1350
	s_branch .LBB49_1380
.LBB49_1311:
	s_mov_b32 s5, -1
	s_mov_b32 s4, 0
	s_mov_b32 s1, 0
                                        ; implicit-def: $vgpr9_vgpr10
	s_branch .LBB49_1329
.LBB49_1312:
	s_mov_b32 s5, -1
	s_mov_b32 s4, 0
	s_mov_b32 s1, 0
                                        ; implicit-def: $vgpr9_vgpr10
	s_branch .LBB49_1324
.LBB49_1313:
	s_or_b32 s13, s7, exec_lo
	s_trap 2
	s_cbranch_execz .LBB49_1248
	s_branch .LBB49_1249
.LBB49_1314:
	s_mov_b32 s5, -1
	s_mov_b32 s4, 0
	s_mov_b32 s1, 0
	s_branch .LBB49_1318
.LBB49_1315:
	s_andn2_saveexec_b32 s8, s8
	s_cbranch_execz .LBB49_1038
.LBB49_1316:
	v_add_f32_e64 v3, 0x42800000, |v2|
	s_andn2_b32 s7, s7, exec_lo
	v_and_b32_e32 v3, 0xff, v3
	v_cmp_ne_u32_e32 vcc_lo, 0, v3
	s_and_b32 s12, vcc_lo, exec_lo
	s_or_b32 s7, s7, s12
	s_or_b32 exec_lo, exec_lo, s8
	v_mov_b32_e32 v4, 0
	s_and_saveexec_b32 s8, s7
	s_cbranch_execnz .LBB49_1039
	s_branch .LBB49_1040
.LBB49_1317:
	s_mov_b32 s1, -1
	s_mov_b32 s4, 0
.LBB49_1318:
                                        ; implicit-def: $vgpr9_vgpr10
.LBB49_1319:
	s_and_b32 vcc_lo, exec_lo, s5
	s_cbranch_vccz .LBB49_1323
; %bb.1320:
	s_cmp_eq_u32 s0, 44
	s_cbranch_scc0 .LBB49_1322
; %bb.1321:
	global_load_ubyte v5, v[11:12], off
	s_mov_b32 s1, 0
	s_mov_b32 s4, -1
	s_waitcnt vmcnt(0)
	v_lshlrev_b32_e32 v7, 23, v5
	v_cmp_ne_u32_e32 vcc_lo, 0xff, v5
	v_cvt_f64_f32_e32 v[9:10], v7
	v_cndmask_b32_e32 v7, 0x20000000, v9, vcc_lo
	v_cndmask_b32_e32 v9, 0x7ff80000, v10, vcc_lo
	v_cmp_ne_u32_e32 vcc_lo, 0, v5
	v_cndmask_b32_e32 v10, 0x38000000, v9, vcc_lo
	v_cndmask_b32_e32 v9, 0, v7, vcc_lo
	s_branch .LBB49_1323
.LBB49_1322:
	s_mov_b32 s1, -1
                                        ; implicit-def: $vgpr9_vgpr10
.LBB49_1323:
	s_mov_b32 s5, 0
.LBB49_1324:
	s_and_b32 vcc_lo, exec_lo, s5
	s_cbranch_vccz .LBB49_1328
; %bb.1325:
	s_cmp_eq_u32 s0, 29
	s_cbranch_scc0 .LBB49_1327
; %bb.1326:
	global_load_dwordx2 v[9:10], v[11:12], off
	s_mov_b32 s1, 0
	s_mov_b32 s4, -1
	s_mov_b32 s5, 0
	s_waitcnt vmcnt(0)
	v_cvt_f64_u32_e32 v[19:20], v10
	v_cvt_f64_u32_e32 v[9:10], v9
	v_ldexp_f64 v[19:20], v[19:20], 32
	v_add_f64 v[9:10], v[19:20], v[9:10]
	s_branch .LBB49_1329
.LBB49_1327:
	s_mov_b32 s1, -1
                                        ; implicit-def: $vgpr9_vgpr10
.LBB49_1328:
	s_mov_b32 s5, 0
.LBB49_1329:
	s_and_b32 vcc_lo, exec_lo, s5
	s_cbranch_vccz .LBB49_1349
; %bb.1330:
	s_cmp_lt_i32 s0, 27
	s_cbranch_scc1 .LBB49_1333
; %bb.1331:
	s_cmp_gt_i32 s0, 27
	s_cbranch_scc0 .LBB49_1334
; %bb.1332:
	global_load_dword v5, v[11:12], off
	s_mov_b32 s4, 0
	s_waitcnt vmcnt(0)
	v_cvt_f64_u32_e32 v[9:10], v5
	s_branch .LBB49_1335
.LBB49_1333:
	s_mov_b32 s4, -1
                                        ; implicit-def: $vgpr9_vgpr10
	s_branch .LBB49_1338
.LBB49_1334:
	s_mov_b32 s4, -1
                                        ; implicit-def: $vgpr9_vgpr10
.LBB49_1335:
	s_andn2_b32 vcc_lo, exec_lo, s4
	s_cbranch_vccnz .LBB49_1337
; %bb.1336:
	global_load_ushort v5, v[11:12], off
	s_waitcnt vmcnt(0)
	v_cvt_f64_u32_e32 v[9:10], v5
.LBB49_1337:
	s_mov_b32 s4, 0
.LBB49_1338:
	s_andn2_b32 vcc_lo, exec_lo, s4
	s_cbranch_vccnz .LBB49_1348
; %bb.1339:
	global_load_ubyte v5, v[11:12], off
	s_mov_b32 s4, 0
	s_mov_b32 s5, exec_lo
	s_waitcnt vmcnt(0)
	v_cmpx_lt_i16_e32 0x7f, v5
	s_xor_b32 s5, exec_lo, s5
	s_cbranch_execz .LBB49_1343
; %bb.1340:
	s_mov_b32 s4, -1
	s_mov_b32 s6, exec_lo
	v_cmpx_eq_u16_e32 0x80, v5
; %bb.1341:
	s_xor_b32 s4, exec_lo, -1
; %bb.1342:
	s_or_b32 exec_lo, exec_lo, s6
	s_and_b32 s4, s4, exec_lo
.LBB49_1343:
	s_or_saveexec_b32 s5, s5
	v_bfrev_b32_e32 v9, 4
	v_mov_b32_e32 v10, 0x7ff80000
	s_xor_b32 exec_lo, exec_lo, s5
; %bb.1344:
	v_cmp_ne_u16_e32 vcc_lo, 0, v5
	v_mov_b32_e32 v9, 0
	v_mov_b32_e32 v10, 0
	s_andn2_b32 s4, s4, exec_lo
	s_and_b32 s6, vcc_lo, exec_lo
	s_or_b32 s4, s4, s6
; %bb.1345:
	s_or_b32 exec_lo, exec_lo, s5
	s_and_saveexec_b32 s5, s4
	s_cbranch_execz .LBB49_1347
; %bb.1346:
	v_and_b32_e32 v7, 0xffff, v5
	v_lshlrev_b32_e32 v5, 24, v5
	v_and_b32_e32 v9, 7, v7
	v_bfe_u32 v19, v7, 3, 4
	v_and_b32_e32 v5, 0x80000000, v5
	v_ffbh_u32_e32 v10, v9
	v_cmp_eq_u32_e32 vcc_lo, 0, v19
	v_min_u32_e32 v10, 32, v10
	v_subrev_nc_u32_e32 v14, 28, v10
	v_sub_nc_u32_e32 v10, 29, v10
	v_lshlrev_b32_e32 v7, v14, v7
	v_cndmask_b32_e32 v10, v19, v10, vcc_lo
	v_and_b32_e32 v7, 7, v7
	v_cndmask_b32_e32 v7, v9, v7, vcc_lo
	v_lshl_add_u32 v9, v10, 23, 0x3b800000
	v_lshlrev_b32_e32 v7, 20, v7
	v_or3_b32 v5, v5, v9, v7
	v_cvt_f64_f32_e32 v[9:10], v5
.LBB49_1347:
	s_or_b32 exec_lo, exec_lo, s5
.LBB49_1348:
	s_mov_b32 s4, -1
.LBB49_1349:
	s_branch .LBB49_1380
.LBB49_1350:
	s_cmp_gt_i32 s0, 22
	s_cbranch_scc0 .LBB49_1362
; %bb.1351:
	s_cmp_lt_i32 s0, 24
	s_cbranch_scc1 .LBB49_1363
; %bb.1352:
	s_cmp_gt_i32 s0, 24
	s_cbranch_scc0 .LBB49_1364
; %bb.1353:
	global_load_ubyte v5, v[11:12], off
	s_mov_b32 s4, exec_lo
	s_waitcnt vmcnt(0)
	v_cmpx_lt_i16_e32 0x7f, v5
	s_xor_b32 s4, exec_lo, s4
	s_cbranch_execz .LBB49_1357
; %bb.1354:
	s_mov_b32 s3, -1
	s_mov_b32 s5, exec_lo
	v_cmpx_eq_u16_e32 0x80, v5
; %bb.1355:
	s_xor_b32 s3, exec_lo, -1
; %bb.1356:
	s_or_b32 exec_lo, exec_lo, s5
	s_and_b32 s3, s3, exec_lo
.LBB49_1357:
	s_or_saveexec_b32 s4, s4
	v_bfrev_b32_e32 v9, 4
	v_mov_b32_e32 v10, 0x7ff80000
	s_xor_b32 exec_lo, exec_lo, s4
; %bb.1358:
	v_cmp_ne_u16_e32 vcc_lo, 0, v5
	v_mov_b32_e32 v9, 0
	v_mov_b32_e32 v10, 0
	s_andn2_b32 s3, s3, exec_lo
	s_and_b32 s5, vcc_lo, exec_lo
	s_or_b32 s3, s3, s5
; %bb.1359:
	s_or_b32 exec_lo, exec_lo, s4
	s_and_saveexec_b32 s4, s3
	s_cbranch_execz .LBB49_1361
; %bb.1360:
	v_and_b32_e32 v7, 0xffff, v5
	v_lshlrev_b32_e32 v5, 24, v5
	v_and_b32_e32 v9, 3, v7
	v_bfe_u32 v19, v7, 2, 5
	v_and_b32_e32 v5, 0x80000000, v5
	v_ffbh_u32_e32 v10, v9
	v_cmp_eq_u32_e32 vcc_lo, 0, v19
	v_min_u32_e32 v10, 32, v10
	v_subrev_nc_u32_e32 v14, 29, v10
	v_sub_nc_u32_e32 v10, 30, v10
	v_lshlrev_b32_e32 v7, v14, v7
	v_cndmask_b32_e32 v10, v19, v10, vcc_lo
	v_and_b32_e32 v7, 3, v7
	v_cndmask_b32_e32 v7, v9, v7, vcc_lo
	v_lshl_add_u32 v9, v10, 23, 0x37800000
	v_lshlrev_b32_e32 v7, 21, v7
	v_or3_b32 v5, v5, v9, v7
	v_cvt_f64_f32_e32 v[9:10], v5
.LBB49_1361:
	s_or_b32 exec_lo, exec_lo, s4
	s_mov_b32 s3, 0
	s_branch .LBB49_1365
.LBB49_1362:
	s_mov_b32 s3, -1
                                        ; implicit-def: $vgpr9_vgpr10
	s_branch .LBB49_1371
.LBB49_1363:
	s_mov_b32 s3, -1
                                        ; implicit-def: $vgpr9_vgpr10
	s_branch .LBB49_1368
.LBB49_1364:
	s_mov_b32 s3, -1
                                        ; implicit-def: $vgpr9_vgpr10
.LBB49_1365:
	s_and_b32 vcc_lo, exec_lo, s3
	s_cbranch_vccz .LBB49_1367
; %bb.1366:
	global_load_ubyte v5, v[11:12], off
	s_waitcnt vmcnt(0)
	v_lshlrev_b32_e32 v5, 24, v5
	v_and_b32_e32 v7, 0x7f000000, v5
	v_ffbh_u32_e32 v9, v7
	v_add_nc_u32_e32 v14, 0x1000000, v7
	v_cmp_ne_u32_e32 vcc_lo, 0, v7
	v_min_u32_e32 v9, 32, v9
	v_sub_nc_u32_e64 v9, v9, 4 clamp
	v_lshlrev_b32_e32 v10, v9, v7
	v_lshlrev_b32_e32 v9, 23, v9
	v_lshrrev_b32_e32 v10, 4, v10
	v_sub_nc_u32_e32 v9, v10, v9
	v_ashrrev_i32_e32 v10, 8, v14
	v_add_nc_u32_e32 v9, 0x3c000000, v9
	v_and_or_b32 v9, 0x7f800000, v10, v9
	v_cndmask_b32_e32 v7, 0, v9, vcc_lo
	v_and_or_b32 v5, 0x80000000, v5, v7
	v_cvt_f64_f32_e32 v[9:10], v5
.LBB49_1367:
	s_mov_b32 s3, 0
.LBB49_1368:
	s_andn2_b32 vcc_lo, exec_lo, s3
	s_cbranch_vccnz .LBB49_1370
; %bb.1369:
	global_load_ubyte v5, v[11:12], off
	s_waitcnt vmcnt(0)
	v_lshlrev_b32_e32 v7, 25, v5
	v_lshlrev_b16 v5, 8, v5
	v_lshrrev_b32_e32 v9, 4, v7
	v_and_or_b32 v10, 0x7f00, v5, 0.5
	v_cmp_gt_u32_e32 vcc_lo, 0x8000000, v7
	v_bfe_i32 v5, v5, 0, 16
	v_or_b32_e32 v9, 0x70000000, v9
	v_add_f32_e32 v10, -0.5, v10
	v_mul_f32_e32 v9, 0x7800000, v9
	v_cndmask_b32_e32 v7, v9, v10, vcc_lo
	v_and_or_b32 v5, 0x80000000, v5, v7
	v_cvt_f64_f32_e32 v[9:10], v5
.LBB49_1370:
	s_mov_b32 s3, 0
	s_mov_b32 s4, -1
.LBB49_1371:
	s_andn2_b32 vcc_lo, exec_lo, s3
	s_mov_b32 s3, 0
	s_cbranch_vccnz .LBB49_1380
; %bb.1372:
	s_cmp_gt_i32 s0, 14
	s_cbranch_scc0 .LBB49_1375
; %bb.1373:
	s_cmp_eq_u32 s0, 15
	s_cbranch_scc0 .LBB49_1376
; %bb.1374:
	global_load_ushort v5, v[11:12], off
	s_mov_b32 s1, 0
	s_mov_b32 s4, -1
	s_waitcnt vmcnt(0)
	v_lshlrev_b32_e32 v5, 16, v5
	v_cvt_f64_f32_e32 v[9:10], v5
	s_branch .LBB49_1378
.LBB49_1375:
	s_mov_b32 s3, -1
	s_branch .LBB49_1377
.LBB49_1376:
	s_mov_b32 s1, -1
.LBB49_1377:
                                        ; implicit-def: $vgpr9_vgpr10
.LBB49_1378:
	s_and_b32 vcc_lo, exec_lo, s3
	s_mov_b32 s3, 0
	s_cbranch_vccz .LBB49_1380
; %bb.1379:
	s_cmp_lg_u32 s0, 11
	s_mov_b32 s3, -1
	s_cselect_b32 s1, -1, 0
.LBB49_1380:
	s_and_b32 vcc_lo, exec_lo, s1
	s_cbranch_vccnz .LBB49_1449
; %bb.1381:
	s_andn2_b32 vcc_lo, exec_lo, s3
	s_cbranch_vccnz .LBB49_1383
.LBB49_1382:
	global_load_ubyte v5, v[11:12], off
	v_mov_b32_e32 v9, 0
	s_mov_b32 s4, -1
	s_waitcnt vmcnt(0)
	v_cmp_ne_u16_e32 vcc_lo, 0, v5
	v_cndmask_b32_e64 v10, 0, 0x3ff00000, vcc_lo
.LBB49_1383:
	s_branch .LBB49_1309
.LBB49_1384:
	s_and_b32 s0, 0xffff, s2
	s_cmp_lt_i32 s0, 5
	s_cbranch_scc1 .LBB49_1389
; %bb.1385:
	s_cmp_lt_i32 s0, 8
	s_cbranch_scc1 .LBB49_1390
; %bb.1386:
	;; [unrolled: 3-line block ×3, first 2 shown]
	s_cmp_gt_i32 s0, 9
	s_cbranch_scc0 .LBB49_1392
; %bb.1388:
	global_load_dwordx2 v[9:10], v[11:12], off
	s_mov_b32 s1, 0
	s_branch .LBB49_1393
.LBB49_1389:
                                        ; implicit-def: $vgpr9_vgpr10
	s_branch .LBB49_1411
.LBB49_1390:
	s_mov_b32 s1, -1
                                        ; implicit-def: $vgpr9_vgpr10
	s_branch .LBB49_1399
.LBB49_1391:
	s_mov_b32 s1, -1
                                        ; implicit-def: $vgpr9_vgpr10
	s_branch .LBB49_1396
.LBB49_1392:
	s_mov_b32 s1, -1
                                        ; implicit-def: $vgpr9_vgpr10
.LBB49_1393:
	s_andn2_b32 vcc_lo, exec_lo, s1
	s_cbranch_vccnz .LBB49_1395
; %bb.1394:
	global_load_dword v5, v[11:12], off
	s_waitcnt vmcnt(0)
	v_cvt_f64_f32_e32 v[9:10], v5
.LBB49_1395:
	s_mov_b32 s1, 0
.LBB49_1396:
	s_andn2_b32 vcc_lo, exec_lo, s1
	s_cbranch_vccnz .LBB49_1398
; %bb.1397:
	global_load_dword v5, v[11:12], off
	s_waitcnt vmcnt(0)
	v_cvt_f32_f16_e32 v5, v5
	v_cvt_f64_f32_e32 v[9:10], v5
.LBB49_1398:
	s_mov_b32 s1, 0
.LBB49_1399:
	s_andn2_b32 vcc_lo, exec_lo, s1
	s_cbranch_vccnz .LBB49_1410
; %bb.1400:
	s_cmp_lt_i32 s0, 6
	s_cbranch_scc1 .LBB49_1403
; %bb.1401:
	s_cmp_gt_i32 s0, 6
	s_cbranch_scc0 .LBB49_1404
; %bb.1402:
	global_load_dwordx2 v[9:10], v[11:12], off
	s_mov_b32 s1, 0
	s_branch .LBB49_1405
.LBB49_1403:
	s_mov_b32 s1, -1
                                        ; implicit-def: $vgpr9_vgpr10
	s_branch .LBB49_1408
.LBB49_1404:
	s_mov_b32 s1, -1
                                        ; implicit-def: $vgpr9_vgpr10
.LBB49_1405:
	s_andn2_b32 vcc_lo, exec_lo, s1
	s_cbranch_vccnz .LBB49_1407
; %bb.1406:
	global_load_dword v5, v[11:12], off
	s_waitcnt vmcnt(0)
	v_cvt_f64_f32_e32 v[9:10], v5
.LBB49_1407:
	s_mov_b32 s1, 0
.LBB49_1408:
	s_andn2_b32 vcc_lo, exec_lo, s1
	s_cbranch_vccnz .LBB49_1410
; %bb.1409:
	global_load_ushort v5, v[11:12], off
	s_waitcnt vmcnt(0)
	v_cvt_f32_f16_e32 v5, v5
	v_cvt_f64_f32_e32 v[9:10], v5
.LBB49_1410:
	s_cbranch_execnz .LBB49_1430
.LBB49_1411:
	s_cmp_lt_i32 s0, 2
	s_cbranch_scc1 .LBB49_1415
; %bb.1412:
	s_cmp_lt_i32 s0, 3
	s_cbranch_scc1 .LBB49_1416
; %bb.1413:
	s_cmp_gt_i32 s0, 3
	s_cbranch_scc0 .LBB49_1417
; %bb.1414:
	global_load_dwordx2 v[9:10], v[11:12], off
	s_mov_b32 s1, 0
	s_waitcnt vmcnt(0)
	v_cvt_f64_i32_e32 v[19:20], v10
	v_cvt_f64_u32_e32 v[9:10], v9
	v_ldexp_f64 v[19:20], v[19:20], 32
	v_add_f64 v[9:10], v[19:20], v[9:10]
	s_branch .LBB49_1418
.LBB49_1415:
	s_mov_b32 s1, -1
                                        ; implicit-def: $vgpr9_vgpr10
	s_branch .LBB49_1424
.LBB49_1416:
	s_mov_b32 s1, -1
                                        ; implicit-def: $vgpr9_vgpr10
	s_branch .LBB49_1421
.LBB49_1417:
	s_mov_b32 s1, -1
                                        ; implicit-def: $vgpr9_vgpr10
.LBB49_1418:
	s_andn2_b32 vcc_lo, exec_lo, s1
	s_cbranch_vccnz .LBB49_1420
; %bb.1419:
	global_load_dword v5, v[11:12], off
	s_waitcnt vmcnt(0)
	v_cvt_f64_i32_e32 v[9:10], v5
.LBB49_1420:
	s_mov_b32 s1, 0
.LBB49_1421:
	s_andn2_b32 vcc_lo, exec_lo, s1
	s_cbranch_vccnz .LBB49_1423
; %bb.1422:
	global_load_sshort v5, v[11:12], off
	s_waitcnt vmcnt(0)
	v_cvt_f64_i32_e32 v[9:10], v5
.LBB49_1423:
	s_mov_b32 s1, 0
.LBB49_1424:
	s_andn2_b32 vcc_lo, exec_lo, s1
	s_cbranch_vccnz .LBB49_1430
; %bb.1425:
	s_cmp_gt_i32 s0, 0
	s_mov_b32 s0, 0
	s_cbranch_scc0 .LBB49_1427
; %bb.1426:
	global_load_sbyte v5, v[11:12], off
	s_waitcnt vmcnt(0)
	v_cvt_f64_i32_e32 v[9:10], v5
	s_branch .LBB49_1428
.LBB49_1427:
	s_mov_b32 s0, -1
                                        ; implicit-def: $vgpr9_vgpr10
.LBB49_1428:
	s_andn2_b32 vcc_lo, exec_lo, s0
	s_cbranch_vccnz .LBB49_1430
; %bb.1429:
	global_load_ubyte v5, v[11:12], off
	s_waitcnt vmcnt(0)
	v_cvt_f64_u32_e32 v[9:10], v5
.LBB49_1430:
.LBB49_1431:
	v_mov_b32_e32 v21, 0
	v_mov_b32_e32 v19, 0
	;; [unrolled: 1-line block ×4, first 2 shown]
	s_mov_b32 s3, exec_lo
	s_waitcnt vmcnt(0)
	v_cmpx_gt_f64_e32 0.5, v[9:10]
	s_cbranch_execz .LBB49_1437
; %bb.1432:
	s_mov_b32 s1, 0x400921fb
	s_mov_b32 s0, 0x54442d18
	s_mov_b32 s4, exec_lo
	v_mul_f64 v[11:12], v[9:10], s[0:1]
                                        ; implicit-def: $vgpr5
                                        ; implicit-def: $vgpr19_vgpr20
                                        ; implicit-def: $vgpr21_vgpr22
	v_cmpx_ngt_f64_e64 0x41d00000, |v[11:12]|
	s_xor_b32 s4, exec_lo, s4
	s_cbranch_execz .LBB49_1434
; %bb.1433:
	v_ldexp_f64 v[19:20], |v[11:12]|, 0xffffff80
	v_cmp_le_f64_e64 vcc_lo, 0x7b000000, |v[11:12]|
	v_trig_preop_f64 v[21:22], |v[11:12]|, 0
	v_and_b32_e32 v5, 0x7fffffff, v12
	v_trig_preop_f64 v[23:24], |v[11:12]|, 1
	v_trig_preop_f64 v[33:34], |v[11:12]|, 2
	v_mov_b32_e32 v41, 0
	s_mov_b32 s1, 0x3ff921fb
	s_mov_b32 s16, 0x33145c07
	;; [unrolled: 1-line block ×3, first 2 shown]
	v_cndmask_b32_e32 v20, v5, v20, vcc_lo
	v_cndmask_b32_e32 v19, v11, v19, vcc_lo
	v_mul_f64 v[25:26], v[21:22], v[19:20]
	v_mul_f64 v[27:28], v[23:24], v[19:20]
	;; [unrolled: 1-line block ×3, first 2 shown]
	v_fma_f64 v[21:22], v[21:22], v[19:20], -v[25:26]
	v_fma_f64 v[23:24], v[23:24], v[19:20], -v[27:28]
	;; [unrolled: 1-line block ×3, first 2 shown]
	v_add_f64 v[29:30], v[27:28], v[21:22]
	v_add_f64 v[31:32], v[29:30], -v[27:28]
	v_add_f64 v[37:38], v[25:26], v[29:30]
	v_add_f64 v[35:36], v[29:30], -v[31:32]
	v_add_f64 v[21:22], v[21:22], -v[31:32]
	v_ldexp_f64 v[31:32], v[37:38], -2
	v_add_f64 v[25:26], v[37:38], -v[25:26]
	v_add_f64 v[27:28], v[27:28], -v[35:36]
	v_add_f64 v[35:36], v[39:40], v[23:24]
	v_cmp_neq_f64_e64 vcc_lo, 0x7ff00000, |v[31:32]|
	v_add_f64 v[25:26], v[29:30], -v[25:26]
	v_add_f64 v[21:22], v[21:22], v[27:28]
	v_fract_f64_e32 v[27:28], v[31:32]
	v_add_f64 v[29:30], v[35:36], v[21:22]
	v_ldexp_f64 v[27:28], v[27:28], 2
	v_add_f64 v[31:32], v[25:26], v[29:30]
	v_cndmask_b32_e32 v28, 0, v28, vcc_lo
	v_cndmask_b32_e32 v27, 0, v27, vcc_lo
	v_add_f64 v[37:38], v[31:32], v[27:28]
	v_add_f64 v[25:26], v[31:32], -v[25:26]
	v_cmp_gt_f64_e32 vcc_lo, 0, v[37:38]
	v_add_f64 v[37:38], v[35:36], -v[39:40]
	v_add_f64 v[25:26], v[29:30], -v[25:26]
	v_cndmask_b32_e64 v42, 0, 0x40100000, vcc_lo
	v_add_f64 v[46:47], v[35:36], -v[37:38]
	v_add_f64 v[23:24], v[23:24], -v[37:38]
	v_add_f64 v[27:28], v[27:28], v[41:42]
	v_add_f64 v[42:43], v[29:30], -v[35:36]
	v_add_f64 v[37:38], v[39:40], -v[46:47]
	v_add_f64 v[44:45], v[31:32], v[27:28]
	;; [unrolled: 3-line block ×3, first 2 shown]
	v_cvt_i32_f64_e32 v5, v[44:45]
	v_add_f64 v[35:36], v[35:36], -v[48:49]
	v_cvt_f64_i32_e32 v[42:43], v5
	v_add_f64 v[21:22], v[21:22], v[35:36]
	v_add_f64 v[27:28], v[27:28], -v[42:43]
	v_add_f64 v[21:22], v[23:24], v[21:22]
	v_add_f64 v[23:24], v[31:32], v[27:28]
	;; [unrolled: 1-line block ×3, first 2 shown]
	v_add_f64 v[21:22], v[23:24], -v[27:28]
	v_cmp_le_f64_e32 vcc_lo, 0.5, v[23:24]
	v_add_f64 v[19:20], v[25:26], v[19:20]
	v_add_f64 v[21:22], v[31:32], -v[21:22]
	v_cndmask_b32_e64 v42, 0, 0x3ff00000, vcc_lo
	v_add_co_ci_u32_e64 v5, null, 0, v5, vcc_lo
	v_add_f64 v[19:20], v[19:20], v[21:22]
	v_add_f64 v[21:22], v[23:24], -v[41:42]
	v_add_f64 v[23:24], v[21:22], v[19:20]
	v_mul_f64 v[25:26], v[23:24], s[0:1]
	v_add_f64 v[21:22], v[23:24], -v[21:22]
	v_fma_f64 v[27:28], v[23:24], s[0:1], -v[25:26]
	v_add_f64 v[19:20], v[19:20], -v[21:22]
	v_fma_f64 v[21:22], v[23:24], s[16:17], v[27:28]
	v_fma_f64 v[21:22], v[19:20], s[0:1], v[21:22]
	v_add_f64 v[19:20], v[25:26], v[21:22]
	v_add_f64 v[23:24], v[19:20], -v[25:26]
	v_add_f64 v[21:22], v[21:22], -v[23:24]
.LBB49_1434:
	s_andn2_saveexec_b32 s0, s4
	s_cbranch_execz .LBB49_1436
; %bb.1435:
	s_mov_b32 s4, 0x6dc9c883
	s_mov_b32 s5, 0x3fe45f30
	;; [unrolled: 1-line block ×3, first 2 shown]
	v_mul_f64 v[19:20], |v[11:12]|, s[4:5]
	s_mov_b32 s4, 0x54442d18
	s_mov_b32 s5, 0xbff921fb
	;; [unrolled: 1-line block ×3, first 2 shown]
	v_rndne_f64_e32 v[23:24], v[19:20]
	v_fma_f64 v[19:20], v[23:24], s[4:5], |v[11:12]|
	v_mul_f64 v[21:22], v[23:24], s[16:17]
	s_mov_b32 s4, 0x252049c0
	s_mov_b32 s5, 0xb97b839a
	v_cvt_i32_f64_e32 v5, v[23:24]
	v_fma_f64 v[27:28], v[23:24], s[16:17], v[19:20]
	v_add_f64 v[25:26], v[19:20], v[21:22]
	s_mov_b32 s17, 0x3c91a626
	v_add_f64 v[19:20], v[19:20], -v[25:26]
	v_add_f64 v[25:26], v[25:26], -v[27:28]
	v_add_f64 v[19:20], v[19:20], v[21:22]
	v_fma_f64 v[21:22], v[23:24], s[16:17], v[21:22]
	v_add_f64 v[19:20], v[25:26], v[19:20]
	v_add_f64 v[19:20], v[19:20], -v[21:22]
	v_fma_f64 v[21:22], v[23:24], s[4:5], v[19:20]
	v_add_f64 v[19:20], v[27:28], v[21:22]
	v_add_f64 v[25:26], v[19:20], -v[27:28]
	v_add_f64 v[21:22], v[21:22], -v[25:26]
.LBB49_1436:
	s_or_b32 exec_lo, exec_lo, s0
	v_mul_f64 v[23:24], v[19:20], v[19:20]
	s_mov_b32 s0, 0xb42fdfa7
	s_mov_b32 s4, 0xf9a43bb8
	;; [unrolled: 1-line block ×6, first 2 shown]
	v_mul_f64 v[33:34], v[21:22], 0.5
	v_and_b32_e32 v7, 1, v5
	v_lshlrev_b32_e32 v5, 30, v5
	v_add_f64 v[9:10], -v[9:10], 1.0
	v_cmp_eq_u32_e32 vcc_lo, 0, v7
	v_xor_b32_e32 v5, v5, v12
	v_and_b32_e32 v5, 0x80000000, v5
	v_fma_f64 v[25:26], v[23:24], s[4:5], s[0:1]
	s_mov_b32 s0, 0x9037ab78
	s_mov_b32 s4, 0x46cc5e42
	;; [unrolled: 1-line block ×4, first 2 shown]
	v_mul_f64 v[29:30], v[23:24], 0.5
	v_fma_f64 v[27:28], v[23:24], s[4:5], s[0:1]
	s_mov_b32 s0, 0xa17f65f6
	s_mov_b32 s4, 0x19e83e5c
	;; [unrolled: 1-line block ×4, first 2 shown]
	v_mul_f64 v[35:36], v[19:20], -v[23:24]
	v_fma_f64 v[25:26], v[23:24], v[25:26], s[16:17]
	v_add_f64 v[31:32], -v[29:30], 1.0
	v_fma_f64 v[27:28], v[23:24], v[27:28], s[0:1]
	s_mov_b32 s0, 0x19f4ec90
	s_mov_b32 s1, 0x3efa01a0
	v_fma_f64 v[25:26], v[23:24], v[25:26], s[4:5]
	s_mov_b32 s4, 0x11110bb3
	s_mov_b32 s5, 0x3f811111
	v_add_f64 v[37:38], -v[31:32], 1.0
	v_fma_f64 v[27:28], v[23:24], v[27:28], s[0:1]
	s_mov_b32 s0, 0x16c16967
	s_mov_b32 s1, 0xbf56c16c
	v_fma_f64 v[25:26], v[23:24], v[25:26], s[4:5]
	v_add_f64 v[29:30], v[37:38], -v[29:30]
	v_fma_f64 v[27:28], v[23:24], v[27:28], s[0:1]
	s_mov_b32 s1, 0x3fa55555
	s_mov_b32 s0, 0x55555555
	v_fma_f64 v[25:26], v[35:36], v[25:26], v[33:34]
	v_mul_f64 v[33:34], v[23:24], v[23:24]
	v_fma_f64 v[29:30], v[19:20], -v[21:22], v[29:30]
	v_fma_f64 v[27:28], v[23:24], v[27:28], s[0:1]
	s_mov_b32 s1, 0xbfc55555
	v_fma_f64 v[21:22], v[23:24], v[25:26], -v[21:22]
	v_fma_f64 v[23:24], v[33:34], v[27:28], v[29:30]
	v_fma_f64 v[21:22], v[35:36], s[0:1], v[21:22]
	v_cmp_class_f64_e64 s0, v[11:12], 0x1f8
	v_add_f64 v[23:24], v[31:32], v[23:24]
	v_add_f64 v[19:20], v[19:20], -v[21:22]
	v_cndmask_b32_e32 v11, v24, v20, vcc_lo
	v_cndmask_b32_e32 v7, v23, v19, vcc_lo
	v_xor_b32_e32 v5, v11, v5
	v_cndmask_b32_e64 v11, 0, v7, s0
	v_cndmask_b32_e64 v12, 0x7ff80000, v5, s0
	s_mov_b32 s0, 0xc9be45de
	s_mov_b32 s1, 0xc023bd3c
	v_mul_f64 v[11:12], v[11:12], v[11:12]
	v_div_scale_f64 v[19:20], null, v[11:12], v[11:12], s[0:1]
	v_div_scale_f64 v[25:26], vcc_lo, s[0:1], v[11:12], s[0:1]
	v_rcp_f64_e32 v[21:22], v[19:20]
	v_fma_f64 v[23:24], -v[19:20], v[21:22], 1.0
	v_fma_f64 v[21:22], v[21:22], v[23:24], v[21:22]
	v_fma_f64 v[23:24], -v[19:20], v[21:22], 1.0
	v_fma_f64 v[21:22], v[21:22], v[23:24], v[21:22]
	v_mul_f64 v[23:24], v[25:26], v[21:22]
	v_fma_f64 v[19:20], -v[19:20], v[23:24], v[25:26]
	v_div_fmas_f64 v[19:20], v[19:20], v[21:22], v[23:24]
	v_div_fixup_f64 v[11:12], v[19:20], v[11:12], s[0:1]
	v_mov_b32_e32 v19, 0
	v_mov_b32_e32 v20, 0xbff00000
	v_add_f64 v[21:22], v[11:12], 0
.LBB49_1437:
	s_or_b32 exec_lo, exec_lo, s3
	v_add_co_u32 v23, s0, s10, v3
	v_add_co_ci_u32_e64 v24, null, s11, 0, s0
	s_cmp_lt_i32 s2, 11
	s_cbranch_scc1 .LBB49_1444
; %bb.1438:
	s_and_b32 s0, 0xffff, s2
	s_mov_b32 s3, 0
	s_cmp_gt_i32 s0, 25
	s_cbranch_scc0 .LBB49_1446
; %bb.1439:
	s_cmp_gt_i32 s0, 28
	s_cbranch_scc0 .LBB49_1447
; %bb.1440:
	;; [unrolled: 3-line block ×4, first 2 shown]
	s_cmp_eq_u32 s0, 46
	s_mov_b32 s5, 0
	s_cbranch_scc0 .LBB49_1451
; %bb.1443:
	global_load_dword v3, v[23:24], off
	s_mov_b32 s1, 0
	s_mov_b32 s4, -1
	s_waitcnt vmcnt(0)
	v_lshlrev_b32_e32 v3, 16, v3
	v_cvt_f64_f32_e32 v[11:12], v3
	s_branch .LBB49_1453
.LBB49_1444:
	s_mov_b32 s4, 0
                                        ; implicit-def: $vgpr11_vgpr12
	s_cbranch_execnz .LBB49_1519
.LBB49_1445:
	s_andn2_b32 vcc_lo, exec_lo, s4
	s_cbranch_vccnz .LBB49_2143
	s_branch .LBB49_1567
.LBB49_1446:
	s_mov_b32 s5, -1
	s_mov_b32 s4, 0
	s_mov_b32 s1, 0
                                        ; implicit-def: $vgpr11_vgpr12
	s_branch .LBB49_1484
.LBB49_1447:
	s_mov_b32 s5, -1
	s_mov_b32 s4, 0
	s_mov_b32 s1, 0
                                        ; implicit-def: $vgpr11_vgpr12
	s_branch .LBB49_1463
.LBB49_1448:
	s_mov_b32 s5, -1
	s_mov_b32 s4, 0
	s_mov_b32 s1, 0
                                        ; implicit-def: $vgpr11_vgpr12
	s_branch .LBB49_1458
.LBB49_1449:
	s_or_b32 s13, s13, exec_lo
	s_trap 2
	s_cbranch_execz .LBB49_1382
	s_branch .LBB49_1383
.LBB49_1450:
	s_mov_b32 s5, -1
	s_mov_b32 s4, 0
	s_mov_b32 s1, 0
	s_branch .LBB49_1452
.LBB49_1451:
	s_mov_b32 s1, -1
	s_mov_b32 s4, 0
.LBB49_1452:
                                        ; implicit-def: $vgpr11_vgpr12
.LBB49_1453:
	s_and_b32 vcc_lo, exec_lo, s5
	s_cbranch_vccz .LBB49_1457
; %bb.1454:
	s_cmp_eq_u32 s0, 44
	s_cbranch_scc0 .LBB49_1456
; %bb.1455:
	global_load_ubyte v3, v[23:24], off
	s_mov_b32 s1, 0
	s_mov_b32 s4, -1
	s_waitcnt vmcnt(0)
	v_lshlrev_b32_e32 v5, 23, v3
	v_cmp_ne_u32_e32 vcc_lo, 0xff, v3
	v_cvt_f64_f32_e32 v[11:12], v5
	v_cndmask_b32_e32 v5, 0x20000000, v11, vcc_lo
	v_cndmask_b32_e32 v7, 0x7ff80000, v12, vcc_lo
	v_cmp_ne_u32_e32 vcc_lo, 0, v3
	v_cndmask_b32_e32 v12, 0x38000000, v7, vcc_lo
	v_cndmask_b32_e32 v11, 0, v5, vcc_lo
	s_branch .LBB49_1457
.LBB49_1456:
	s_mov_b32 s1, -1
                                        ; implicit-def: $vgpr11_vgpr12
.LBB49_1457:
	s_mov_b32 s5, 0
.LBB49_1458:
	s_and_b32 vcc_lo, exec_lo, s5
	s_cbranch_vccz .LBB49_1462
; %bb.1459:
	s_cmp_eq_u32 s0, 29
	s_cbranch_scc0 .LBB49_1461
; %bb.1460:
	global_load_dwordx2 v[11:12], v[23:24], off
	s_mov_b32 s1, 0
	s_mov_b32 s4, -1
	s_mov_b32 s5, 0
	s_waitcnt vmcnt(0)
	v_cvt_f64_u32_e32 v[25:26], v12
	v_cvt_f64_u32_e32 v[11:12], v11
	v_ldexp_f64 v[25:26], v[25:26], 32
	v_add_f64 v[11:12], v[25:26], v[11:12]
	s_branch .LBB49_1463
.LBB49_1461:
	s_mov_b32 s1, -1
                                        ; implicit-def: $vgpr11_vgpr12
.LBB49_1462:
	s_mov_b32 s5, 0
.LBB49_1463:
	s_and_b32 vcc_lo, exec_lo, s5
	s_cbranch_vccz .LBB49_1483
; %bb.1464:
	s_cmp_lt_i32 s0, 27
	s_cbranch_scc1 .LBB49_1467
; %bb.1465:
	s_cmp_gt_i32 s0, 27
	s_cbranch_scc0 .LBB49_1468
; %bb.1466:
	global_load_dword v3, v[23:24], off
	s_mov_b32 s4, 0
	s_waitcnt vmcnt(0)
	v_cvt_f64_u32_e32 v[11:12], v3
	s_branch .LBB49_1469
.LBB49_1467:
	s_mov_b32 s4, -1
                                        ; implicit-def: $vgpr11_vgpr12
	s_branch .LBB49_1472
.LBB49_1468:
	s_mov_b32 s4, -1
                                        ; implicit-def: $vgpr11_vgpr12
.LBB49_1469:
	s_andn2_b32 vcc_lo, exec_lo, s4
	s_cbranch_vccnz .LBB49_1471
; %bb.1470:
	global_load_ushort v3, v[23:24], off
	s_waitcnt vmcnt(0)
	v_cvt_f64_u32_e32 v[11:12], v3
.LBB49_1471:
	s_mov_b32 s4, 0
.LBB49_1472:
	s_andn2_b32 vcc_lo, exec_lo, s4
	s_cbranch_vccnz .LBB49_1482
; %bb.1473:
	global_load_ubyte v3, v[23:24], off
	s_mov_b32 s4, 0
	s_mov_b32 s5, exec_lo
	s_waitcnt vmcnt(0)
	v_cmpx_lt_i16_e32 0x7f, v3
	s_xor_b32 s5, exec_lo, s5
	s_cbranch_execz .LBB49_1477
; %bb.1474:
	s_mov_b32 s4, -1
	s_mov_b32 s6, exec_lo
	v_cmpx_eq_u16_e32 0x80, v3
; %bb.1475:
	s_xor_b32 s4, exec_lo, -1
; %bb.1476:
	s_or_b32 exec_lo, exec_lo, s6
	s_and_b32 s4, s4, exec_lo
.LBB49_1477:
	s_or_saveexec_b32 s5, s5
	v_bfrev_b32_e32 v11, 4
	v_mov_b32_e32 v12, 0x7ff80000
	s_xor_b32 exec_lo, exec_lo, s5
; %bb.1478:
	v_cmp_ne_u16_e32 vcc_lo, 0, v3
	v_mov_b32_e32 v11, 0
	v_mov_b32_e32 v12, 0
	s_andn2_b32 s4, s4, exec_lo
	s_and_b32 s6, vcc_lo, exec_lo
	s_or_b32 s4, s4, s6
; %bb.1479:
	s_or_b32 exec_lo, exec_lo, s5
	s_and_saveexec_b32 s5, s4
	s_cbranch_execz .LBB49_1481
; %bb.1480:
	v_and_b32_e32 v5, 0xffff, v3
	v_lshlrev_b32_e32 v3, 24, v3
	v_and_b32_e32 v7, 7, v5
	v_bfe_u32 v14, v5, 3, 4
	v_and_b32_e32 v3, 0x80000000, v3
	v_ffbh_u32_e32 v11, v7
	v_cmp_eq_u32_e32 vcc_lo, 0, v14
	v_min_u32_e32 v11, 32, v11
	v_subrev_nc_u32_e32 v12, 28, v11
	v_sub_nc_u32_e32 v11, 29, v11
	v_lshlrev_b32_e32 v5, v12, v5
	v_cndmask_b32_e32 v11, v14, v11, vcc_lo
	v_and_b32_e32 v5, 7, v5
	v_cndmask_b32_e32 v5, v7, v5, vcc_lo
	v_lshl_add_u32 v7, v11, 23, 0x3b800000
	v_lshlrev_b32_e32 v5, 20, v5
	v_or3_b32 v3, v3, v7, v5
	v_cvt_f64_f32_e32 v[11:12], v3
.LBB49_1481:
	s_or_b32 exec_lo, exec_lo, s5
.LBB49_1482:
	s_mov_b32 s4, -1
.LBB49_1483:
	s_mov_b32 s5, 0
.LBB49_1484:
	s_and_b32 vcc_lo, exec_lo, s5
	s_cbranch_vccz .LBB49_1515
; %bb.1485:
	s_cmp_gt_i32 s0, 22
	s_cbranch_scc0 .LBB49_1497
; %bb.1486:
	s_cmp_lt_i32 s0, 24
	s_cbranch_scc1 .LBB49_1498
; %bb.1487:
	s_cmp_gt_i32 s0, 24
	s_cbranch_scc0 .LBB49_1499
; %bb.1488:
	global_load_ubyte v3, v[23:24], off
	s_mov_b32 s4, exec_lo
	s_waitcnt vmcnt(0)
	v_cmpx_lt_i16_e32 0x7f, v3
	s_xor_b32 s4, exec_lo, s4
	s_cbranch_execz .LBB49_1492
; %bb.1489:
	s_mov_b32 s3, -1
	s_mov_b32 s5, exec_lo
	v_cmpx_eq_u16_e32 0x80, v3
; %bb.1490:
	s_xor_b32 s3, exec_lo, -1
; %bb.1491:
	s_or_b32 exec_lo, exec_lo, s5
	s_and_b32 s3, s3, exec_lo
.LBB49_1492:
	s_or_saveexec_b32 s4, s4
	v_bfrev_b32_e32 v11, 4
	v_mov_b32_e32 v12, 0x7ff80000
	s_xor_b32 exec_lo, exec_lo, s4
; %bb.1493:
	v_cmp_ne_u16_e32 vcc_lo, 0, v3
	v_mov_b32_e32 v11, 0
	v_mov_b32_e32 v12, 0
	s_andn2_b32 s3, s3, exec_lo
	s_and_b32 s5, vcc_lo, exec_lo
	s_or_b32 s3, s3, s5
; %bb.1494:
	s_or_b32 exec_lo, exec_lo, s4
	s_and_saveexec_b32 s4, s3
	s_cbranch_execz .LBB49_1496
; %bb.1495:
	v_and_b32_e32 v5, 0xffff, v3
	v_lshlrev_b32_e32 v3, 24, v3
	v_and_b32_e32 v7, 3, v5
	v_bfe_u32 v14, v5, 2, 5
	v_and_b32_e32 v3, 0x80000000, v3
	v_ffbh_u32_e32 v11, v7
	v_cmp_eq_u32_e32 vcc_lo, 0, v14
	v_min_u32_e32 v11, 32, v11
	v_subrev_nc_u32_e32 v12, 29, v11
	v_sub_nc_u32_e32 v11, 30, v11
	v_lshlrev_b32_e32 v5, v12, v5
	v_cndmask_b32_e32 v11, v14, v11, vcc_lo
	v_and_b32_e32 v5, 3, v5
	v_cndmask_b32_e32 v5, v7, v5, vcc_lo
	v_lshl_add_u32 v7, v11, 23, 0x37800000
	v_lshlrev_b32_e32 v5, 21, v5
	v_or3_b32 v3, v3, v7, v5
	v_cvt_f64_f32_e32 v[11:12], v3
.LBB49_1496:
	s_or_b32 exec_lo, exec_lo, s4
	s_mov_b32 s3, 0
	s_branch .LBB49_1500
.LBB49_1497:
	s_mov_b32 s3, -1
                                        ; implicit-def: $vgpr11_vgpr12
	s_branch .LBB49_1506
.LBB49_1498:
	s_mov_b32 s3, -1
                                        ; implicit-def: $vgpr11_vgpr12
	s_branch .LBB49_1503
.LBB49_1499:
	s_mov_b32 s3, -1
                                        ; implicit-def: $vgpr11_vgpr12
.LBB49_1500:
	s_and_b32 vcc_lo, exec_lo, s3
	s_cbranch_vccz .LBB49_1502
; %bb.1501:
	global_load_ubyte v3, v[23:24], off
	s_waitcnt vmcnt(0)
	v_lshlrev_b32_e32 v3, 24, v3
	v_and_b32_e32 v5, 0x7f000000, v3
	v_ffbh_u32_e32 v7, v5
	v_add_nc_u32_e32 v12, 0x1000000, v5
	v_cmp_ne_u32_e32 vcc_lo, 0, v5
	v_min_u32_e32 v7, 32, v7
	v_sub_nc_u32_e64 v7, v7, 4 clamp
	v_lshlrev_b32_e32 v11, v7, v5
	v_lshlrev_b32_e32 v7, 23, v7
	v_lshrrev_b32_e32 v11, 4, v11
	v_sub_nc_u32_e32 v7, v11, v7
	v_ashrrev_i32_e32 v11, 8, v12
	v_add_nc_u32_e32 v7, 0x3c000000, v7
	v_and_or_b32 v7, 0x7f800000, v11, v7
	v_cndmask_b32_e32 v5, 0, v7, vcc_lo
	v_and_or_b32 v3, 0x80000000, v3, v5
	v_cvt_f64_f32_e32 v[11:12], v3
.LBB49_1502:
	s_mov_b32 s3, 0
.LBB49_1503:
	s_andn2_b32 vcc_lo, exec_lo, s3
	s_cbranch_vccnz .LBB49_1505
; %bb.1504:
	global_load_ubyte v3, v[23:24], off
	s_waitcnt vmcnt(0)
	v_lshlrev_b32_e32 v5, 25, v3
	v_lshlrev_b16 v3, 8, v3
	v_lshrrev_b32_e32 v7, 4, v5
	v_and_or_b32 v11, 0x7f00, v3, 0.5
	v_cmp_gt_u32_e32 vcc_lo, 0x8000000, v5
	v_bfe_i32 v3, v3, 0, 16
	v_or_b32_e32 v7, 0x70000000, v7
	v_add_f32_e32 v11, -0.5, v11
	v_mul_f32_e32 v7, 0x7800000, v7
	v_cndmask_b32_e32 v5, v7, v11, vcc_lo
	v_and_or_b32 v3, 0x80000000, v3, v5
	v_cvt_f64_f32_e32 v[11:12], v3
.LBB49_1505:
	s_mov_b32 s3, 0
	s_mov_b32 s4, -1
.LBB49_1506:
	s_andn2_b32 vcc_lo, exec_lo, s3
	s_mov_b32 s3, 0
	s_cbranch_vccnz .LBB49_1515
; %bb.1507:
	s_cmp_gt_i32 s0, 14
	s_cbranch_scc0 .LBB49_1510
; %bb.1508:
	s_cmp_eq_u32 s0, 15
	s_cbranch_scc0 .LBB49_1511
; %bb.1509:
	global_load_ushort v3, v[23:24], off
	s_mov_b32 s1, 0
	s_mov_b32 s4, -1
	s_waitcnt vmcnt(0)
	v_lshlrev_b32_e32 v3, 16, v3
	v_cvt_f64_f32_e32 v[11:12], v3
	s_branch .LBB49_1513
.LBB49_1510:
	s_mov_b32 s3, -1
	s_branch .LBB49_1512
.LBB49_1511:
	s_mov_b32 s1, -1
.LBB49_1512:
                                        ; implicit-def: $vgpr11_vgpr12
.LBB49_1513:
	s_and_b32 vcc_lo, exec_lo, s3
	s_mov_b32 s3, 0
	s_cbranch_vccz .LBB49_1515
; %bb.1514:
	s_cmp_lg_u32 s0, 11
	s_mov_b32 s3, -1
	s_cselect_b32 s1, -1, 0
.LBB49_1515:
	s_and_b32 vcc_lo, exec_lo, s1
	s_cbranch_vccnz .LBB49_1584
; %bb.1516:
	s_andn2_b32 vcc_lo, exec_lo, s3
	s_cbranch_vccnz .LBB49_1518
.LBB49_1517:
	global_load_ubyte v3, v[23:24], off
	v_mov_b32_e32 v11, 0
	s_mov_b32 s4, -1
	s_waitcnt vmcnt(0)
	v_cmp_ne_u16_e32 vcc_lo, 0, v3
	v_cndmask_b32_e64 v12, 0, 0x3ff00000, vcc_lo
.LBB49_1518:
	s_branch .LBB49_1445
.LBB49_1519:
	s_and_b32 s0, 0xffff, s2
	s_cmp_lt_i32 s0, 5
	s_cbranch_scc1 .LBB49_1524
; %bb.1520:
	s_cmp_lt_i32 s0, 8
	s_cbranch_scc1 .LBB49_1525
; %bb.1521:
	s_cmp_lt_i32 s0, 9
	s_cbranch_scc1 .LBB49_1526
; %bb.1522:
	s_cmp_gt_i32 s0, 9
	s_cbranch_scc0 .LBB49_1527
; %bb.1523:
	global_load_dwordx2 v[11:12], v[23:24], off
	s_mov_b32 s1, 0
	s_branch .LBB49_1528
.LBB49_1524:
	s_mov_b32 s1, -1
                                        ; implicit-def: $vgpr11_vgpr12
	s_branch .LBB49_1546
.LBB49_1525:
	s_mov_b32 s1, -1
                                        ; implicit-def: $vgpr11_vgpr12
	s_branch .LBB49_1534
.LBB49_1526:
	s_mov_b32 s1, -1
                                        ; implicit-def: $vgpr11_vgpr12
	s_branch .LBB49_1531
.LBB49_1527:
	s_mov_b32 s1, -1
                                        ; implicit-def: $vgpr11_vgpr12
.LBB49_1528:
	s_andn2_b32 vcc_lo, exec_lo, s1
	s_cbranch_vccnz .LBB49_1530
; %bb.1529:
	global_load_dword v3, v[23:24], off
	s_waitcnt vmcnt(0)
	v_cvt_f64_f32_e32 v[11:12], v3
.LBB49_1530:
	s_mov_b32 s1, 0
.LBB49_1531:
	s_andn2_b32 vcc_lo, exec_lo, s1
	s_cbranch_vccnz .LBB49_1533
; %bb.1532:
	global_load_dword v3, v[23:24], off
	s_waitcnt vmcnt(0)
	v_cvt_f32_f16_e32 v3, v3
	v_cvt_f64_f32_e32 v[11:12], v3
.LBB49_1533:
	s_mov_b32 s1, 0
.LBB49_1534:
	s_andn2_b32 vcc_lo, exec_lo, s1
	s_cbranch_vccnz .LBB49_1545
; %bb.1535:
	s_cmp_lt_i32 s0, 6
	s_cbranch_scc1 .LBB49_1538
; %bb.1536:
	s_cmp_gt_i32 s0, 6
	s_cbranch_scc0 .LBB49_1539
; %bb.1537:
	global_load_dwordx2 v[11:12], v[23:24], off
	s_mov_b32 s1, 0
	s_branch .LBB49_1540
.LBB49_1538:
	s_mov_b32 s1, -1
                                        ; implicit-def: $vgpr11_vgpr12
	s_branch .LBB49_1543
.LBB49_1539:
	s_mov_b32 s1, -1
                                        ; implicit-def: $vgpr11_vgpr12
.LBB49_1540:
	s_andn2_b32 vcc_lo, exec_lo, s1
	s_cbranch_vccnz .LBB49_1542
; %bb.1541:
	global_load_dword v3, v[23:24], off
	s_waitcnt vmcnt(0)
	v_cvt_f64_f32_e32 v[11:12], v3
.LBB49_1542:
	s_mov_b32 s1, 0
.LBB49_1543:
	s_andn2_b32 vcc_lo, exec_lo, s1
	s_cbranch_vccnz .LBB49_1545
; %bb.1544:
	global_load_ushort v3, v[23:24], off
	s_waitcnt vmcnt(0)
	v_cvt_f32_f16_e32 v3, v3
	v_cvt_f64_f32_e32 v[11:12], v3
.LBB49_1545:
	s_mov_b32 s1, 0
.LBB49_1546:
	s_andn2_b32 vcc_lo, exec_lo, s1
	s_cbranch_vccnz .LBB49_1566
; %bb.1547:
	s_cmp_lt_i32 s0, 2
	s_cbranch_scc1 .LBB49_1551
; %bb.1548:
	s_cmp_lt_i32 s0, 3
	s_cbranch_scc1 .LBB49_1552
; %bb.1549:
	s_cmp_gt_i32 s0, 3
	s_cbranch_scc0 .LBB49_1553
; %bb.1550:
	global_load_dwordx2 v[11:12], v[23:24], off
	s_mov_b32 s1, 0
	s_waitcnt vmcnt(0)
	v_cvt_f64_i32_e32 v[25:26], v12
	v_cvt_f64_u32_e32 v[11:12], v11
	v_ldexp_f64 v[25:26], v[25:26], 32
	v_add_f64 v[11:12], v[25:26], v[11:12]
	s_branch .LBB49_1554
.LBB49_1551:
	s_mov_b32 s1, -1
                                        ; implicit-def: $vgpr11_vgpr12
	s_branch .LBB49_1560
.LBB49_1552:
	s_mov_b32 s1, -1
                                        ; implicit-def: $vgpr11_vgpr12
	s_branch .LBB49_1557
.LBB49_1553:
	s_mov_b32 s1, -1
                                        ; implicit-def: $vgpr11_vgpr12
.LBB49_1554:
	s_andn2_b32 vcc_lo, exec_lo, s1
	s_cbranch_vccnz .LBB49_1556
; %bb.1555:
	global_load_dword v3, v[23:24], off
	s_waitcnt vmcnt(0)
	v_cvt_f64_i32_e32 v[11:12], v3
.LBB49_1556:
	s_mov_b32 s1, 0
.LBB49_1557:
	s_andn2_b32 vcc_lo, exec_lo, s1
	s_cbranch_vccnz .LBB49_1559
; %bb.1558:
	global_load_sshort v3, v[23:24], off
	s_waitcnt vmcnt(0)
	v_cvt_f64_i32_e32 v[11:12], v3
.LBB49_1559:
	s_mov_b32 s1, 0
.LBB49_1560:
	s_andn2_b32 vcc_lo, exec_lo, s1
	s_cbranch_vccnz .LBB49_1566
; %bb.1561:
	s_cmp_gt_i32 s0, 0
	s_mov_b32 s0, 0
	s_cbranch_scc0 .LBB49_1563
; %bb.1562:
	global_load_sbyte v3, v[23:24], off
	s_waitcnt vmcnt(0)
	v_cvt_f64_i32_e32 v[11:12], v3
	s_branch .LBB49_1564
.LBB49_1563:
	s_mov_b32 s0, -1
                                        ; implicit-def: $vgpr11_vgpr12
.LBB49_1564:
	s_andn2_b32 vcc_lo, exec_lo, s0
	s_cbranch_vccnz .LBB49_1566
; %bb.1565:
	global_load_ubyte v3, v[23:24], off
	s_waitcnt vmcnt(0)
	v_cvt_f64_u32_e32 v[11:12], v3
.LBB49_1566:
.LBB49_1567:
	v_mov_b32_e32 v25, 0
	v_mov_b32_e32 v23, 0
	;; [unrolled: 1-line block ×4, first 2 shown]
	s_mov_b32 s3, exec_lo
	s_waitcnt vmcnt(0)
	v_cmpx_gt_f64_e32 0.5, v[11:12]
	s_cbranch_execz .LBB49_1573
; %bb.1568:
	s_mov_b32 s1, 0x400921fb
	s_mov_b32 s0, 0x54442d18
	s_mov_b32 s4, exec_lo
	v_mul_f64 v[23:24], v[11:12], s[0:1]
                                        ; implicit-def: $vgpr3
                                        ; implicit-def: $vgpr25_vgpr26
                                        ; implicit-def: $vgpr27_vgpr28
	v_cmpx_ngt_f64_e64 0x41d00000, |v[23:24]|
	s_xor_b32 s4, exec_lo, s4
	s_cbranch_execz .LBB49_1570
; %bb.1569:
	v_ldexp_f64 v[25:26], |v[23:24]|, 0xffffff80
	v_cmp_le_f64_e64 vcc_lo, 0x7b000000, |v[23:24]|
	v_trig_preop_f64 v[27:28], |v[23:24]|, 0
	v_and_b32_e32 v3, 0x7fffffff, v24
	v_trig_preop_f64 v[29:30], |v[23:24]|, 1
	v_trig_preop_f64 v[39:40], |v[23:24]|, 2
	v_mov_b32_e32 v47, 0
	s_mov_b32 s1, 0x3ff921fb
	s_mov_b32 s16, 0x33145c07
	;; [unrolled: 1-line block ×3, first 2 shown]
	v_cndmask_b32_e32 v26, v3, v26, vcc_lo
	v_cndmask_b32_e32 v25, v23, v25, vcc_lo
	v_mul_f64 v[31:32], v[27:28], v[25:26]
	v_mul_f64 v[33:34], v[29:30], v[25:26]
	;; [unrolled: 1-line block ×3, first 2 shown]
	v_fma_f64 v[27:28], v[27:28], v[25:26], -v[31:32]
	v_fma_f64 v[29:30], v[29:30], v[25:26], -v[33:34]
	;; [unrolled: 1-line block ×3, first 2 shown]
	v_add_f64 v[35:36], v[33:34], v[27:28]
	v_add_f64 v[37:38], v[35:36], -v[33:34]
	v_add_f64 v[43:44], v[31:32], v[35:36]
	v_add_f64 v[41:42], v[35:36], -v[37:38]
	v_add_f64 v[27:28], v[27:28], -v[37:38]
	v_ldexp_f64 v[37:38], v[43:44], -2
	v_add_f64 v[31:32], v[43:44], -v[31:32]
	v_add_f64 v[33:34], v[33:34], -v[41:42]
	v_add_f64 v[41:42], v[45:46], v[29:30]
	v_cmp_neq_f64_e64 vcc_lo, 0x7ff00000, |v[37:38]|
	v_add_f64 v[31:32], v[35:36], -v[31:32]
	v_add_f64 v[27:28], v[27:28], v[33:34]
	v_fract_f64_e32 v[33:34], v[37:38]
	v_add_f64 v[35:36], v[41:42], v[27:28]
	v_ldexp_f64 v[33:34], v[33:34], 2
	v_add_f64 v[37:38], v[31:32], v[35:36]
	v_cndmask_b32_e32 v34, 0, v34, vcc_lo
	v_cndmask_b32_e32 v33, 0, v33, vcc_lo
	v_add_f64 v[43:44], v[37:38], v[33:34]
	v_add_f64 v[31:32], v[37:38], -v[31:32]
	v_cmp_gt_f64_e32 vcc_lo, 0, v[43:44]
	v_add_f64 v[43:44], v[41:42], -v[45:46]
	v_add_f64 v[31:32], v[35:36], -v[31:32]
	v_cndmask_b32_e64 v48, 0, 0x40100000, vcc_lo
	v_add_f64 v[52:53], v[41:42], -v[43:44]
	v_add_f64 v[29:30], v[29:30], -v[43:44]
	v_add_f64 v[33:34], v[33:34], v[47:48]
	v_add_f64 v[48:49], v[35:36], -v[41:42]
	v_add_f64 v[43:44], v[45:46], -v[52:53]
	v_add_f64 v[50:51], v[37:38], v[33:34]
	;; [unrolled: 3-line block ×3, first 2 shown]
	v_cvt_i32_f64_e32 v3, v[50:51]
	v_add_f64 v[41:42], v[41:42], -v[54:55]
	v_cvt_f64_i32_e32 v[48:49], v3
	v_add_f64 v[27:28], v[27:28], v[41:42]
	v_add_f64 v[33:34], v[33:34], -v[48:49]
	v_add_f64 v[27:28], v[29:30], v[27:28]
	v_add_f64 v[29:30], v[37:38], v[33:34]
	v_add_f64 v[25:26], v[25:26], v[27:28]
	v_add_f64 v[27:28], v[29:30], -v[33:34]
	v_cmp_le_f64_e32 vcc_lo, 0.5, v[29:30]
	v_add_f64 v[25:26], v[31:32], v[25:26]
	v_add_f64 v[27:28], v[37:38], -v[27:28]
	v_cndmask_b32_e64 v48, 0, 0x3ff00000, vcc_lo
	v_add_co_ci_u32_e64 v3, null, 0, v3, vcc_lo
	v_add_f64 v[25:26], v[25:26], v[27:28]
	v_add_f64 v[27:28], v[29:30], -v[47:48]
	v_add_f64 v[29:30], v[27:28], v[25:26]
	v_mul_f64 v[31:32], v[29:30], s[0:1]
	v_add_f64 v[27:28], v[29:30], -v[27:28]
	v_fma_f64 v[33:34], v[29:30], s[0:1], -v[31:32]
	v_add_f64 v[25:26], v[25:26], -v[27:28]
	v_fma_f64 v[27:28], v[29:30], s[16:17], v[33:34]
	v_fma_f64 v[27:28], v[25:26], s[0:1], v[27:28]
	v_add_f64 v[25:26], v[31:32], v[27:28]
	v_add_f64 v[29:30], v[25:26], -v[31:32]
	v_add_f64 v[27:28], v[27:28], -v[29:30]
.LBB49_1570:
	s_andn2_saveexec_b32 s0, s4
	s_cbranch_execz .LBB49_1572
; %bb.1571:
	s_mov_b32 s4, 0x6dc9c883
	s_mov_b32 s5, 0x3fe45f30
	s_mov_b32 s17, 0xbc91a626
	v_mul_f64 v[25:26], |v[23:24]|, s[4:5]
	s_mov_b32 s4, 0x54442d18
	s_mov_b32 s5, 0xbff921fb
	;; [unrolled: 1-line block ×3, first 2 shown]
	v_rndne_f64_e32 v[29:30], v[25:26]
	v_fma_f64 v[25:26], v[29:30], s[4:5], |v[23:24]|
	v_mul_f64 v[27:28], v[29:30], s[16:17]
	s_mov_b32 s4, 0x252049c0
	s_mov_b32 s5, 0xb97b839a
	v_cvt_i32_f64_e32 v3, v[29:30]
	v_fma_f64 v[33:34], v[29:30], s[16:17], v[25:26]
	v_add_f64 v[31:32], v[25:26], v[27:28]
	s_mov_b32 s17, 0x3c91a626
	v_add_f64 v[25:26], v[25:26], -v[31:32]
	v_add_f64 v[31:32], v[31:32], -v[33:34]
	v_add_f64 v[25:26], v[25:26], v[27:28]
	v_fma_f64 v[27:28], v[29:30], s[16:17], v[27:28]
	v_add_f64 v[25:26], v[31:32], v[25:26]
	v_add_f64 v[25:26], v[25:26], -v[27:28]
	v_fma_f64 v[27:28], v[29:30], s[4:5], v[25:26]
	v_add_f64 v[25:26], v[33:34], v[27:28]
	v_add_f64 v[31:32], v[25:26], -v[33:34]
	v_add_f64 v[27:28], v[27:28], -v[31:32]
.LBB49_1572:
	s_or_b32 exec_lo, exec_lo, s0
	v_mul_f64 v[29:30], v[25:26], v[25:26]
	s_mov_b32 s0, 0xb42fdfa7
	s_mov_b32 s4, 0xf9a43bb8
	;; [unrolled: 1-line block ×6, first 2 shown]
	v_mul_f64 v[39:40], v[27:28], 0.5
	v_and_b32_e32 v5, 1, v3
	v_lshlrev_b32_e32 v3, 30, v3
	v_add_f64 v[11:12], -v[11:12], 1.0
	v_cmp_eq_u32_e32 vcc_lo, 0, v5
	v_xor_b32_e32 v3, v3, v24
	v_and_b32_e32 v3, 0x80000000, v3
	v_fma_f64 v[31:32], v[29:30], s[4:5], s[0:1]
	s_mov_b32 s0, 0x9037ab78
	s_mov_b32 s4, 0x46cc5e42
	;; [unrolled: 1-line block ×4, first 2 shown]
	v_mul_f64 v[35:36], v[29:30], 0.5
	v_fma_f64 v[33:34], v[29:30], s[4:5], s[0:1]
	s_mov_b32 s0, 0xa17f65f6
	s_mov_b32 s4, 0x19e83e5c
	;; [unrolled: 1-line block ×4, first 2 shown]
	v_mul_f64 v[41:42], v[25:26], -v[29:30]
	v_fma_f64 v[31:32], v[29:30], v[31:32], s[16:17]
	v_add_f64 v[37:38], -v[35:36], 1.0
	v_fma_f64 v[33:34], v[29:30], v[33:34], s[0:1]
	s_mov_b32 s0, 0x19f4ec90
	s_mov_b32 s1, 0x3efa01a0
	v_fma_f64 v[31:32], v[29:30], v[31:32], s[4:5]
	s_mov_b32 s4, 0x11110bb3
	s_mov_b32 s5, 0x3f811111
	v_add_f64 v[43:44], -v[37:38], 1.0
	v_fma_f64 v[33:34], v[29:30], v[33:34], s[0:1]
	s_mov_b32 s0, 0x16c16967
	s_mov_b32 s1, 0xbf56c16c
	v_fma_f64 v[31:32], v[29:30], v[31:32], s[4:5]
	v_add_f64 v[35:36], v[43:44], -v[35:36]
	v_fma_f64 v[33:34], v[29:30], v[33:34], s[0:1]
	s_mov_b32 s1, 0x3fa55555
	s_mov_b32 s0, 0x55555555
	v_fma_f64 v[31:32], v[41:42], v[31:32], v[39:40]
	v_mul_f64 v[39:40], v[29:30], v[29:30]
	v_fma_f64 v[35:36], v[25:26], -v[27:28], v[35:36]
	v_fma_f64 v[33:34], v[29:30], v[33:34], s[0:1]
	s_mov_b32 s1, 0xbfc55555
	v_fma_f64 v[27:28], v[29:30], v[31:32], -v[27:28]
	v_fma_f64 v[29:30], v[39:40], v[33:34], v[35:36]
	v_fma_f64 v[27:28], v[41:42], s[0:1], v[27:28]
	v_cmp_class_f64_e64 s0, v[23:24], 0x1f8
	v_add_f64 v[29:30], v[37:38], v[29:30]
	v_add_f64 v[25:26], v[25:26], -v[27:28]
	v_cndmask_b32_e32 v7, v30, v26, vcc_lo
	v_cndmask_b32_e32 v5, v29, v25, vcc_lo
	v_xor_b32_e32 v3, v7, v3
	v_cndmask_b32_e64 v23, 0, v5, s0
	v_cndmask_b32_e64 v24, 0x7ff80000, v3, s0
	s_mov_b32 s0, 0xc9be45de
	s_mov_b32 s1, 0xc023bd3c
	v_mul_f64 v[23:24], v[23:24], v[23:24]
	v_div_scale_f64 v[25:26], null, v[23:24], v[23:24], s[0:1]
	v_div_scale_f64 v[31:32], vcc_lo, s[0:1], v[23:24], s[0:1]
	v_rcp_f64_e32 v[27:28], v[25:26]
	v_fma_f64 v[29:30], -v[25:26], v[27:28], 1.0
	v_fma_f64 v[27:28], v[27:28], v[29:30], v[27:28]
	v_fma_f64 v[29:30], -v[25:26], v[27:28], 1.0
	v_fma_f64 v[27:28], v[27:28], v[29:30], v[27:28]
	v_mul_f64 v[29:30], v[31:32], v[27:28]
	v_fma_f64 v[25:26], -v[25:26], v[29:30], v[31:32]
	v_div_fmas_f64 v[25:26], v[25:26], v[27:28], v[29:30]
	v_div_fixup_f64 v[23:24], v[25:26], v[23:24], s[0:1]
	v_add_f64 v[25:26], v[23:24], 0
	v_mov_b32_e32 v23, 0
	v_mov_b32_e32 v24, 0xbff00000
.LBB49_1573:
	s_or_b32 exec_lo, exec_lo, s3
	v_add_co_u32 v27, s0, s10, v13
	v_add_co_ci_u32_e64 v28, null, s11, 0, s0
	s_cmp_lt_i32 s2, 11
	s_cbranch_scc1 .LBB49_1580
; %bb.1574:
	s_and_b32 s0, 0xffff, s2
	s_mov_b32 s3, 0
	s_cmp_gt_i32 s0, 25
	s_cbranch_scc0 .LBB49_1581
; %bb.1575:
	s_cmp_gt_i32 s0, 28
	s_cbranch_scc0 .LBB49_1582
; %bb.1576:
	;; [unrolled: 3-line block ×4, first 2 shown]
	s_cmp_eq_u32 s0, 46
	s_mov_b32 s5, 0
	s_cbranch_scc0 .LBB49_1586
; %bb.1579:
	global_load_dword v3, v[27:28], off
	s_mov_b32 s1, 0
	s_mov_b32 s4, -1
	s_waitcnt vmcnt(0)
	v_lshlrev_b32_e32 v3, 16, v3
	v_cvt_f64_f32_e32 v[13:14], v3
	s_branch .LBB49_1588
.LBB49_1580:
	s_mov_b32 s0, -1
	s_mov_b32 s4, 0
                                        ; implicit-def: $vgpr13_vgpr14
	s_branch .LBB49_1654
.LBB49_1581:
	s_mov_b32 s5, -1
	s_mov_b32 s4, 0
	s_mov_b32 s1, 0
                                        ; implicit-def: $vgpr13_vgpr14
	s_branch .LBB49_1619
.LBB49_1582:
	s_mov_b32 s5, -1
	s_mov_b32 s4, 0
	s_mov_b32 s1, 0
                                        ; implicit-def: $vgpr13_vgpr14
	s_branch .LBB49_1598
.LBB49_1583:
	s_mov_b32 s5, -1
	s_mov_b32 s4, 0
	s_mov_b32 s1, 0
                                        ; implicit-def: $vgpr13_vgpr14
	s_branch .LBB49_1593
.LBB49_1584:
	s_or_b32 s13, s13, exec_lo
	s_trap 2
	s_cbranch_execz .LBB49_1517
	s_branch .LBB49_1518
.LBB49_1585:
	s_mov_b32 s5, -1
	s_mov_b32 s4, 0
	s_mov_b32 s1, 0
	s_branch .LBB49_1587
.LBB49_1586:
	s_mov_b32 s1, -1
	s_mov_b32 s4, 0
.LBB49_1587:
                                        ; implicit-def: $vgpr13_vgpr14
.LBB49_1588:
	s_and_b32 vcc_lo, exec_lo, s5
	s_cbranch_vccz .LBB49_1592
; %bb.1589:
	s_cmp_eq_u32 s0, 44
	s_cbranch_scc0 .LBB49_1591
; %bb.1590:
	global_load_ubyte v3, v[27:28], off
	s_mov_b32 s1, 0
	s_mov_b32 s4, -1
	s_waitcnt vmcnt(0)
	v_lshlrev_b32_e32 v5, 23, v3
	v_cmp_ne_u32_e32 vcc_lo, 0xff, v3
	v_cvt_f64_f32_e32 v[13:14], v5
	v_cndmask_b32_e32 v5, 0x20000000, v13, vcc_lo
	v_cndmask_b32_e32 v7, 0x7ff80000, v14, vcc_lo
	v_cmp_ne_u32_e32 vcc_lo, 0, v3
	v_cndmask_b32_e32 v14, 0x38000000, v7, vcc_lo
	v_cndmask_b32_e32 v13, 0, v5, vcc_lo
	s_branch .LBB49_1592
.LBB49_1591:
	s_mov_b32 s1, -1
                                        ; implicit-def: $vgpr13_vgpr14
.LBB49_1592:
	s_mov_b32 s5, 0
.LBB49_1593:
	s_and_b32 vcc_lo, exec_lo, s5
	s_cbranch_vccz .LBB49_1597
; %bb.1594:
	s_cmp_eq_u32 s0, 29
	s_cbranch_scc0 .LBB49_1596
; %bb.1595:
	global_load_dwordx2 v[13:14], v[27:28], off
	s_mov_b32 s1, 0
	s_mov_b32 s4, -1
	s_mov_b32 s5, 0
	s_waitcnt vmcnt(0)
	v_cvt_f64_u32_e32 v[29:30], v14
	v_cvt_f64_u32_e32 v[13:14], v13
	v_ldexp_f64 v[29:30], v[29:30], 32
	v_add_f64 v[13:14], v[29:30], v[13:14]
	s_branch .LBB49_1598
.LBB49_1596:
	s_mov_b32 s1, -1
                                        ; implicit-def: $vgpr13_vgpr14
.LBB49_1597:
	s_mov_b32 s5, 0
.LBB49_1598:
	s_and_b32 vcc_lo, exec_lo, s5
	s_cbranch_vccz .LBB49_1618
; %bb.1599:
	s_cmp_lt_i32 s0, 27
	s_cbranch_scc1 .LBB49_1602
; %bb.1600:
	s_cmp_gt_i32 s0, 27
	s_cbranch_scc0 .LBB49_1603
; %bb.1601:
	global_load_dword v3, v[27:28], off
	s_mov_b32 s4, 0
	s_waitcnt vmcnt(0)
	v_cvt_f64_u32_e32 v[13:14], v3
	s_branch .LBB49_1604
.LBB49_1602:
	s_mov_b32 s4, -1
                                        ; implicit-def: $vgpr13_vgpr14
	s_branch .LBB49_1607
.LBB49_1603:
	s_mov_b32 s4, -1
                                        ; implicit-def: $vgpr13_vgpr14
.LBB49_1604:
	s_andn2_b32 vcc_lo, exec_lo, s4
	s_cbranch_vccnz .LBB49_1606
; %bb.1605:
	global_load_ushort v3, v[27:28], off
	s_waitcnt vmcnt(0)
	v_cvt_f64_u32_e32 v[13:14], v3
.LBB49_1606:
	s_mov_b32 s4, 0
.LBB49_1607:
	s_andn2_b32 vcc_lo, exec_lo, s4
	s_cbranch_vccnz .LBB49_1617
; %bb.1608:
	global_load_ubyte v3, v[27:28], off
	s_mov_b32 s4, 0
	s_mov_b32 s5, exec_lo
	s_waitcnt vmcnt(0)
	v_cmpx_lt_i16_e32 0x7f, v3
	s_xor_b32 s5, exec_lo, s5
	s_cbranch_execz .LBB49_1612
; %bb.1609:
	s_mov_b32 s4, -1
	s_mov_b32 s6, exec_lo
	v_cmpx_eq_u16_e32 0x80, v3
; %bb.1610:
	s_xor_b32 s4, exec_lo, -1
; %bb.1611:
	s_or_b32 exec_lo, exec_lo, s6
	s_and_b32 s4, s4, exec_lo
.LBB49_1612:
	s_or_saveexec_b32 s5, s5
	v_bfrev_b32_e32 v13, 4
	v_mov_b32_e32 v14, 0x7ff80000
	s_xor_b32 exec_lo, exec_lo, s5
; %bb.1613:
	v_cmp_ne_u16_e32 vcc_lo, 0, v3
	v_mov_b32_e32 v13, 0
	v_mov_b32_e32 v14, 0
	s_andn2_b32 s4, s4, exec_lo
	s_and_b32 s6, vcc_lo, exec_lo
	s_or_b32 s4, s4, s6
; %bb.1614:
	s_or_b32 exec_lo, exec_lo, s5
	s_and_saveexec_b32 s5, s4
	s_cbranch_execz .LBB49_1616
; %bb.1615:
	v_and_b32_e32 v5, 0xffff, v3
	v_lshlrev_b32_e32 v3, 24, v3
	v_and_b32_e32 v7, 7, v5
	v_bfe_u32 v29, v5, 3, 4
	v_and_b32_e32 v3, 0x80000000, v3
	v_ffbh_u32_e32 v13, v7
	v_cmp_eq_u32_e32 vcc_lo, 0, v29
	v_min_u32_e32 v13, 32, v13
	v_subrev_nc_u32_e32 v14, 28, v13
	v_sub_nc_u32_e32 v13, 29, v13
	v_lshlrev_b32_e32 v5, v14, v5
	v_cndmask_b32_e32 v13, v29, v13, vcc_lo
	v_and_b32_e32 v5, 7, v5
	v_cndmask_b32_e32 v5, v7, v5, vcc_lo
	v_lshl_add_u32 v7, v13, 23, 0x3b800000
	v_lshlrev_b32_e32 v5, 20, v5
	v_or3_b32 v3, v3, v7, v5
	v_cvt_f64_f32_e32 v[13:14], v3
.LBB49_1616:
	s_or_b32 exec_lo, exec_lo, s5
.LBB49_1617:
	s_mov_b32 s4, -1
.LBB49_1618:
	s_mov_b32 s5, 0
.LBB49_1619:
	s_and_b32 vcc_lo, exec_lo, s5
	s_cbranch_vccz .LBB49_1650
; %bb.1620:
	s_cmp_gt_i32 s0, 22
	s_cbranch_scc0 .LBB49_1632
; %bb.1621:
	s_cmp_lt_i32 s0, 24
	s_cbranch_scc1 .LBB49_1633
; %bb.1622:
	s_cmp_gt_i32 s0, 24
	s_cbranch_scc0 .LBB49_1634
; %bb.1623:
	global_load_ubyte v3, v[27:28], off
	s_mov_b32 s4, exec_lo
	s_waitcnt vmcnt(0)
	v_cmpx_lt_i16_e32 0x7f, v3
	s_xor_b32 s4, exec_lo, s4
	s_cbranch_execz .LBB49_1627
; %bb.1624:
	s_mov_b32 s3, -1
	s_mov_b32 s5, exec_lo
	v_cmpx_eq_u16_e32 0x80, v3
; %bb.1625:
	s_xor_b32 s3, exec_lo, -1
; %bb.1626:
	s_or_b32 exec_lo, exec_lo, s5
	s_and_b32 s3, s3, exec_lo
.LBB49_1627:
	s_or_saveexec_b32 s4, s4
	v_bfrev_b32_e32 v13, 4
	v_mov_b32_e32 v14, 0x7ff80000
	s_xor_b32 exec_lo, exec_lo, s4
; %bb.1628:
	v_cmp_ne_u16_e32 vcc_lo, 0, v3
	v_mov_b32_e32 v13, 0
	v_mov_b32_e32 v14, 0
	s_andn2_b32 s3, s3, exec_lo
	s_and_b32 s5, vcc_lo, exec_lo
	s_or_b32 s3, s3, s5
; %bb.1629:
	s_or_b32 exec_lo, exec_lo, s4
	s_and_saveexec_b32 s4, s3
	s_cbranch_execz .LBB49_1631
; %bb.1630:
	v_and_b32_e32 v5, 0xffff, v3
	v_lshlrev_b32_e32 v3, 24, v3
	v_and_b32_e32 v7, 3, v5
	v_bfe_u32 v29, v5, 2, 5
	v_and_b32_e32 v3, 0x80000000, v3
	v_ffbh_u32_e32 v13, v7
	v_cmp_eq_u32_e32 vcc_lo, 0, v29
	v_min_u32_e32 v13, 32, v13
	v_subrev_nc_u32_e32 v14, 29, v13
	v_sub_nc_u32_e32 v13, 30, v13
	v_lshlrev_b32_e32 v5, v14, v5
	v_cndmask_b32_e32 v13, v29, v13, vcc_lo
	v_and_b32_e32 v5, 3, v5
	v_cndmask_b32_e32 v5, v7, v5, vcc_lo
	v_lshl_add_u32 v7, v13, 23, 0x37800000
	v_lshlrev_b32_e32 v5, 21, v5
	v_or3_b32 v3, v3, v7, v5
	v_cvt_f64_f32_e32 v[13:14], v3
.LBB49_1631:
	s_or_b32 exec_lo, exec_lo, s4
	s_mov_b32 s3, 0
	s_branch .LBB49_1635
.LBB49_1632:
	s_mov_b32 s3, -1
                                        ; implicit-def: $vgpr13_vgpr14
	s_branch .LBB49_1641
.LBB49_1633:
	s_mov_b32 s3, -1
                                        ; implicit-def: $vgpr13_vgpr14
	s_branch .LBB49_1638
.LBB49_1634:
	s_mov_b32 s3, -1
                                        ; implicit-def: $vgpr13_vgpr14
.LBB49_1635:
	s_and_b32 vcc_lo, exec_lo, s3
	s_cbranch_vccz .LBB49_1637
; %bb.1636:
	global_load_ubyte v3, v[27:28], off
	s_waitcnt vmcnt(0)
	v_lshlrev_b32_e32 v3, 24, v3
	v_and_b32_e32 v5, 0x7f000000, v3
	v_ffbh_u32_e32 v7, v5
	v_add_nc_u32_e32 v14, 0x1000000, v5
	v_cmp_ne_u32_e32 vcc_lo, 0, v5
	v_min_u32_e32 v7, 32, v7
	v_sub_nc_u32_e64 v7, v7, 4 clamp
	v_lshlrev_b32_e32 v13, v7, v5
	v_lshlrev_b32_e32 v7, 23, v7
	v_lshrrev_b32_e32 v13, 4, v13
	v_sub_nc_u32_e32 v7, v13, v7
	v_ashrrev_i32_e32 v13, 8, v14
	v_add_nc_u32_e32 v7, 0x3c000000, v7
	v_and_or_b32 v7, 0x7f800000, v13, v7
	v_cndmask_b32_e32 v5, 0, v7, vcc_lo
	v_and_or_b32 v3, 0x80000000, v3, v5
	v_cvt_f64_f32_e32 v[13:14], v3
.LBB49_1637:
	s_mov_b32 s3, 0
.LBB49_1638:
	s_andn2_b32 vcc_lo, exec_lo, s3
	s_cbranch_vccnz .LBB49_1640
; %bb.1639:
	global_load_ubyte v3, v[27:28], off
	s_waitcnt vmcnt(0)
	v_lshlrev_b32_e32 v5, 25, v3
	v_lshlrev_b16 v3, 8, v3
	v_lshrrev_b32_e32 v7, 4, v5
	v_and_or_b32 v13, 0x7f00, v3, 0.5
	v_cmp_gt_u32_e32 vcc_lo, 0x8000000, v5
	v_bfe_i32 v3, v3, 0, 16
	v_or_b32_e32 v7, 0x70000000, v7
	v_add_f32_e32 v13, -0.5, v13
	v_mul_f32_e32 v7, 0x7800000, v7
	v_cndmask_b32_e32 v5, v7, v13, vcc_lo
	v_and_or_b32 v3, 0x80000000, v3, v5
	v_cvt_f64_f32_e32 v[13:14], v3
.LBB49_1640:
	s_mov_b32 s3, 0
	s_mov_b32 s4, -1
.LBB49_1641:
	s_andn2_b32 vcc_lo, exec_lo, s3
	s_mov_b32 s3, 0
	s_cbranch_vccnz .LBB49_1650
; %bb.1642:
	s_cmp_gt_i32 s0, 14
	s_cbranch_scc0 .LBB49_1645
; %bb.1643:
	s_cmp_eq_u32 s0, 15
	s_cbranch_scc0 .LBB49_1646
; %bb.1644:
	global_load_ushort v3, v[27:28], off
	s_mov_b32 s1, 0
	s_mov_b32 s4, -1
	s_waitcnt vmcnt(0)
	v_lshlrev_b32_e32 v3, 16, v3
	v_cvt_f64_f32_e32 v[13:14], v3
	s_branch .LBB49_1648
.LBB49_1645:
	s_mov_b32 s3, -1
	s_branch .LBB49_1647
.LBB49_1646:
	s_mov_b32 s1, -1
.LBB49_1647:
                                        ; implicit-def: $vgpr13_vgpr14
.LBB49_1648:
	s_and_b32 vcc_lo, exec_lo, s3
	s_mov_b32 s3, 0
	s_cbranch_vccz .LBB49_1650
; %bb.1649:
	s_cmp_lg_u32 s0, 11
	s_mov_b32 s3, -1
	s_cselect_b32 s1, -1, 0
.LBB49_1650:
	s_and_b32 vcc_lo, exec_lo, s1
	s_cbranch_vccnz .LBB49_2189
; %bb.1651:
	s_andn2_b32 vcc_lo, exec_lo, s3
	s_cbranch_vccnz .LBB49_1653
.LBB49_1652:
	global_load_ubyte v3, v[27:28], off
	v_mov_b32_e32 v13, 0
	s_mov_b32 s4, -1
	s_waitcnt vmcnt(0)
	v_cmp_ne_u16_e32 vcc_lo, 0, v3
	v_cndmask_b32_e64 v14, 0, 0x3ff00000, vcc_lo
.LBB49_1653:
	s_mov_b32 s0, 0
.LBB49_1654:
	s_and_b32 vcc_lo, exec_lo, s0
	s_cbranch_vccz .LBB49_1703
; %bb.1655:
	s_and_b32 s0, 0xffff, s2
	s_cmp_lt_i32 s0, 5
	s_cbranch_scc1 .LBB49_1660
; %bb.1656:
	s_cmp_lt_i32 s0, 8
	s_cbranch_scc1 .LBB49_1661
; %bb.1657:
	;; [unrolled: 3-line block ×3, first 2 shown]
	s_cmp_gt_i32 s0, 9
	s_cbranch_scc0 .LBB49_1663
; %bb.1659:
	global_load_dwordx2 v[13:14], v[27:28], off
	s_mov_b32 s1, 0
	s_branch .LBB49_1664
.LBB49_1660:
	s_mov_b32 s1, -1
                                        ; implicit-def: $vgpr13_vgpr14
	s_branch .LBB49_1682
.LBB49_1661:
	s_mov_b32 s1, -1
                                        ; implicit-def: $vgpr13_vgpr14
	s_branch .LBB49_1670
.LBB49_1662:
	s_mov_b32 s1, -1
                                        ; implicit-def: $vgpr13_vgpr14
	s_branch .LBB49_1667
.LBB49_1663:
	s_mov_b32 s1, -1
                                        ; implicit-def: $vgpr13_vgpr14
.LBB49_1664:
	s_andn2_b32 vcc_lo, exec_lo, s1
	s_cbranch_vccnz .LBB49_1666
; %bb.1665:
	global_load_dword v3, v[27:28], off
	s_waitcnt vmcnt(0)
	v_cvt_f64_f32_e32 v[13:14], v3
.LBB49_1666:
	s_mov_b32 s1, 0
.LBB49_1667:
	s_andn2_b32 vcc_lo, exec_lo, s1
	s_cbranch_vccnz .LBB49_1669
; %bb.1668:
	global_load_dword v3, v[27:28], off
	s_waitcnt vmcnt(0)
	v_cvt_f32_f16_e32 v3, v3
	v_cvt_f64_f32_e32 v[13:14], v3
.LBB49_1669:
	s_mov_b32 s1, 0
.LBB49_1670:
	s_andn2_b32 vcc_lo, exec_lo, s1
	s_cbranch_vccnz .LBB49_1681
; %bb.1671:
	s_cmp_lt_i32 s0, 6
	s_cbranch_scc1 .LBB49_1674
; %bb.1672:
	s_cmp_gt_i32 s0, 6
	s_cbranch_scc0 .LBB49_1675
; %bb.1673:
	global_load_dwordx2 v[13:14], v[27:28], off
	s_mov_b32 s1, 0
	s_branch .LBB49_1676
.LBB49_1674:
	s_mov_b32 s1, -1
                                        ; implicit-def: $vgpr13_vgpr14
	s_branch .LBB49_1679
.LBB49_1675:
	s_mov_b32 s1, -1
                                        ; implicit-def: $vgpr13_vgpr14
.LBB49_1676:
	s_andn2_b32 vcc_lo, exec_lo, s1
	s_cbranch_vccnz .LBB49_1678
; %bb.1677:
	global_load_dword v3, v[27:28], off
	s_waitcnt vmcnt(0)
	v_cvt_f64_f32_e32 v[13:14], v3
.LBB49_1678:
	s_mov_b32 s1, 0
.LBB49_1679:
	s_andn2_b32 vcc_lo, exec_lo, s1
	s_cbranch_vccnz .LBB49_1681
; %bb.1680:
	global_load_ushort v3, v[27:28], off
	s_waitcnt vmcnt(0)
	v_cvt_f32_f16_e32 v3, v3
	v_cvt_f64_f32_e32 v[13:14], v3
.LBB49_1681:
	s_mov_b32 s1, 0
.LBB49_1682:
	s_andn2_b32 vcc_lo, exec_lo, s1
	s_cbranch_vccnz .LBB49_1702
; %bb.1683:
	s_cmp_lt_i32 s0, 2
	s_cbranch_scc1 .LBB49_1687
; %bb.1684:
	s_cmp_lt_i32 s0, 3
	s_cbranch_scc1 .LBB49_1688
; %bb.1685:
	s_cmp_gt_i32 s0, 3
	s_cbranch_scc0 .LBB49_1689
; %bb.1686:
	global_load_dwordx2 v[13:14], v[27:28], off
	s_mov_b32 s1, 0
	s_waitcnt vmcnt(0)
	v_cvt_f64_i32_e32 v[29:30], v14
	v_cvt_f64_u32_e32 v[13:14], v13
	v_ldexp_f64 v[29:30], v[29:30], 32
	v_add_f64 v[13:14], v[29:30], v[13:14]
	s_branch .LBB49_1690
.LBB49_1687:
	s_mov_b32 s1, -1
                                        ; implicit-def: $vgpr13_vgpr14
	s_branch .LBB49_1696
.LBB49_1688:
	s_mov_b32 s1, -1
                                        ; implicit-def: $vgpr13_vgpr14
	s_branch .LBB49_1693
.LBB49_1689:
	s_mov_b32 s1, -1
                                        ; implicit-def: $vgpr13_vgpr14
.LBB49_1690:
	s_andn2_b32 vcc_lo, exec_lo, s1
	s_cbranch_vccnz .LBB49_1692
; %bb.1691:
	global_load_dword v3, v[27:28], off
	s_waitcnt vmcnt(0)
	v_cvt_f64_i32_e32 v[13:14], v3
.LBB49_1692:
	s_mov_b32 s1, 0
.LBB49_1693:
	s_andn2_b32 vcc_lo, exec_lo, s1
	s_cbranch_vccnz .LBB49_1695
; %bb.1694:
	global_load_sshort v3, v[27:28], off
	s_waitcnt vmcnt(0)
	v_cvt_f64_i32_e32 v[13:14], v3
.LBB49_1695:
	s_mov_b32 s1, 0
.LBB49_1696:
	s_andn2_b32 vcc_lo, exec_lo, s1
	s_cbranch_vccnz .LBB49_1702
; %bb.1697:
	s_cmp_gt_i32 s0, 0
	s_mov_b32 s0, 0
	s_cbranch_scc0 .LBB49_1699
; %bb.1698:
	global_load_sbyte v3, v[27:28], off
	s_waitcnt vmcnt(0)
	v_cvt_f64_i32_e32 v[13:14], v3
	s_branch .LBB49_1700
.LBB49_1699:
	s_mov_b32 s0, -1
                                        ; implicit-def: $vgpr13_vgpr14
.LBB49_1700:
	s_andn2_b32 vcc_lo, exec_lo, s0
	s_cbranch_vccnz .LBB49_1702
; %bb.1701:
	global_load_ubyte v3, v[27:28], off
	s_waitcnt vmcnt(0)
	v_cvt_f64_u32_e32 v[13:14], v3
.LBB49_1702:
	s_mov_b32 s4, -1
.LBB49_1703:
	s_andn2_b32 vcc_lo, exec_lo, s4
	s_cbranch_vccnz .LBB49_2143
; %bb.1704:
	v_mov_b32_e32 v29, 0
	v_mov_b32_e32 v27, 0
	;; [unrolled: 1-line block ×4, first 2 shown]
	s_mov_b32 s2, exec_lo
	s_waitcnt vmcnt(0)
	v_cmpx_gt_f64_e32 0.5, v[13:14]
	s_cbranch_execz .LBB49_1710
; %bb.1705:
	s_mov_b32 s1, 0x400921fb
	s_mov_b32 s0, 0x54442d18
	s_mov_b32 s3, exec_lo
	v_mul_f64 v[27:28], v[13:14], s[0:1]
                                        ; implicit-def: $vgpr3
                                        ; implicit-def: $vgpr29_vgpr30
                                        ; implicit-def: $vgpr31_vgpr32
	v_cmpx_ngt_f64_e64 0x41d00000, |v[27:28]|
	s_xor_b32 s3, exec_lo, s3
	s_cbranch_execz .LBB49_1707
; %bb.1706:
	v_ldexp_f64 v[29:30], |v[27:28]|, 0xffffff80
	v_cmp_le_f64_e64 vcc_lo, 0x7b000000, |v[27:28]|
	v_trig_preop_f64 v[31:32], |v[27:28]|, 0
	v_and_b32_e32 v3, 0x7fffffff, v28
	v_trig_preop_f64 v[33:34], |v[27:28]|, 1
	v_trig_preop_f64 v[43:44], |v[27:28]|, 2
	v_mov_b32_e32 v51, 0
	s_mov_b32 s1, 0x3ff921fb
	s_mov_b32 s4, 0x33145c07
	;; [unrolled: 1-line block ×3, first 2 shown]
	v_cndmask_b32_e32 v30, v3, v30, vcc_lo
	v_cndmask_b32_e32 v29, v27, v29, vcc_lo
	v_mul_f64 v[35:36], v[31:32], v[29:30]
	v_mul_f64 v[37:38], v[33:34], v[29:30]
	;; [unrolled: 1-line block ×3, first 2 shown]
	v_fma_f64 v[31:32], v[31:32], v[29:30], -v[35:36]
	v_fma_f64 v[33:34], v[33:34], v[29:30], -v[37:38]
	;; [unrolled: 1-line block ×3, first 2 shown]
	v_add_f64 v[39:40], v[37:38], v[31:32]
	v_add_f64 v[41:42], v[39:40], -v[37:38]
	v_add_f64 v[47:48], v[35:36], v[39:40]
	v_add_f64 v[45:46], v[39:40], -v[41:42]
	v_add_f64 v[31:32], v[31:32], -v[41:42]
	v_ldexp_f64 v[41:42], v[47:48], -2
	v_add_f64 v[35:36], v[47:48], -v[35:36]
	v_add_f64 v[37:38], v[37:38], -v[45:46]
	v_add_f64 v[45:46], v[49:50], v[33:34]
	v_cmp_neq_f64_e64 vcc_lo, 0x7ff00000, |v[41:42]|
	v_add_f64 v[35:36], v[39:40], -v[35:36]
	v_add_f64 v[31:32], v[31:32], v[37:38]
	v_fract_f64_e32 v[37:38], v[41:42]
	v_add_f64 v[39:40], v[45:46], v[31:32]
	v_ldexp_f64 v[37:38], v[37:38], 2
	v_add_f64 v[41:42], v[35:36], v[39:40]
	v_cndmask_b32_e32 v38, 0, v38, vcc_lo
	v_cndmask_b32_e32 v37, 0, v37, vcc_lo
	v_add_f64 v[47:48], v[41:42], v[37:38]
	v_add_f64 v[35:36], v[41:42], -v[35:36]
	v_cmp_gt_f64_e32 vcc_lo, 0, v[47:48]
	v_add_f64 v[47:48], v[45:46], -v[49:50]
	v_add_f64 v[35:36], v[39:40], -v[35:36]
	v_cndmask_b32_e64 v52, 0, 0x40100000, vcc_lo
	v_add_f64 v[56:57], v[45:46], -v[47:48]
	v_add_f64 v[33:34], v[33:34], -v[47:48]
	v_add_f64 v[37:38], v[37:38], v[51:52]
	v_add_f64 v[52:53], v[39:40], -v[45:46]
	v_add_f64 v[47:48], v[49:50], -v[56:57]
	v_add_f64 v[54:55], v[41:42], v[37:38]
	;; [unrolled: 3-line block ×3, first 2 shown]
	v_cvt_i32_f64_e32 v3, v[54:55]
	v_add_f64 v[45:46], v[45:46], -v[58:59]
	v_cvt_f64_i32_e32 v[52:53], v3
	v_add_f64 v[31:32], v[31:32], v[45:46]
	v_add_f64 v[37:38], v[37:38], -v[52:53]
	v_add_f64 v[31:32], v[33:34], v[31:32]
	v_add_f64 v[33:34], v[41:42], v[37:38]
	;; [unrolled: 1-line block ×3, first 2 shown]
	v_add_f64 v[31:32], v[33:34], -v[37:38]
	v_cmp_le_f64_e32 vcc_lo, 0.5, v[33:34]
	v_add_f64 v[29:30], v[35:36], v[29:30]
	v_add_f64 v[31:32], v[41:42], -v[31:32]
	v_cndmask_b32_e64 v52, 0, 0x3ff00000, vcc_lo
	v_add_co_ci_u32_e64 v3, null, 0, v3, vcc_lo
	v_add_f64 v[29:30], v[29:30], v[31:32]
	v_add_f64 v[31:32], v[33:34], -v[51:52]
	v_add_f64 v[33:34], v[31:32], v[29:30]
	v_mul_f64 v[35:36], v[33:34], s[0:1]
	v_add_f64 v[31:32], v[33:34], -v[31:32]
	v_fma_f64 v[37:38], v[33:34], s[0:1], -v[35:36]
	v_add_f64 v[29:30], v[29:30], -v[31:32]
	v_fma_f64 v[31:32], v[33:34], s[4:5], v[37:38]
	v_fma_f64 v[31:32], v[29:30], s[0:1], v[31:32]
	v_add_f64 v[29:30], v[35:36], v[31:32]
	v_add_f64 v[33:34], v[29:30], -v[35:36]
	v_add_f64 v[31:32], v[31:32], -v[33:34]
.LBB49_1707:
	s_andn2_saveexec_b32 s0, s3
	s_cbranch_execz .LBB49_1709
; %bb.1708:
	s_mov_b32 s4, 0x6dc9c883
	s_mov_b32 s5, 0x3fe45f30
	;; [unrolled: 1-line block ×3, first 2 shown]
	v_mul_f64 v[29:30], |v[27:28]|, s[4:5]
	s_mov_b32 s4, 0x54442d18
	s_mov_b32 s5, 0xbff921fb
	s_mov_b32 s10, 0x33145c00
	v_rndne_f64_e32 v[33:34], v[29:30]
	v_fma_f64 v[29:30], v[33:34], s[4:5], |v[27:28]|
	v_mul_f64 v[31:32], v[33:34], s[10:11]
	s_mov_b32 s4, 0x252049c0
	s_mov_b32 s5, 0xb97b839a
	v_cvt_i32_f64_e32 v3, v[33:34]
	v_fma_f64 v[37:38], v[33:34], s[10:11], v[29:30]
	v_add_f64 v[35:36], v[29:30], v[31:32]
	s_mov_b32 s11, 0x3c91a626
	v_add_f64 v[29:30], v[29:30], -v[35:36]
	v_add_f64 v[35:36], v[35:36], -v[37:38]
	v_add_f64 v[29:30], v[29:30], v[31:32]
	v_fma_f64 v[31:32], v[33:34], s[10:11], v[31:32]
	v_add_f64 v[29:30], v[35:36], v[29:30]
	v_add_f64 v[29:30], v[29:30], -v[31:32]
	v_fma_f64 v[31:32], v[33:34], s[4:5], v[29:30]
	v_add_f64 v[29:30], v[37:38], v[31:32]
	v_add_f64 v[35:36], v[29:30], -v[37:38]
	v_add_f64 v[31:32], v[31:32], -v[35:36]
.LBB49_1709:
	s_or_b32 exec_lo, exec_lo, s0
	v_mul_f64 v[33:34], v[29:30], v[29:30]
	s_mov_b32 s0, 0xb42fdfa7
	s_mov_b32 s4, 0xf9a43bb8
	;; [unrolled: 1-line block ×6, first 2 shown]
	v_mul_f64 v[43:44], v[31:32], 0.5
	v_and_b32_e32 v5, 1, v3
	v_lshlrev_b32_e32 v3, 30, v3
	v_add_f64 v[13:14], -v[13:14], 1.0
	v_cmp_eq_u32_e32 vcc_lo, 0, v5
	v_xor_b32_e32 v3, v3, v28
	v_and_b32_e32 v3, 0x80000000, v3
	v_fma_f64 v[35:36], v[33:34], s[4:5], s[0:1]
	s_mov_b32 s0, 0x9037ab78
	s_mov_b32 s4, 0x46cc5e42
	;; [unrolled: 1-line block ×4, first 2 shown]
	v_mul_f64 v[39:40], v[33:34], 0.5
	v_fma_f64 v[37:38], v[33:34], s[4:5], s[0:1]
	s_mov_b32 s0, 0xa17f65f6
	s_mov_b32 s4, 0x19e83e5c
	;; [unrolled: 1-line block ×4, first 2 shown]
	v_mul_f64 v[45:46], v[29:30], -v[33:34]
	v_fma_f64 v[35:36], v[33:34], v[35:36], s[10:11]
	v_add_f64 v[41:42], -v[39:40], 1.0
	v_fma_f64 v[37:38], v[33:34], v[37:38], s[0:1]
	s_mov_b32 s0, 0x19f4ec90
	s_mov_b32 s1, 0x3efa01a0
	v_fma_f64 v[35:36], v[33:34], v[35:36], s[4:5]
	s_mov_b32 s4, 0x11110bb3
	s_mov_b32 s5, 0x3f811111
	v_add_f64 v[47:48], -v[41:42], 1.0
	v_fma_f64 v[37:38], v[33:34], v[37:38], s[0:1]
	s_mov_b32 s0, 0x16c16967
	s_mov_b32 s1, 0xbf56c16c
	v_fma_f64 v[35:36], v[33:34], v[35:36], s[4:5]
	v_add_f64 v[39:40], v[47:48], -v[39:40]
	v_fma_f64 v[37:38], v[33:34], v[37:38], s[0:1]
	s_mov_b32 s1, 0x3fa55555
	s_mov_b32 s0, 0x55555555
	v_fma_f64 v[35:36], v[45:46], v[35:36], v[43:44]
	v_mul_f64 v[43:44], v[33:34], v[33:34]
	v_fma_f64 v[39:40], v[29:30], -v[31:32], v[39:40]
	v_fma_f64 v[37:38], v[33:34], v[37:38], s[0:1]
	s_mov_b32 s1, 0xbfc55555
	v_fma_f64 v[31:32], v[33:34], v[35:36], -v[31:32]
	v_fma_f64 v[33:34], v[43:44], v[37:38], v[39:40]
	v_fma_f64 v[31:32], v[45:46], s[0:1], v[31:32]
	v_cmp_class_f64_e64 s0, v[27:28], 0x1f8
	v_add_f64 v[33:34], v[41:42], v[33:34]
	v_add_f64 v[29:30], v[29:30], -v[31:32]
	v_cndmask_b32_e32 v7, v34, v30, vcc_lo
	v_cndmask_b32_e32 v5, v33, v29, vcc_lo
	v_xor_b32_e32 v3, v7, v3
	v_cndmask_b32_e64 v27, 0, v5, s0
	v_cndmask_b32_e64 v28, 0x7ff80000, v3, s0
	s_mov_b32 s0, 0xc9be45de
	s_mov_b32 s1, 0xc023bd3c
	v_mul_f64 v[27:28], v[27:28], v[27:28]
	v_div_scale_f64 v[29:30], null, v[27:28], v[27:28], s[0:1]
	v_div_scale_f64 v[35:36], vcc_lo, s[0:1], v[27:28], s[0:1]
	v_rcp_f64_e32 v[31:32], v[29:30]
	v_fma_f64 v[33:34], -v[29:30], v[31:32], 1.0
	v_fma_f64 v[31:32], v[31:32], v[33:34], v[31:32]
	v_fma_f64 v[33:34], -v[29:30], v[31:32], 1.0
	v_fma_f64 v[31:32], v[31:32], v[33:34], v[31:32]
	v_mul_f64 v[33:34], v[35:36], v[31:32]
	v_fma_f64 v[29:30], -v[29:30], v[33:34], v[35:36]
	v_div_fmas_f64 v[29:30], v[29:30], v[31:32], v[33:34]
	v_div_fixup_f64 v[27:28], v[29:30], v[27:28], s[0:1]
	v_add_f64 v[29:30], v[27:28], 0
	v_mov_b32_e32 v27, 0
	v_mov_b32_e32 v28, 0xbff00000
.LBB49_1710:
	s_or_b32 exec_lo, exec_lo, s2
	v_add_f64 v[31:32], v[0:1], 1.0
	v_mul_f64 v[0:1], v[0:1], v[0:1]
	v_add_f64 v[33:34], v[31:32], 1.0
	v_mul_f64 v[31:32], v[31:32], v[31:32]
	v_div_scale_f64 v[45:46], null, v[0:1], v[0:1], 1.0
	v_div_scale_f64 v[93:94], vcc_lo, 1.0, v[0:1], 1.0
	v_add_f64 v[35:36], v[33:34], 1.0
	v_mul_f64 v[33:34], v[33:34], v[33:34]
	v_div_scale_f64 v[47:48], null, v[31:32], v[31:32], 1.0
	v_rcp_f64_e32 v[61:62], v[45:46]
	v_add_f64 v[37:38], v[35:36], 1.0
	v_mul_f64 v[35:36], v[35:36], v[35:36]
	v_div_scale_f64 v[49:50], null, v[33:34], v[33:34], 1.0
	v_rcp_f64_e32 v[63:64], v[47:48]
	v_fma_f64 v[77:78], -v[45:46], v[61:62], 1.0
	v_add_f64 v[39:40], v[37:38], 1.0
	v_mul_f64 v[37:38], v[37:38], v[37:38]
	v_div_scale_f64 v[51:52], null, v[35:36], v[35:36], 1.0
	v_rcp_f64_e32 v[65:66], v[49:50]
	v_fma_f64 v[79:80], -v[47:48], v[63:64], 1.0
	v_fma_f64 v[61:62], v[61:62], v[77:78], v[61:62]
	v_add_f64 v[41:42], v[39:40], 1.0
	v_mul_f64 v[39:40], v[39:40], v[39:40]
	v_div_scale_f64 v[53:54], null, v[37:38], v[37:38], 1.0
	v_rcp_f64_e32 v[67:68], v[51:52]
	v_fma_f64 v[81:82], -v[49:50], v[65:66], 1.0
	v_fma_f64 v[63:64], v[63:64], v[79:80], v[63:64]
	v_fma_f64 v[79:80], -v[45:46], v[61:62], 1.0
	v_mul_f64 v[43:44], v[41:42], v[41:42]
	v_div_scale_f64 v[55:56], null, v[39:40], v[39:40], 1.0
	v_add_f64 v[57:58], v[41:42], v[41:42]
	v_rcp_f64_e32 v[69:70], v[53:54]
	v_fma_f64 v[83:84], -v[51:52], v[67:68], 1.0
	v_fma_f64 v[65:66], v[65:66], v[81:82], v[65:66]
	v_fma_f64 v[81:82], -v[47:48], v[63:64], 1.0
	v_fma_f64 v[61:62], v[61:62], v[79:80], v[61:62]
	v_div_scale_f64 v[79:80], s0, 1.0, v[31:32], 1.0
	v_div_scale_f64 v[59:60], null, v[43:44], v[43:44], 1.0
	v_rcp_f64_e32 v[71:72], v[55:56]
	v_div_scale_f64 v[73:74], null, v[57:58], v[57:58], 1.0
	v_div_scale_f64 v[95:96], s5, 1.0, v[43:44], 1.0
	v_fma_f64 v[85:86], -v[53:54], v[69:70], 1.0
	v_fma_f64 v[67:68], v[67:68], v[83:84], v[67:68]
	v_fma_f64 v[83:84], -v[49:50], v[65:66], 1.0
	v_fma_f64 v[63:64], v[63:64], v[81:82], v[63:64]
	v_div_scale_f64 v[81:82], s1, 1.0, v[33:34], 1.0
	v_div_scale_f64 v[105:106], s6, 1.0, v[57:58], 1.0
	v_rcp_f64_e32 v[75:76], v[59:60]
	v_rcp_f64_e32 v[87:88], v[73:74]
	v_fma_f64 v[89:90], -v[55:56], v[71:72], 1.0
	v_fma_f64 v[69:70], v[69:70], v[85:86], v[69:70]
	v_fma_f64 v[85:86], -v[51:52], v[67:68], 1.0
	v_fma_f64 v[65:66], v[65:66], v[83:84], v[65:66]
	v_div_scale_f64 v[83:84], s2, 1.0, v[35:36], 1.0
	v_mul_f64 v[97:98], v[79:80], v[63:64]
	v_fma_f64 v[91:92], -v[59:60], v[75:76], 1.0
	v_fma_f64 v[71:72], v[71:72], v[89:90], v[71:72]
	v_fma_f64 v[77:78], -v[73:74], v[87:88], 1.0
	v_fma_f64 v[89:90], -v[53:54], v[69:70], 1.0
	v_fma_f64 v[67:68], v[67:68], v[85:86], v[67:68]
	v_div_scale_f64 v[85:86], s3, 1.0, v[37:38], 1.0
	v_mul_f64 v[99:100], v[81:82], v[65:66]
	v_fma_f64 v[47:48], -v[47:48], v[97:98], v[79:80]
	v_fma_f64 v[75:76], v[75:76], v[91:92], v[75:76]
	v_fma_f64 v[91:92], -v[55:56], v[71:72], 1.0
	v_fma_f64 v[77:78], v[87:88], v[77:78], v[87:88]
	v_fma_f64 v[69:70], v[69:70], v[89:90], v[69:70]
	v_div_scale_f64 v[89:90], s4, 1.0, v[39:40], 1.0
	v_mul_f64 v[101:102], v[83:84], v[67:68]
	v_fma_f64 v[49:50], -v[49:50], v[99:100], v[81:82]
	v_fma_f64 v[87:88], -v[59:60], v[75:76], 1.0
	v_fma_f64 v[71:72], v[71:72], v[91:92], v[71:72]
	v_fma_f64 v[91:92], -v[73:74], v[77:78], 1.0
	v_mul_f64 v[103:104], v[85:86], v[69:70]
	v_fma_f64 v[51:52], -v[51:52], v[101:102], v[83:84]
	v_fma_f64 v[75:76], v[75:76], v[87:88], v[75:76]
	v_mul_f64 v[87:88], v[93:94], v[61:62]
	v_mul_f64 v[107:108], v[89:90], v[71:72]
	v_fma_f64 v[77:78], v[77:78], v[91:92], v[77:78]
	v_fma_f64 v[53:54], -v[53:54], v[103:104], v[85:86]
	v_mul_f64 v[91:92], v[95:96], v[75:76]
	v_fma_f64 v[45:46], -v[45:46], v[87:88], v[93:94]
	v_fma_f64 v[55:56], -v[55:56], v[107:108], v[89:90]
	v_mul_f64 v[79:80], v[105:106], v[77:78]
	v_fma_f64 v[59:60], -v[59:60], v[91:92], v[95:96]
	v_div_fmas_f64 v[45:46], v[45:46], v[61:62], v[87:88]
	s_mov_b32 vcc_lo, s0
	v_fma_f64 v[61:62], -v[73:74], v[79:80], v[105:106]
	v_div_fmas_f64 v[47:48], v[47:48], v[63:64], v[97:98]
	s_mov_b32 vcc_lo, s1
	s_mov_b32 s0, 0x11111111
	v_div_fmas_f64 v[49:50], v[49:50], v[65:66], v[99:100]
	s_mov_b32 vcc_lo, s2
	s_mov_b32 s1, 0x3fa11111
	v_div_fmas_f64 v[51:52], v[51:52], v[67:68], v[101:102]
	s_mov_b32 vcc_lo, s3
	s_mov_b32 s2, 0x18618618
	v_div_fmas_f64 v[53:54], v[53:54], v[69:70], v[103:104]
	s_mov_b32 vcc_lo, s4
	s_mov_b32 s3, 0xbf986186
	v_div_fmas_f64 v[55:56], v[55:56], v[71:72], v[107:108]
	s_mov_b32 vcc_lo, s5
	v_div_fmas_f64 v[59:60], v[59:60], v[75:76], v[91:92]
	s_mov_b32 vcc_lo, s6
	v_div_fixup_f64 v[0:1], v[45:46], v[0:1], 1.0
	v_div_fmas_f64 v[61:62], v[61:62], v[77:78], v[79:80]
	v_div_fixup_f64 v[43:44], v[59:60], v[43:44], 1.0
	v_add_f64 v[0:1], v[17:18], v[0:1]
	v_div_fixup_f64 v[57:58], v[61:62], v[57:58], 1.0
	v_div_fixup_f64 v[17:18], v[47:48], v[31:32], 1.0
	v_fma_f64 v[59:60], v[43:44], s[2:3], s[0:1]
	s_mov_b32 s0, 0x55555555
	s_mov_b32 s1, 0x3fc55555
	v_add_f64 v[57:58], v[57:58], 1.0
	v_add_f64 v[0:1], v[0:1], v[17:18]
	v_div_fixup_f64 v[17:18], v[49:50], v[33:34], 1.0
	v_fma_f64 v[59:60], -v[43:44], v[59:60], s[0:1]
	s_bfe_u32 s1, s14, 0x80008
	s_cmp_lt_i32 s1, 11
	v_add_f64 v[0:1], v[0:1], v[17:18]
	v_div_fixup_f64 v[17:18], v[51:52], v[35:36], 1.0
	v_fma_f64 v[43:44], v[43:44], v[59:60], v[57:58]
	v_add_f64 v[0:1], v[0:1], v[17:18]
	v_div_fixup_f64 v[17:18], v[53:54], v[37:38], 1.0
	v_div_scale_f64 v[57:58], null, v[41:42], v[41:42], v[43:44]
	v_div_scale_f64 v[33:34], vcc_lo, v[43:44], v[41:42], v[43:44]
	v_add_f64 v[0:1], v[0:1], v[17:18]
	v_div_fixup_f64 v[17:18], v[55:56], v[39:40], 1.0
	v_rcp_f64_e32 v[59:60], v[57:58]
	v_add_f64 v[0:1], v[0:1], v[17:18]
	v_fma_f64 v[61:62], -v[57:58], v[59:60], 1.0
	v_fma_f64 v[45:46], v[59:60], v[61:62], v[59:60]
	v_fma_f64 v[31:32], -v[57:58], v[45:46], 1.0
	v_fma_f64 v[31:32], v[45:46], v[31:32], v[45:46]
	v_mul_f64 v[35:36], v[33:34], v[31:32]
	v_fma_f64 v[33:34], -v[57:58], v[35:36], v[33:34]
	v_div_fmas_f64 v[31:32], v[33:34], v[31:32], v[35:36]
	v_div_fixup_f64 v[17:18], v[31:32], v[41:42], v[43:44]
	v_add_f64 v[0:1], v[0:1], v[17:18]
	v_mul_f64 v[0:1], v[15:16], v[0:1]
	v_add_co_u32 v15, s0, s8, v2
	v_add_co_ci_u32_e64 v16, null, s9, 0, s0
	s_cbranch_scc1 .LBB49_1788
; %bb.1711:
	s_and_b32 s2, 0xffff, s1
	s_mov_b32 s5, -1
	s_mov_b32 s3, 0
	s_cmp_gt_i32 s2, 25
	s_mov_b32 s4, 0
	s_mov_b32 s0, 0
	s_cbranch_scc0 .LBB49_1744
; %bb.1712:
	s_cmp_gt_i32 s2, 28
	s_cbranch_scc0 .LBB49_1727
; %bb.1713:
	s_cmp_gt_i32 s2, 43
	;; [unrolled: 3-line block ×3, first 2 shown]
	s_cbranch_scc0 .LBB49_1717
; %bb.1715:
	s_mov_b32 s0, -1
	s_mov_b32 s5, 0
	s_cmp_eq_u32 s2, 46
	s_cbranch_scc0 .LBB49_1717
; %bb.1716:
	v_cvt_f32_f64_e32 v2, v[0:1]
	s_mov_b32 s0, 0
	s_mov_b32 s4, -1
	v_bfe_u32 v3, v2, 16, 1
	v_cmp_o_f32_e32 vcc_lo, v2, v2
	v_add3_u32 v2, v2, v3, 0x7fff
	v_mov_b32_e32 v3, 0x7fc0
	v_cndmask_b32_sdwa v2, v3, v2, vcc_lo dst_sel:DWORD dst_unused:UNUSED_PAD src0_sel:DWORD src1_sel:WORD_1
	global_store_dword v[15:16], v2, off
.LBB49_1717:
	s_and_b32 vcc_lo, exec_lo, s5
	s_cbranch_vccz .LBB49_1722
; %bb.1718:
	s_cmp_eq_u32 s2, 44
	s_mov_b32 s0, -1
	s_cbranch_scc0 .LBB49_1722
; %bb.1719:
	v_cvt_f32_f64_e32 v2, v[0:1]
	v_mov_b32_e32 v3, 0xff
	s_mov_b32 s4, exec_lo
	v_bfe_u32 v5, v2, 23, 8
	v_cmpx_ne_u32_e32 0xff, v5
	s_cbranch_execz .LBB49_1721
; %bb.1720:
	v_and_b32_e32 v3, 0x400000, v2
	v_and_or_b32 v5, 0x3fffff, v2, v5
	v_lshrrev_b32_e32 v2, 23, v2
	v_cmp_ne_u32_e32 vcc_lo, 0, v3
	v_cmp_ne_u32_e64 s0, 0, v5
	s_and_b32 s0, vcc_lo, s0
	v_cndmask_b32_e64 v3, 0, 1, s0
	v_add_nc_u32_e32 v3, v2, v3
.LBB49_1721:
	s_or_b32 exec_lo, exec_lo, s4
	s_mov_b32 s0, 0
	s_mov_b32 s4, -1
	global_store_byte v[15:16], v3, off
.LBB49_1722:
	s_mov_b32 s5, 0
.LBB49_1723:
	s_and_b32 vcc_lo, exec_lo, s5
	s_cbranch_vccz .LBB49_1726
; %bb.1724:
	s_cmp_eq_u32 s2, 29
	s_mov_b32 s0, -1
	s_cbranch_scc0 .LBB49_1726
; %bb.1725:
	v_trunc_f64_e32 v[2:3], v[0:1]
	s_mov_b32 s0, 0
	s_mov_b32 s4, -1
	v_ldexp_f64 v[17:18], v[2:3], 0xffffffe0
	v_floor_f64_e32 v[17:18], v[17:18]
	v_fma_f64 v[2:3], 0xc1f00000, v[17:18], v[2:3]
	v_cvt_u32_f64_e32 v18, v[17:18]
	v_cvt_u32_f64_e32 v17, v[2:3]
	global_store_dwordx2 v[15:16], v[17:18], off
.LBB49_1726:
	s_mov_b32 s5, 0
.LBB49_1727:
	s_and_b32 vcc_lo, exec_lo, s5
	s_cbranch_vccz .LBB49_1743
; %bb.1728:
	s_cmp_lt_i32 s2, 27
	s_mov_b32 s4, -1
	s_cbranch_scc1 .LBB49_1734
; %bb.1729:
	v_cvt_u32_f64_e32 v2, v[0:1]
	s_cmp_gt_i32 s2, 27
	s_cbranch_scc0 .LBB49_1731
; %bb.1730:
	s_mov_b32 s4, 0
	global_store_dword v[15:16], v2, off
.LBB49_1731:
	s_andn2_b32 vcc_lo, exec_lo, s4
	s_cbranch_vccnz .LBB49_1733
; %bb.1732:
	global_store_short v[15:16], v2, off
.LBB49_1733:
	s_mov_b32 s4, 0
.LBB49_1734:
	s_andn2_b32 vcc_lo, exec_lo, s4
	s_cbranch_vccnz .LBB49_1742
; %bb.1735:
	v_cvt_f32_f64_e32 v2, v[0:1]
	v_mov_b32_e32 v5, 0x80
	s_mov_b32 s4, exec_lo
	v_and_b32_e32 v3, 0x7fffffff, v2
	v_cmpx_gt_u32_e32 0x43800000, v3
	s_cbranch_execz .LBB49_1741
; %bb.1736:
	v_cmp_lt_u32_e32 vcc_lo, 0x3bffffff, v3
	s_mov_b32 s5, 0
                                        ; implicit-def: $vgpr3
	s_and_saveexec_b32 s6, vcc_lo
	s_xor_b32 s6, exec_lo, s6
	s_cbranch_execz .LBB49_2190
; %bb.1737:
	v_bfe_u32 v3, v2, 20, 1
	s_mov_b32 s5, exec_lo
	v_add3_u32 v3, v2, v3, 0x487ffff
	v_lshrrev_b32_e32 v3, 20, v3
	s_andn2_saveexec_b32 s6, s6
	s_cbranch_execnz .LBB49_2191
.LBB49_1738:
	s_or_b32 exec_lo, exec_lo, s6
	v_mov_b32_e32 v5, 0
	s_and_saveexec_b32 s6, s5
.LBB49_1739:
	v_lshrrev_b32_e32 v2, 24, v2
	v_and_or_b32 v5, 0x80, v2, v3
.LBB49_1740:
	s_or_b32 exec_lo, exec_lo, s6
.LBB49_1741:
	s_or_b32 exec_lo, exec_lo, s4
	global_store_byte v[15:16], v5, off
.LBB49_1742:
	s_mov_b32 s4, -1
.LBB49_1743:
	s_mov_b32 s5, 0
.LBB49_1744:
	s_and_b32 vcc_lo, exec_lo, s5
	s_cbranch_vccz .LBB49_1784
; %bb.1745:
	s_cmp_gt_i32 s2, 22
	s_mov_b32 s3, -1
	s_cbranch_scc0 .LBB49_1777
; %bb.1746:
	s_cmp_lt_i32 s2, 24
	s_cbranch_scc1 .LBB49_1766
; %bb.1747:
	s_cmp_gt_i32 s2, 24
	s_cbranch_scc0 .LBB49_1755
; %bb.1748:
	v_cvt_f32_f64_e32 v2, v[0:1]
	v_mov_b32_e32 v5, 0x80
	s_mov_b32 s3, exec_lo
	v_and_b32_e32 v3, 0x7fffffff, v2
	v_cmpx_gt_u32_e32 0x47800000, v3
	s_cbranch_execz .LBB49_1754
; %bb.1749:
	v_cmp_lt_u32_e32 vcc_lo, 0x37ffffff, v3
	s_mov_b32 s4, 0
                                        ; implicit-def: $vgpr3
	s_and_saveexec_b32 s5, vcc_lo
	s_xor_b32 s5, exec_lo, s5
	s_cbranch_execz .LBB49_2193
; %bb.1750:
	v_bfe_u32 v3, v2, 21, 1
	s_mov_b32 s4, exec_lo
	v_add3_u32 v3, v2, v3, 0x88fffff
	v_lshrrev_b32_e32 v3, 21, v3
	s_andn2_saveexec_b32 s5, s5
	s_cbranch_execnz .LBB49_2194
.LBB49_1751:
	s_or_b32 exec_lo, exec_lo, s5
	v_mov_b32_e32 v5, 0
	s_and_saveexec_b32 s5, s4
.LBB49_1752:
	v_lshrrev_b32_e32 v2, 24, v2
	v_and_or_b32 v5, 0x80, v2, v3
.LBB49_1753:
	s_or_b32 exec_lo, exec_lo, s5
.LBB49_1754:
	s_or_b32 exec_lo, exec_lo, s3
	s_mov_b32 s3, 0
	global_store_byte v[15:16], v5, off
.LBB49_1755:
	s_and_b32 vcc_lo, exec_lo, s3
	s_cbranch_vccz .LBB49_1765
; %bb.1756:
	v_cvt_f32_f64_e32 v2, v[0:1]
	s_mov_b32 s3, exec_lo
                                        ; implicit-def: $vgpr3
	v_and_b32_e32 v5, 0x7fffffff, v2
	v_cmpx_gt_u32_e32 0x43f00000, v5
	s_xor_b32 s3, exec_lo, s3
	s_cbranch_execz .LBB49_1762
; %bb.1757:
	s_mov_b32 s4, exec_lo
                                        ; implicit-def: $vgpr3
	v_cmpx_lt_u32_e32 0x3c7fffff, v5
	s_xor_b32 s4, exec_lo, s4
; %bb.1758:
	v_bfe_u32 v3, v2, 20, 1
	v_add3_u32 v3, v2, v3, 0x407ffff
	v_and_b32_e32 v5, 0xff00000, v3
	v_lshrrev_b32_e32 v3, 20, v3
	v_cmp_ne_u32_e32 vcc_lo, 0x7f00000, v5
	v_cndmask_b32_e32 v3, 0x7e, v3, vcc_lo
; %bb.1759:
	s_andn2_saveexec_b32 s4, s4
; %bb.1760:
	v_add_f32_e64 v3, 0x46800000, |v2|
; %bb.1761:
	s_or_b32 exec_lo, exec_lo, s4
                                        ; implicit-def: $vgpr5
.LBB49_1762:
	s_andn2_saveexec_b32 s3, s3
; %bb.1763:
	v_mov_b32_e32 v3, 0x7f
	v_cmp_lt_u32_e32 vcc_lo, 0x7f800000, v5
	v_cndmask_b32_e32 v3, 0x7e, v3, vcc_lo
; %bb.1764:
	s_or_b32 exec_lo, exec_lo, s3
	v_lshrrev_b32_e32 v2, 24, v2
	v_and_or_b32 v2, 0x80, v2, v3
	global_store_byte v[15:16], v2, off
.LBB49_1765:
	s_mov_b32 s3, 0
.LBB49_1766:
	s_andn2_b32 vcc_lo, exec_lo, s3
	s_cbranch_vccnz .LBB49_1776
; %bb.1767:
	v_cvt_f32_f64_e32 v2, v[0:1]
	s_mov_b32 s3, exec_lo
                                        ; implicit-def: $vgpr3
	v_and_b32_e32 v5, 0x7fffffff, v2
	v_cmpx_gt_u32_e32 0x47800000, v5
	s_xor_b32 s3, exec_lo, s3
	s_cbranch_execz .LBB49_1773
; %bb.1768:
	s_mov_b32 s4, exec_lo
                                        ; implicit-def: $vgpr3
	v_cmpx_lt_u32_e32 0x387fffff, v5
	s_xor_b32 s4, exec_lo, s4
; %bb.1769:
	v_bfe_u32 v3, v2, 21, 1
	v_add3_u32 v3, v2, v3, 0x80fffff
	v_lshrrev_b32_e32 v3, 21, v3
; %bb.1770:
	s_andn2_saveexec_b32 s4, s4
; %bb.1771:
	v_add_f32_e64 v3, 0x43000000, |v2|
; %bb.1772:
	s_or_b32 exec_lo, exec_lo, s4
                                        ; implicit-def: $vgpr5
.LBB49_1773:
	s_andn2_saveexec_b32 s3, s3
; %bb.1774:
	v_mov_b32_e32 v3, 0x7f
	v_cmp_lt_u32_e32 vcc_lo, 0x7f800000, v5
	v_cndmask_b32_e32 v3, 0x7c, v3, vcc_lo
; %bb.1775:
	s_or_b32 exec_lo, exec_lo, s3
	v_lshrrev_b32_e32 v2, 24, v2
	v_and_or_b32 v2, 0x80, v2, v3
	global_store_byte v[15:16], v2, off
.LBB49_1776:
	s_mov_b32 s3, 0
	s_mov_b32 s4, -1
.LBB49_1777:
	s_andn2_b32 vcc_lo, exec_lo, s3
	s_mov_b32 s3, 0
	s_cbranch_vccnz .LBB49_1784
; %bb.1778:
	s_cmp_gt_i32 s2, 14
	s_mov_b32 s3, -1
	s_cbranch_scc0 .LBB49_1782
; %bb.1779:
	s_cmp_eq_u32 s2, 15
	s_mov_b32 s0, -1
	s_cbranch_scc0 .LBB49_1781
; %bb.1780:
	v_cvt_f32_f64_e32 v2, v[0:1]
	s_mov_b32 s0, 0
	s_mov_b32 s4, -1
	v_bfe_u32 v3, v2, 16, 1
	v_cmp_o_f32_e32 vcc_lo, v2, v2
	v_add3_u32 v2, v2, v3, 0x7fff
	v_mov_b32_e32 v3, 0x7fc0
	v_cndmask_b32_sdwa v2, v3, v2, vcc_lo dst_sel:DWORD dst_unused:UNUSED_PAD src0_sel:DWORD src1_sel:WORD_1
	global_store_short v[15:16], v2, off
.LBB49_1781:
	s_mov_b32 s3, 0
.LBB49_1782:
	s_and_b32 vcc_lo, exec_lo, s3
	s_mov_b32 s3, 0
	s_cbranch_vccz .LBB49_1784
; %bb.1783:
	s_cmp_lg_u32 s2, 11
	s_mov_b32 s3, -1
	s_cselect_b32 s0, -1, 0
.LBB49_1784:
	s_and_b32 vcc_lo, exec_lo, s0
	s_cbranch_vccnz .LBB49_2192
; %bb.1785:
	s_andn2_b32 vcc_lo, exec_lo, s3
	s_cbranch_vccnz .LBB49_1787
.LBB49_1786:
	v_cmp_neq_f64_e32 vcc_lo, 0, v[0:1]
	s_mov_b32 s4, -1
	v_cndmask_b32_e64 v2, 0, 1, vcc_lo
	global_store_byte v[15:16], v2, off
.LBB49_1787:
	s_mov_b32 s0, 0
	s_branch .LBB49_1789
.LBB49_1788:
	s_mov_b32 s0, -1
	s_mov_b32 s4, 0
.LBB49_1789:
	s_and_b32 vcc_lo, exec_lo, s0
	s_cbranch_vccz .LBB49_1828
; %bb.1790:
	s_and_b32 s0, 0xffff, s1
	s_mov_b32 s1, -1
	s_cmp_lt_i32 s0, 5
	s_cbranch_scc1 .LBB49_1811
; %bb.1791:
	s_cmp_lt_i32 s0, 8
	s_cbranch_scc1 .LBB49_1801
; %bb.1792:
	;; [unrolled: 3-line block ×3, first 2 shown]
	s_cmp_gt_i32 s0, 9
	s_cbranch_scc0 .LBB49_1795
; %bb.1794:
	v_mov_b32_e32 v2, 0
	s_mov_b32 s1, 0
	v_mov_b32_e32 v3, v2
	global_store_dwordx4 v[15:16], v[0:3], off
.LBB49_1795:
	s_andn2_b32 vcc_lo, exec_lo, s1
	s_cbranch_vccnz .LBB49_1797
; %bb.1796:
	v_cvt_f32_f64_e32 v2, v[0:1]
	v_mov_b32_e32 v3, 0
	global_store_dwordx2 v[15:16], v[2:3], off
.LBB49_1797:
	s_mov_b32 s1, 0
.LBB49_1798:
	s_andn2_b32 vcc_lo, exec_lo, s1
	s_cbranch_vccnz .LBB49_1800
; %bb.1799:
	v_and_or_b32 v2, 0x1ff, v1, v0
	v_lshrrev_b32_e32 v3, 8, v1
	v_bfe_u32 v5, v1, 20, 11
	v_cmp_ne_u32_e32 vcc_lo, 0, v2
	v_sub_nc_u32_e32 v7, 0x3f1, v5
	v_add_nc_u32_e32 v5, 0xfffffc10, v5
	v_cndmask_b32_e64 v2, 0, 1, vcc_lo
	v_and_or_b32 v2, 0xffe, v3, v2
	v_med3_i32 v3, v7, 0, 13
	v_or_b32_e32 v7, 0x1000, v2
	v_lshrrev_b32_e32 v17, v3, v7
	v_lshlrev_b32_e32 v3, v3, v17
	v_cmp_ne_u32_e32 vcc_lo, v3, v7
	v_lshl_or_b32 v7, v5, 12, v2
	v_cndmask_b32_e64 v3, 0, 1, vcc_lo
	v_cmp_gt_i32_e32 vcc_lo, 1, v5
	v_or_b32_e32 v3, v17, v3
	v_cndmask_b32_e32 v3, v7, v3, vcc_lo
	v_and_b32_e32 v7, 7, v3
	v_lshrrev_b32_e32 v3, 2, v3
	v_cmp_lt_i32_e32 vcc_lo, 5, v7
	v_cndmask_b32_e64 v17, 0, 1, vcc_lo
	v_cmp_eq_u32_e32 vcc_lo, 3, v7
	v_cndmask_b32_e64 v7, 0, 1, vcc_lo
	v_cmp_ne_u32_e32 vcc_lo, 0, v2
	v_or_b32_e32 v7, v7, v17
	v_mov_b32_e32 v17, 0x7e00
	v_add_nc_u32_e32 v3, v3, v7
	v_cndmask_b32_e32 v2, 0x7c00, v17, vcc_lo
	v_cmp_gt_i32_e32 vcc_lo, 31, v5
	v_cndmask_b32_e32 v3, 0x7c00, v3, vcc_lo
	v_cmp_eq_u32_e32 vcc_lo, 0x40f, v5
	v_cndmask_b32_e32 v2, v3, v2, vcc_lo
	v_lshrrev_b32_e32 v3, 16, v1
	v_and_or_b32 v2, 0x8000, v3, v2
	v_and_b32_e32 v2, 0xffff, v2
	global_store_dword v[15:16], v2, off
.LBB49_1800:
	s_mov_b32 s1, 0
.LBB49_1801:
	s_andn2_b32 vcc_lo, exec_lo, s1
	s_cbranch_vccnz .LBB49_1810
; %bb.1802:
	s_cmp_lt_i32 s0, 6
	s_mov_b32 s1, -1
	s_cbranch_scc1 .LBB49_1808
; %bb.1803:
	s_cmp_gt_i32 s0, 6
	s_cbranch_scc0 .LBB49_1805
; %bb.1804:
	s_mov_b32 s1, 0
	global_store_dwordx2 v[15:16], v[0:1], off
.LBB49_1805:
	s_andn2_b32 vcc_lo, exec_lo, s1
	s_cbranch_vccnz .LBB49_1807
; %bb.1806:
	v_cvt_f32_f64_e32 v2, v[0:1]
	global_store_dword v[15:16], v2, off
.LBB49_1807:
	s_mov_b32 s1, 0
.LBB49_1808:
	s_andn2_b32 vcc_lo, exec_lo, s1
	s_cbranch_vccnz .LBB49_1810
; %bb.1809:
	v_and_or_b32 v2, 0x1ff, v1, v0
	v_lshrrev_b32_e32 v3, 8, v1
	v_bfe_u32 v5, v1, 20, 11
	v_cmp_ne_u32_e32 vcc_lo, 0, v2
	v_sub_nc_u32_e32 v7, 0x3f1, v5
	v_add_nc_u32_e32 v5, 0xfffffc10, v5
	v_cndmask_b32_e64 v2, 0, 1, vcc_lo
	v_and_or_b32 v2, 0xffe, v3, v2
	v_med3_i32 v3, v7, 0, 13
	v_or_b32_e32 v7, 0x1000, v2
	v_lshrrev_b32_e32 v17, v3, v7
	v_lshlrev_b32_e32 v3, v3, v17
	v_cmp_ne_u32_e32 vcc_lo, v3, v7
	v_lshl_or_b32 v7, v5, 12, v2
	v_cndmask_b32_e64 v3, 0, 1, vcc_lo
	v_cmp_gt_i32_e32 vcc_lo, 1, v5
	v_or_b32_e32 v3, v17, v3
	v_cndmask_b32_e32 v3, v7, v3, vcc_lo
	v_and_b32_e32 v7, 7, v3
	v_lshrrev_b32_e32 v3, 2, v3
	v_cmp_lt_i32_e32 vcc_lo, 5, v7
	v_cndmask_b32_e64 v17, 0, 1, vcc_lo
	v_cmp_eq_u32_e32 vcc_lo, 3, v7
	v_cndmask_b32_e64 v7, 0, 1, vcc_lo
	v_cmp_ne_u32_e32 vcc_lo, 0, v2
	v_or_b32_e32 v7, v7, v17
	v_mov_b32_e32 v17, 0x7e00
	v_add_nc_u32_e32 v3, v3, v7
	v_cndmask_b32_e32 v2, 0x7c00, v17, vcc_lo
	v_cmp_gt_i32_e32 vcc_lo, 31, v5
	v_cndmask_b32_e32 v3, 0x7c00, v3, vcc_lo
	v_cmp_eq_u32_e32 vcc_lo, 0x40f, v5
	v_cndmask_b32_e32 v2, v3, v2, vcc_lo
	v_lshrrev_b32_e32 v3, 16, v1
	v_and_or_b32 v2, 0x8000, v3, v2
	global_store_short v[15:16], v2, off
.LBB49_1810:
	s_mov_b32 s1, 0
.LBB49_1811:
	s_andn2_b32 vcc_lo, exec_lo, s1
	s_cbranch_vccnz .LBB49_1827
; %bb.1812:
	s_cmp_lt_i32 s0, 2
	s_mov_b32 s1, -1
	s_cbranch_scc1 .LBB49_1822
; %bb.1813:
	s_cmp_lt_i32 s0, 3
	s_cbranch_scc1 .LBB49_1819
; %bb.1814:
	s_cmp_gt_i32 s0, 3
	s_cbranch_scc0 .LBB49_1816
; %bb.1815:
	v_trunc_f64_e32 v[2:3], v[0:1]
	s_mov_b32 s1, 0
	v_ldexp_f64 v[17:18], v[2:3], 0xffffffe0
	v_floor_f64_e32 v[17:18], v[17:18]
	v_fma_f64 v[2:3], 0xc1f00000, v[17:18], v[2:3]
	v_cvt_i32_f64_e32 v18, v[17:18]
	v_cvt_u32_f64_e32 v17, v[2:3]
	global_store_dwordx2 v[15:16], v[17:18], off
.LBB49_1816:
	s_andn2_b32 vcc_lo, exec_lo, s1
	s_cbranch_vccnz .LBB49_1818
; %bb.1817:
	v_cvt_i32_f64_e32 v2, v[0:1]
	global_store_dword v[15:16], v2, off
.LBB49_1818:
	s_mov_b32 s1, 0
.LBB49_1819:
	s_andn2_b32 vcc_lo, exec_lo, s1
	s_cbranch_vccnz .LBB49_1821
; %bb.1820:
	v_cvt_i32_f64_e32 v2, v[0:1]
	global_store_short v[15:16], v2, off
.LBB49_1821:
	s_mov_b32 s1, 0
.LBB49_1822:
	s_andn2_b32 vcc_lo, exec_lo, s1
	s_cbranch_vccnz .LBB49_1827
; %bb.1823:
	s_cmp_gt_i32 s0, 0
	s_mov_b32 s0, -1
	s_cbranch_scc0 .LBB49_1825
; %bb.1824:
	v_cvt_i32_f64_e32 v2, v[0:1]
	s_mov_b32 s0, 0
	global_store_byte v[15:16], v2, off
.LBB49_1825:
	s_andn2_b32 vcc_lo, exec_lo, s0
	s_cbranch_vccnz .LBB49_1827
; %bb.1826:
	v_trunc_f64_e32 v[0:1], v[0:1]
	v_ldexp_f64 v[2:3], v[0:1], 0xffffffe0
	v_floor_f64_e32 v[2:3], v[2:3]
	v_fma_f64 v[0:1], 0xc1f00000, v[2:3], v[0:1]
	v_cvt_u32_f64_e32 v0, v[0:1]
	global_store_byte v[15:16], v0, off
.LBB49_1827:
	s_mov_b32 s4, -1
.LBB49_1828:
	s_andn2_b32 vcc_lo, exec_lo, s4
	s_cbranch_vccnz .LBB49_2143
; %bb.1829:
	v_add_f64 v[0:1], v[9:10], 1.0
	v_mul_f64 v[9:10], v[9:10], v[9:10]
	v_add_f64 v[2:3], v[0:1], 1.0
	v_mul_f64 v[0:1], v[0:1], v[0:1]
	v_div_scale_f64 v[37:38], null, v[9:10], v[9:10], 1.0
	v_div_scale_f64 v[85:86], vcc_lo, 1.0, v[9:10], 1.0
	v_add_f64 v[15:16], v[2:3], 1.0
	v_mul_f64 v[2:3], v[2:3], v[2:3]
	v_div_scale_f64 v[39:40], null, v[0:1], v[0:1], 1.0
	v_rcp_f64_e32 v[53:54], v[37:38]
	v_add_f64 v[17:18], v[15:16], 1.0
	v_mul_f64 v[15:16], v[15:16], v[15:16]
	v_div_scale_f64 v[41:42], null, v[2:3], v[2:3], 1.0
	v_rcp_f64_e32 v[55:56], v[39:40]
	v_fma_f64 v[69:70], -v[37:38], v[53:54], 1.0
	v_add_f64 v[31:32], v[17:18], 1.0
	v_mul_f64 v[17:18], v[17:18], v[17:18]
	v_div_scale_f64 v[43:44], null, v[15:16], v[15:16], 1.0
	v_rcp_f64_e32 v[57:58], v[41:42]
	v_fma_f64 v[71:72], -v[39:40], v[55:56], 1.0
	v_fma_f64 v[53:54], v[53:54], v[69:70], v[53:54]
	v_add_f64 v[33:34], v[31:32], 1.0
	v_mul_f64 v[31:32], v[31:32], v[31:32]
	v_div_scale_f64 v[45:46], null, v[17:18], v[17:18], 1.0
	v_rcp_f64_e32 v[59:60], v[43:44]
	v_fma_f64 v[73:74], -v[41:42], v[57:58], 1.0
	v_fma_f64 v[55:56], v[55:56], v[71:72], v[55:56]
	v_fma_f64 v[71:72], -v[37:38], v[53:54], 1.0
	v_mul_f64 v[35:36], v[33:34], v[33:34]
	v_div_scale_f64 v[47:48], null, v[31:32], v[31:32], 1.0
	v_add_f64 v[49:50], v[33:34], v[33:34]
	v_rcp_f64_e32 v[61:62], v[45:46]
	v_fma_f64 v[75:76], -v[43:44], v[59:60], 1.0
	v_fma_f64 v[57:58], v[57:58], v[73:74], v[57:58]
	v_fma_f64 v[73:74], -v[39:40], v[55:56], 1.0
	v_fma_f64 v[53:54], v[53:54], v[71:72], v[53:54]
	v_div_scale_f64 v[71:72], s0, 1.0, v[0:1], 1.0
	v_div_scale_f64 v[51:52], null, v[35:36], v[35:36], 1.0
	v_rcp_f64_e32 v[63:64], v[47:48]
	v_div_scale_f64 v[65:66], null, v[49:50], v[49:50], 1.0
	v_div_scale_f64 v[87:88], s5, 1.0, v[35:36], 1.0
	v_fma_f64 v[77:78], -v[45:46], v[61:62], 1.0
	v_fma_f64 v[59:60], v[59:60], v[75:76], v[59:60]
	v_fma_f64 v[75:76], -v[41:42], v[57:58], 1.0
	v_fma_f64 v[55:56], v[55:56], v[73:74], v[55:56]
	v_div_scale_f64 v[73:74], s1, 1.0, v[2:3], 1.0
	v_div_scale_f64 v[97:98], s6, 1.0, v[49:50], 1.0
	v_rcp_f64_e32 v[67:68], v[51:52]
	v_rcp_f64_e32 v[79:80], v[65:66]
	v_fma_f64 v[81:82], -v[47:48], v[63:64], 1.0
	v_fma_f64 v[61:62], v[61:62], v[77:78], v[61:62]
	v_fma_f64 v[77:78], -v[43:44], v[59:60], 1.0
	v_fma_f64 v[57:58], v[57:58], v[75:76], v[57:58]
	v_div_scale_f64 v[75:76], s2, 1.0, v[15:16], 1.0
	v_mul_f64 v[89:90], v[71:72], v[55:56]
	v_fma_f64 v[83:84], -v[51:52], v[67:68], 1.0
	v_fma_f64 v[63:64], v[63:64], v[81:82], v[63:64]
	v_fma_f64 v[69:70], -v[65:66], v[79:80], 1.0
	v_fma_f64 v[81:82], -v[45:46], v[61:62], 1.0
	v_fma_f64 v[59:60], v[59:60], v[77:78], v[59:60]
	v_div_scale_f64 v[77:78], s3, 1.0, v[17:18], 1.0
	v_mul_f64 v[91:92], v[73:74], v[57:58]
	v_fma_f64 v[39:40], -v[39:40], v[89:90], v[71:72]
	v_fma_f64 v[67:68], v[67:68], v[83:84], v[67:68]
	v_fma_f64 v[83:84], -v[47:48], v[63:64], 1.0
	v_fma_f64 v[69:70], v[79:80], v[69:70], v[79:80]
	v_fma_f64 v[61:62], v[61:62], v[81:82], v[61:62]
	v_div_scale_f64 v[81:82], s4, 1.0, v[31:32], 1.0
	v_mul_f64 v[93:94], v[75:76], v[59:60]
	v_fma_f64 v[41:42], -v[41:42], v[91:92], v[73:74]
	v_fma_f64 v[79:80], -v[51:52], v[67:68], 1.0
	v_fma_f64 v[63:64], v[63:64], v[83:84], v[63:64]
	v_fma_f64 v[83:84], -v[65:66], v[69:70], 1.0
	v_mul_f64 v[95:96], v[77:78], v[61:62]
	v_fma_f64 v[43:44], -v[43:44], v[93:94], v[75:76]
	v_fma_f64 v[67:68], v[67:68], v[79:80], v[67:68]
	v_mul_f64 v[79:80], v[85:86], v[53:54]
	v_mul_f64 v[99:100], v[81:82], v[63:64]
	v_fma_f64 v[69:70], v[69:70], v[83:84], v[69:70]
	v_fma_f64 v[45:46], -v[45:46], v[95:96], v[77:78]
	v_mul_f64 v[83:84], v[87:88], v[67:68]
	v_fma_f64 v[37:38], -v[37:38], v[79:80], v[85:86]
	v_fma_f64 v[47:48], -v[47:48], v[99:100], v[81:82]
	v_mul_f64 v[71:72], v[97:98], v[69:70]
	v_fma_f64 v[51:52], -v[51:52], v[83:84], v[87:88]
	v_div_fmas_f64 v[37:38], v[37:38], v[53:54], v[79:80]
	s_mov_b32 vcc_lo, s0
	v_fma_f64 v[53:54], -v[65:66], v[71:72], v[97:98]
	v_div_fmas_f64 v[39:40], v[39:40], v[55:56], v[89:90]
	s_mov_b32 vcc_lo, s1
	s_mov_b32 s0, 0x11111111
	v_div_fmas_f64 v[41:42], v[41:42], v[57:58], v[91:92]
	s_mov_b32 vcc_lo, s2
	s_mov_b32 s1, 0x3fa11111
	;; [unrolled: 3-line block ×4, first 2 shown]
	v_div_fmas_f64 v[47:48], v[47:48], v[63:64], v[99:100]
	s_mov_b32 vcc_lo, s5
	v_div_fmas_f64 v[51:52], v[51:52], v[67:68], v[83:84]
	s_mov_b32 vcc_lo, s6
	v_div_fixup_f64 v[9:10], v[37:38], v[9:10], 1.0
	v_div_fmas_f64 v[53:54], v[53:54], v[69:70], v[71:72]
	v_div_fixup_f64 v[0:1], v[39:40], v[0:1], 1.0
	v_div_fixup_f64 v[2:3], v[41:42], v[2:3], 1.0
	;; [unrolled: 1-line block ×3, first 2 shown]
	v_add_f64 v[9:10], v[21:22], v[9:10]
	v_div_fixup_f64 v[49:50], v[53:54], v[49:50], 1.0
	v_fma_f64 v[51:52], v[35:36], s[2:3], s[0:1]
	s_mov_b32 s0, 0x55555555
	s_mov_b32 s1, 0x3fc55555
	v_add_f64 v[49:50], v[49:50], 1.0
	v_add_f64 v[0:1], v[9:10], v[0:1]
	v_fma_f64 v[51:52], -v[35:36], v[51:52], s[0:1]
	s_lshr_b32 s0, s14, 8
	s_and_b32 s14, s0, 0xff
	v_add_f64 v[0:1], v[0:1], v[2:3]
	v_div_fixup_f64 v[2:3], v[43:44], v[15:16], 1.0
	v_add_co_u32 v7, s0, s8, v8
	v_add_co_ci_u32_e64 v8, null, s9, 0, s0
	s_cmp_lt_i32 s14, 11
	v_fma_f64 v[35:36], v[35:36], v[51:52], v[49:50]
	v_add_f64 v[0:1], v[0:1], v[2:3]
	v_div_fixup_f64 v[2:3], v[45:46], v[17:18], 1.0
	v_div_scale_f64 v[49:50], null, v[33:34], v[33:34], v[35:36]
	v_add_f64 v[0:1], v[0:1], v[2:3]
	v_div_fixup_f64 v[2:3], v[47:48], v[31:32], 1.0
	v_rcp_f64_e32 v[51:52], v[49:50]
	v_add_f64 v[0:1], v[0:1], v[2:3]
	v_fma_f64 v[53:54], -v[49:50], v[51:52], 1.0
	v_fma_f64 v[37:38], v[51:52], v[53:54], v[51:52]
	v_fma_f64 v[21:22], -v[49:50], v[37:38], 1.0
	v_fma_f64 v[9:10], v[37:38], v[21:22], v[37:38]
	v_div_scale_f64 v[21:22], vcc_lo, v[35:36], v[33:34], v[35:36]
	v_mul_f64 v[15:16], v[21:22], v[9:10]
	v_fma_f64 v[17:18], -v[49:50], v[15:16], v[21:22]
	v_div_fmas_f64 v[9:10], v[17:18], v[9:10], v[15:16]
	v_div_fixup_f64 v[2:3], v[9:10], v[33:34], v[35:36]
	v_add_f64 v[0:1], v[0:1], v[2:3]
	v_mul_f64 v[0:1], v[19:20], v[0:1]
	s_cbranch_scc1 .LBB49_1907
; %bb.1830:
	s_and_b32 s1, 0xffff, s14
	s_mov_b32 s4, -1
	s_mov_b32 s2, 0
	s_cmp_gt_i32 s1, 25
	s_mov_b32 s3, 0
	s_mov_b32 s0, 0
	s_cbranch_scc0 .LBB49_1863
; %bb.1831:
	s_cmp_gt_i32 s1, 28
	s_cbranch_scc0 .LBB49_1846
; %bb.1832:
	s_cmp_gt_i32 s1, 43
	;; [unrolled: 3-line block ×3, first 2 shown]
	s_cbranch_scc0 .LBB49_1836
; %bb.1834:
	s_mov_b32 s0, -1
	s_mov_b32 s4, 0
	s_cmp_eq_u32 s1, 46
	s_cbranch_scc0 .LBB49_1836
; %bb.1835:
	v_cvt_f32_f64_e32 v2, v[0:1]
	s_mov_b32 s0, 0
	s_mov_b32 s3, -1
	v_bfe_u32 v3, v2, 16, 1
	v_cmp_o_f32_e32 vcc_lo, v2, v2
	v_add3_u32 v2, v2, v3, 0x7fff
	v_mov_b32_e32 v3, 0x7fc0
	v_cndmask_b32_sdwa v2, v3, v2, vcc_lo dst_sel:DWORD dst_unused:UNUSED_PAD src0_sel:DWORD src1_sel:WORD_1
	global_store_dword v[7:8], v2, off
.LBB49_1836:
	s_and_b32 vcc_lo, exec_lo, s4
	s_cbranch_vccz .LBB49_1841
; %bb.1837:
	s_cmp_eq_u32 s1, 44
	s_mov_b32 s0, -1
	s_cbranch_scc0 .LBB49_1841
; %bb.1838:
	v_cvt_f32_f64_e32 v2, v[0:1]
	v_mov_b32_e32 v3, 0xff
	s_mov_b32 s3, exec_lo
	v_bfe_u32 v5, v2, 23, 8
	v_cmpx_ne_u32_e32 0xff, v5
	s_cbranch_execz .LBB49_1840
; %bb.1839:
	v_and_b32_e32 v3, 0x400000, v2
	v_and_or_b32 v5, 0x3fffff, v2, v5
	v_lshrrev_b32_e32 v2, 23, v2
	v_cmp_ne_u32_e32 vcc_lo, 0, v3
	v_cmp_ne_u32_e64 s0, 0, v5
	s_and_b32 s0, vcc_lo, s0
	v_cndmask_b32_e64 v3, 0, 1, s0
	v_add_nc_u32_e32 v3, v2, v3
.LBB49_1840:
	s_or_b32 exec_lo, exec_lo, s3
	s_mov_b32 s0, 0
	s_mov_b32 s3, -1
	global_store_byte v[7:8], v3, off
.LBB49_1841:
	s_mov_b32 s4, 0
.LBB49_1842:
	s_and_b32 vcc_lo, exec_lo, s4
	s_cbranch_vccz .LBB49_1845
; %bb.1843:
	s_cmp_eq_u32 s1, 29
	s_mov_b32 s0, -1
	s_cbranch_scc0 .LBB49_1845
; %bb.1844:
	v_trunc_f64_e32 v[2:3], v[0:1]
	s_mov_b32 s0, 0
	s_mov_b32 s3, -1
	v_ldexp_f64 v[9:10], v[2:3], 0xffffffe0
	v_floor_f64_e32 v[9:10], v[9:10]
	v_fma_f64 v[2:3], 0xc1f00000, v[9:10], v[2:3]
	v_cvt_u32_f64_e32 v10, v[9:10]
	v_cvt_u32_f64_e32 v9, v[2:3]
	global_store_dwordx2 v[7:8], v[9:10], off
.LBB49_1845:
	s_mov_b32 s4, 0
.LBB49_1846:
	s_and_b32 vcc_lo, exec_lo, s4
	s_cbranch_vccz .LBB49_1862
; %bb.1847:
	s_cmp_lt_i32 s1, 27
	s_mov_b32 s3, -1
	s_cbranch_scc1 .LBB49_1853
; %bb.1848:
	s_cmp_gt_i32 s1, 27
	s_cbranch_scc0 .LBB49_1850
; %bb.1849:
	v_cvt_u32_f64_e32 v2, v[0:1]
	s_mov_b32 s3, 0
	global_store_dword v[7:8], v2, off
.LBB49_1850:
	s_andn2_b32 vcc_lo, exec_lo, s3
	s_cbranch_vccnz .LBB49_1852
; %bb.1851:
	v_cvt_u32_f64_e32 v2, v[0:1]
	global_store_short v[7:8], v2, off
.LBB49_1852:
	s_mov_b32 s3, 0
.LBB49_1853:
	s_andn2_b32 vcc_lo, exec_lo, s3
	s_cbranch_vccnz .LBB49_1861
; %bb.1854:
	v_cvt_f32_f64_e32 v2, v[0:1]
	v_mov_b32_e32 v5, 0x80
	s_mov_b32 s3, exec_lo
	v_and_b32_e32 v3, 0x7fffffff, v2
	v_cmpx_gt_u32_e32 0x43800000, v3
	s_cbranch_execz .LBB49_1860
; %bb.1855:
	v_cmp_lt_u32_e32 vcc_lo, 0x3bffffff, v3
	s_mov_b32 s4, 0
                                        ; implicit-def: $vgpr3
	s_and_saveexec_b32 s5, vcc_lo
	s_xor_b32 s5, exec_lo, s5
	s_cbranch_execz .LBB49_2195
; %bb.1856:
	v_bfe_u32 v3, v2, 20, 1
	s_mov_b32 s4, exec_lo
	v_add3_u32 v3, v2, v3, 0x487ffff
	v_lshrrev_b32_e32 v3, 20, v3
	s_andn2_saveexec_b32 s5, s5
	s_cbranch_execnz .LBB49_2196
.LBB49_1857:
	s_or_b32 exec_lo, exec_lo, s5
	v_mov_b32_e32 v5, 0
	s_and_saveexec_b32 s5, s4
.LBB49_1858:
	v_lshrrev_b32_e32 v2, 24, v2
	v_and_or_b32 v5, 0x80, v2, v3
.LBB49_1859:
	s_or_b32 exec_lo, exec_lo, s5
.LBB49_1860:
	s_or_b32 exec_lo, exec_lo, s3
	global_store_byte v[7:8], v5, off
.LBB49_1861:
	s_mov_b32 s3, -1
.LBB49_1862:
	s_mov_b32 s4, 0
.LBB49_1863:
	s_and_b32 vcc_lo, exec_lo, s4
	s_cbranch_vccz .LBB49_1903
; %bb.1864:
	s_cmp_gt_i32 s1, 22
	s_mov_b32 s2, -1
	s_cbranch_scc0 .LBB49_1896
; %bb.1865:
	s_cmp_lt_i32 s1, 24
	s_cbranch_scc1 .LBB49_1885
; %bb.1866:
	s_cmp_gt_i32 s1, 24
	s_cbranch_scc0 .LBB49_1874
; %bb.1867:
	v_cvt_f32_f64_e32 v2, v[0:1]
	v_mov_b32_e32 v5, 0x80
	s_mov_b32 s2, exec_lo
	v_and_b32_e32 v3, 0x7fffffff, v2
	v_cmpx_gt_u32_e32 0x47800000, v3
	s_cbranch_execz .LBB49_1873
; %bb.1868:
	v_cmp_lt_u32_e32 vcc_lo, 0x37ffffff, v3
	s_mov_b32 s3, 0
                                        ; implicit-def: $vgpr3
	s_and_saveexec_b32 s4, vcc_lo
	s_xor_b32 s4, exec_lo, s4
	s_cbranch_execz .LBB49_2198
; %bb.1869:
	v_bfe_u32 v3, v2, 21, 1
	s_mov_b32 s3, exec_lo
	v_add3_u32 v3, v2, v3, 0x88fffff
	v_lshrrev_b32_e32 v3, 21, v3
	s_andn2_saveexec_b32 s4, s4
	s_cbranch_execnz .LBB49_2199
.LBB49_1870:
	s_or_b32 exec_lo, exec_lo, s4
	v_mov_b32_e32 v5, 0
	s_and_saveexec_b32 s4, s3
.LBB49_1871:
	v_lshrrev_b32_e32 v2, 24, v2
	v_and_or_b32 v5, 0x80, v2, v3
.LBB49_1872:
	s_or_b32 exec_lo, exec_lo, s4
.LBB49_1873:
	s_or_b32 exec_lo, exec_lo, s2
	s_mov_b32 s2, 0
	global_store_byte v[7:8], v5, off
.LBB49_1874:
	s_and_b32 vcc_lo, exec_lo, s2
	s_cbranch_vccz .LBB49_1884
; %bb.1875:
	v_cvt_f32_f64_e32 v2, v[0:1]
	s_mov_b32 s2, exec_lo
                                        ; implicit-def: $vgpr3
	v_and_b32_e32 v5, 0x7fffffff, v2
	v_cmpx_gt_u32_e32 0x43f00000, v5
	s_xor_b32 s2, exec_lo, s2
	s_cbranch_execz .LBB49_1881
; %bb.1876:
	s_mov_b32 s3, exec_lo
                                        ; implicit-def: $vgpr3
	v_cmpx_lt_u32_e32 0x3c7fffff, v5
	s_xor_b32 s3, exec_lo, s3
; %bb.1877:
	v_bfe_u32 v3, v2, 20, 1
	v_add3_u32 v3, v2, v3, 0x407ffff
	v_and_b32_e32 v5, 0xff00000, v3
	v_lshrrev_b32_e32 v3, 20, v3
	v_cmp_ne_u32_e32 vcc_lo, 0x7f00000, v5
	v_cndmask_b32_e32 v3, 0x7e, v3, vcc_lo
; %bb.1878:
	s_andn2_saveexec_b32 s3, s3
; %bb.1879:
	v_add_f32_e64 v3, 0x46800000, |v2|
; %bb.1880:
	s_or_b32 exec_lo, exec_lo, s3
                                        ; implicit-def: $vgpr5
.LBB49_1881:
	s_andn2_saveexec_b32 s2, s2
; %bb.1882:
	v_mov_b32_e32 v3, 0x7f
	v_cmp_lt_u32_e32 vcc_lo, 0x7f800000, v5
	v_cndmask_b32_e32 v3, 0x7e, v3, vcc_lo
; %bb.1883:
	s_or_b32 exec_lo, exec_lo, s2
	v_lshrrev_b32_e32 v2, 24, v2
	v_and_or_b32 v2, 0x80, v2, v3
	global_store_byte v[7:8], v2, off
.LBB49_1884:
	s_mov_b32 s2, 0
.LBB49_1885:
	s_andn2_b32 vcc_lo, exec_lo, s2
	s_cbranch_vccnz .LBB49_1895
; %bb.1886:
	v_cvt_f32_f64_e32 v2, v[0:1]
	s_mov_b32 s2, exec_lo
                                        ; implicit-def: $vgpr3
	v_and_b32_e32 v5, 0x7fffffff, v2
	v_cmpx_gt_u32_e32 0x47800000, v5
	s_xor_b32 s2, exec_lo, s2
	s_cbranch_execz .LBB49_1892
; %bb.1887:
	s_mov_b32 s3, exec_lo
                                        ; implicit-def: $vgpr3
	v_cmpx_lt_u32_e32 0x387fffff, v5
	s_xor_b32 s3, exec_lo, s3
; %bb.1888:
	v_bfe_u32 v3, v2, 21, 1
	v_add3_u32 v3, v2, v3, 0x80fffff
	v_lshrrev_b32_e32 v3, 21, v3
; %bb.1889:
	s_andn2_saveexec_b32 s3, s3
; %bb.1890:
	v_add_f32_e64 v3, 0x43000000, |v2|
; %bb.1891:
	s_or_b32 exec_lo, exec_lo, s3
                                        ; implicit-def: $vgpr5
.LBB49_1892:
	s_andn2_saveexec_b32 s2, s2
; %bb.1893:
	v_mov_b32_e32 v3, 0x7f
	v_cmp_lt_u32_e32 vcc_lo, 0x7f800000, v5
	v_cndmask_b32_e32 v3, 0x7c, v3, vcc_lo
; %bb.1894:
	s_or_b32 exec_lo, exec_lo, s2
	v_lshrrev_b32_e32 v2, 24, v2
	v_and_or_b32 v2, 0x80, v2, v3
	global_store_byte v[7:8], v2, off
.LBB49_1895:
	s_mov_b32 s2, 0
	s_mov_b32 s3, -1
.LBB49_1896:
	s_andn2_b32 vcc_lo, exec_lo, s2
	s_mov_b32 s2, 0
	s_cbranch_vccnz .LBB49_1903
; %bb.1897:
	s_cmp_gt_i32 s1, 14
	s_mov_b32 s2, -1
	s_cbranch_scc0 .LBB49_1901
; %bb.1898:
	s_cmp_eq_u32 s1, 15
	s_mov_b32 s0, -1
	s_cbranch_scc0 .LBB49_1900
; %bb.1899:
	v_cvt_f32_f64_e32 v2, v[0:1]
	s_mov_b32 s0, 0
	s_mov_b32 s3, -1
	v_bfe_u32 v3, v2, 16, 1
	v_cmp_o_f32_e32 vcc_lo, v2, v2
	v_add3_u32 v2, v2, v3, 0x7fff
	v_mov_b32_e32 v3, 0x7fc0
	v_cndmask_b32_sdwa v2, v3, v2, vcc_lo dst_sel:DWORD dst_unused:UNUSED_PAD src0_sel:DWORD src1_sel:WORD_1
	global_store_short v[7:8], v2, off
.LBB49_1900:
	s_mov_b32 s2, 0
.LBB49_1901:
	s_and_b32 vcc_lo, exec_lo, s2
	s_mov_b32 s2, 0
	s_cbranch_vccz .LBB49_1903
; %bb.1902:
	s_cmp_lg_u32 s1, 11
	s_mov_b32 s2, -1
	s_cselect_b32 s0, -1, 0
.LBB49_1903:
	s_and_b32 vcc_lo, exec_lo, s0
	s_cbranch_vccnz .LBB49_2197
; %bb.1904:
	s_andn2_b32 vcc_lo, exec_lo, s2
	s_cbranch_vccnz .LBB49_1906
.LBB49_1905:
	v_cmp_neq_f64_e32 vcc_lo, 0, v[0:1]
	s_mov_b32 s3, -1
	v_cndmask_b32_e64 v2, 0, 1, vcc_lo
	global_store_byte v[7:8], v2, off
.LBB49_1906:
	s_mov_b32 s0, 0
	s_branch .LBB49_1908
.LBB49_1907:
	s_mov_b32 s0, -1
	s_mov_b32 s3, 0
.LBB49_1908:
	s_and_b32 vcc_lo, exec_lo, s0
	s_cbranch_vccz .LBB49_1947
; %bb.1909:
	s_and_b32 s0, 0xffff, s14
	s_mov_b32 s1, -1
	s_cmp_lt_i32 s0, 5
	s_cbranch_scc1 .LBB49_1930
; %bb.1910:
	s_cmp_lt_i32 s0, 8
	s_cbranch_scc1 .LBB49_1920
; %bb.1911:
	s_cmp_lt_i32 s0, 9
	s_cbranch_scc1 .LBB49_1917
; %bb.1912:
	s_cmp_gt_i32 s0, 9
	s_cbranch_scc0 .LBB49_1914
; %bb.1913:
	v_mov_b32_e32 v2, 0
	s_mov_b32 s1, 0
	v_mov_b32_e32 v3, v2
	global_store_dwordx4 v[7:8], v[0:3], off
.LBB49_1914:
	s_andn2_b32 vcc_lo, exec_lo, s1
	s_cbranch_vccnz .LBB49_1916
; %bb.1915:
	v_cvt_f32_f64_e32 v2, v[0:1]
	v_mov_b32_e32 v3, 0
	global_store_dwordx2 v[7:8], v[2:3], off
.LBB49_1916:
	s_mov_b32 s1, 0
.LBB49_1917:
	s_andn2_b32 vcc_lo, exec_lo, s1
	s_cbranch_vccnz .LBB49_1919
; %bb.1918:
	v_and_or_b32 v2, 0x1ff, v1, v0
	v_lshrrev_b32_e32 v3, 8, v1
	v_bfe_u32 v5, v1, 20, 11
	v_cmp_ne_u32_e32 vcc_lo, 0, v2
	v_sub_nc_u32_e32 v9, 0x3f1, v5
	v_add_nc_u32_e32 v5, 0xfffffc10, v5
	v_cndmask_b32_e64 v2, 0, 1, vcc_lo
	v_and_or_b32 v2, 0xffe, v3, v2
	v_med3_i32 v3, v9, 0, 13
	v_or_b32_e32 v9, 0x1000, v2
	v_lshrrev_b32_e32 v10, v3, v9
	v_lshlrev_b32_e32 v3, v3, v10
	v_cmp_ne_u32_e32 vcc_lo, v3, v9
	v_lshl_or_b32 v9, v5, 12, v2
	v_cndmask_b32_e64 v3, 0, 1, vcc_lo
	v_cmp_gt_i32_e32 vcc_lo, 1, v5
	v_or_b32_e32 v3, v10, v3
	v_cndmask_b32_e32 v3, v9, v3, vcc_lo
	v_and_b32_e32 v9, 7, v3
	v_lshrrev_b32_e32 v3, 2, v3
	v_cmp_lt_i32_e32 vcc_lo, 5, v9
	v_cndmask_b32_e64 v10, 0, 1, vcc_lo
	v_cmp_eq_u32_e32 vcc_lo, 3, v9
	v_cndmask_b32_e64 v9, 0, 1, vcc_lo
	v_cmp_ne_u32_e32 vcc_lo, 0, v2
	v_or_b32_e32 v9, v9, v10
	v_mov_b32_e32 v10, 0x7e00
	v_add_nc_u32_e32 v3, v3, v9
	v_cndmask_b32_e32 v2, 0x7c00, v10, vcc_lo
	v_cmp_gt_i32_e32 vcc_lo, 31, v5
	v_cndmask_b32_e32 v3, 0x7c00, v3, vcc_lo
	v_cmp_eq_u32_e32 vcc_lo, 0x40f, v5
	v_cndmask_b32_e32 v2, v3, v2, vcc_lo
	v_lshrrev_b32_e32 v3, 16, v1
	v_and_or_b32 v2, 0x8000, v3, v2
	v_and_b32_e32 v2, 0xffff, v2
	global_store_dword v[7:8], v2, off
.LBB49_1919:
	s_mov_b32 s1, 0
.LBB49_1920:
	s_andn2_b32 vcc_lo, exec_lo, s1
	s_cbranch_vccnz .LBB49_1929
; %bb.1921:
	s_cmp_lt_i32 s0, 6
	s_mov_b32 s1, -1
	s_cbranch_scc1 .LBB49_1927
; %bb.1922:
	s_cmp_gt_i32 s0, 6
	s_cbranch_scc0 .LBB49_1924
; %bb.1923:
	s_mov_b32 s1, 0
	global_store_dwordx2 v[7:8], v[0:1], off
.LBB49_1924:
	s_andn2_b32 vcc_lo, exec_lo, s1
	s_cbranch_vccnz .LBB49_1926
; %bb.1925:
	v_cvt_f32_f64_e32 v2, v[0:1]
	global_store_dword v[7:8], v2, off
.LBB49_1926:
	s_mov_b32 s1, 0
.LBB49_1927:
	s_andn2_b32 vcc_lo, exec_lo, s1
	s_cbranch_vccnz .LBB49_1929
; %bb.1928:
	v_and_or_b32 v2, 0x1ff, v1, v0
	v_lshrrev_b32_e32 v3, 8, v1
	v_bfe_u32 v5, v1, 20, 11
	v_cmp_ne_u32_e32 vcc_lo, 0, v2
	v_sub_nc_u32_e32 v9, 0x3f1, v5
	v_add_nc_u32_e32 v5, 0xfffffc10, v5
	v_cndmask_b32_e64 v2, 0, 1, vcc_lo
	v_and_or_b32 v2, 0xffe, v3, v2
	v_med3_i32 v3, v9, 0, 13
	v_or_b32_e32 v9, 0x1000, v2
	v_lshrrev_b32_e32 v10, v3, v9
	v_lshlrev_b32_e32 v3, v3, v10
	v_cmp_ne_u32_e32 vcc_lo, v3, v9
	v_lshl_or_b32 v9, v5, 12, v2
	v_cndmask_b32_e64 v3, 0, 1, vcc_lo
	v_cmp_gt_i32_e32 vcc_lo, 1, v5
	v_or_b32_e32 v3, v10, v3
	v_cndmask_b32_e32 v3, v9, v3, vcc_lo
	v_and_b32_e32 v9, 7, v3
	v_lshrrev_b32_e32 v3, 2, v3
	v_cmp_lt_i32_e32 vcc_lo, 5, v9
	v_cndmask_b32_e64 v10, 0, 1, vcc_lo
	v_cmp_eq_u32_e32 vcc_lo, 3, v9
	v_cndmask_b32_e64 v9, 0, 1, vcc_lo
	v_cmp_ne_u32_e32 vcc_lo, 0, v2
	v_or_b32_e32 v9, v9, v10
	v_mov_b32_e32 v10, 0x7e00
	v_add_nc_u32_e32 v3, v3, v9
	v_cndmask_b32_e32 v2, 0x7c00, v10, vcc_lo
	v_cmp_gt_i32_e32 vcc_lo, 31, v5
	v_cndmask_b32_e32 v3, 0x7c00, v3, vcc_lo
	v_cmp_eq_u32_e32 vcc_lo, 0x40f, v5
	v_cndmask_b32_e32 v2, v3, v2, vcc_lo
	v_lshrrev_b32_e32 v3, 16, v1
	v_and_or_b32 v2, 0x8000, v3, v2
	global_store_short v[7:8], v2, off
.LBB49_1929:
	s_mov_b32 s1, 0
.LBB49_1930:
	s_andn2_b32 vcc_lo, exec_lo, s1
	s_cbranch_vccnz .LBB49_1946
; %bb.1931:
	s_cmp_lt_i32 s0, 2
	s_mov_b32 s1, -1
	s_cbranch_scc1 .LBB49_1941
; %bb.1932:
	s_cmp_lt_i32 s0, 3
	s_cbranch_scc1 .LBB49_1938
; %bb.1933:
	s_cmp_gt_i32 s0, 3
	s_cbranch_scc0 .LBB49_1935
; %bb.1934:
	v_trunc_f64_e32 v[2:3], v[0:1]
	s_mov_b32 s1, 0
	v_ldexp_f64 v[9:10], v[2:3], 0xffffffe0
	v_floor_f64_e32 v[9:10], v[9:10]
	v_fma_f64 v[2:3], 0xc1f00000, v[9:10], v[2:3]
	v_cvt_i32_f64_e32 v10, v[9:10]
	v_cvt_u32_f64_e32 v9, v[2:3]
	global_store_dwordx2 v[7:8], v[9:10], off
.LBB49_1935:
	s_andn2_b32 vcc_lo, exec_lo, s1
	s_cbranch_vccnz .LBB49_1937
; %bb.1936:
	v_cvt_i32_f64_e32 v2, v[0:1]
	global_store_dword v[7:8], v2, off
.LBB49_1937:
	s_mov_b32 s1, 0
.LBB49_1938:
	s_andn2_b32 vcc_lo, exec_lo, s1
	s_cbranch_vccnz .LBB49_1940
; %bb.1939:
	v_cvt_i32_f64_e32 v2, v[0:1]
	global_store_short v[7:8], v2, off
.LBB49_1940:
	s_mov_b32 s1, 0
.LBB49_1941:
	s_andn2_b32 vcc_lo, exec_lo, s1
	s_cbranch_vccnz .LBB49_1946
; %bb.1942:
	s_cmp_gt_i32 s0, 0
	s_mov_b32 s0, -1
	s_cbranch_scc0 .LBB49_1944
; %bb.1943:
	v_cvt_i32_f64_e32 v2, v[0:1]
	s_mov_b32 s0, 0
	global_store_byte v[7:8], v2, off
.LBB49_1944:
	s_andn2_b32 vcc_lo, exec_lo, s0
	s_cbranch_vccnz .LBB49_1946
; %bb.1945:
	v_trunc_f64_e32 v[0:1], v[0:1]
	v_ldexp_f64 v[2:3], v[0:1], 0xffffffe0
	v_floor_f64_e32 v[2:3], v[2:3]
	v_fma_f64 v[0:1], 0xc1f00000, v[2:3], v[0:1]
	v_cvt_u32_f64_e32 v0, v[0:1]
	global_store_byte v[7:8], v0, off
.LBB49_1946:
	s_mov_b32 s3, -1
.LBB49_1947:
	s_andn2_b32 vcc_lo, exec_lo, s3
	s_cbranch_vccnz .LBB49_2143
; %bb.1948:
	v_add_f64 v[0:1], v[11:12], 1.0
	v_mul_f64 v[11:12], v[11:12], v[11:12]
	s_cmp_lt_i32 s14, 11
	v_add_f64 v[2:3], v[0:1], 1.0
	v_mul_f64 v[0:1], v[0:1], v[0:1]
	v_div_scale_f64 v[21:22], null, v[11:12], v[11:12], 1.0
	v_div_scale_f64 v[77:78], vcc_lo, 1.0, v[11:12], 1.0
	v_add_f64 v[7:8], v[2:3], 1.0
	v_mul_f64 v[2:3], v[2:3], v[2:3]
	v_div_scale_f64 v[31:32], null, v[0:1], v[0:1], 1.0
	v_rcp_f64_e32 v[45:46], v[21:22]
	v_add_f64 v[9:10], v[7:8], 1.0
	v_mul_f64 v[7:8], v[7:8], v[7:8]
	v_div_scale_f64 v[33:34], null, v[2:3], v[2:3], 1.0
	v_rcp_f64_e32 v[47:48], v[31:32]
	v_fma_f64 v[61:62], -v[21:22], v[45:46], 1.0
	v_add_f64 v[15:16], v[9:10], 1.0
	v_mul_f64 v[9:10], v[9:10], v[9:10]
	v_div_scale_f64 v[35:36], null, v[7:8], v[7:8], 1.0
	v_rcp_f64_e32 v[49:50], v[33:34]
	v_fma_f64 v[63:64], -v[31:32], v[47:48], 1.0
	v_fma_f64 v[45:46], v[45:46], v[61:62], v[45:46]
	v_add_f64 v[17:18], v[15:16], 1.0
	v_mul_f64 v[15:16], v[15:16], v[15:16]
	v_div_scale_f64 v[37:38], null, v[9:10], v[9:10], 1.0
	v_rcp_f64_e32 v[51:52], v[35:36]
	v_fma_f64 v[65:66], -v[33:34], v[49:50], 1.0
	v_fma_f64 v[47:48], v[47:48], v[63:64], v[47:48]
	v_fma_f64 v[63:64], -v[21:22], v[45:46], 1.0
	v_mul_f64 v[19:20], v[17:18], v[17:18]
	v_div_scale_f64 v[39:40], null, v[15:16], v[15:16], 1.0
	v_add_f64 v[41:42], v[17:18], v[17:18]
	v_rcp_f64_e32 v[53:54], v[37:38]
	v_fma_f64 v[67:68], -v[35:36], v[51:52], 1.0
	v_fma_f64 v[49:50], v[49:50], v[65:66], v[49:50]
	v_fma_f64 v[65:66], -v[31:32], v[47:48], 1.0
	v_fma_f64 v[45:46], v[45:46], v[63:64], v[45:46]
	v_div_scale_f64 v[63:64], s0, 1.0, v[0:1], 1.0
	v_div_scale_f64 v[43:44], null, v[19:20], v[19:20], 1.0
	v_rcp_f64_e32 v[55:56], v[39:40]
	v_div_scale_f64 v[57:58], null, v[41:42], v[41:42], 1.0
	v_div_scale_f64 v[79:80], s5, 1.0, v[19:20], 1.0
	v_fma_f64 v[69:70], -v[37:38], v[53:54], 1.0
	v_fma_f64 v[51:52], v[51:52], v[67:68], v[51:52]
	v_fma_f64 v[67:68], -v[33:34], v[49:50], 1.0
	v_fma_f64 v[47:48], v[47:48], v[65:66], v[47:48]
	v_div_scale_f64 v[65:66], s1, 1.0, v[2:3], 1.0
	v_div_scale_f64 v[89:90], s6, 1.0, v[41:42], 1.0
	v_rcp_f64_e32 v[59:60], v[43:44]
	v_rcp_f64_e32 v[71:72], v[57:58]
	v_fma_f64 v[73:74], -v[39:40], v[55:56], 1.0
	v_fma_f64 v[53:54], v[53:54], v[69:70], v[53:54]
	v_fma_f64 v[69:70], -v[35:36], v[51:52], 1.0
	v_fma_f64 v[49:50], v[49:50], v[67:68], v[49:50]
	v_div_scale_f64 v[67:68], s2, 1.0, v[7:8], 1.0
	v_mul_f64 v[81:82], v[63:64], v[47:48]
	v_fma_f64 v[75:76], -v[43:44], v[59:60], 1.0
	v_fma_f64 v[55:56], v[55:56], v[73:74], v[55:56]
	v_fma_f64 v[61:62], -v[57:58], v[71:72], 1.0
	v_fma_f64 v[73:74], -v[37:38], v[53:54], 1.0
	v_fma_f64 v[51:52], v[51:52], v[69:70], v[51:52]
	v_div_scale_f64 v[69:70], s3, 1.0, v[9:10], 1.0
	v_mul_f64 v[83:84], v[65:66], v[49:50]
	v_fma_f64 v[31:32], -v[31:32], v[81:82], v[63:64]
	v_fma_f64 v[59:60], v[59:60], v[75:76], v[59:60]
	v_fma_f64 v[75:76], -v[39:40], v[55:56], 1.0
	v_fma_f64 v[61:62], v[71:72], v[61:62], v[71:72]
	v_fma_f64 v[53:54], v[53:54], v[73:74], v[53:54]
	v_div_scale_f64 v[73:74], s4, 1.0, v[15:16], 1.0
	v_mul_f64 v[85:86], v[67:68], v[51:52]
	v_fma_f64 v[33:34], -v[33:34], v[83:84], v[65:66]
	v_fma_f64 v[71:72], -v[43:44], v[59:60], 1.0
	v_fma_f64 v[55:56], v[55:56], v[75:76], v[55:56]
	v_fma_f64 v[75:76], -v[57:58], v[61:62], 1.0
	v_mul_f64 v[87:88], v[69:70], v[53:54]
	v_fma_f64 v[35:36], -v[35:36], v[85:86], v[67:68]
	v_fma_f64 v[59:60], v[59:60], v[71:72], v[59:60]
	v_mul_f64 v[71:72], v[77:78], v[45:46]
	v_mul_f64 v[91:92], v[73:74], v[55:56]
	v_fma_f64 v[61:62], v[61:62], v[75:76], v[61:62]
	v_fma_f64 v[37:38], -v[37:38], v[87:88], v[69:70]
	v_mul_f64 v[75:76], v[79:80], v[59:60]
	v_fma_f64 v[21:22], -v[21:22], v[71:72], v[77:78]
	v_fma_f64 v[39:40], -v[39:40], v[91:92], v[73:74]
	v_mul_f64 v[63:64], v[89:90], v[61:62]
	v_fma_f64 v[43:44], -v[43:44], v[75:76], v[79:80]
	v_div_fmas_f64 v[21:22], v[21:22], v[45:46], v[71:72]
	s_mov_b32 vcc_lo, s0
	v_fma_f64 v[45:46], -v[57:58], v[63:64], v[89:90]
	v_div_fmas_f64 v[31:32], v[31:32], v[47:48], v[81:82]
	s_mov_b32 vcc_lo, s1
	s_mov_b32 s0, 0x11111111
	v_div_fmas_f64 v[33:34], v[33:34], v[49:50], v[83:84]
	s_mov_b32 vcc_lo, s2
	s_mov_b32 s1, 0x3fa11111
	;; [unrolled: 3-line block ×4, first 2 shown]
	v_div_fmas_f64 v[39:40], v[39:40], v[55:56], v[91:92]
	s_mov_b32 vcc_lo, s5
	v_div_fmas_f64 v[43:44], v[43:44], v[59:60], v[75:76]
	s_mov_b32 vcc_lo, s6
	v_div_fixup_f64 v[11:12], v[21:22], v[11:12], 1.0
	v_div_fmas_f64 v[45:46], v[45:46], v[61:62], v[63:64]
	v_div_fixup_f64 v[0:1], v[31:32], v[0:1], 1.0
	v_div_fixup_f64 v[2:3], v[33:34], v[2:3], 1.0
	;; [unrolled: 1-line block ×3, first 2 shown]
	v_add_f64 v[11:12], v[25:26], v[11:12]
	v_div_fixup_f64 v[41:42], v[45:46], v[41:42], 1.0
	v_fma_f64 v[43:44], v[19:20], s[2:3], s[0:1]
	s_mov_b32 s0, 0x55555555
	s_mov_b32 s1, 0x3fc55555
	v_add_f64 v[41:42], v[41:42], 1.0
	v_add_f64 v[0:1], v[11:12], v[0:1]
	v_fma_f64 v[43:44], -v[19:20], v[43:44], s[0:1]
	v_add_co_u32 v5, s0, s8, v6
	v_add_co_ci_u32_e64 v6, null, s9, 0, s0
	v_add_f64 v[0:1], v[0:1], v[2:3]
	v_div_fixup_f64 v[2:3], v[35:36], v[7:8], 1.0
	v_fma_f64 v[19:20], v[19:20], v[43:44], v[41:42]
	v_add_f64 v[0:1], v[0:1], v[2:3]
	v_div_fixup_f64 v[2:3], v[37:38], v[9:10], 1.0
	v_div_scale_f64 v[41:42], null, v[17:18], v[17:18], v[19:20]
	v_add_f64 v[0:1], v[0:1], v[2:3]
	v_div_fixup_f64 v[2:3], v[39:40], v[15:16], 1.0
	v_rcp_f64_e32 v[43:44], v[41:42]
	v_add_f64 v[0:1], v[0:1], v[2:3]
	v_fma_f64 v[45:46], -v[41:42], v[43:44], 1.0
	v_fma_f64 v[21:22], v[43:44], v[45:46], v[43:44]
	v_fma_f64 v[25:26], -v[41:42], v[21:22], 1.0
	v_fma_f64 v[11:12], v[21:22], v[25:26], v[21:22]
	v_div_scale_f64 v[21:22], vcc_lo, v[19:20], v[17:18], v[19:20]
	v_mul_f64 v[7:8], v[21:22], v[11:12]
	v_fma_f64 v[9:10], -v[41:42], v[7:8], v[21:22]
	v_div_fmas_f64 v[7:8], v[9:10], v[11:12], v[7:8]
	v_div_fixup_f64 v[2:3], v[7:8], v[17:18], v[19:20]
	v_add_f64 v[0:1], v[0:1], v[2:3]
	v_mul_f64 v[0:1], v[23:24], v[0:1]
	s_cbranch_scc1 .LBB49_2026
; %bb.1949:
	s_and_b32 s1, 0xffff, s14
	s_mov_b32 s4, -1
	s_mov_b32 s2, 0
	s_cmp_gt_i32 s1, 25
	s_mov_b32 s3, 0
	s_mov_b32 s0, 0
	s_cbranch_scc0 .LBB49_1982
; %bb.1950:
	s_cmp_gt_i32 s1, 28
	s_cbranch_scc0 .LBB49_1965
; %bb.1951:
	s_cmp_gt_i32 s1, 43
	;; [unrolled: 3-line block ×3, first 2 shown]
	s_cbranch_scc0 .LBB49_1955
; %bb.1953:
	s_mov_b32 s0, -1
	s_mov_b32 s4, 0
	s_cmp_eq_u32 s1, 46
	s_cbranch_scc0 .LBB49_1955
; %bb.1954:
	v_cvt_f32_f64_e32 v2, v[0:1]
	s_mov_b32 s0, 0
	s_mov_b32 s3, -1
	v_bfe_u32 v3, v2, 16, 1
	v_cmp_o_f32_e32 vcc_lo, v2, v2
	v_add3_u32 v2, v2, v3, 0x7fff
	v_mov_b32_e32 v3, 0x7fc0
	v_cndmask_b32_sdwa v2, v3, v2, vcc_lo dst_sel:DWORD dst_unused:UNUSED_PAD src0_sel:DWORD src1_sel:WORD_1
	global_store_dword v[5:6], v2, off
.LBB49_1955:
	s_and_b32 vcc_lo, exec_lo, s4
	s_cbranch_vccz .LBB49_1960
; %bb.1956:
	s_cmp_eq_u32 s1, 44
	s_mov_b32 s0, -1
	s_cbranch_scc0 .LBB49_1960
; %bb.1957:
	v_cvt_f32_f64_e32 v2, v[0:1]
	v_mov_b32_e32 v3, 0xff
	s_mov_b32 s3, exec_lo
	v_bfe_u32 v7, v2, 23, 8
	v_cmpx_ne_u32_e32 0xff, v7
	s_cbranch_execz .LBB49_1959
; %bb.1958:
	v_and_b32_e32 v3, 0x400000, v2
	v_and_or_b32 v7, 0x3fffff, v2, v7
	v_lshrrev_b32_e32 v2, 23, v2
	v_cmp_ne_u32_e32 vcc_lo, 0, v3
	v_cmp_ne_u32_e64 s0, 0, v7
	s_and_b32 s0, vcc_lo, s0
	v_cndmask_b32_e64 v3, 0, 1, s0
	v_add_nc_u32_e32 v3, v2, v3
.LBB49_1959:
	s_or_b32 exec_lo, exec_lo, s3
	s_mov_b32 s0, 0
	s_mov_b32 s3, -1
	global_store_byte v[5:6], v3, off
.LBB49_1960:
	s_mov_b32 s4, 0
.LBB49_1961:
	s_and_b32 vcc_lo, exec_lo, s4
	s_cbranch_vccz .LBB49_1964
; %bb.1962:
	s_cmp_eq_u32 s1, 29
	s_mov_b32 s0, -1
	s_cbranch_scc0 .LBB49_1964
; %bb.1963:
	v_trunc_f64_e32 v[2:3], v[0:1]
	s_mov_b32 s0, 0
	s_mov_b32 s3, -1
	v_ldexp_f64 v[7:8], v[2:3], 0xffffffe0
	v_floor_f64_e32 v[7:8], v[7:8]
	v_fma_f64 v[2:3], 0xc1f00000, v[7:8], v[2:3]
	v_cvt_u32_f64_e32 v8, v[7:8]
	v_cvt_u32_f64_e32 v7, v[2:3]
	global_store_dwordx2 v[5:6], v[7:8], off
.LBB49_1964:
	s_mov_b32 s4, 0
.LBB49_1965:
	s_and_b32 vcc_lo, exec_lo, s4
	s_cbranch_vccz .LBB49_1981
; %bb.1966:
	s_cmp_lt_i32 s1, 27
	s_mov_b32 s3, -1
	s_cbranch_scc1 .LBB49_1972
; %bb.1967:
	v_cvt_u32_f64_e32 v2, v[0:1]
	s_cmp_gt_i32 s1, 27
	s_cbranch_scc0 .LBB49_1969
; %bb.1968:
	s_mov_b32 s3, 0
	global_store_dword v[5:6], v2, off
.LBB49_1969:
	s_andn2_b32 vcc_lo, exec_lo, s3
	s_cbranch_vccnz .LBB49_1971
; %bb.1970:
	global_store_short v[5:6], v2, off
.LBB49_1971:
	s_mov_b32 s3, 0
.LBB49_1972:
	s_andn2_b32 vcc_lo, exec_lo, s3
	s_cbranch_vccnz .LBB49_1980
; %bb.1973:
	v_cvt_f32_f64_e32 v2, v[0:1]
	v_mov_b32_e32 v7, 0x80
	s_mov_b32 s3, exec_lo
	v_and_b32_e32 v3, 0x7fffffff, v2
	v_cmpx_gt_u32_e32 0x43800000, v3
	s_cbranch_execz .LBB49_1979
; %bb.1974:
	v_cmp_lt_u32_e32 vcc_lo, 0x3bffffff, v3
	s_mov_b32 s4, 0
                                        ; implicit-def: $vgpr3
	s_and_saveexec_b32 s5, vcc_lo
	s_xor_b32 s5, exec_lo, s5
	s_cbranch_execz .LBB49_2200
; %bb.1975:
	v_bfe_u32 v3, v2, 20, 1
	s_mov_b32 s4, exec_lo
	v_add3_u32 v3, v2, v3, 0x487ffff
	v_lshrrev_b32_e32 v3, 20, v3
	s_andn2_saveexec_b32 s5, s5
	s_cbranch_execnz .LBB49_2201
.LBB49_1976:
	s_or_b32 exec_lo, exec_lo, s5
	v_mov_b32_e32 v7, 0
	s_and_saveexec_b32 s5, s4
.LBB49_1977:
	v_lshrrev_b32_e32 v2, 24, v2
	v_and_or_b32 v7, 0x80, v2, v3
.LBB49_1978:
	s_or_b32 exec_lo, exec_lo, s5
.LBB49_1979:
	s_or_b32 exec_lo, exec_lo, s3
	global_store_byte v[5:6], v7, off
.LBB49_1980:
	s_mov_b32 s3, -1
.LBB49_1981:
	s_mov_b32 s4, 0
.LBB49_1982:
	s_and_b32 vcc_lo, exec_lo, s4
	s_cbranch_vccz .LBB49_2022
; %bb.1983:
	s_cmp_gt_i32 s1, 22
	s_mov_b32 s2, -1
	s_cbranch_scc0 .LBB49_2015
; %bb.1984:
	s_cmp_lt_i32 s1, 24
	s_cbranch_scc1 .LBB49_2004
; %bb.1985:
	s_cmp_gt_i32 s1, 24
	s_cbranch_scc0 .LBB49_1993
; %bb.1986:
	v_cvt_f32_f64_e32 v2, v[0:1]
	v_mov_b32_e32 v7, 0x80
	s_mov_b32 s2, exec_lo
	v_and_b32_e32 v3, 0x7fffffff, v2
	v_cmpx_gt_u32_e32 0x47800000, v3
	s_cbranch_execz .LBB49_1992
; %bb.1987:
	v_cmp_lt_u32_e32 vcc_lo, 0x37ffffff, v3
	s_mov_b32 s3, 0
                                        ; implicit-def: $vgpr3
	s_and_saveexec_b32 s4, vcc_lo
	s_xor_b32 s4, exec_lo, s4
	s_cbranch_execz .LBB49_2203
; %bb.1988:
	v_bfe_u32 v3, v2, 21, 1
	s_mov_b32 s3, exec_lo
	v_add3_u32 v3, v2, v3, 0x88fffff
	v_lshrrev_b32_e32 v3, 21, v3
	s_andn2_saveexec_b32 s4, s4
	s_cbranch_execnz .LBB49_2204
.LBB49_1989:
	s_or_b32 exec_lo, exec_lo, s4
	v_mov_b32_e32 v7, 0
	s_and_saveexec_b32 s4, s3
.LBB49_1990:
	v_lshrrev_b32_e32 v2, 24, v2
	v_and_or_b32 v7, 0x80, v2, v3
.LBB49_1991:
	s_or_b32 exec_lo, exec_lo, s4
.LBB49_1992:
	s_or_b32 exec_lo, exec_lo, s2
	s_mov_b32 s2, 0
	global_store_byte v[5:6], v7, off
.LBB49_1993:
	s_and_b32 vcc_lo, exec_lo, s2
	s_cbranch_vccz .LBB49_2003
; %bb.1994:
	v_cvt_f32_f64_e32 v2, v[0:1]
	s_mov_b32 s2, exec_lo
                                        ; implicit-def: $vgpr3
	v_and_b32_e32 v7, 0x7fffffff, v2
	v_cmpx_gt_u32_e32 0x43f00000, v7
	s_xor_b32 s2, exec_lo, s2
	s_cbranch_execz .LBB49_2000
; %bb.1995:
	s_mov_b32 s3, exec_lo
                                        ; implicit-def: $vgpr3
	v_cmpx_lt_u32_e32 0x3c7fffff, v7
	s_xor_b32 s3, exec_lo, s3
; %bb.1996:
	v_bfe_u32 v3, v2, 20, 1
	v_add3_u32 v3, v2, v3, 0x407ffff
	v_and_b32_e32 v7, 0xff00000, v3
	v_lshrrev_b32_e32 v3, 20, v3
	v_cmp_ne_u32_e32 vcc_lo, 0x7f00000, v7
	v_cndmask_b32_e32 v3, 0x7e, v3, vcc_lo
; %bb.1997:
	s_andn2_saveexec_b32 s3, s3
; %bb.1998:
	v_add_f32_e64 v3, 0x46800000, |v2|
; %bb.1999:
	s_or_b32 exec_lo, exec_lo, s3
                                        ; implicit-def: $vgpr7
.LBB49_2000:
	s_andn2_saveexec_b32 s2, s2
; %bb.2001:
	v_mov_b32_e32 v3, 0x7f
	v_cmp_lt_u32_e32 vcc_lo, 0x7f800000, v7
	v_cndmask_b32_e32 v3, 0x7e, v3, vcc_lo
; %bb.2002:
	s_or_b32 exec_lo, exec_lo, s2
	v_lshrrev_b32_e32 v2, 24, v2
	v_and_or_b32 v2, 0x80, v2, v3
	global_store_byte v[5:6], v2, off
.LBB49_2003:
	s_mov_b32 s2, 0
.LBB49_2004:
	s_andn2_b32 vcc_lo, exec_lo, s2
	s_cbranch_vccnz .LBB49_2014
; %bb.2005:
	v_cvt_f32_f64_e32 v2, v[0:1]
	s_mov_b32 s2, exec_lo
                                        ; implicit-def: $vgpr3
	v_and_b32_e32 v7, 0x7fffffff, v2
	v_cmpx_gt_u32_e32 0x47800000, v7
	s_xor_b32 s2, exec_lo, s2
	s_cbranch_execz .LBB49_2011
; %bb.2006:
	s_mov_b32 s3, exec_lo
                                        ; implicit-def: $vgpr3
	v_cmpx_lt_u32_e32 0x387fffff, v7
	s_xor_b32 s3, exec_lo, s3
; %bb.2007:
	v_bfe_u32 v3, v2, 21, 1
	v_add3_u32 v3, v2, v3, 0x80fffff
	v_lshrrev_b32_e32 v3, 21, v3
; %bb.2008:
	s_andn2_saveexec_b32 s3, s3
; %bb.2009:
	v_add_f32_e64 v3, 0x43000000, |v2|
; %bb.2010:
	s_or_b32 exec_lo, exec_lo, s3
                                        ; implicit-def: $vgpr7
.LBB49_2011:
	s_andn2_saveexec_b32 s2, s2
; %bb.2012:
	v_mov_b32_e32 v3, 0x7f
	v_cmp_lt_u32_e32 vcc_lo, 0x7f800000, v7
	v_cndmask_b32_e32 v3, 0x7c, v3, vcc_lo
; %bb.2013:
	s_or_b32 exec_lo, exec_lo, s2
	v_lshrrev_b32_e32 v2, 24, v2
	v_and_or_b32 v2, 0x80, v2, v3
	global_store_byte v[5:6], v2, off
.LBB49_2014:
	s_mov_b32 s2, 0
	s_mov_b32 s3, -1
.LBB49_2015:
	s_andn2_b32 vcc_lo, exec_lo, s2
	s_mov_b32 s2, 0
	s_cbranch_vccnz .LBB49_2022
; %bb.2016:
	s_cmp_gt_i32 s1, 14
	s_mov_b32 s2, -1
	s_cbranch_scc0 .LBB49_2020
; %bb.2017:
	s_cmp_eq_u32 s1, 15
	s_mov_b32 s0, -1
	s_cbranch_scc0 .LBB49_2019
; %bb.2018:
	v_cvt_f32_f64_e32 v2, v[0:1]
	s_mov_b32 s0, 0
	s_mov_b32 s3, -1
	v_bfe_u32 v3, v2, 16, 1
	v_cmp_o_f32_e32 vcc_lo, v2, v2
	v_add3_u32 v2, v2, v3, 0x7fff
	v_mov_b32_e32 v3, 0x7fc0
	v_cndmask_b32_sdwa v2, v3, v2, vcc_lo dst_sel:DWORD dst_unused:UNUSED_PAD src0_sel:DWORD src1_sel:WORD_1
	global_store_short v[5:6], v2, off
.LBB49_2019:
	s_mov_b32 s2, 0
.LBB49_2020:
	s_and_b32 vcc_lo, exec_lo, s2
	s_mov_b32 s2, 0
	s_cbranch_vccz .LBB49_2022
; %bb.2021:
	s_cmp_lg_u32 s1, 11
	s_mov_b32 s2, -1
	s_cselect_b32 s0, -1, 0
.LBB49_2022:
	s_and_b32 vcc_lo, exec_lo, s0
	s_cbranch_vccnz .LBB49_2202
; %bb.2023:
	s_andn2_b32 vcc_lo, exec_lo, s2
	s_cbranch_vccnz .LBB49_2025
.LBB49_2024:
	v_cmp_neq_f64_e32 vcc_lo, 0, v[0:1]
	s_mov_b32 s3, -1
	v_cndmask_b32_e64 v2, 0, 1, vcc_lo
	global_store_byte v[5:6], v2, off
.LBB49_2025:
	s_mov_b32 s0, 0
	s_branch .LBB49_2027
.LBB49_2026:
	s_mov_b32 s0, -1
	s_mov_b32 s3, 0
.LBB49_2027:
	s_and_b32 vcc_lo, exec_lo, s0
	s_cbranch_vccz .LBB49_2066
; %bb.2028:
	s_and_b32 s0, 0xffff, s14
	s_mov_b32 s1, -1
	s_cmp_lt_i32 s0, 5
	s_cbranch_scc1 .LBB49_2049
; %bb.2029:
	s_cmp_lt_i32 s0, 8
	s_cbranch_scc1 .LBB49_2039
; %bb.2030:
	;; [unrolled: 3-line block ×3, first 2 shown]
	s_cmp_gt_i32 s0, 9
	s_cbranch_scc0 .LBB49_2033
; %bb.2032:
	v_mov_b32_e32 v2, 0
	s_mov_b32 s1, 0
	v_mov_b32_e32 v3, v2
	global_store_dwordx4 v[5:6], v[0:3], off
.LBB49_2033:
	s_andn2_b32 vcc_lo, exec_lo, s1
	s_cbranch_vccnz .LBB49_2035
; %bb.2034:
	v_cvt_f32_f64_e32 v2, v[0:1]
	v_mov_b32_e32 v3, 0
	global_store_dwordx2 v[5:6], v[2:3], off
.LBB49_2035:
	s_mov_b32 s1, 0
.LBB49_2036:
	s_andn2_b32 vcc_lo, exec_lo, s1
	s_cbranch_vccnz .LBB49_2038
; %bb.2037:
	v_and_or_b32 v2, 0x1ff, v1, v0
	v_lshrrev_b32_e32 v3, 8, v1
	v_bfe_u32 v7, v1, 20, 11
	v_cmp_ne_u32_e32 vcc_lo, 0, v2
	v_sub_nc_u32_e32 v8, 0x3f1, v7
	v_add_nc_u32_e32 v7, 0xfffffc10, v7
	v_cndmask_b32_e64 v2, 0, 1, vcc_lo
	v_and_or_b32 v2, 0xffe, v3, v2
	v_med3_i32 v3, v8, 0, 13
	v_or_b32_e32 v8, 0x1000, v2
	v_lshrrev_b32_e32 v9, v3, v8
	v_lshlrev_b32_e32 v3, v3, v9
	v_cmp_ne_u32_e32 vcc_lo, v3, v8
	v_lshl_or_b32 v8, v7, 12, v2
	v_cndmask_b32_e64 v3, 0, 1, vcc_lo
	v_cmp_gt_i32_e32 vcc_lo, 1, v7
	v_or_b32_e32 v3, v9, v3
	v_cndmask_b32_e32 v3, v8, v3, vcc_lo
	v_and_b32_e32 v8, 7, v3
	v_lshrrev_b32_e32 v3, 2, v3
	v_cmp_lt_i32_e32 vcc_lo, 5, v8
	v_cndmask_b32_e64 v9, 0, 1, vcc_lo
	v_cmp_eq_u32_e32 vcc_lo, 3, v8
	v_cndmask_b32_e64 v8, 0, 1, vcc_lo
	v_cmp_ne_u32_e32 vcc_lo, 0, v2
	v_or_b32_e32 v8, v8, v9
	v_mov_b32_e32 v9, 0x7e00
	v_add_nc_u32_e32 v3, v3, v8
	v_cndmask_b32_e32 v2, 0x7c00, v9, vcc_lo
	v_cmp_gt_i32_e32 vcc_lo, 31, v7
	v_cndmask_b32_e32 v3, 0x7c00, v3, vcc_lo
	v_cmp_eq_u32_e32 vcc_lo, 0x40f, v7
	v_cndmask_b32_e32 v2, v3, v2, vcc_lo
	v_lshrrev_b32_e32 v3, 16, v1
	v_and_or_b32 v2, 0x8000, v3, v2
	v_and_b32_e32 v2, 0xffff, v2
	global_store_dword v[5:6], v2, off
.LBB49_2038:
	s_mov_b32 s1, 0
.LBB49_2039:
	s_andn2_b32 vcc_lo, exec_lo, s1
	s_cbranch_vccnz .LBB49_2048
; %bb.2040:
	s_cmp_lt_i32 s0, 6
	s_mov_b32 s1, -1
	s_cbranch_scc1 .LBB49_2046
; %bb.2041:
	s_cmp_gt_i32 s0, 6
	s_cbranch_scc0 .LBB49_2043
; %bb.2042:
	s_mov_b32 s1, 0
	global_store_dwordx2 v[5:6], v[0:1], off
.LBB49_2043:
	s_andn2_b32 vcc_lo, exec_lo, s1
	s_cbranch_vccnz .LBB49_2045
; %bb.2044:
	v_cvt_f32_f64_e32 v2, v[0:1]
	global_store_dword v[5:6], v2, off
.LBB49_2045:
	s_mov_b32 s1, 0
.LBB49_2046:
	s_andn2_b32 vcc_lo, exec_lo, s1
	s_cbranch_vccnz .LBB49_2048
; %bb.2047:
	v_and_or_b32 v2, 0x1ff, v1, v0
	v_lshrrev_b32_e32 v3, 8, v1
	v_bfe_u32 v7, v1, 20, 11
	v_cmp_ne_u32_e32 vcc_lo, 0, v2
	v_sub_nc_u32_e32 v8, 0x3f1, v7
	v_add_nc_u32_e32 v7, 0xfffffc10, v7
	v_cndmask_b32_e64 v2, 0, 1, vcc_lo
	v_and_or_b32 v2, 0xffe, v3, v2
	v_med3_i32 v3, v8, 0, 13
	v_or_b32_e32 v8, 0x1000, v2
	v_lshrrev_b32_e32 v9, v3, v8
	v_lshlrev_b32_e32 v3, v3, v9
	v_cmp_ne_u32_e32 vcc_lo, v3, v8
	v_lshl_or_b32 v8, v7, 12, v2
	v_cndmask_b32_e64 v3, 0, 1, vcc_lo
	v_cmp_gt_i32_e32 vcc_lo, 1, v7
	v_or_b32_e32 v3, v9, v3
	v_cndmask_b32_e32 v3, v8, v3, vcc_lo
	v_and_b32_e32 v8, 7, v3
	v_lshrrev_b32_e32 v3, 2, v3
	v_cmp_lt_i32_e32 vcc_lo, 5, v8
	v_cndmask_b32_e64 v9, 0, 1, vcc_lo
	v_cmp_eq_u32_e32 vcc_lo, 3, v8
	v_cndmask_b32_e64 v8, 0, 1, vcc_lo
	v_cmp_ne_u32_e32 vcc_lo, 0, v2
	v_or_b32_e32 v8, v8, v9
	v_mov_b32_e32 v9, 0x7e00
	v_add_nc_u32_e32 v3, v3, v8
	v_cndmask_b32_e32 v2, 0x7c00, v9, vcc_lo
	v_cmp_gt_i32_e32 vcc_lo, 31, v7
	v_cndmask_b32_e32 v3, 0x7c00, v3, vcc_lo
	v_cmp_eq_u32_e32 vcc_lo, 0x40f, v7
	v_cndmask_b32_e32 v2, v3, v2, vcc_lo
	v_lshrrev_b32_e32 v3, 16, v1
	v_and_or_b32 v2, 0x8000, v3, v2
	global_store_short v[5:6], v2, off
.LBB49_2048:
	s_mov_b32 s1, 0
.LBB49_2049:
	s_andn2_b32 vcc_lo, exec_lo, s1
	s_cbranch_vccnz .LBB49_2065
; %bb.2050:
	s_cmp_lt_i32 s0, 2
	s_mov_b32 s1, -1
	s_cbranch_scc1 .LBB49_2060
; %bb.2051:
	s_cmp_lt_i32 s0, 3
	s_cbranch_scc1 .LBB49_2057
; %bb.2052:
	s_cmp_gt_i32 s0, 3
	s_cbranch_scc0 .LBB49_2054
; %bb.2053:
	v_trunc_f64_e32 v[2:3], v[0:1]
	s_mov_b32 s1, 0
	v_ldexp_f64 v[7:8], v[2:3], 0xffffffe0
	v_floor_f64_e32 v[7:8], v[7:8]
	v_fma_f64 v[2:3], 0xc1f00000, v[7:8], v[2:3]
	v_cvt_i32_f64_e32 v8, v[7:8]
	v_cvt_u32_f64_e32 v7, v[2:3]
	global_store_dwordx2 v[5:6], v[7:8], off
.LBB49_2054:
	s_andn2_b32 vcc_lo, exec_lo, s1
	s_cbranch_vccnz .LBB49_2056
; %bb.2055:
	v_cvt_i32_f64_e32 v2, v[0:1]
	global_store_dword v[5:6], v2, off
.LBB49_2056:
	s_mov_b32 s1, 0
.LBB49_2057:
	s_andn2_b32 vcc_lo, exec_lo, s1
	s_cbranch_vccnz .LBB49_2059
; %bb.2058:
	v_cvt_i32_f64_e32 v2, v[0:1]
	global_store_short v[5:6], v2, off
.LBB49_2059:
	s_mov_b32 s1, 0
.LBB49_2060:
	s_andn2_b32 vcc_lo, exec_lo, s1
	s_cbranch_vccnz .LBB49_2065
; %bb.2061:
	s_cmp_gt_i32 s0, 0
	s_mov_b32 s0, -1
	s_cbranch_scc0 .LBB49_2063
; %bb.2062:
	v_cvt_i32_f64_e32 v2, v[0:1]
	s_mov_b32 s0, 0
	global_store_byte v[5:6], v2, off
.LBB49_2063:
	s_andn2_b32 vcc_lo, exec_lo, s0
	s_cbranch_vccnz .LBB49_2065
; %bb.2064:
	v_trunc_f64_e32 v[0:1], v[0:1]
	v_ldexp_f64 v[2:3], v[0:1], 0xffffffe0
	v_floor_f64_e32 v[2:3], v[2:3]
	v_fma_f64 v[0:1], 0xc1f00000, v[2:3], v[0:1]
	v_cvt_u32_f64_e32 v0, v[0:1]
	global_store_byte v[5:6], v0, off
.LBB49_2065:
	s_mov_b32 s3, -1
.LBB49_2066:
	s_andn2_b32 vcc_lo, exec_lo, s3
	s_cbranch_vccnz .LBB49_2143
; %bb.2067:
	v_add_f64 v[0:1], v[13:14], 1.0
	v_mul_f64 v[13:14], v[13:14], v[13:14]
	s_cmp_lt_i32 s14, 11
	v_add_f64 v[2:3], v[0:1], 1.0
	v_mul_f64 v[0:1], v[0:1], v[0:1]
	v_div_scale_f64 v[17:18], null, v[13:14], v[13:14], 1.0
	v_div_scale_f64 v[69:70], vcc_lo, 1.0, v[13:14], 1.0
	v_add_f64 v[5:6], v[2:3], 1.0
	v_mul_f64 v[2:3], v[2:3], v[2:3]
	v_div_scale_f64 v[19:20], null, v[0:1], v[0:1], 1.0
	v_rcp_f64_e32 v[37:38], v[17:18]
	v_add_f64 v[7:8], v[5:6], 1.0
	v_mul_f64 v[5:6], v[5:6], v[5:6]
	v_div_scale_f64 v[21:22], null, v[2:3], v[2:3], 1.0
	v_rcp_f64_e32 v[39:40], v[19:20]
	v_fma_f64 v[53:54], -v[17:18], v[37:38], 1.0
	v_add_f64 v[9:10], v[7:8], 1.0
	v_mul_f64 v[7:8], v[7:8], v[7:8]
	v_div_scale_f64 v[23:24], null, v[5:6], v[5:6], 1.0
	v_rcp_f64_e32 v[41:42], v[21:22]
	v_fma_f64 v[55:56], -v[19:20], v[39:40], 1.0
	v_fma_f64 v[37:38], v[37:38], v[53:54], v[37:38]
	v_add_f64 v[11:12], v[9:10], 1.0
	v_mul_f64 v[9:10], v[9:10], v[9:10]
	v_div_scale_f64 v[25:26], null, v[7:8], v[7:8], 1.0
	v_rcp_f64_e32 v[43:44], v[23:24]
	v_fma_f64 v[57:58], -v[21:22], v[41:42], 1.0
	v_fma_f64 v[39:40], v[39:40], v[55:56], v[39:40]
	v_fma_f64 v[55:56], -v[17:18], v[37:38], 1.0
	v_mul_f64 v[15:16], v[11:12], v[11:12]
	v_div_scale_f64 v[31:32], null, v[9:10], v[9:10], 1.0
	v_add_f64 v[33:34], v[11:12], v[11:12]
	v_rcp_f64_e32 v[45:46], v[25:26]
	v_fma_f64 v[59:60], -v[23:24], v[43:44], 1.0
	v_fma_f64 v[41:42], v[41:42], v[57:58], v[41:42]
	v_fma_f64 v[57:58], -v[19:20], v[39:40], 1.0
	v_fma_f64 v[37:38], v[37:38], v[55:56], v[37:38]
	v_div_scale_f64 v[55:56], s0, 1.0, v[0:1], 1.0
	v_div_scale_f64 v[35:36], null, v[15:16], v[15:16], 1.0
	v_rcp_f64_e32 v[47:48], v[31:32]
	v_div_scale_f64 v[49:50], null, v[33:34], v[33:34], 1.0
	v_div_scale_f64 v[71:72], s5, 1.0, v[15:16], 1.0
	v_fma_f64 v[61:62], -v[25:26], v[45:46], 1.0
	v_fma_f64 v[43:44], v[43:44], v[59:60], v[43:44]
	v_fma_f64 v[59:60], -v[21:22], v[41:42], 1.0
	v_fma_f64 v[39:40], v[39:40], v[57:58], v[39:40]
	v_div_scale_f64 v[57:58], s1, 1.0, v[2:3], 1.0
	v_div_scale_f64 v[81:82], s6, 1.0, v[33:34], 1.0
	v_rcp_f64_e32 v[51:52], v[35:36]
	v_rcp_f64_e32 v[63:64], v[49:50]
	v_fma_f64 v[65:66], -v[31:32], v[47:48], 1.0
	v_fma_f64 v[45:46], v[45:46], v[61:62], v[45:46]
	v_fma_f64 v[61:62], -v[23:24], v[43:44], 1.0
	v_fma_f64 v[41:42], v[41:42], v[59:60], v[41:42]
	v_div_scale_f64 v[59:60], s2, 1.0, v[5:6], 1.0
	v_mul_f64 v[73:74], v[55:56], v[39:40]
	v_fma_f64 v[67:68], -v[35:36], v[51:52], 1.0
	v_fma_f64 v[47:48], v[47:48], v[65:66], v[47:48]
	v_fma_f64 v[53:54], -v[49:50], v[63:64], 1.0
	v_fma_f64 v[65:66], -v[25:26], v[45:46], 1.0
	v_fma_f64 v[43:44], v[43:44], v[61:62], v[43:44]
	v_div_scale_f64 v[61:62], s3, 1.0, v[7:8], 1.0
	v_mul_f64 v[75:76], v[57:58], v[41:42]
	v_fma_f64 v[19:20], -v[19:20], v[73:74], v[55:56]
	v_fma_f64 v[51:52], v[51:52], v[67:68], v[51:52]
	v_fma_f64 v[67:68], -v[31:32], v[47:48], 1.0
	v_fma_f64 v[53:54], v[63:64], v[53:54], v[63:64]
	v_fma_f64 v[45:46], v[45:46], v[65:66], v[45:46]
	v_div_scale_f64 v[65:66], s4, 1.0, v[9:10], 1.0
	v_mul_f64 v[77:78], v[59:60], v[43:44]
	v_fma_f64 v[21:22], -v[21:22], v[75:76], v[57:58]
	v_fma_f64 v[63:64], -v[35:36], v[51:52], 1.0
	v_fma_f64 v[47:48], v[47:48], v[67:68], v[47:48]
	v_fma_f64 v[67:68], -v[49:50], v[53:54], 1.0
	v_mul_f64 v[79:80], v[61:62], v[45:46]
	v_fma_f64 v[23:24], -v[23:24], v[77:78], v[59:60]
	v_fma_f64 v[51:52], v[51:52], v[63:64], v[51:52]
	v_mul_f64 v[63:64], v[69:70], v[37:38]
	v_mul_f64 v[83:84], v[65:66], v[47:48]
	v_fma_f64 v[53:54], v[53:54], v[67:68], v[53:54]
	v_fma_f64 v[25:26], -v[25:26], v[79:80], v[61:62]
	v_mul_f64 v[67:68], v[71:72], v[51:52]
	v_fma_f64 v[17:18], -v[17:18], v[63:64], v[69:70]
	v_fma_f64 v[31:32], -v[31:32], v[83:84], v[65:66]
	v_mul_f64 v[55:56], v[81:82], v[53:54]
	v_fma_f64 v[35:36], -v[35:36], v[67:68], v[71:72]
	v_div_fmas_f64 v[17:18], v[17:18], v[37:38], v[63:64]
	s_mov_b32 vcc_lo, s0
	v_fma_f64 v[37:38], -v[49:50], v[55:56], v[81:82]
	v_div_fmas_f64 v[19:20], v[19:20], v[39:40], v[73:74]
	s_mov_b32 vcc_lo, s1
	s_mov_b32 s0, 0x11111111
	v_div_fmas_f64 v[21:22], v[21:22], v[41:42], v[75:76]
	s_mov_b32 vcc_lo, s2
	s_mov_b32 s1, 0x3fa11111
	;; [unrolled: 3-line block ×4, first 2 shown]
	v_div_fmas_f64 v[31:32], v[31:32], v[47:48], v[83:84]
	s_mov_b32 vcc_lo, s5
	v_div_fmas_f64 v[35:36], v[35:36], v[51:52], v[67:68]
	s_mov_b32 vcc_lo, s6
	v_div_fixup_f64 v[13:14], v[17:18], v[13:14], 1.0
	v_div_fmas_f64 v[37:38], v[37:38], v[53:54], v[55:56]
	v_div_fixup_f64 v[0:1], v[19:20], v[0:1], 1.0
	v_div_fixup_f64 v[2:3], v[21:22], v[2:3], 1.0
	;; [unrolled: 1-line block ×3, first 2 shown]
	v_add_f64 v[13:14], v[29:30], v[13:14]
	v_div_fixup_f64 v[33:34], v[37:38], v[33:34], 1.0
	v_fma_f64 v[35:36], v[15:16], s[2:3], s[0:1]
	s_mov_b32 s0, 0x55555555
	s_mov_b32 s1, 0x3fc55555
	v_add_f64 v[33:34], v[33:34], 1.0
	v_add_f64 v[0:1], v[13:14], v[0:1]
	v_fma_f64 v[35:36], -v[15:16], v[35:36], s[0:1]
	v_add_co_u32 v4, s0, s8, v4
	v_add_f64 v[0:1], v[0:1], v[2:3]
	v_div_fixup_f64 v[2:3], v[23:24], v[5:6], 1.0
	v_fma_f64 v[15:16], v[15:16], v[35:36], v[33:34]
	v_add_f64 v[0:1], v[0:1], v[2:3]
	v_div_fixup_f64 v[2:3], v[25:26], v[7:8], 1.0
	v_div_scale_f64 v[33:34], null, v[11:12], v[11:12], v[15:16]
	v_add_f64 v[0:1], v[0:1], v[2:3]
	v_div_fixup_f64 v[2:3], v[31:32], v[9:10], 1.0
	v_rcp_f64_e32 v[35:36], v[33:34]
	v_add_f64 v[0:1], v[0:1], v[2:3]
	v_fma_f64 v[37:38], -v[33:34], v[35:36], 1.0
	v_fma_f64 v[17:18], v[35:36], v[37:38], v[35:36]
	v_fma_f64 v[19:20], -v[33:34], v[17:18], 1.0
	v_fma_f64 v[13:14], v[17:18], v[19:20], v[17:18]
	v_div_scale_f64 v[17:18], vcc_lo, v[15:16], v[11:12], v[15:16]
	v_mul_f64 v[5:6], v[17:18], v[13:14]
	v_fma_f64 v[7:8], -v[33:34], v[5:6], v[17:18]
	v_div_fmas_f64 v[5:6], v[7:8], v[13:14], v[5:6]
	v_div_fixup_f64 v[2:3], v[5:6], v[11:12], v[15:16]
	v_add_co_ci_u32_e64 v5, null, s9, 0, s0
	v_add_f64 v[0:1], v[0:1], v[2:3]
	v_mul_f64 v[0:1], v[27:28], v[0:1]
	s_cbranch_scc1 .LBB49_2188
; %bb.2068:
	s_and_b32 s1, 0xffff, s14
	s_mov_b32 s3, -1
	s_mov_b32 s2, 0
	s_cmp_gt_i32 s1, 25
	s_mov_b32 s0, 0
	s_cbranch_scc0 .LBB49_2101
; %bb.2069:
	s_cmp_gt_i32 s1, 28
	s_cbranch_scc0 .LBB49_2085
; %bb.2070:
	s_cmp_gt_i32 s1, 43
	s_cbranch_scc0 .LBB49_2081
; %bb.2071:
	s_cmp_gt_i32 s1, 45
	s_cbranch_scc0 .LBB49_2075
; %bb.2072:
	s_cmp_eq_u32 s1, 46
	s_mov_b32 s0, -1
	s_cbranch_scc0 .LBB49_2074
; %bb.2073:
	v_cvt_f32_f64_e32 v2, v[0:1]
	s_mov_b32 s0, 0
	v_bfe_u32 v3, v2, 16, 1
	v_cmp_o_f32_e32 vcc_lo, v2, v2
	v_add3_u32 v2, v2, v3, 0x7fff
	v_mov_b32_e32 v3, 0x7fc0
	v_cndmask_b32_sdwa v2, v3, v2, vcc_lo dst_sel:DWORD dst_unused:UNUSED_PAD src0_sel:DWORD src1_sel:WORD_1
	global_store_dword v[4:5], v2, off
.LBB49_2074:
	s_mov_b32 s3, 0
.LBB49_2075:
	s_and_b32 vcc_lo, exec_lo, s3
	s_cbranch_vccz .LBB49_2080
; %bb.2076:
	s_cmp_eq_u32 s1, 44
	s_mov_b32 s0, -1
	s_cbranch_scc0 .LBB49_2080
; %bb.2077:
	v_cvt_f32_f64_e32 v2, v[0:1]
	v_mov_b32_e32 v3, 0xff
	s_mov_b32 s3, exec_lo
	v_bfe_u32 v6, v2, 23, 8
	v_cmpx_ne_u32_e32 0xff, v6
	s_cbranch_execz .LBB49_2079
; %bb.2078:
	v_and_b32_e32 v3, 0x400000, v2
	v_and_or_b32 v6, 0x3fffff, v2, v6
	v_lshrrev_b32_e32 v2, 23, v2
	v_cmp_ne_u32_e32 vcc_lo, 0, v3
	v_cmp_ne_u32_e64 s0, 0, v6
	s_and_b32 s0, vcc_lo, s0
	v_cndmask_b32_e64 v3, 0, 1, s0
	v_add_nc_u32_e32 v3, v2, v3
.LBB49_2079:
	s_or_b32 exec_lo, exec_lo, s3
	s_mov_b32 s0, 0
	global_store_byte v[4:5], v3, off
.LBB49_2080:
	s_mov_b32 s3, 0
.LBB49_2081:
	s_and_b32 vcc_lo, exec_lo, s3
	s_cbranch_vccz .LBB49_2084
; %bb.2082:
	s_cmp_eq_u32 s1, 29
	s_mov_b32 s0, -1
	s_cbranch_scc0 .LBB49_2084
; %bb.2083:
	v_trunc_f64_e32 v[2:3], v[0:1]
	s_mov_b32 s0, 0
	v_ldexp_f64 v[6:7], v[2:3], 0xffffffe0
	v_floor_f64_e32 v[6:7], v[6:7]
	v_fma_f64 v[2:3], 0xc1f00000, v[6:7], v[2:3]
	v_cvt_u32_f64_e32 v7, v[6:7]
	v_cvt_u32_f64_e32 v6, v[2:3]
	global_store_dwordx2 v[4:5], v[6:7], off
.LBB49_2084:
	s_mov_b32 s3, 0
.LBB49_2085:
	s_and_b32 vcc_lo, exec_lo, s3
	s_cbranch_vccz .LBB49_2100
; %bb.2086:
	s_cmp_lt_i32 s1, 27
	s_mov_b32 s3, -1
	s_cbranch_scc1 .LBB49_2092
; %bb.2087:
	s_cmp_gt_i32 s1, 27
	s_cbranch_scc0 .LBB49_2089
; %bb.2088:
	v_cvt_u32_f64_e32 v2, v[0:1]
	s_mov_b32 s3, 0
	global_store_dword v[4:5], v2, off
.LBB49_2089:
	s_andn2_b32 vcc_lo, exec_lo, s3
	s_cbranch_vccnz .LBB49_2091
; %bb.2090:
	v_cvt_u32_f64_e32 v2, v[0:1]
	global_store_short v[4:5], v2, off
.LBB49_2091:
	s_mov_b32 s3, 0
.LBB49_2092:
	s_andn2_b32 vcc_lo, exec_lo, s3
	s_cbranch_vccnz .LBB49_2100
; %bb.2093:
	v_cvt_f32_f64_e32 v2, v[0:1]
	v_mov_b32_e32 v6, 0x80
	s_mov_b32 s3, exec_lo
	v_and_b32_e32 v3, 0x7fffffff, v2
	v_cmpx_gt_u32_e32 0x43800000, v3
	s_cbranch_execz .LBB49_2099
; %bb.2094:
	v_cmp_lt_u32_e32 vcc_lo, 0x3bffffff, v3
	s_mov_b32 s4, 0
                                        ; implicit-def: $vgpr3
	s_and_saveexec_b32 s5, vcc_lo
	s_xor_b32 s5, exec_lo, s5
	s_cbranch_execz .LBB49_2205
; %bb.2095:
	v_bfe_u32 v3, v2, 20, 1
	s_mov_b32 s4, exec_lo
	v_add3_u32 v3, v2, v3, 0x487ffff
	v_lshrrev_b32_e32 v3, 20, v3
	s_andn2_saveexec_b32 s5, s5
	s_cbranch_execnz .LBB49_2206
.LBB49_2096:
	s_or_b32 exec_lo, exec_lo, s5
	v_mov_b32_e32 v6, 0
	s_and_saveexec_b32 s5, s4
.LBB49_2097:
	v_lshrrev_b32_e32 v2, 24, v2
	v_and_or_b32 v6, 0x80, v2, v3
.LBB49_2098:
	s_or_b32 exec_lo, exec_lo, s5
.LBB49_2099:
	s_or_b32 exec_lo, exec_lo, s3
	global_store_byte v[4:5], v6, off
.LBB49_2100:
	s_mov_b32 s3, 0
.LBB49_2101:
	s_and_b32 vcc_lo, exec_lo, s3
	s_cbranch_vccz .LBB49_2141
; %bb.2102:
	s_cmp_gt_i32 s1, 22
	s_mov_b32 s2, -1
	s_cbranch_scc0 .LBB49_2134
; %bb.2103:
	s_cmp_lt_i32 s1, 24
	s_cbranch_scc1 .LBB49_2123
; %bb.2104:
	s_cmp_gt_i32 s1, 24
	s_cbranch_scc0 .LBB49_2112
; %bb.2105:
	v_cvt_f32_f64_e32 v2, v[0:1]
	v_mov_b32_e32 v6, 0x80
	s_mov_b32 s2, exec_lo
	v_and_b32_e32 v3, 0x7fffffff, v2
	v_cmpx_gt_u32_e32 0x47800000, v3
	s_cbranch_execz .LBB49_2111
; %bb.2106:
	v_cmp_lt_u32_e32 vcc_lo, 0x37ffffff, v3
	s_mov_b32 s3, 0
                                        ; implicit-def: $vgpr3
	s_and_saveexec_b32 s4, vcc_lo
	s_xor_b32 s4, exec_lo, s4
	s_cbranch_execz .LBB49_2208
; %bb.2107:
	v_bfe_u32 v3, v2, 21, 1
	s_mov_b32 s3, exec_lo
	v_add3_u32 v3, v2, v3, 0x88fffff
	v_lshrrev_b32_e32 v3, 21, v3
	s_andn2_saveexec_b32 s4, s4
	s_cbranch_execnz .LBB49_2209
.LBB49_2108:
	s_or_b32 exec_lo, exec_lo, s4
	v_mov_b32_e32 v6, 0
	s_and_saveexec_b32 s4, s3
.LBB49_2109:
	v_lshrrev_b32_e32 v2, 24, v2
	v_and_or_b32 v6, 0x80, v2, v3
.LBB49_2110:
	s_or_b32 exec_lo, exec_lo, s4
.LBB49_2111:
	s_or_b32 exec_lo, exec_lo, s2
	s_mov_b32 s2, 0
	global_store_byte v[4:5], v6, off
.LBB49_2112:
	s_and_b32 vcc_lo, exec_lo, s2
	s_cbranch_vccz .LBB49_2122
; %bb.2113:
	v_cvt_f32_f64_e32 v2, v[0:1]
	s_mov_b32 s2, exec_lo
                                        ; implicit-def: $vgpr3
	v_and_b32_e32 v6, 0x7fffffff, v2
	v_cmpx_gt_u32_e32 0x43f00000, v6
	s_xor_b32 s2, exec_lo, s2
	s_cbranch_execz .LBB49_2119
; %bb.2114:
	s_mov_b32 s3, exec_lo
                                        ; implicit-def: $vgpr3
	v_cmpx_lt_u32_e32 0x3c7fffff, v6
	s_xor_b32 s3, exec_lo, s3
; %bb.2115:
	v_bfe_u32 v3, v2, 20, 1
	v_add3_u32 v3, v2, v3, 0x407ffff
	v_and_b32_e32 v6, 0xff00000, v3
	v_lshrrev_b32_e32 v3, 20, v3
	v_cmp_ne_u32_e32 vcc_lo, 0x7f00000, v6
	v_cndmask_b32_e32 v3, 0x7e, v3, vcc_lo
; %bb.2116:
	s_andn2_saveexec_b32 s3, s3
; %bb.2117:
	v_add_f32_e64 v3, 0x46800000, |v2|
; %bb.2118:
	s_or_b32 exec_lo, exec_lo, s3
                                        ; implicit-def: $vgpr6
.LBB49_2119:
	s_andn2_saveexec_b32 s2, s2
; %bb.2120:
	v_mov_b32_e32 v3, 0x7f
	v_cmp_lt_u32_e32 vcc_lo, 0x7f800000, v6
	v_cndmask_b32_e32 v3, 0x7e, v3, vcc_lo
; %bb.2121:
	s_or_b32 exec_lo, exec_lo, s2
	v_lshrrev_b32_e32 v2, 24, v2
	v_and_or_b32 v2, 0x80, v2, v3
	global_store_byte v[4:5], v2, off
.LBB49_2122:
	s_mov_b32 s2, 0
.LBB49_2123:
	s_andn2_b32 vcc_lo, exec_lo, s2
	s_cbranch_vccnz .LBB49_2133
; %bb.2124:
	v_cvt_f32_f64_e32 v2, v[0:1]
	s_mov_b32 s2, exec_lo
                                        ; implicit-def: $vgpr3
	v_and_b32_e32 v6, 0x7fffffff, v2
	v_cmpx_gt_u32_e32 0x47800000, v6
	s_xor_b32 s2, exec_lo, s2
	s_cbranch_execz .LBB49_2130
; %bb.2125:
	s_mov_b32 s3, exec_lo
                                        ; implicit-def: $vgpr3
	v_cmpx_lt_u32_e32 0x387fffff, v6
	s_xor_b32 s3, exec_lo, s3
; %bb.2126:
	v_bfe_u32 v3, v2, 21, 1
	v_add3_u32 v3, v2, v3, 0x80fffff
	v_lshrrev_b32_e32 v3, 21, v3
; %bb.2127:
	s_andn2_saveexec_b32 s3, s3
; %bb.2128:
	v_add_f32_e64 v3, 0x43000000, |v2|
; %bb.2129:
	s_or_b32 exec_lo, exec_lo, s3
                                        ; implicit-def: $vgpr6
.LBB49_2130:
	s_andn2_saveexec_b32 s2, s2
; %bb.2131:
	v_mov_b32_e32 v3, 0x7f
	v_cmp_lt_u32_e32 vcc_lo, 0x7f800000, v6
	v_cndmask_b32_e32 v3, 0x7c, v3, vcc_lo
; %bb.2132:
	s_or_b32 exec_lo, exec_lo, s2
	v_lshrrev_b32_e32 v2, 24, v2
	v_and_or_b32 v2, 0x80, v2, v3
	global_store_byte v[4:5], v2, off
.LBB49_2133:
	s_mov_b32 s2, 0
.LBB49_2134:
	s_andn2_b32 vcc_lo, exec_lo, s2
	s_mov_b32 s2, 0
	s_cbranch_vccnz .LBB49_2141
; %bb.2135:
	s_cmp_gt_i32 s1, 14
	s_mov_b32 s2, -1
	s_cbranch_scc0 .LBB49_2139
; %bb.2136:
	s_cmp_eq_u32 s1, 15
	s_mov_b32 s0, -1
	s_cbranch_scc0 .LBB49_2138
; %bb.2137:
	v_cvt_f32_f64_e32 v2, v[0:1]
	s_mov_b32 s0, 0
	v_bfe_u32 v3, v2, 16, 1
	v_cmp_o_f32_e32 vcc_lo, v2, v2
	v_add3_u32 v2, v2, v3, 0x7fff
	v_mov_b32_e32 v3, 0x7fc0
	v_cndmask_b32_sdwa v2, v3, v2, vcc_lo dst_sel:DWORD dst_unused:UNUSED_PAD src0_sel:DWORD src1_sel:WORD_1
	global_store_short v[4:5], v2, off
.LBB49_2138:
	s_mov_b32 s2, 0
.LBB49_2139:
	s_and_b32 vcc_lo, exec_lo, s2
	s_mov_b32 s2, 0
	s_cbranch_vccz .LBB49_2141
; %bb.2140:
	s_cmp_lg_u32 s1, 11
	s_mov_b32 s2, -1
	s_cselect_b32 s0, -1, 0
.LBB49_2141:
	s_and_b32 vcc_lo, exec_lo, s0
	s_cbranch_vccnz .LBB49_2207
.LBB49_2142:
	s_mov_b32 s0, 0
	s_branch .LBB49_2144
.LBB49_2143:
	s_mov_b32 s0, 0
	s_mov_b32 s2, 0
                                        ; implicit-def: $vgpr4_vgpr5
                                        ; implicit-def: $sgpr14
                                        ; implicit-def: $vgpr0_vgpr1
.LBB49_2144:
	s_andn2_b32 s1, s7, exec_lo
	s_and_b32 s3, s13, exec_lo
	s_and_b32 s0, s0, exec_lo
	s_and_b32 s29, s2, exec_lo
	s_or_b32 s7, s1, s3
.LBB49_2145:
	s_or_b32 exec_lo, exec_lo, s12
	s_and_saveexec_b32 s1, s7
	s_cbranch_execz .LBB49_2148
; %bb.2146:
	; divergent unreachable
	s_or_b32 exec_lo, exec_lo, s1
	s_and_saveexec_b32 s1, s29
	s_xor_b32 s1, exec_lo, s1
	s_cbranch_execnz .LBB49_2149
.LBB49_2147:
	s_or_b32 exec_lo, exec_lo, s1
	s_and_saveexec_b32 s1, s0
	s_cbranch_execnz .LBB49_2150
	s_branch .LBB49_2187
.LBB49_2148:
	s_or_b32 exec_lo, exec_lo, s1
	s_and_saveexec_b32 s1, s29
	s_xor_b32 s1, exec_lo, s1
	s_cbranch_execz .LBB49_2147
.LBB49_2149:
	s_waitcnt vmcnt(0)
	v_cmp_neq_f64_e32 vcc_lo, 0, v[0:1]
	v_cndmask_b32_e64 v2, 0, 1, vcc_lo
	global_store_byte v[4:5], v2, off
	s_or_b32 exec_lo, exec_lo, s1
	s_and_saveexec_b32 s1, s0
	s_cbranch_execz .LBB49_2187
.LBB49_2150:
	s_sext_i32_i16 s1, s14
	s_mov_b32 s0, -1
	s_cmp_lt_i32 s1, 5
	s_cbranch_scc1 .LBB49_2171
; %bb.2151:
	s_cmp_lt_i32 s1, 8
	s_cbranch_scc1 .LBB49_2161
; %bb.2152:
	;; [unrolled: 3-line block ×3, first 2 shown]
	s_cmp_gt_i32 s1, 9
	s_cbranch_scc0 .LBB49_2155
; %bb.2154:
	v_mov_b32_e32 v2, 0
	s_mov_b32 s0, 0
	s_waitcnt vmcnt(0)
	v_mov_b32_e32 v3, v2
	global_store_dwordx4 v[4:5], v[0:3], off
.LBB49_2155:
	s_andn2_b32 vcc_lo, exec_lo, s0
	s_cbranch_vccnz .LBB49_2157
; %bb.2156:
	s_waitcnt vmcnt(0)
	v_cvt_f32_f64_e32 v2, v[0:1]
	v_mov_b32_e32 v3, 0
	global_store_dwordx2 v[4:5], v[2:3], off
.LBB49_2157:
	s_mov_b32 s0, 0
.LBB49_2158:
	s_andn2_b32 vcc_lo, exec_lo, s0
	s_cbranch_vccnz .LBB49_2160
; %bb.2159:
	s_waitcnt vmcnt(0)
	v_and_or_b32 v2, 0x1ff, v1, v0
	v_lshrrev_b32_e32 v3, 8, v1
	v_bfe_u32 v6, v1, 20, 11
	v_cmp_ne_u32_e32 vcc_lo, 0, v2
	v_sub_nc_u32_e32 v7, 0x3f1, v6
	v_add_nc_u32_e32 v6, 0xfffffc10, v6
	v_cndmask_b32_e64 v2, 0, 1, vcc_lo
	v_and_or_b32 v2, 0xffe, v3, v2
	v_med3_i32 v3, v7, 0, 13
	v_or_b32_e32 v7, 0x1000, v2
	v_lshrrev_b32_e32 v8, v3, v7
	v_lshlrev_b32_e32 v3, v3, v8
	v_cmp_ne_u32_e32 vcc_lo, v3, v7
	v_lshl_or_b32 v7, v6, 12, v2
	v_cndmask_b32_e64 v3, 0, 1, vcc_lo
	v_cmp_gt_i32_e32 vcc_lo, 1, v6
	v_or_b32_e32 v3, v8, v3
	v_cndmask_b32_e32 v3, v7, v3, vcc_lo
	v_and_b32_e32 v7, 7, v3
	v_lshrrev_b32_e32 v3, 2, v3
	v_cmp_lt_i32_e32 vcc_lo, 5, v7
	v_cndmask_b32_e64 v8, 0, 1, vcc_lo
	v_cmp_eq_u32_e32 vcc_lo, 3, v7
	v_cndmask_b32_e64 v7, 0, 1, vcc_lo
	v_cmp_ne_u32_e32 vcc_lo, 0, v2
	v_or_b32_e32 v7, v7, v8
	v_mov_b32_e32 v8, 0x7e00
	v_add_nc_u32_e32 v3, v3, v7
	v_cndmask_b32_e32 v2, 0x7c00, v8, vcc_lo
	v_cmp_gt_i32_e32 vcc_lo, 31, v6
	v_cndmask_b32_e32 v3, 0x7c00, v3, vcc_lo
	v_cmp_eq_u32_e32 vcc_lo, 0x40f, v6
	v_cndmask_b32_e32 v2, v3, v2, vcc_lo
	v_lshrrev_b32_e32 v3, 16, v1
	v_and_or_b32 v2, 0x8000, v3, v2
	v_and_b32_e32 v2, 0xffff, v2
	global_store_dword v[4:5], v2, off
.LBB49_2160:
	s_mov_b32 s0, 0
.LBB49_2161:
	s_andn2_b32 vcc_lo, exec_lo, s0
	s_cbranch_vccnz .LBB49_2170
; %bb.2162:
	s_sext_i32_i16 s1, s14
	s_mov_b32 s0, -1
	s_cmp_lt_i32 s1, 6
	s_cbranch_scc1 .LBB49_2168
; %bb.2163:
	s_cmp_gt_i32 s1, 6
	s_cbranch_scc0 .LBB49_2165
; %bb.2164:
	s_mov_b32 s0, 0
	s_waitcnt vmcnt(0)
	global_store_dwordx2 v[4:5], v[0:1], off
.LBB49_2165:
	s_andn2_b32 vcc_lo, exec_lo, s0
	s_cbranch_vccnz .LBB49_2167
; %bb.2166:
	s_waitcnt vmcnt(0)
	v_cvt_f32_f64_e32 v2, v[0:1]
	global_store_dword v[4:5], v2, off
.LBB49_2167:
	s_mov_b32 s0, 0
.LBB49_2168:
	s_andn2_b32 vcc_lo, exec_lo, s0
	s_cbranch_vccnz .LBB49_2170
; %bb.2169:
	s_waitcnt vmcnt(0)
	v_and_or_b32 v2, 0x1ff, v1, v0
	v_lshrrev_b32_e32 v3, 8, v1
	v_bfe_u32 v6, v1, 20, 11
	v_cmp_ne_u32_e32 vcc_lo, 0, v2
	v_sub_nc_u32_e32 v7, 0x3f1, v6
	v_add_nc_u32_e32 v6, 0xfffffc10, v6
	v_cndmask_b32_e64 v2, 0, 1, vcc_lo
	v_and_or_b32 v2, 0xffe, v3, v2
	v_med3_i32 v3, v7, 0, 13
	v_or_b32_e32 v7, 0x1000, v2
	v_lshrrev_b32_e32 v8, v3, v7
	v_lshlrev_b32_e32 v3, v3, v8
	v_cmp_ne_u32_e32 vcc_lo, v3, v7
	v_lshl_or_b32 v7, v6, 12, v2
	v_cndmask_b32_e64 v3, 0, 1, vcc_lo
	v_cmp_gt_i32_e32 vcc_lo, 1, v6
	v_or_b32_e32 v3, v8, v3
	v_cndmask_b32_e32 v3, v7, v3, vcc_lo
	v_and_b32_e32 v7, 7, v3
	v_lshrrev_b32_e32 v3, 2, v3
	v_cmp_lt_i32_e32 vcc_lo, 5, v7
	v_cndmask_b32_e64 v8, 0, 1, vcc_lo
	v_cmp_eq_u32_e32 vcc_lo, 3, v7
	v_cndmask_b32_e64 v7, 0, 1, vcc_lo
	v_cmp_ne_u32_e32 vcc_lo, 0, v2
	v_or_b32_e32 v7, v7, v8
	v_mov_b32_e32 v8, 0x7e00
	v_add_nc_u32_e32 v3, v3, v7
	v_cndmask_b32_e32 v2, 0x7c00, v8, vcc_lo
	v_cmp_gt_i32_e32 vcc_lo, 31, v6
	v_cndmask_b32_e32 v3, 0x7c00, v3, vcc_lo
	v_cmp_eq_u32_e32 vcc_lo, 0x40f, v6
	v_cndmask_b32_e32 v2, v3, v2, vcc_lo
	v_lshrrev_b32_e32 v3, 16, v1
	v_and_or_b32 v2, 0x8000, v3, v2
	global_store_short v[4:5], v2, off
.LBB49_2170:
	s_mov_b32 s0, 0
.LBB49_2171:
	s_andn2_b32 vcc_lo, exec_lo, s0
	s_cbranch_vccnz .LBB49_2187
; %bb.2172:
	s_sext_i32_i16 s1, s14
	s_mov_b32 s0, -1
	s_cmp_lt_i32 s1, 2
	s_cbranch_scc1 .LBB49_2182
; %bb.2173:
	s_cmp_lt_i32 s1, 3
	s_cbranch_scc1 .LBB49_2179
; %bb.2174:
	s_cmp_gt_i32 s1, 3
	s_cbranch_scc0 .LBB49_2176
; %bb.2175:
	s_waitcnt vmcnt(0)
	v_trunc_f64_e32 v[2:3], v[0:1]
	s_mov_b32 s0, 0
	v_ldexp_f64 v[6:7], v[2:3], 0xffffffe0
	v_floor_f64_e32 v[6:7], v[6:7]
	v_fma_f64 v[2:3], 0xc1f00000, v[6:7], v[2:3]
	v_cvt_i32_f64_e32 v7, v[6:7]
	v_cvt_u32_f64_e32 v6, v[2:3]
	global_store_dwordx2 v[4:5], v[6:7], off
.LBB49_2176:
	s_andn2_b32 vcc_lo, exec_lo, s0
	s_cbranch_vccnz .LBB49_2178
; %bb.2177:
	s_waitcnt vmcnt(0)
	v_cvt_i32_f64_e32 v2, v[0:1]
	global_store_dword v[4:5], v2, off
.LBB49_2178:
	s_mov_b32 s0, 0
.LBB49_2179:
	s_andn2_b32 vcc_lo, exec_lo, s0
	s_cbranch_vccnz .LBB49_2181
; %bb.2180:
	s_waitcnt vmcnt(0)
	v_cvt_i32_f64_e32 v2, v[0:1]
	global_store_short v[4:5], v2, off
.LBB49_2181:
	s_mov_b32 s0, 0
.LBB49_2182:
	s_andn2_b32 vcc_lo, exec_lo, s0
	s_cbranch_vccnz .LBB49_2187
; %bb.2183:
	s_sext_i32_i16 s0, s14
	s_cmp_gt_i32 s0, 0
	s_mov_b32 s0, -1
	s_cbranch_scc0 .LBB49_2185
; %bb.2184:
	s_waitcnt vmcnt(0)
	v_cvt_i32_f64_e32 v2, v[0:1]
	s_mov_b32 s0, 0
	global_store_byte v[4:5], v2, off
.LBB49_2185:
	s_andn2_b32 vcc_lo, exec_lo, s0
	s_cbranch_vccnz .LBB49_2187
; %bb.2186:
	s_waitcnt vmcnt(0)
	v_trunc_f64_e32 v[0:1], v[0:1]
	v_ldexp_f64 v[2:3], v[0:1], 0xffffffe0
	v_floor_f64_e32 v[2:3], v[2:3]
	v_fma_f64 v[0:1], 0xc1f00000, v[2:3], v[0:1]
	v_cvt_u32_f64_e32 v0, v[0:1]
	global_store_byte v[4:5], v0, off
	s_endpgm
.LBB49_2187:
	s_endpgm
.LBB49_2188:
	s_mov_b32 s2, 0
	s_mov_b32 s0, -1
	s_branch .LBB49_2144
.LBB49_2189:
	s_or_b32 s13, s13, exec_lo
	s_trap 2
	s_cbranch_execz .LBB49_1652
	s_branch .LBB49_1653
.LBB49_2190:
	s_andn2_saveexec_b32 s6, s6
	s_cbranch_execz .LBB49_1738
.LBB49_2191:
	v_add_f32_e64 v3, 0x46000000, |v2|
	s_andn2_b32 s5, s5, exec_lo
	v_and_b32_e32 v3, 0xff, v3
	v_cmp_ne_u32_e32 vcc_lo, 0, v3
	s_and_b32 s10, vcc_lo, exec_lo
	s_or_b32 s5, s5, s10
	s_or_b32 exec_lo, exec_lo, s6
	v_mov_b32_e32 v5, 0
	s_and_saveexec_b32 s6, s5
	s_cbranch_execnz .LBB49_1739
	s_branch .LBB49_1740
.LBB49_2192:
	s_or_b32 s13, s13, exec_lo
	s_trap 2
	s_cbranch_execz .LBB49_1786
	s_branch .LBB49_1787
.LBB49_2193:
	s_andn2_saveexec_b32 s5, s5
	s_cbranch_execz .LBB49_1751
.LBB49_2194:
	v_add_f32_e64 v3, 0x42800000, |v2|
	s_andn2_b32 s4, s4, exec_lo
	v_and_b32_e32 v3, 0xff, v3
	v_cmp_ne_u32_e32 vcc_lo, 0, v3
	s_and_b32 s6, vcc_lo, exec_lo
	s_or_b32 s4, s4, s6
	s_or_b32 exec_lo, exec_lo, s5
	v_mov_b32_e32 v5, 0
	s_and_saveexec_b32 s5, s4
	s_cbranch_execnz .LBB49_1752
	s_branch .LBB49_1753
.LBB49_2195:
	s_andn2_saveexec_b32 s5, s5
	s_cbranch_execz .LBB49_1857
.LBB49_2196:
	v_add_f32_e64 v3, 0x46000000, |v2|
	s_andn2_b32 s4, s4, exec_lo
	v_and_b32_e32 v3, 0xff, v3
	v_cmp_ne_u32_e32 vcc_lo, 0, v3
	s_and_b32 s6, vcc_lo, exec_lo
	s_or_b32 s4, s4, s6
	s_or_b32 exec_lo, exec_lo, s5
	v_mov_b32_e32 v5, 0
	s_and_saveexec_b32 s5, s4
	s_cbranch_execnz .LBB49_1858
	s_branch .LBB49_1859
.LBB49_2197:
	s_or_b32 s13, s13, exec_lo
	s_trap 2
	s_cbranch_execz .LBB49_1905
	s_branch .LBB49_1906
.LBB49_2198:
	s_andn2_saveexec_b32 s4, s4
	s_cbranch_execz .LBB49_1870
.LBB49_2199:
	v_add_f32_e64 v3, 0x42800000, |v2|
	s_andn2_b32 s3, s3, exec_lo
	v_and_b32_e32 v3, 0xff, v3
	v_cmp_ne_u32_e32 vcc_lo, 0, v3
	s_and_b32 s5, vcc_lo, exec_lo
	s_or_b32 s3, s3, s5
	s_or_b32 exec_lo, exec_lo, s4
	v_mov_b32_e32 v5, 0
	s_and_saveexec_b32 s4, s3
	s_cbranch_execnz .LBB49_1871
	s_branch .LBB49_1872
.LBB49_2200:
	s_andn2_saveexec_b32 s5, s5
	s_cbranch_execz .LBB49_1976
.LBB49_2201:
	v_add_f32_e64 v3, 0x46000000, |v2|
	s_andn2_b32 s4, s4, exec_lo
	v_and_b32_e32 v3, 0xff, v3
	v_cmp_ne_u32_e32 vcc_lo, 0, v3
	s_and_b32 s6, vcc_lo, exec_lo
	s_or_b32 s4, s4, s6
	s_or_b32 exec_lo, exec_lo, s5
	v_mov_b32_e32 v7, 0
	s_and_saveexec_b32 s5, s4
	s_cbranch_execnz .LBB49_1977
	s_branch .LBB49_1978
.LBB49_2202:
	s_or_b32 s13, s13, exec_lo
	s_trap 2
	s_cbranch_execz .LBB49_2024
	s_branch .LBB49_2025
.LBB49_2203:
	s_andn2_saveexec_b32 s4, s4
	s_cbranch_execz .LBB49_1989
.LBB49_2204:
	v_add_f32_e64 v3, 0x42800000, |v2|
	s_andn2_b32 s3, s3, exec_lo
	v_and_b32_e32 v3, 0xff, v3
	v_cmp_ne_u32_e32 vcc_lo, 0, v3
	s_and_b32 s5, vcc_lo, exec_lo
	s_or_b32 s3, s3, s5
	s_or_b32 exec_lo, exec_lo, s4
	v_mov_b32_e32 v7, 0
	s_and_saveexec_b32 s4, s3
	s_cbranch_execnz .LBB49_1990
	s_branch .LBB49_1991
.LBB49_2205:
	s_andn2_saveexec_b32 s5, s5
	s_cbranch_execz .LBB49_2096
.LBB49_2206:
	v_add_f32_e64 v3, 0x46000000, |v2|
	s_andn2_b32 s4, s4, exec_lo
	v_and_b32_e32 v3, 0xff, v3
	v_cmp_ne_u32_e32 vcc_lo, 0, v3
	s_and_b32 s6, vcc_lo, exec_lo
	s_or_b32 s4, s4, s6
	s_or_b32 exec_lo, exec_lo, s5
	v_mov_b32_e32 v6, 0
	s_and_saveexec_b32 s5, s4
	s_cbranch_execnz .LBB49_2097
	s_branch .LBB49_2098
.LBB49_2207:
	s_mov_b32 s2, 0
	s_or_b32 s13, s13, exec_lo
	s_trap 2
	s_branch .LBB49_2142
.LBB49_2208:
	s_andn2_saveexec_b32 s4, s4
	s_cbranch_execz .LBB49_2108
.LBB49_2209:
	v_add_f32_e64 v3, 0x42800000, |v2|
	s_andn2_b32 s3, s3, exec_lo
	v_and_b32_e32 v3, 0xff, v3
	v_cmp_ne_u32_e32 vcc_lo, 0, v3
	s_and_b32 s5, vcc_lo, exec_lo
	s_or_b32 s3, s3, s5
	s_or_b32 exec_lo, exec_lo, s4
	v_mov_b32_e32 v6, 0
	s_and_saveexec_b32 s4, s3
	s_cbranch_execnz .LBB49_2109
	s_branch .LBB49_2110
	.section	.rodata,"a",@progbits
	.p2align	6, 0x0
	.amdhsa_kernel _ZN2at6native32elementwise_kernel_manual_unrollILi128ELi4EZNS0_15gpu_kernel_implIZZZNS0_20trigamma_kernel_cudaERNS_18TensorIteratorBaseEENKUlvE_clEvENKUlvE_clEvEUldE_EEvS4_RKT_EUlibE0_EEviT1_
		.amdhsa_group_segment_fixed_size 0
		.amdhsa_private_segment_fixed_size 0
		.amdhsa_kernarg_size 360
		.amdhsa_user_sgpr_count 6
		.amdhsa_user_sgpr_private_segment_buffer 1
		.amdhsa_user_sgpr_dispatch_ptr 0
		.amdhsa_user_sgpr_queue_ptr 0
		.amdhsa_user_sgpr_kernarg_segment_ptr 1
		.amdhsa_user_sgpr_dispatch_id 0
		.amdhsa_user_sgpr_flat_scratch_init 0
		.amdhsa_user_sgpr_private_segment_size 0
		.amdhsa_wavefront_size32 1
		.amdhsa_uses_dynamic_stack 0
		.amdhsa_system_sgpr_private_segment_wavefront_offset 0
		.amdhsa_system_sgpr_workgroup_id_x 1
		.amdhsa_system_sgpr_workgroup_id_y 0
		.amdhsa_system_sgpr_workgroup_id_z 0
		.amdhsa_system_sgpr_workgroup_info 0
		.amdhsa_system_vgpr_workitem_id 0
		.amdhsa_next_free_vgpr 109
		.amdhsa_next_free_sgpr 68
		.amdhsa_reserve_vcc 1
		.amdhsa_reserve_flat_scratch 0
		.amdhsa_float_round_mode_32 0
		.amdhsa_float_round_mode_16_64 0
		.amdhsa_float_denorm_mode_32 3
		.amdhsa_float_denorm_mode_16_64 3
		.amdhsa_dx10_clamp 1
		.amdhsa_ieee_mode 1
		.amdhsa_fp16_overflow 0
		.amdhsa_workgroup_processor_mode 1
		.amdhsa_memory_ordered 1
		.amdhsa_forward_progress 1
		.amdhsa_shared_vgpr_count 0
		.amdhsa_exception_fp_ieee_invalid_op 0
		.amdhsa_exception_fp_denorm_src 0
		.amdhsa_exception_fp_ieee_div_zero 0
		.amdhsa_exception_fp_ieee_overflow 0
		.amdhsa_exception_fp_ieee_underflow 0
		.amdhsa_exception_fp_ieee_inexact 0
		.amdhsa_exception_int_div_zero 0
	.end_amdhsa_kernel
	.section	.text._ZN2at6native32elementwise_kernel_manual_unrollILi128ELi4EZNS0_15gpu_kernel_implIZZZNS0_20trigamma_kernel_cudaERNS_18TensorIteratorBaseEENKUlvE_clEvENKUlvE_clEvEUldE_EEvS4_RKT_EUlibE0_EEviT1_,"axG",@progbits,_ZN2at6native32elementwise_kernel_manual_unrollILi128ELi4EZNS0_15gpu_kernel_implIZZZNS0_20trigamma_kernel_cudaERNS_18TensorIteratorBaseEENKUlvE_clEvENKUlvE_clEvEUldE_EEvS4_RKT_EUlibE0_EEviT1_,comdat
.Lfunc_end49:
	.size	_ZN2at6native32elementwise_kernel_manual_unrollILi128ELi4EZNS0_15gpu_kernel_implIZZZNS0_20trigamma_kernel_cudaERNS_18TensorIteratorBaseEENKUlvE_clEvENKUlvE_clEvEUldE_EEvS4_RKT_EUlibE0_EEviT1_, .Lfunc_end49-_ZN2at6native32elementwise_kernel_manual_unrollILi128ELi4EZNS0_15gpu_kernel_implIZZZNS0_20trigamma_kernel_cudaERNS_18TensorIteratorBaseEENKUlvE_clEvENKUlvE_clEvEUldE_EEvS4_RKT_EUlibE0_EEviT1_
                                        ; -- End function
	.set _ZN2at6native32elementwise_kernel_manual_unrollILi128ELi4EZNS0_15gpu_kernel_implIZZZNS0_20trigamma_kernel_cudaERNS_18TensorIteratorBaseEENKUlvE_clEvENKUlvE_clEvEUldE_EEvS4_RKT_EUlibE0_EEviT1_.num_vgpr, 109
	.set _ZN2at6native32elementwise_kernel_manual_unrollILi128ELi4EZNS0_15gpu_kernel_implIZZZNS0_20trigamma_kernel_cudaERNS_18TensorIteratorBaseEENKUlvE_clEvENKUlvE_clEvEUldE_EEvS4_RKT_EUlibE0_EEviT1_.num_agpr, 0
	.set _ZN2at6native32elementwise_kernel_manual_unrollILi128ELi4EZNS0_15gpu_kernel_implIZZZNS0_20trigamma_kernel_cudaERNS_18TensorIteratorBaseEENKUlvE_clEvENKUlvE_clEvEUldE_EEvS4_RKT_EUlibE0_EEviT1_.numbered_sgpr, 68
	.set _ZN2at6native32elementwise_kernel_manual_unrollILi128ELi4EZNS0_15gpu_kernel_implIZZZNS0_20trigamma_kernel_cudaERNS_18TensorIteratorBaseEENKUlvE_clEvENKUlvE_clEvEUldE_EEvS4_RKT_EUlibE0_EEviT1_.num_named_barrier, 0
	.set _ZN2at6native32elementwise_kernel_manual_unrollILi128ELi4EZNS0_15gpu_kernel_implIZZZNS0_20trigamma_kernel_cudaERNS_18TensorIteratorBaseEENKUlvE_clEvENKUlvE_clEvEUldE_EEvS4_RKT_EUlibE0_EEviT1_.private_seg_size, 0
	.set _ZN2at6native32elementwise_kernel_manual_unrollILi128ELi4EZNS0_15gpu_kernel_implIZZZNS0_20trigamma_kernel_cudaERNS_18TensorIteratorBaseEENKUlvE_clEvENKUlvE_clEvEUldE_EEvS4_RKT_EUlibE0_EEviT1_.uses_vcc, 1
	.set _ZN2at6native32elementwise_kernel_manual_unrollILi128ELi4EZNS0_15gpu_kernel_implIZZZNS0_20trigamma_kernel_cudaERNS_18TensorIteratorBaseEENKUlvE_clEvENKUlvE_clEvEUldE_EEvS4_RKT_EUlibE0_EEviT1_.uses_flat_scratch, 0
	.set _ZN2at6native32elementwise_kernel_manual_unrollILi128ELi4EZNS0_15gpu_kernel_implIZZZNS0_20trigamma_kernel_cudaERNS_18TensorIteratorBaseEENKUlvE_clEvENKUlvE_clEvEUldE_EEvS4_RKT_EUlibE0_EEviT1_.has_dyn_sized_stack, 0
	.set _ZN2at6native32elementwise_kernel_manual_unrollILi128ELi4EZNS0_15gpu_kernel_implIZZZNS0_20trigamma_kernel_cudaERNS_18TensorIteratorBaseEENKUlvE_clEvENKUlvE_clEvEUldE_EEvS4_RKT_EUlibE0_EEviT1_.has_recursion, 0
	.set _ZN2at6native32elementwise_kernel_manual_unrollILi128ELi4EZNS0_15gpu_kernel_implIZZZNS0_20trigamma_kernel_cudaERNS_18TensorIteratorBaseEENKUlvE_clEvENKUlvE_clEvEUldE_EEvS4_RKT_EUlibE0_EEviT1_.has_indirect_call, 0
	.section	.AMDGPU.csdata,"",@progbits
; Kernel info:
; codeLenInByte = 60332
; TotalNumSgprs: 70
; NumVgprs: 109
; ScratchSize: 0
; MemoryBound: 1
; FloatMode: 240
; IeeeMode: 1
; LDSByteSize: 0 bytes/workgroup (compile time only)
; SGPRBlocks: 0
; VGPRBlocks: 13
; NumSGPRsForWavesPerEU: 70
; NumVGPRsForWavesPerEU: 109
; Occupancy: 9
; WaveLimiterHint : 1
; COMPUTE_PGM_RSRC2:SCRATCH_EN: 0
; COMPUTE_PGM_RSRC2:USER_SGPR: 6
; COMPUTE_PGM_RSRC2:TRAP_HANDLER: 0
; COMPUTE_PGM_RSRC2:TGID_X_EN: 1
; COMPUTE_PGM_RSRC2:TGID_Y_EN: 0
; COMPUTE_PGM_RSRC2:TGID_Z_EN: 0
; COMPUTE_PGM_RSRC2:TIDIG_COMP_CNT: 0
	.section	.text._ZN2at6native29vectorized_elementwise_kernelILi16EZZZNS0_20trigamma_kernel_cudaERNS_18TensorIteratorBaseEENKUlvE_clEvENKUlvE0_clEvEUlfE_St5arrayIPcLm2EEEEviT0_T1_,"axG",@progbits,_ZN2at6native29vectorized_elementwise_kernelILi16EZZZNS0_20trigamma_kernel_cudaERNS_18TensorIteratorBaseEENKUlvE_clEvENKUlvE0_clEvEUlfE_St5arrayIPcLm2EEEEviT0_T1_,comdat
	.globl	_ZN2at6native29vectorized_elementwise_kernelILi16EZZZNS0_20trigamma_kernel_cudaERNS_18TensorIteratorBaseEENKUlvE_clEvENKUlvE0_clEvEUlfE_St5arrayIPcLm2EEEEviT0_T1_ ; -- Begin function _ZN2at6native29vectorized_elementwise_kernelILi16EZZZNS0_20trigamma_kernel_cudaERNS_18TensorIteratorBaseEENKUlvE_clEvENKUlvE0_clEvEUlfE_St5arrayIPcLm2EEEEviT0_T1_
	.p2align	8
	.type	_ZN2at6native29vectorized_elementwise_kernelILi16EZZZNS0_20trigamma_kernel_cudaERNS_18TensorIteratorBaseEENKUlvE_clEvENKUlvE0_clEvEUlfE_St5arrayIPcLm2EEEEviT0_T1_,@function
_ZN2at6native29vectorized_elementwise_kernelILi16EZZZNS0_20trigamma_kernel_cudaERNS_18TensorIteratorBaseEENKUlvE_clEvENKUlvE0_clEvEUlfE_St5arrayIPcLm2EEEEviT0_T1_: ; @_ZN2at6native29vectorized_elementwise_kernelILi16EZZZNS0_20trigamma_kernel_cudaERNS_18TensorIteratorBaseEENKUlvE_clEvENKUlvE0_clEvEUlfE_St5arrayIPcLm2EEEEviT0_T1_
; %bb.0:
	s_clause 0x1
	s_load_dword s0, s[4:5], 0x0
	s_load_dwordx4 s[8:11], s[4:5], 0x8
	s_lshl_b32 s6, s6, 10
	s_waitcnt lgkmcnt(0)
	s_sub_i32 s5, s0, s6
	s_mov_b32 s0, -1
	s_cmpk_gt_i32 s5, 0x3ff
	s_cbranch_scc0 .LBB50_26
; %bb.1:
	s_ashr_i32 s7, s6, 31
	v_lshlrev_b32_e32 v5, 4, v0
	s_lshl_b64 s[2:3], s[6:7], 2
	v_mov_b32_e32 v7, 0
	s_add_u32 s0, s10, s2
	s_addc_u32 s1, s11, s3
	v_mov_b32_e32 v6, 1.0
	global_load_dwordx4 v[1:4], v5, s[0:1]
	s_mov_b32 s4, exec_lo
	s_waitcnt vmcnt(0)
	v_cmpx_gt_f32_e32 0.5, v1
	s_cbranch_execz .LBB50_7
; %bb.2:
	v_mul_f32_e32 v6, 0x40490fdb, v1
                                        ; implicit-def: $vgpr9
                                        ; implicit-def: $vgpr8
	s_mov_b32 s1, exec_lo
	v_and_b32_e32 v7, 0x7fffffff, v6
	v_cmpx_ngt_f32_e64 0x48000000, |v6|
	s_xor_b32 s7, exec_lo, s1
	s_cbranch_execz .LBB50_4
; %bb.3:
	s_mov_b32 s0, 0x7fffff
	v_mov_b32_e32 v10, 0
	v_and_or_b32 v17, v7, s0, 0x800000
	v_lshrrev_b32_e32 v15, 23, v7
	v_mad_u64_u32 v[8:9], null, 0xfe5163ab, v17, 0
	v_add_nc_u32_e32 v16, 0xffffff88, v15
	v_cmp_lt_u32_e32 vcc_lo, 63, v16
	v_mad_u64_u32 v[11:12], null, 0x3c439041, v17, v[9:10]
	v_cndmask_b32_e64 v18, 0, 0xffffffc0, vcc_lo
	v_mov_b32_e32 v9, v12
	v_add_nc_u32_e32 v18, v18, v16
	v_mad_u64_u32 v[12:13], null, 0xdb629599, v17, v[9:10]
	v_cmp_lt_u32_e64 s0, 31, v18
	v_cndmask_b32_e64 v19, 0, 0xffffffe0, s0
	v_mov_b32_e32 v9, v13
	v_cndmask_b32_e32 v8, v12, v8, vcc_lo
	v_mad_u64_u32 v[13:14], null, 0xf534ddc0, v17, v[9:10]
	v_mov_b32_e32 v9, v14
	v_cndmask_b32_e32 v11, v13, v11, vcc_lo
	v_mad_u64_u32 v[14:15], null, 0xfc2757d1, v17, v[9:10]
	v_cndmask_b32_e64 v8, v11, v8, s0
	v_mov_b32_e32 v9, v15
	v_mad_u64_u32 v[15:16], null, 0x4e441529, v17, v[9:10]
	v_mov_b32_e32 v9, v16
	v_add_nc_u32_e32 v16, v19, v18
	v_cndmask_b32_e32 v18, v15, v13, vcc_lo
	v_mad_u64_u32 v[9:10], null, 0xa2f9836e, v17, v[9:10]
	v_cmp_lt_u32_e64 s1, 31, v16
	v_cndmask_b32_e64 v17, 0, 0xffffffe0, s1
	v_cndmask_b32_e32 v9, v9, v14, vcc_lo
	v_cndmask_b32_e32 v10, v10, v15, vcc_lo
	;; [unrolled: 1-line block ×3, first 2 shown]
	v_add_nc_u32_e32 v15, v17, v16
	v_cndmask_b32_e64 v13, v9, v18, s0
	v_cndmask_b32_e64 v9, v10, v9, s0
	v_cndmask_b32_e64 v10, v18, v14, s0
	v_cndmask_b32_e64 v14, v14, v11, s0
	v_sub_nc_u32_e32 v16, 32, v15
	v_cmp_eq_u32_e32 vcc_lo, 0, v15
	v_cndmask_b32_e64 v9, v9, v13, s1
	v_cndmask_b32_e64 v13, v13, v10, s1
	;; [unrolled: 1-line block ×4, first 2 shown]
	v_alignbit_b32 v17, v9, v13, v16
	v_alignbit_b32 v12, v13, v10, v16
	;; [unrolled: 1-line block ×3, first 2 shown]
	v_cndmask_b32_e32 v9, v17, v9, vcc_lo
	v_cndmask_b32_e32 v11, v12, v13, vcc_lo
	;; [unrolled: 1-line block ×3, first 2 shown]
	v_bfe_u32 v12, v9, 29, 1
	v_alignbit_b32 v13, v9, v11, 30
	v_alignbit_b32 v11, v11, v10, 30
	;; [unrolled: 1-line block ×3, first 2 shown]
	v_sub_nc_u32_e32 v14, 0, v12
	v_xor_b32_e32 v13, v13, v14
	v_xor_b32_e32 v10, v11, v14
	;; [unrolled: 1-line block ×3, first 2 shown]
	v_lshrrev_b32_e32 v14, 29, v9
	v_lshrrev_b32_e32 v9, 30, v9
	v_ffbh_u32_e32 v15, v13
	v_add_nc_u32_e32 v9, v12, v9
	v_min_u32_e32 v15, 32, v15
	v_sub_nc_u32_e32 v11, 31, v15
	v_lshlrev_b32_e32 v16, 23, v15
	v_alignbit_b32 v13, v13, v10, v11
	v_alignbit_b32 v8, v10, v8, v11
	v_lshlrev_b32_e32 v10, 31, v14
	v_alignbit_b32 v11, v13, v8, 9
	v_or_b32_e32 v14, 0.5, v10
	v_lshrrev_b32_e32 v13, 9, v13
	v_or_b32_e32 v10, 0x33000000, v10
	v_ffbh_u32_e32 v17, v11
	v_sub_nc_u32_e32 v14, v14, v16
	v_min_u32_e32 v16, 32, v17
	v_or_b32_e32 v13, v13, v14
	v_not_b32_e32 v14, v16
	v_mul_f32_e32 v17, 0x3fc90fda, v13
	v_add_lshl_u32 v15, v16, v15, 23
	v_alignbit_b32 v8, v11, v8, v14
	v_fma_f32 v11, 0x3fc90fda, v13, -v17
	v_sub_nc_u32_e32 v10, v10, v15
	v_lshrrev_b32_e32 v8, 9, v8
	v_fmamk_f32 v11, v13, 0x33a22168, v11
	v_or_b32_e32 v8, v10, v8
	v_fmac_f32_e32 v11, 0x3fc90fda, v8
	v_add_f32_e32 v8, v17, v11
.LBB50_4:
	s_andn2_saveexec_b32 s0, s7
; %bb.5:
	v_mul_f32_e64 v8, 0x3f22f983, |v6|
	v_rndne_f32_e32 v9, v8
	v_fma_f32 v8, 0xbfc90fda, v9, |v6|
	v_fmamk_f32 v8, v9, 0xb3a22168, v8
	v_fmamk_f32 v8, v9, 0xa7c234c4, v8
	v_cvt_i32_f32_e32 v9, v9
; %bb.6:
	s_or_b32 exec_lo, exec_lo, s0
	v_mul_f32_e32 v10, v8, v8
	s_mov_b32 s0, 0xb94c1982
	s_mov_b32 s1, 0x37d75334
	v_and_b32_e32 v13, 1, v9
	v_lshlrev_b32_e32 v9, 30, v9
	v_fmaak_f32 v11, s0, v10, 0x3c0881c4
	v_fmaak_f32 v12, s1, v10, 0xbab64f3b
	v_xor_b32_e32 v7, v7, v6
	v_cmp_eq_u32_e32 vcc_lo, 0, v13
	v_and_b32_e32 v9, 0x80000000, v9
	v_fmaak_f32 v11, v10, v11, 0xbe2aaa9d
	v_fmaak_f32 v12, v10, v12, 0x3d2aabf7
	v_sub_f32_e32 v1, 1.0, v1
	v_mul_f32_e32 v11, v10, v11
	v_fmaak_f32 v12, v10, v12, 0xbf000004
	v_fmac_f32_e32 v8, v8, v11
	v_fma_f32 v10, v10, v12, 1.0
	v_cndmask_b32_e32 v8, v10, v8, vcc_lo
	v_cmp_class_f32_e64 vcc_lo, v6, 0x1f8
	v_xor3_b32 v7, v7, v9, v8
	v_cndmask_b32_e32 v6, 0x7fc00000, v7, vcc_lo
	v_mul_f32_e32 v6, v6, v6
	v_div_scale_f32 v7, null, v6, v6, 0xc11de9e7
	v_div_scale_f32 v10, vcc_lo, 0xc11de9e7, v6, 0xc11de9e7
	v_rcp_f32_e32 v8, v7
	v_fma_f32 v9, -v7, v8, 1.0
	v_fmac_f32_e32 v8, v9, v8
	v_mul_f32_e32 v9, v10, v8
	v_fma_f32 v11, -v7, v9, v10
	v_fmac_f32_e32 v9, v11, v8
	v_fma_f32 v7, -v7, v9, v10
	v_div_fmas_f32 v7, v7, v8, v9
	v_div_fixup_f32 v6, v7, v6, 0xc11de9e7
	v_add_f32_e32 v7, 0, v6
	v_mov_b32_e32 v6, -1.0
.LBB50_7:
	s_or_b32 exec_lo, exec_lo, s4
	v_mov_b32_e32 v11, 0
	v_mov_b32_e32 v9, 1.0
	s_mov_b32 s4, exec_lo
	v_cmpx_gt_f32_e32 0.5, v2
	s_cbranch_execz .LBB50_13
; %bb.8:
	v_mul_f32_e32 v8, 0x40490fdb, v2
                                        ; implicit-def: $vgpr11
                                        ; implicit-def: $vgpr10
	s_mov_b32 s1, exec_lo
	v_and_b32_e32 v9, 0x7fffffff, v8
	v_cmpx_ngt_f32_e64 0x48000000, |v8|
	s_xor_b32 s7, exec_lo, s1
	s_cbranch_execz .LBB50_10
; %bb.9:
	s_mov_b32 s0, 0x7fffff
	v_mov_b32_e32 v12, 0
	v_and_or_b32 v19, v9, s0, 0x800000
	v_lshrrev_b32_e32 v17, 23, v9
	v_mad_u64_u32 v[10:11], null, 0xfe5163ab, v19, 0
	v_add_nc_u32_e32 v18, 0xffffff88, v17
	v_cmp_lt_u32_e32 vcc_lo, 63, v18
	v_mad_u64_u32 v[13:14], null, 0x3c439041, v19, v[11:12]
	v_cndmask_b32_e64 v20, 0, 0xffffffc0, vcc_lo
	v_mov_b32_e32 v11, v14
	v_add_nc_u32_e32 v20, v20, v18
	v_mad_u64_u32 v[14:15], null, 0xdb629599, v19, v[11:12]
	v_cmp_lt_u32_e64 s0, 31, v20
	v_cndmask_b32_e64 v21, 0, 0xffffffe0, s0
	v_mov_b32_e32 v11, v15
	v_cndmask_b32_e32 v10, v14, v10, vcc_lo
	v_mad_u64_u32 v[15:16], null, 0xf534ddc0, v19, v[11:12]
	v_mov_b32_e32 v11, v16
	v_cndmask_b32_e32 v13, v15, v13, vcc_lo
	v_mad_u64_u32 v[16:17], null, 0xfc2757d1, v19, v[11:12]
	v_cndmask_b32_e64 v10, v13, v10, s0
	v_mov_b32_e32 v11, v17
	v_mad_u64_u32 v[17:18], null, 0x4e441529, v19, v[11:12]
	v_mov_b32_e32 v11, v18
	v_add_nc_u32_e32 v18, v21, v20
	v_cndmask_b32_e32 v20, v17, v15, vcc_lo
	v_mad_u64_u32 v[11:12], null, 0xa2f9836e, v19, v[11:12]
	v_cmp_lt_u32_e64 s1, 31, v18
	v_cndmask_b32_e64 v19, 0, 0xffffffe0, s1
	v_cndmask_b32_e32 v11, v11, v16, vcc_lo
	v_cndmask_b32_e32 v12, v12, v17, vcc_lo
	v_cndmask_b32_e32 v16, v16, v14, vcc_lo
	v_add_nc_u32_e32 v17, v19, v18
	v_cndmask_b32_e64 v15, v11, v20, s0
	v_cndmask_b32_e64 v11, v12, v11, s0
	;; [unrolled: 1-line block ×4, first 2 shown]
	v_sub_nc_u32_e32 v18, 32, v17
	v_cmp_eq_u32_e32 vcc_lo, 0, v17
	v_cndmask_b32_e64 v11, v11, v15, s1
	v_cndmask_b32_e64 v15, v15, v12, s1
	;; [unrolled: 1-line block ×4, first 2 shown]
	v_alignbit_b32 v19, v11, v15, v18
	v_alignbit_b32 v14, v15, v12, v18
	v_alignbit_b32 v17, v12, v10, v18
	v_cndmask_b32_e32 v11, v19, v11, vcc_lo
	v_cndmask_b32_e32 v13, v14, v15, vcc_lo
	;; [unrolled: 1-line block ×3, first 2 shown]
	v_bfe_u32 v14, v11, 29, 1
	v_alignbit_b32 v15, v11, v13, 30
	v_alignbit_b32 v13, v13, v12, 30
	;; [unrolled: 1-line block ×3, first 2 shown]
	v_sub_nc_u32_e32 v16, 0, v14
	v_xor_b32_e32 v15, v15, v16
	v_xor_b32_e32 v12, v13, v16
	;; [unrolled: 1-line block ×3, first 2 shown]
	v_lshrrev_b32_e32 v16, 29, v11
	v_lshrrev_b32_e32 v11, 30, v11
	v_ffbh_u32_e32 v17, v15
	v_add_nc_u32_e32 v11, v14, v11
	v_min_u32_e32 v17, 32, v17
	v_sub_nc_u32_e32 v13, 31, v17
	v_lshlrev_b32_e32 v18, 23, v17
	v_alignbit_b32 v15, v15, v12, v13
	v_alignbit_b32 v10, v12, v10, v13
	v_lshlrev_b32_e32 v12, 31, v16
	v_alignbit_b32 v13, v15, v10, 9
	v_or_b32_e32 v16, 0.5, v12
	v_lshrrev_b32_e32 v15, 9, v15
	v_or_b32_e32 v12, 0x33000000, v12
	v_ffbh_u32_e32 v19, v13
	v_sub_nc_u32_e32 v16, v16, v18
	v_min_u32_e32 v18, 32, v19
	v_or_b32_e32 v15, v15, v16
	v_not_b32_e32 v16, v18
	v_mul_f32_e32 v19, 0x3fc90fda, v15
	v_add_lshl_u32 v17, v18, v17, 23
	v_alignbit_b32 v10, v13, v10, v16
	v_fma_f32 v13, 0x3fc90fda, v15, -v19
	v_sub_nc_u32_e32 v12, v12, v17
	v_lshrrev_b32_e32 v10, 9, v10
	v_fmamk_f32 v13, v15, 0x33a22168, v13
	v_or_b32_e32 v10, v12, v10
	v_fmac_f32_e32 v13, 0x3fc90fda, v10
	v_add_f32_e32 v10, v19, v13
.LBB50_10:
	s_andn2_saveexec_b32 s0, s7
; %bb.11:
	v_mul_f32_e64 v10, 0x3f22f983, |v8|
	v_rndne_f32_e32 v11, v10
	v_fma_f32 v10, 0xbfc90fda, v11, |v8|
	v_fmamk_f32 v10, v11, 0xb3a22168, v10
	v_fmamk_f32 v10, v11, 0xa7c234c4, v10
	v_cvt_i32_f32_e32 v11, v11
; %bb.12:
	s_or_b32 exec_lo, exec_lo, s0
	v_mul_f32_e32 v12, v10, v10
	s_mov_b32 s0, 0xb94c1982
	s_mov_b32 s1, 0x37d75334
	v_and_b32_e32 v15, 1, v11
	v_lshlrev_b32_e32 v11, 30, v11
	v_fmaak_f32 v13, s0, v12, 0x3c0881c4
	v_fmaak_f32 v14, s1, v12, 0xbab64f3b
	v_xor_b32_e32 v9, v9, v8
	v_cmp_eq_u32_e32 vcc_lo, 0, v15
	v_and_b32_e32 v11, 0x80000000, v11
	v_fmaak_f32 v13, v12, v13, 0xbe2aaa9d
	v_fmaak_f32 v14, v12, v14, 0x3d2aabf7
	v_sub_f32_e32 v2, 1.0, v2
	v_mul_f32_e32 v13, v12, v13
	v_fmaak_f32 v14, v12, v14, 0xbf000004
	v_fmac_f32_e32 v10, v10, v13
	v_fma_f32 v12, v12, v14, 1.0
	v_cndmask_b32_e32 v10, v12, v10, vcc_lo
	v_cmp_class_f32_e64 vcc_lo, v8, 0x1f8
	v_xor3_b32 v9, v9, v11, v10
	v_cndmask_b32_e32 v8, 0x7fc00000, v9, vcc_lo
	v_mul_f32_e32 v8, v8, v8
	v_div_scale_f32 v9, null, v8, v8, 0xc11de9e7
	v_div_scale_f32 v12, vcc_lo, 0xc11de9e7, v8, 0xc11de9e7
	v_rcp_f32_e32 v10, v9
	v_fma_f32 v11, -v9, v10, 1.0
	v_fmac_f32_e32 v10, v11, v10
	v_mul_f32_e32 v11, v12, v10
	v_fma_f32 v13, -v9, v11, v12
	v_fmac_f32_e32 v11, v13, v10
	v_fma_f32 v9, -v9, v11, v12
	v_div_fmas_f32 v9, v9, v10, v11
	v_div_fixup_f32 v8, v9, v8, 0xc11de9e7
	v_mov_b32_e32 v9, -1.0
	v_add_f32_e32 v11, 0, v8
.LBB50_13:
	s_or_b32 exec_lo, exec_lo, s4
	v_mov_b32_e32 v13, 0
	v_mov_b32_e32 v12, 1.0
	s_mov_b32 s4, exec_lo
	v_cmpx_gt_f32_e32 0.5, v3
	s_cbranch_execz .LBB50_19
; %bb.14:
	v_mul_f32_e32 v8, 0x40490fdb, v3
                                        ; implicit-def: $vgpr13
                                        ; implicit-def: $vgpr12
	s_mov_b32 s1, exec_lo
	v_and_b32_e32 v10, 0x7fffffff, v8
	v_cmpx_ngt_f32_e64 0x48000000, |v8|
	s_xor_b32 s7, exec_lo, s1
	s_cbranch_execz .LBB50_16
; %bb.15:
	s_mov_b32 s0, 0x7fffff
	v_mov_b32_e32 v14, 0
	v_and_or_b32 v21, v10, s0, 0x800000
	v_lshrrev_b32_e32 v19, 23, v10
	v_mad_u64_u32 v[12:13], null, 0xfe5163ab, v21, 0
	v_add_nc_u32_e32 v20, 0xffffff88, v19
	v_cmp_lt_u32_e32 vcc_lo, 63, v20
	v_mad_u64_u32 v[15:16], null, 0x3c439041, v21, v[13:14]
	v_cndmask_b32_e64 v22, 0, 0xffffffc0, vcc_lo
	v_mov_b32_e32 v13, v16
	v_add_nc_u32_e32 v22, v22, v20
	v_mad_u64_u32 v[16:17], null, 0xdb629599, v21, v[13:14]
	v_cmp_lt_u32_e64 s0, 31, v22
	v_cndmask_b32_e64 v23, 0, 0xffffffe0, s0
	v_mov_b32_e32 v13, v17
	v_cndmask_b32_e32 v12, v16, v12, vcc_lo
	v_mad_u64_u32 v[17:18], null, 0xf534ddc0, v21, v[13:14]
	v_mov_b32_e32 v13, v18
	v_cndmask_b32_e32 v15, v17, v15, vcc_lo
	v_mad_u64_u32 v[18:19], null, 0xfc2757d1, v21, v[13:14]
	v_cndmask_b32_e64 v12, v15, v12, s0
	v_mov_b32_e32 v13, v19
	v_mad_u64_u32 v[19:20], null, 0x4e441529, v21, v[13:14]
	v_mov_b32_e32 v13, v20
	v_add_nc_u32_e32 v20, v23, v22
	v_cndmask_b32_e32 v22, v19, v17, vcc_lo
	v_mad_u64_u32 v[13:14], null, 0xa2f9836e, v21, v[13:14]
	v_cmp_lt_u32_e64 s1, 31, v20
	v_cndmask_b32_e64 v21, 0, 0xffffffe0, s1
	v_cndmask_b32_e32 v13, v13, v18, vcc_lo
	v_cndmask_b32_e32 v14, v14, v19, vcc_lo
	;; [unrolled: 1-line block ×3, first 2 shown]
	v_add_nc_u32_e32 v19, v21, v20
	v_cndmask_b32_e64 v17, v13, v22, s0
	v_cndmask_b32_e64 v13, v14, v13, s0
	;; [unrolled: 1-line block ×4, first 2 shown]
	v_sub_nc_u32_e32 v20, 32, v19
	v_cmp_eq_u32_e32 vcc_lo, 0, v19
	v_cndmask_b32_e64 v13, v13, v17, s1
	v_cndmask_b32_e64 v17, v17, v14, s1
	;; [unrolled: 1-line block ×4, first 2 shown]
	v_alignbit_b32 v21, v13, v17, v20
	v_alignbit_b32 v16, v17, v14, v20
	;; [unrolled: 1-line block ×3, first 2 shown]
	v_cndmask_b32_e32 v13, v21, v13, vcc_lo
	v_cndmask_b32_e32 v15, v16, v17, vcc_lo
	;; [unrolled: 1-line block ×3, first 2 shown]
	v_bfe_u32 v16, v13, 29, 1
	v_alignbit_b32 v17, v13, v15, 30
	v_alignbit_b32 v15, v15, v14, 30
	v_alignbit_b32 v12, v14, v12, 30
	v_sub_nc_u32_e32 v18, 0, v16
	v_xor_b32_e32 v17, v17, v18
	v_xor_b32_e32 v14, v15, v18
	;; [unrolled: 1-line block ×3, first 2 shown]
	v_lshrrev_b32_e32 v18, 29, v13
	v_lshrrev_b32_e32 v13, 30, v13
	v_ffbh_u32_e32 v19, v17
	v_add_nc_u32_e32 v13, v16, v13
	v_min_u32_e32 v19, 32, v19
	v_sub_nc_u32_e32 v15, 31, v19
	v_lshlrev_b32_e32 v20, 23, v19
	v_alignbit_b32 v17, v17, v14, v15
	v_alignbit_b32 v12, v14, v12, v15
	v_lshlrev_b32_e32 v14, 31, v18
	v_alignbit_b32 v15, v17, v12, 9
	v_or_b32_e32 v18, 0.5, v14
	v_lshrrev_b32_e32 v17, 9, v17
	v_or_b32_e32 v14, 0x33000000, v14
	v_ffbh_u32_e32 v21, v15
	v_sub_nc_u32_e32 v18, v18, v20
	v_min_u32_e32 v20, 32, v21
	v_or_b32_e32 v17, v17, v18
	v_not_b32_e32 v18, v20
	v_mul_f32_e32 v21, 0x3fc90fda, v17
	v_add_lshl_u32 v19, v20, v19, 23
	v_alignbit_b32 v12, v15, v12, v18
	v_fma_f32 v15, 0x3fc90fda, v17, -v21
	v_sub_nc_u32_e32 v14, v14, v19
	v_lshrrev_b32_e32 v12, 9, v12
	v_fmamk_f32 v15, v17, 0x33a22168, v15
	v_or_b32_e32 v12, v14, v12
	v_fmac_f32_e32 v15, 0x3fc90fda, v12
	v_add_f32_e32 v12, v21, v15
.LBB50_16:
	s_andn2_saveexec_b32 s0, s7
; %bb.17:
	v_mul_f32_e64 v12, 0x3f22f983, |v8|
	v_rndne_f32_e32 v13, v12
	v_fma_f32 v12, 0xbfc90fda, v13, |v8|
	v_fmamk_f32 v12, v13, 0xb3a22168, v12
	v_fmamk_f32 v12, v13, 0xa7c234c4, v12
	v_cvt_i32_f32_e32 v13, v13
; %bb.18:
	s_or_b32 exec_lo, exec_lo, s0
	v_mul_f32_e32 v14, v12, v12
	s_mov_b32 s0, 0xb94c1982
	s_mov_b32 s1, 0x37d75334
	v_and_b32_e32 v17, 1, v13
	v_lshlrev_b32_e32 v13, 30, v13
	v_fmaak_f32 v15, s0, v14, 0x3c0881c4
	v_fmaak_f32 v16, s1, v14, 0xbab64f3b
	v_xor_b32_e32 v10, v10, v8
	v_cmp_eq_u32_e32 vcc_lo, 0, v17
	v_and_b32_e32 v13, 0x80000000, v13
	v_fmaak_f32 v15, v14, v15, 0xbe2aaa9d
	v_fmaak_f32 v16, v14, v16, 0x3d2aabf7
	v_sub_f32_e32 v3, 1.0, v3
	v_mul_f32_e32 v15, v14, v15
	v_fmaak_f32 v16, v14, v16, 0xbf000004
	v_fmac_f32_e32 v12, v12, v15
	v_fma_f32 v14, v14, v16, 1.0
	v_cndmask_b32_e32 v12, v14, v12, vcc_lo
	v_cmp_class_f32_e64 vcc_lo, v8, 0x1f8
	v_xor3_b32 v10, v10, v13, v12
	v_cndmask_b32_e32 v8, 0x7fc00000, v10, vcc_lo
	v_mul_f32_e32 v8, v8, v8
	v_div_scale_f32 v10, null, v8, v8, 0xc11de9e7
	v_div_scale_f32 v14, vcc_lo, 0xc11de9e7, v8, 0xc11de9e7
	v_rcp_f32_e32 v12, v10
	v_fma_f32 v13, -v10, v12, 1.0
	v_fmac_f32_e32 v12, v13, v12
	v_mul_f32_e32 v13, v14, v12
	v_fma_f32 v15, -v10, v13, v14
	v_fmac_f32_e32 v13, v15, v12
	v_fma_f32 v10, -v10, v13, v14
	v_div_fmas_f32 v10, v10, v12, v13
	v_mov_b32_e32 v12, -1.0
	v_div_fixup_f32 v8, v10, v8, 0xc11de9e7
	v_add_f32_e32 v13, 0, v8
.LBB50_19:
	s_or_b32 exec_lo, exec_lo, s4
	v_mov_b32_e32 v10, 0
	v_mov_b32_e32 v8, 1.0
	s_mov_b32 s4, exec_lo
	v_cmpx_gt_f32_e32 0.5, v4
	s_cbranch_execz .LBB50_25
; %bb.20:
	v_mul_f32_e32 v8, 0x40490fdb, v4
                                        ; implicit-def: $vgpr15
                                        ; implicit-def: $vgpr14
	s_mov_b32 s1, exec_lo
	v_and_b32_e32 v10, 0x7fffffff, v8
	v_cmpx_ngt_f32_e64 0x48000000, |v8|
	s_xor_b32 s7, exec_lo, s1
	s_cbranch_execz .LBB50_22
; %bb.21:
	s_mov_b32 s0, 0x7fffff
	v_mov_b32_e32 v16, 0
	v_and_or_b32 v23, v10, s0, 0x800000
	v_lshrrev_b32_e32 v21, 23, v10
	v_mad_u64_u32 v[14:15], null, 0xfe5163ab, v23, 0
	v_add_nc_u32_e32 v22, 0xffffff88, v21
	v_cmp_lt_u32_e32 vcc_lo, 63, v22
	v_mad_u64_u32 v[17:18], null, 0x3c439041, v23, v[15:16]
	v_cndmask_b32_e64 v24, 0, 0xffffffc0, vcc_lo
	v_mov_b32_e32 v15, v18
	v_add_nc_u32_e32 v24, v24, v22
	v_mad_u64_u32 v[18:19], null, 0xdb629599, v23, v[15:16]
	v_cmp_lt_u32_e64 s0, 31, v24
	v_cndmask_b32_e64 v25, 0, 0xffffffe0, s0
	v_mov_b32_e32 v15, v19
	v_cndmask_b32_e32 v14, v18, v14, vcc_lo
	v_mad_u64_u32 v[19:20], null, 0xf534ddc0, v23, v[15:16]
	v_mov_b32_e32 v15, v20
	v_cndmask_b32_e32 v17, v19, v17, vcc_lo
	v_mad_u64_u32 v[20:21], null, 0xfc2757d1, v23, v[15:16]
	v_cndmask_b32_e64 v14, v17, v14, s0
	v_mov_b32_e32 v15, v21
	v_mad_u64_u32 v[21:22], null, 0x4e441529, v23, v[15:16]
	v_mov_b32_e32 v15, v22
	v_add_nc_u32_e32 v22, v25, v24
	v_cndmask_b32_e32 v24, v21, v19, vcc_lo
	v_mad_u64_u32 v[15:16], null, 0xa2f9836e, v23, v[15:16]
	v_cmp_lt_u32_e64 s1, 31, v22
	v_cndmask_b32_e64 v23, 0, 0xffffffe0, s1
	v_cndmask_b32_e32 v15, v15, v20, vcc_lo
	v_cndmask_b32_e32 v16, v16, v21, vcc_lo
	;; [unrolled: 1-line block ×3, first 2 shown]
	v_add_nc_u32_e32 v21, v23, v22
	v_cndmask_b32_e64 v19, v15, v24, s0
	v_cndmask_b32_e64 v15, v16, v15, s0
	;; [unrolled: 1-line block ×4, first 2 shown]
	v_sub_nc_u32_e32 v22, 32, v21
	v_cmp_eq_u32_e32 vcc_lo, 0, v21
	v_cndmask_b32_e64 v15, v15, v19, s1
	v_cndmask_b32_e64 v19, v19, v16, s1
	;; [unrolled: 1-line block ×4, first 2 shown]
	v_alignbit_b32 v23, v15, v19, v22
	v_alignbit_b32 v18, v19, v16, v22
	;; [unrolled: 1-line block ×3, first 2 shown]
	v_cndmask_b32_e32 v15, v23, v15, vcc_lo
	v_cndmask_b32_e32 v17, v18, v19, vcc_lo
	;; [unrolled: 1-line block ×3, first 2 shown]
	v_bfe_u32 v18, v15, 29, 1
	v_alignbit_b32 v19, v15, v17, 30
	v_alignbit_b32 v17, v17, v16, 30
	;; [unrolled: 1-line block ×3, first 2 shown]
	v_sub_nc_u32_e32 v20, 0, v18
	v_xor_b32_e32 v19, v19, v20
	v_xor_b32_e32 v16, v17, v20
	;; [unrolled: 1-line block ×3, first 2 shown]
	v_lshrrev_b32_e32 v20, 29, v15
	v_lshrrev_b32_e32 v15, 30, v15
	v_ffbh_u32_e32 v21, v19
	v_add_nc_u32_e32 v15, v18, v15
	v_min_u32_e32 v21, 32, v21
	v_sub_nc_u32_e32 v17, 31, v21
	v_lshlrev_b32_e32 v22, 23, v21
	v_alignbit_b32 v19, v19, v16, v17
	v_alignbit_b32 v14, v16, v14, v17
	v_lshlrev_b32_e32 v16, 31, v20
	v_alignbit_b32 v17, v19, v14, 9
	v_or_b32_e32 v20, 0.5, v16
	v_lshrrev_b32_e32 v19, 9, v19
	v_or_b32_e32 v16, 0x33000000, v16
	v_ffbh_u32_e32 v23, v17
	v_sub_nc_u32_e32 v20, v20, v22
	v_min_u32_e32 v22, 32, v23
	v_or_b32_e32 v19, v19, v20
	v_not_b32_e32 v20, v22
	v_mul_f32_e32 v23, 0x3fc90fda, v19
	v_add_lshl_u32 v21, v22, v21, 23
	v_alignbit_b32 v14, v17, v14, v20
	v_fma_f32 v17, 0x3fc90fda, v19, -v23
	v_sub_nc_u32_e32 v16, v16, v21
	v_lshrrev_b32_e32 v14, 9, v14
	v_fmamk_f32 v17, v19, 0x33a22168, v17
	v_or_b32_e32 v14, v16, v14
	v_fmac_f32_e32 v17, 0x3fc90fda, v14
	v_add_f32_e32 v14, v23, v17
.LBB50_22:
	s_andn2_saveexec_b32 s0, s7
; %bb.23:
	v_mul_f32_e64 v14, 0x3f22f983, |v8|
	v_rndne_f32_e32 v15, v14
	v_fma_f32 v14, 0xbfc90fda, v15, |v8|
	v_fmamk_f32 v14, v15, 0xb3a22168, v14
	v_fmamk_f32 v14, v15, 0xa7c234c4, v14
	v_cvt_i32_f32_e32 v15, v15
; %bb.24:
	s_or_b32 exec_lo, exec_lo, s0
	v_mul_f32_e32 v16, v14, v14
	s_mov_b32 s0, 0xb94c1982
	s_mov_b32 s1, 0x37d75334
	v_and_b32_e32 v19, 1, v15
	v_lshlrev_b32_e32 v15, 30, v15
	v_fmaak_f32 v17, s0, v16, 0x3c0881c4
	v_fmaak_f32 v18, s1, v16, 0xbab64f3b
	v_xor_b32_e32 v10, v10, v8
	v_cmp_eq_u32_e32 vcc_lo, 0, v19
	v_and_b32_e32 v15, 0x80000000, v15
	v_fmaak_f32 v17, v16, v17, 0xbe2aaa9d
	v_fmaak_f32 v18, v16, v18, 0x3d2aabf7
	v_sub_f32_e32 v4, 1.0, v4
	v_mul_f32_e32 v17, v16, v17
	v_fmaak_f32 v18, v16, v18, 0xbf000004
	v_fmac_f32_e32 v14, v14, v17
	v_fma_f32 v16, v16, v18, 1.0
	v_cndmask_b32_e32 v14, v16, v14, vcc_lo
	v_cmp_class_f32_e64 vcc_lo, v8, 0x1f8
	v_xor3_b32 v10, v10, v15, v14
	v_cndmask_b32_e32 v8, 0x7fc00000, v10, vcc_lo
	v_mul_f32_e32 v8, v8, v8
	v_div_scale_f32 v10, null, v8, v8, 0xc11de9e7
	v_div_scale_f32 v16, vcc_lo, 0xc11de9e7, v8, 0xc11de9e7
	v_rcp_f32_e32 v14, v10
	v_fma_f32 v15, -v10, v14, 1.0
	v_fmac_f32_e32 v14, v15, v14
	v_mul_f32_e32 v15, v16, v14
	v_fma_f32 v17, -v10, v15, v16
	v_fmac_f32_e32 v15, v17, v14
	v_fma_f32 v10, -v10, v15, v16
	v_div_fmas_f32 v10, v10, v14, v15
	v_div_fixup_f32 v8, v10, v8, 0xc11de9e7
	v_add_f32_e32 v10, 0, v8
	v_mov_b32_e32 v8, -1.0
.LBB50_25:
	s_or_b32 exec_lo, exec_lo, s4
	v_mul_f32_e32 v14, v3, v3
	v_add_f32_e32 v3, 1.0, v3
	s_mov_b32 s0, 0xbcc30c31
	v_div_scale_f32 v15, null, v14, v14, 1.0
	v_rcp_f32_e32 v16, v15
	v_fma_f32 v17, -v15, v16, 1.0
	v_fmac_f32_e32 v16, v17, v16
	v_div_scale_f32 v17, vcc_lo, 1.0, v14, 1.0
	v_mul_f32_e32 v18, v17, v16
	v_fma_f32 v19, -v15, v18, v17
	v_fmac_f32_e32 v18, v19, v16
	v_fma_f32 v15, -v15, v18, v17
	v_div_fmas_f32 v15, v15, v16, v18
	v_div_fixup_f32 v14, v15, v14, 1.0
	v_add_f32_e32 v13, v13, v14
	v_mul_f32_e32 v14, v3, v3
	v_add_f32_e32 v3, 1.0, v3
	v_div_scale_f32 v15, null, v14, v14, 1.0
	v_rcp_f32_e32 v16, v15
	v_fma_f32 v17, -v15, v16, 1.0
	v_fmac_f32_e32 v16, v17, v16
	v_div_scale_f32 v17, vcc_lo, 1.0, v14, 1.0
	v_mul_f32_e32 v18, v17, v16
	v_fma_f32 v19, -v15, v18, v17
	v_fmac_f32_e32 v18, v19, v16
	v_fma_f32 v15, -v15, v18, v17
	v_div_fmas_f32 v15, v15, v16, v18
	v_div_fixup_f32 v14, v15, v14, 1.0
	v_add_f32_e32 v13, v13, v14
	v_mul_f32_e32 v14, v3, v3
	v_add_f32_e32 v3, 1.0, v3
	;; [unrolled: 14-line block ×5, first 2 shown]
	v_div_scale_f32 v15, null, v14, v14, 1.0
	v_rcp_f32_e32 v16, v15
	v_fma_f32 v17, -v15, v16, 1.0
	v_fmac_f32_e32 v16, v17, v16
	v_div_scale_f32 v17, vcc_lo, 1.0, v14, 1.0
	v_mul_f32_e32 v18, v17, v16
	v_fma_f32 v19, -v15, v18, v17
	v_fmac_f32_e32 v18, v19, v16
	v_fma_f32 v15, -v15, v18, v17
	v_div_fmas_f32 v15, v15, v16, v18
	v_div_fixup_f32 v14, v15, v14, 1.0
	v_add_f32_e32 v13, v13, v14
	v_add_f32_e32 v14, v3, v3
	v_div_scale_f32 v15, null, v14, v14, 1.0
	v_rcp_f32_e32 v16, v15
	v_fma_f32 v17, -v15, v16, 1.0
	v_fmac_f32_e32 v16, v17, v16
	v_div_scale_f32 v17, vcc_lo, 1.0, v14, 1.0
	v_mul_f32_e32 v18, v17, v16
	v_fma_f32 v19, -v15, v18, v17
	v_fmac_f32_e32 v18, v19, v16
	v_fma_f32 v15, -v15, v18, v17
	v_div_fmas_f32 v15, v15, v16, v18
	v_div_fixup_f32 v14, v15, v14, 1.0
	v_mul_f32_e32 v15, v3, v3
	v_add_f32_e32 v14, 1.0, v14
	v_div_scale_f32 v16, null, v15, v15, 1.0
	v_rcp_f32_e32 v17, v16
	v_fma_f32 v18, -v16, v17, 1.0
	v_fmac_f32_e32 v17, v18, v17
	v_div_scale_f32 v18, vcc_lo, 1.0, v15, 1.0
	v_mul_f32_e32 v19, v18, v17
	v_fma_f32 v20, -v16, v19, v18
	v_fmac_f32_e32 v19, v20, v17
	v_fma_f32 v16, -v16, v19, v18
	v_div_fmas_f32 v16, v16, v17, v19
	v_div_fixup_f32 v15, v16, v15, 1.0
	v_fmaak_f32 v16, s0, v15, 0x3d088889
	v_fma_f32 v16, -v15, v16, 0x3e2aaaab
	v_fmac_f32_e32 v14, v15, v16
	v_div_scale_f32 v15, null, v3, v3, v14
	v_rcp_f32_e32 v16, v15
	v_fma_f32 v17, -v15, v16, 1.0
	v_fmac_f32_e32 v16, v17, v16
	v_div_scale_f32 v17, vcc_lo, v14, v3, v14
	v_mul_f32_e32 v18, v17, v16
	v_fma_f32 v19, -v15, v18, v17
	v_fmac_f32_e32 v18, v19, v16
	v_fma_f32 v15, -v15, v18, v17
	v_div_fmas_f32 v15, v15, v16, v18
	v_div_fixup_f32 v3, v15, v3, v14
	v_add_f32_e32 v3, v13, v3
	v_mul_f32_e32 v3, v12, v3
	v_mul_f32_e32 v12, v2, v2
	v_add_f32_e32 v2, 1.0, v2
	v_div_scale_f32 v13, null, v12, v12, 1.0
	v_rcp_f32_e32 v14, v13
	v_fma_f32 v15, -v13, v14, 1.0
	v_fmac_f32_e32 v14, v15, v14
	v_div_scale_f32 v15, vcc_lo, 1.0, v12, 1.0
	v_mul_f32_e32 v16, v15, v14
	v_fma_f32 v17, -v13, v16, v15
	v_fmac_f32_e32 v16, v17, v14
	v_fma_f32 v13, -v13, v16, v15
	v_div_fmas_f32 v13, v13, v14, v16
	v_div_fixup_f32 v12, v13, v12, 1.0
	v_add_f32_e32 v11, v11, v12
	v_mul_f32_e32 v12, v2, v2
	v_add_f32_e32 v2, 1.0, v2
	v_div_scale_f32 v13, null, v12, v12, 1.0
	v_rcp_f32_e32 v14, v13
	v_fma_f32 v15, -v13, v14, 1.0
	v_fmac_f32_e32 v14, v15, v14
	v_div_scale_f32 v15, vcc_lo, 1.0, v12, 1.0
	v_mul_f32_e32 v16, v15, v14
	v_fma_f32 v17, -v13, v16, v15
	v_fmac_f32_e32 v16, v17, v14
	v_fma_f32 v13, -v13, v16, v15
	v_div_fmas_f32 v13, v13, v14, v16
	v_div_fixup_f32 v12, v13, v12, 1.0
	v_add_f32_e32 v11, v11, v12
	;; [unrolled: 14-line block ×6, first 2 shown]
	v_add_f32_e32 v12, v2, v2
	v_div_scale_f32 v13, null, v12, v12, 1.0
	v_rcp_f32_e32 v14, v13
	v_fma_f32 v15, -v13, v14, 1.0
	v_fmac_f32_e32 v14, v15, v14
	v_div_scale_f32 v15, vcc_lo, 1.0, v12, 1.0
	v_mul_f32_e32 v16, v15, v14
	v_fma_f32 v17, -v13, v16, v15
	v_fmac_f32_e32 v16, v17, v14
	v_fma_f32 v13, -v13, v16, v15
	v_div_fmas_f32 v13, v13, v14, v16
	v_div_fixup_f32 v12, v13, v12, 1.0
	v_mul_f32_e32 v13, v2, v2
	v_add_f32_e32 v12, 1.0, v12
	v_div_scale_f32 v14, null, v13, v13, 1.0
	v_rcp_f32_e32 v15, v14
	v_fma_f32 v16, -v14, v15, 1.0
	v_fmac_f32_e32 v15, v16, v15
	v_div_scale_f32 v16, vcc_lo, 1.0, v13, 1.0
	v_mul_f32_e32 v17, v16, v15
	v_fma_f32 v18, -v14, v17, v16
	v_fmac_f32_e32 v17, v18, v15
	v_fma_f32 v14, -v14, v17, v16
	v_div_fmas_f32 v14, v14, v15, v17
	v_div_fixup_f32 v13, v14, v13, 1.0
	v_fmaak_f32 v14, s0, v13, 0x3d088889
	v_fma_f32 v14, -v13, v14, 0x3e2aaaab
	v_fmac_f32_e32 v12, v13, v14
	v_div_scale_f32 v13, null, v2, v2, v12
	v_rcp_f32_e32 v14, v13
	v_fma_f32 v15, -v13, v14, 1.0
	v_fmac_f32_e32 v14, v15, v14
	v_div_scale_f32 v15, vcc_lo, v12, v2, v12
	v_mul_f32_e32 v16, v15, v14
	v_fma_f32 v17, -v13, v16, v15
	v_fmac_f32_e32 v16, v17, v14
	v_fma_f32 v13, -v13, v16, v15
	v_div_fmas_f32 v13, v13, v14, v16
	v_div_fixup_f32 v2, v13, v2, v12
	v_add_f32_e32 v2, v11, v2
	v_mul_f32_e32 v2, v9, v2
	v_mul_f32_e32 v9, v1, v1
	v_add_f32_e32 v1, 1.0, v1
	v_div_scale_f32 v11, null, v9, v9, 1.0
	v_rcp_f32_e32 v12, v11
	v_fma_f32 v13, -v11, v12, 1.0
	v_fmac_f32_e32 v12, v13, v12
	v_div_scale_f32 v13, vcc_lo, 1.0, v9, 1.0
	v_mul_f32_e32 v14, v13, v12
	v_fma_f32 v15, -v11, v14, v13
	v_fmac_f32_e32 v14, v15, v12
	v_fma_f32 v11, -v11, v14, v13
	v_div_fmas_f32 v11, v11, v12, v14
	v_div_fixup_f32 v9, v11, v9, 1.0
	v_add_f32_e32 v7, v7, v9
	v_mul_f32_e32 v9, v1, v1
	v_add_f32_e32 v1, 1.0, v1
	v_div_scale_f32 v11, null, v9, v9, 1.0
	v_rcp_f32_e32 v12, v11
	v_fma_f32 v13, -v11, v12, 1.0
	v_fmac_f32_e32 v12, v13, v12
	v_div_scale_f32 v13, vcc_lo, 1.0, v9, 1.0
	v_mul_f32_e32 v14, v13, v12
	v_fma_f32 v15, -v11, v14, v13
	v_fmac_f32_e32 v14, v15, v12
	v_fma_f32 v11, -v11, v14, v13
	v_div_fmas_f32 v11, v11, v12, v14
	v_div_fixup_f32 v9, v11, v9, 1.0
	v_add_f32_e32 v7, v7, v9
	;; [unrolled: 14-line block ×6, first 2 shown]
	v_add_f32_e32 v9, v1, v1
	v_div_scale_f32 v11, null, v9, v9, 1.0
	v_rcp_f32_e32 v12, v11
	v_fma_f32 v13, -v11, v12, 1.0
	v_fmac_f32_e32 v12, v13, v12
	v_div_scale_f32 v13, vcc_lo, 1.0, v9, 1.0
	v_mul_f32_e32 v14, v13, v12
	v_fma_f32 v15, -v11, v14, v13
	v_fmac_f32_e32 v14, v15, v12
	v_fma_f32 v11, -v11, v14, v13
	v_div_fmas_f32 v11, v11, v12, v14
	v_div_fixup_f32 v9, v11, v9, 1.0
	v_mul_f32_e32 v11, v1, v1
	v_add_f32_e32 v9, 1.0, v9
	v_div_scale_f32 v12, null, v11, v11, 1.0
	v_rcp_f32_e32 v13, v12
	v_fma_f32 v14, -v12, v13, 1.0
	v_fmac_f32_e32 v13, v14, v13
	v_div_scale_f32 v14, vcc_lo, 1.0, v11, 1.0
	v_mul_f32_e32 v15, v14, v13
	v_fma_f32 v16, -v12, v15, v14
	v_fmac_f32_e32 v15, v16, v13
	v_fma_f32 v12, -v12, v15, v14
	v_div_fmas_f32 v12, v12, v13, v15
	v_div_fixup_f32 v11, v12, v11, 1.0
	v_fmaak_f32 v12, s0, v11, 0x3d088889
	v_fma_f32 v12, -v11, v12, 0x3e2aaaab
	v_fmac_f32_e32 v9, v11, v12
	v_div_scale_f32 v11, null, v1, v1, v9
	v_rcp_f32_e32 v12, v11
	v_fma_f32 v13, -v11, v12, 1.0
	v_fmac_f32_e32 v12, v13, v12
	v_div_scale_f32 v13, vcc_lo, v9, v1, v9
	v_mul_f32_e32 v14, v13, v12
	v_fma_f32 v15, -v11, v14, v13
	v_fmac_f32_e32 v14, v15, v12
	v_fma_f32 v11, -v11, v14, v13
	v_div_fmas_f32 v11, v11, v12, v14
	v_div_fixup_f32 v1, v11, v1, v9
	v_add_f32_e32 v1, v7, v1
	v_mul_f32_e32 v1, v6, v1
	v_mul_f32_e32 v6, v4, v4
	v_add_f32_e32 v4, 1.0, v4
	v_div_scale_f32 v7, null, v6, v6, 1.0
	v_rcp_f32_e32 v9, v7
	v_fma_f32 v11, -v7, v9, 1.0
	v_fmac_f32_e32 v9, v11, v9
	v_div_scale_f32 v11, vcc_lo, 1.0, v6, 1.0
	v_mul_f32_e32 v12, v11, v9
	v_fma_f32 v13, -v7, v12, v11
	v_fmac_f32_e32 v12, v13, v9
	v_fma_f32 v7, -v7, v12, v11
	v_div_fmas_f32 v7, v7, v9, v12
	v_div_fixup_f32 v6, v7, v6, 1.0
	v_mul_f32_e32 v7, v4, v4
	v_add_f32_e32 v4, 1.0, v4
	v_add_f32_e32 v6, v10, v6
	v_div_scale_f32 v9, null, v7, v7, 1.0
	v_rcp_f32_e32 v10, v9
	v_fma_f32 v11, -v9, v10, 1.0
	v_fmac_f32_e32 v10, v11, v10
	v_div_scale_f32 v11, vcc_lo, 1.0, v7, 1.0
	v_mul_f32_e32 v12, v11, v10
	v_fma_f32 v13, -v9, v12, v11
	v_fmac_f32_e32 v12, v13, v10
	v_fma_f32 v9, -v9, v12, v11
	v_div_fmas_f32 v9, v9, v10, v12
	v_div_fixup_f32 v7, v9, v7, 1.0
	v_add_f32_e32 v6, v6, v7
	v_mul_f32_e32 v7, v4, v4
	v_add_f32_e32 v4, 1.0, v4
	v_div_scale_f32 v9, null, v7, v7, 1.0
	v_rcp_f32_e32 v10, v9
	v_fma_f32 v11, -v9, v10, 1.0
	v_fmac_f32_e32 v10, v11, v10
	v_div_scale_f32 v11, vcc_lo, 1.0, v7, 1.0
	v_mul_f32_e32 v12, v11, v10
	v_fma_f32 v13, -v9, v12, v11
	v_fmac_f32_e32 v12, v13, v10
	v_fma_f32 v9, -v9, v12, v11
	v_div_fmas_f32 v9, v9, v10, v12
	v_div_fixup_f32 v7, v9, v7, 1.0
	v_add_f32_e32 v6, v6, v7
	v_mul_f32_e32 v7, v4, v4
	v_add_f32_e32 v4, 1.0, v4
	v_div_scale_f32 v9, null, v7, v7, 1.0
	v_rcp_f32_e32 v10, v9
	v_fma_f32 v11, -v9, v10, 1.0
	v_fmac_f32_e32 v10, v11, v10
	v_div_scale_f32 v11, vcc_lo, 1.0, v7, 1.0
	v_mul_f32_e32 v12, v11, v10
	v_fma_f32 v13, -v9, v12, v11
	v_fmac_f32_e32 v12, v13, v10
	v_fma_f32 v9, -v9, v12, v11
	v_div_fmas_f32 v9, v9, v10, v12
	v_div_fixup_f32 v7, v9, v7, 1.0
	v_add_f32_e32 v6, v6, v7
	v_mul_f32_e32 v7, v4, v4
	v_add_f32_e32 v4, 1.0, v4
	v_div_scale_f32 v9, null, v7, v7, 1.0
	v_rcp_f32_e32 v10, v9
	v_fma_f32 v11, -v9, v10, 1.0
	v_fmac_f32_e32 v10, v11, v10
	v_div_scale_f32 v11, vcc_lo, 1.0, v7, 1.0
	v_mul_f32_e32 v12, v11, v10
	v_fma_f32 v13, -v9, v12, v11
	v_fmac_f32_e32 v12, v13, v10
	v_fma_f32 v9, -v9, v12, v11
	v_div_fmas_f32 v9, v9, v10, v12
	v_div_fixup_f32 v7, v9, v7, 1.0
	v_add_f32_e32 v6, v6, v7
	v_mul_f32_e32 v7, v4, v4
	v_add_f32_e32 v4, 1.0, v4
	v_div_scale_f32 v9, null, v7, v7, 1.0
	v_rcp_f32_e32 v10, v9
	v_fma_f32 v11, -v9, v10, 1.0
	v_fmac_f32_e32 v10, v11, v10
	v_div_scale_f32 v11, vcc_lo, 1.0, v7, 1.0
	v_mul_f32_e32 v12, v11, v10
	v_fma_f32 v13, -v9, v12, v11
	v_fmac_f32_e32 v12, v13, v10
	v_fma_f32 v9, -v9, v12, v11
	v_div_fmas_f32 v9, v9, v10, v12
	v_div_fixup_f32 v7, v9, v7, 1.0
	v_add_f32_e32 v6, v6, v7
	v_mul_f32_e32 v7, v4, v4
	v_div_scale_f32 v9, null, v7, v7, 1.0
	v_rcp_f32_e32 v10, v9
	v_fma_f32 v11, -v9, v10, 1.0
	v_fmac_f32_e32 v10, v11, v10
	v_div_scale_f32 v11, vcc_lo, 1.0, v7, 1.0
	v_mul_f32_e32 v12, v11, v10
	v_fma_f32 v13, -v9, v12, v11
	v_fmac_f32_e32 v12, v13, v10
	v_fma_f32 v9, -v9, v12, v11
	v_div_fmas_f32 v9, v9, v10, v12
	v_div_fixup_f32 v7, v9, v7, 1.0
	v_add_f32_e32 v9, v4, v4
	v_div_scale_f32 v10, null, v9, v9, 1.0
	v_rcp_f32_e32 v11, v10
	v_fma_f32 v12, -v10, v11, 1.0
	v_fmac_f32_e32 v11, v12, v11
	v_div_scale_f32 v12, vcc_lo, 1.0, v9, 1.0
	v_mul_f32_e32 v13, v12, v11
	v_fma_f32 v14, -v10, v13, v12
	v_fmac_f32_e32 v13, v14, v11
	v_fma_f32 v10, -v10, v13, v12
	v_div_fmas_f32 v10, v10, v11, v13
	v_div_fixup_f32 v9, v10, v9, 1.0
	v_fmaak_f32 v10, s0, v7, 0x3d088889
	s_add_u32 s0, s8, s2
	s_addc_u32 s1, s9, s3
	v_add_f32_e32 v9, 1.0, v9
	v_fma_f32 v10, -v7, v10, 0x3e2aaaab
	v_fmac_f32_e32 v9, v7, v10
	v_div_scale_f32 v7, null, v4, v4, v9
	v_rcp_f32_e32 v10, v7
	v_fma_f32 v11, -v7, v10, 1.0
	v_fmac_f32_e32 v10, v11, v10
	v_div_scale_f32 v11, vcc_lo, v9, v4, v9
	v_mul_f32_e32 v12, v11, v10
	v_fma_f32 v13, -v7, v12, v11
	v_fmac_f32_e32 v12, v13, v10
	v_fma_f32 v7, -v7, v12, v11
	v_div_fmas_f32 v7, v7, v10, v12
	v_div_fixup_f32 v4, v7, v4, v9
	v_add_f32_e32 v4, v6, v4
	v_mul_f32_e32 v4, v8, v4
	global_store_dwordx4 v5, v[1:4], s[0:1]
	s_mov_b32 s0, 0
.LBB50_26:
	s_and_b32 vcc_lo, exec_lo, s0
	s_cbranch_vccz .LBB50_65
; %bb.27:
	v_cmp_gt_i32_e64 s0, s5, v0
	v_mov_b32_e32 v9, 0
	v_or_b32_e32 v1, s6, v0
	v_or_b32_e32 v3, 0x100, v0
	v_mov_b32_e32 v10, 0
	v_mov_b32_e32 v4, v0
	s_and_saveexec_b32 s1, s0
	s_cbranch_execz .LBB50_29
; %bb.28:
	v_mov_b32_e32 v2, 0
	v_lshlrev_b64 v[4:5], 2, v[1:2]
	v_add_co_u32 v4, vcc_lo, s10, v4
	v_add_co_ci_u32_e64 v5, null, s11, v5, vcc_lo
	global_load_dword v10, v[4:5], off
	v_or_b32_e32 v4, 0x100, v0
.LBB50_29:
	s_or_b32 exec_lo, exec_lo, s1
	s_mov_b32 s1, exec_lo
	v_cmpx_gt_i32_e64 s5, v4
	s_cbranch_execz .LBB50_31
; %bb.30:
	v_add_nc_u32_e32 v5, s6, v4
	v_mov_b32_e32 v6, 0
	v_add_nc_u32_e32 v4, 0x100, v4
	v_lshlrev_b64 v[5:6], 2, v[5:6]
	v_add_co_u32 v5, vcc_lo, s10, v5
	v_add_co_ci_u32_e64 v6, null, s11, v6, vcc_lo
	global_load_dword v9, v[5:6], off
.LBB50_31:
	s_or_b32 exec_lo, exec_lo, s1
	v_mov_b32_e32 v2, 0
	v_mov_b32_e32 v5, 0
	s_mov_b32 s1, exec_lo
	v_cmpx_gt_i32_e64 s5, v4
	s_cbranch_execz .LBB50_33
; %bb.32:
	v_add_nc_u32_e32 v5, s6, v4
	v_mov_b32_e32 v6, 0
	v_add_nc_u32_e32 v4, 0x100, v4
	v_lshlrev_b64 v[5:6], 2, v[5:6]
	v_add_co_u32 v5, vcc_lo, s10, v5
	v_add_co_ci_u32_e64 v6, null, s11, v6, vcc_lo
	global_load_dword v5, v[5:6], off
.LBB50_33:
	s_or_b32 exec_lo, exec_lo, s1
	s_mov_b32 s1, exec_lo
	v_cmpx_gt_i32_e64 s5, v4
	s_cbranch_execz .LBB50_35
; %bb.34:
	v_add_nc_u32_e32 v6, s6, v4
	v_mov_b32_e32 v7, 0
	v_lshlrev_b64 v[6:7], 2, v[6:7]
	v_add_co_u32 v6, vcc_lo, s10, v6
	v_add_co_ci_u32_e64 v7, null, s11, v7, vcc_lo
	global_load_dword v2, v[6:7], off
.LBB50_35:
	s_or_b32 exec_lo, exec_lo, s1
	v_mov_b32_e32 v4, 0
	v_mov_b32_e32 v8, v4
	;; [unrolled: 1-line block ×4, first 2 shown]
	s_and_saveexec_b32 s7, s0
	s_cbranch_execz .LBB50_43
; %bb.36:
	v_mov_b32_e32 v6, 1.0
	s_mov_b32 s3, exec_lo
	s_waitcnt vmcnt(0)
	v_cmpx_gt_f32_e32 0.5, v10
	s_cbranch_execz .LBB50_42
; %bb.37:
	v_mul_f32_e32 v4, 0x40490fdb, v10
                                        ; implicit-def: $vgpr8
                                        ; implicit-def: $vgpr7
	s_mov_b32 s2, exec_lo
	v_and_b32_e32 v6, 0x7fffffff, v4
	v_cmpx_ngt_f32_e64 0x48000000, |v4|
	s_xor_b32 s4, exec_lo, s2
	s_cbranch_execz .LBB50_39
; %bb.38:
	s_mov_b32 s1, 0x7fffff
	v_mov_b32_e32 v12, 0
	v_and_or_b32 v19, v6, s1, 0x800000
	v_mad_u64_u32 v[7:8], null, 0xfe5163ab, v19, 0
	v_mov_b32_e32 v11, v8
	v_lshrrev_b32_e32 v8, 23, v6
	v_mad_u64_u32 v[13:14], null, 0x3c439041, v19, v[11:12]
	v_add_nc_u32_e32 v8, 0xffffff88, v8
	v_cmp_lt_u32_e32 vcc_lo, 63, v8
	v_mov_b32_e32 v11, v14
	v_cndmask_b32_e64 v18, 0, 0xffffffc0, vcc_lo
	v_mad_u64_u32 v[14:15], null, 0xdb629599, v19, v[11:12]
	v_add_nc_u32_e32 v8, v18, v8
	v_mov_b32_e32 v11, v15
	v_cmp_lt_u32_e64 s1, 31, v8
	v_cndmask_b32_e32 v7, v14, v7, vcc_lo
	v_mad_u64_u32 v[15:16], null, 0xf534ddc0, v19, v[11:12]
	v_cndmask_b32_e64 v20, 0, 0xffffffe0, s1
	v_add_nc_u32_e32 v8, v20, v8
	v_mov_b32_e32 v11, v16
	v_cndmask_b32_e32 v13, v15, v13, vcc_lo
	v_cmp_lt_u32_e64 s2, 31, v8
	v_mad_u64_u32 v[16:17], null, 0xfc2757d1, v19, v[11:12]
	v_cndmask_b32_e64 v7, v13, v7, s1
	v_mov_b32_e32 v11, v17
	v_mad_u64_u32 v[17:18], null, 0x4e441529, v19, v[11:12]
	v_mov_b32_e32 v11, v18
	v_cndmask_b32_e64 v18, 0, 0xffffffe0, s2
	v_mad_u64_u32 v[11:12], null, 0xa2f9836e, v19, v[11:12]
	v_cndmask_b32_e32 v19, v17, v15, vcc_lo
	v_add_nc_u32_e32 v8, v18, v8
	v_cndmask_b32_e32 v11, v11, v16, vcc_lo
	v_cndmask_b32_e32 v12, v12, v17, vcc_lo
	;; [unrolled: 1-line block ×3, first 2 shown]
	v_sub_nc_u32_e32 v17, 32, v8
	v_cmp_eq_u32_e32 vcc_lo, 0, v8
	v_cndmask_b32_e64 v15, v11, v19, s1
	v_cndmask_b32_e64 v11, v12, v11, s1
	;; [unrolled: 1-line block ×8, first 2 shown]
	v_alignbit_b32 v18, v11, v15, v17
	v_alignbit_b32 v14, v15, v12, v17
	;; [unrolled: 1-line block ×3, first 2 shown]
	v_cndmask_b32_e32 v8, v18, v11, vcc_lo
	v_cndmask_b32_e32 v11, v14, v15, vcc_lo
	;; [unrolled: 1-line block ×3, first 2 shown]
	v_bfe_u32 v13, v8, 29, 1
	v_alignbit_b32 v14, v8, v11, 30
	v_alignbit_b32 v11, v11, v12, 30
	;; [unrolled: 1-line block ×3, first 2 shown]
	v_sub_nc_u32_e32 v15, 0, v13
	v_xor_b32_e32 v14, v14, v15
	v_xor_b32_e32 v11, v11, v15
	;; [unrolled: 1-line block ×3, first 2 shown]
	v_lshrrev_b32_e32 v15, 29, v8
	v_lshrrev_b32_e32 v8, 30, v8
	v_ffbh_u32_e32 v16, v14
	v_add_nc_u32_e32 v8, v13, v8
	v_min_u32_e32 v16, 32, v16
	v_sub_nc_u32_e32 v12, 31, v16
	v_lshlrev_b32_e32 v17, 23, v16
	v_alignbit_b32 v14, v14, v11, v12
	v_alignbit_b32 v7, v11, v7, v12
	v_lshlrev_b32_e32 v11, 31, v15
	v_alignbit_b32 v12, v14, v7, 9
	v_or_b32_e32 v15, 0.5, v11
	v_lshrrev_b32_e32 v14, 9, v14
	v_or_b32_e32 v11, 0x33000000, v11
	v_ffbh_u32_e32 v18, v12
	v_sub_nc_u32_e32 v15, v15, v17
	v_min_u32_e32 v17, 32, v18
	v_or_b32_e32 v14, v14, v15
	v_not_b32_e32 v15, v17
	v_mul_f32_e32 v18, 0x3fc90fda, v14
	v_add_lshl_u32 v16, v17, v16, 23
	v_alignbit_b32 v7, v12, v7, v15
	v_fma_f32 v12, 0x3fc90fda, v14, -v18
	v_sub_nc_u32_e32 v11, v11, v16
	v_lshrrev_b32_e32 v7, 9, v7
	v_fmamk_f32 v12, v14, 0x33a22168, v12
	v_or_b32_e32 v7, v11, v7
	v_fmac_f32_e32 v12, 0x3fc90fda, v7
	v_add_f32_e32 v7, v18, v12
.LBB50_39:
	s_andn2_saveexec_b32 s1, s4
; %bb.40:
	v_mul_f32_e64 v7, 0x3f22f983, |v4|
	v_rndne_f32_e32 v8, v7
	v_fma_f32 v7, 0xbfc90fda, v8, |v4|
	v_fmamk_f32 v7, v8, 0xb3a22168, v7
	v_fmamk_f32 v7, v8, 0xa7c234c4, v7
	v_cvt_i32_f32_e32 v8, v8
; %bb.41:
	s_or_b32 exec_lo, exec_lo, s1
	v_mul_f32_e32 v11, v7, v7
	s_mov_b32 s1, 0xb94c1982
	s_mov_b32 s2, 0x37d75334
	v_and_b32_e32 v14, 1, v8
	v_lshlrev_b32_e32 v8, 30, v8
	v_fmaak_f32 v12, s1, v11, 0x3c0881c4
	v_fmaak_f32 v13, s2, v11, 0xbab64f3b
	v_xor_b32_e32 v6, v6, v4
	v_cmp_eq_u32_e32 vcc_lo, 0, v14
	v_and_b32_e32 v8, 0x80000000, v8
	v_fmaak_f32 v12, v11, v12, 0xbe2aaa9d
	v_fmaak_f32 v13, v11, v13, 0x3d2aabf7
	v_sub_f32_e32 v10, 1.0, v10
	v_mul_f32_e32 v12, v11, v12
	v_fmaak_f32 v13, v11, v13, 0xbf000004
	v_fmac_f32_e32 v7, v7, v12
	v_fma_f32 v11, v11, v13, 1.0
	v_cndmask_b32_e32 v7, v11, v7, vcc_lo
	v_cmp_class_f32_e64 vcc_lo, v4, 0x1f8
	v_xor3_b32 v6, v6, v8, v7
	v_cndmask_b32_e32 v4, 0x7fc00000, v6, vcc_lo
	v_mul_f32_e32 v4, v4, v4
	v_div_scale_f32 v6, null, v4, v4, 0xc11de9e7
	v_div_scale_f32 v11, vcc_lo, 0xc11de9e7, v4, 0xc11de9e7
	v_rcp_f32_e32 v7, v6
	v_fma_f32 v8, -v6, v7, 1.0
	v_fmac_f32_e32 v7, v8, v7
	v_mul_f32_e32 v8, v11, v7
	v_fma_f32 v12, -v6, v8, v11
	v_fmac_f32_e32 v8, v12, v7
	v_fma_f32 v6, -v6, v8, v11
	v_div_fmas_f32 v6, v6, v7, v8
	v_div_fixup_f32 v4, v6, v4, 0xc11de9e7
	v_mov_b32_e32 v6, -1.0
	v_add_f32_e32 v4, 0, v4
.LBB50_42:
	s_or_b32 exec_lo, exec_lo, s3
	v_add_f32_e32 v7, 1.0, v10
	v_mul_f32_e32 v8, v10, v10
	v_mul_f32_e32 v10, v7, v7
	v_add_f32_e32 v7, 1.0, v7
	v_div_scale_f32 v11, null, v8, v8, 1.0
	v_div_scale_f32 v13, vcc_lo, 1.0, v8, 1.0
	v_mul_f32_e32 v14, v7, v7
	v_div_scale_f32 v12, null, v10, v10, 1.0
	v_rcp_f32_e32 v15, v11
	v_div_scale_f32 v18, s1, 1.0, v10, 1.0
	v_div_scale_f32 v17, null, v14, v14, 1.0
	v_rcp_f32_e32 v16, v12
	v_add_f32_e32 v7, 1.0, v7
	v_div_scale_f32 v19, s2, 1.0, v14, 1.0
	v_rcp_f32_e32 v20, v17
	v_fma_f32 v22, -v11, v15, 1.0
	v_mul_f32_e32 v21, v7, v7
	v_add_f32_e32 v7, 1.0, v7
	v_fma_f32 v23, -v12, v16, 1.0
	v_fmac_f32_e32 v15, v22, v15
	v_mul_f32_e32 v25, v7, v7
	v_add_f32_e32 v7, 1.0, v7
	v_fma_f32 v22, -v17, v20, 1.0
	v_fmac_f32_e32 v16, v23, v16
	v_mul_f32_e32 v26, v13, v15
	v_div_scale_f32 v24, null, v21, v21, 1.0
	v_fmac_f32_e32 v20, v22, v20
	v_mul_f32_e32 v27, v18, v16
	v_fma_f32 v28, -v11, v26, v13
	v_add_f32_e32 v31, 1.0, v7
	v_rcp_f32_e32 v23, v24
	v_mul_f32_e32 v30, v19, v20
	v_fma_f32 v29, -v12, v27, v18
	v_fmac_f32_e32 v26, v28, v15
	v_mul_f32_e32 v7, v7, v7
	v_div_scale_f32 v22, null, v25, v25, 1.0
	v_fma_f32 v28, -v17, v30, v19
	v_fmac_f32_e32 v27, v29, v16
	v_fma_f32 v11, -v11, v26, v13
	v_mul_f32_e32 v13, v31, v31
	v_rcp_f32_e32 v29, v22
	v_fmac_f32_e32 v30, v28, v20
	v_fma_f32 v12, -v12, v27, v18
	v_div_fmas_f32 v11, v11, v15, v26
	s_mov_b32 vcc_lo, s1
	v_fma_f32 v32, -v24, v23, 1.0
	v_fma_f32 v15, -v17, v30, v19
	v_div_fmas_f32 v12, v12, v16, v27
	s_mov_b32 vcc_lo, s2
	v_div_scale_f32 v16, null, v7, v7, 1.0
	v_div_fmas_f32 v15, v15, v20, v30
	v_div_scale_f32 v17, null, v13, v13, 1.0
	v_add_f32_e32 v20, v31, v31
	v_rcp_f32_e32 v19, v16
	v_fmac_f32_e32 v23, v32, v23
	v_rcp_f32_e32 v27, v17
	v_div_scale_f32 v18, vcc_lo, 1.0, v21, 1.0
	v_div_scale_f32 v30, null, v20, v20, 1.0
	v_fma_f32 v26, -v22, v29, 1.0
	v_mul_f32_e32 v28, v18, v23
	v_div_fixup_f32 v8, v11, v8, 1.0
	v_rcp_f32_e32 v33, v30
	v_fma_f32 v32, -v16, v19, 1.0
	v_fmac_f32_e32 v29, v26, v29
	v_div_scale_f32 v26, s1, 1.0, v25, 1.0
	v_fma_f32 v35, -v17, v27, 1.0
	v_fma_f32 v34, -v24, v28, v18
	v_fmac_f32_e32 v19, v32, v19
	v_div_scale_f32 v32, s2, 1.0, v7, 1.0
	v_mul_f32_e32 v36, v26, v29
	v_fmac_f32_e32 v27, v35, v27
	v_div_scale_f32 v35, s3, 1.0, v13, 1.0
	v_fma_f32 v37, -v30, v33, 1.0
	v_fmac_f32_e32 v28, v34, v23
	v_mul_f32_e32 v38, v32, v19
	v_fma_f32 v34, -v22, v36, v26
	v_mul_f32_e32 v39, v35, v27
	v_fmac_f32_e32 v33, v37, v33
	v_div_scale_f32 v37, s4, 1.0, v20, 1.0
	v_fma_f32 v18, -v24, v28, v18
	v_fma_f32 v24, -v16, v38, v32
	v_fmac_f32_e32 v36, v34, v29
	v_fma_f32 v34, -v17, v39, v35
	v_mul_f32_e32 v40, v37, v33
	v_div_fmas_f32 v18, v18, v23, v28
	v_fmac_f32_e32 v38, v24, v19
	v_fma_f32 v22, -v22, v36, v26
	v_fmac_f32_e32 v39, v34, v27
	v_fma_f32 v23, -v30, v40, v37
	s_mov_b32 vcc_lo, s1
	v_fma_f32 v16, -v16, v38, v32
	v_div_fmas_f32 v22, v22, v29, v36
	v_fma_f32 v17, -v17, v39, v35
	v_fmac_f32_e32 v40, v23, v33
	s_mov_b32 vcc_lo, s2
	s_mov_b32 s1, 0xbcc30c31
	v_div_fmas_f32 v16, v16, v19, v38
	s_mov_b32 vcc_lo, s3
	v_fma_f32 v19, -v30, v40, v37
	v_div_fmas_f32 v17, v17, v27, v39
	s_mov_b32 vcc_lo, s4
	v_add_f32_e32 v4, v4, v8
	v_div_fixup_f32 v8, v12, v10, 1.0
	v_div_fmas_f32 v19, v19, v33, v40
	v_div_fixup_f32 v13, v17, v13, 1.0
	v_div_fixup_f32 v7, v16, v7, 1.0
	v_add_f32_e32 v4, v4, v8
	v_div_fixup_f32 v17, v19, v20, 1.0
	v_fmaak_f32 v19, s1, v13, 0x3d088889
	v_div_fixup_f32 v8, v15, v14, 1.0
	v_add_f32_e32 v17, 1.0, v17
	v_fma_f32 v19, -v13, v19, 0x3e2aaaab
	v_add_f32_e32 v4, v4, v8
	v_div_fixup_f32 v8, v18, v21, 1.0
	v_fmac_f32_e32 v17, v13, v19
	v_add_f32_e32 v4, v4, v8
	v_div_fixup_f32 v8, v22, v25, 1.0
	v_div_scale_f32 v13, null, v31, v31, v17
	v_div_scale_f32 v10, vcc_lo, v17, v31, v17
	v_add_f32_e32 v4, v4, v8
	v_rcp_f32_e32 v19, v13
	v_add_f32_e32 v4, v4, v7
	v_fma_f32 v11, -v13, v19, 1.0
	v_fmac_f32_e32 v19, v11, v19
	v_mul_f32_e32 v11, v10, v19
	v_fma_f32 v12, -v13, v11, v10
	v_fmac_f32_e32 v11, v12, v19
	v_fma_f32 v10, -v13, v11, v10
	v_div_fmas_f32 v8, v10, v19, v11
	v_div_fixup_f32 v7, v8, v31, v17
	v_mov_b32_e32 v8, 0
	v_add_f32_e32 v4, v4, v7
	v_mov_b32_e32 v7, v8
	v_mul_f32_e32 v4, v6, v4
	v_mov_b32_e32 v6, v8
.LBB50_43:
	s_or_b32 exec_lo, exec_lo, s7
	s_mov_b32 s7, exec_lo
	v_cmpx_gt_i32_e64 s5, v3
	s_cbranch_execz .LBB50_51
; %bb.44:
	s_waitcnt vmcnt(0)
	v_mov_b32_e32 v10, 0
	v_mov_b32_e32 v8, 1.0
	s_mov_b32 s3, exec_lo
	v_cmpx_gt_f32_e32 0.5, v9
	s_cbranch_execz .LBB50_50
; %bb.45:
	v_mul_f32_e32 v8, 0x40490fdb, v9
                                        ; implicit-def: $vgpr12
                                        ; implicit-def: $vgpr11
	s_mov_b32 s2, exec_lo
	v_and_b32_e32 v10, 0x7fffffff, v8
	v_cmpx_ngt_f32_e64 0x48000000, |v8|
	s_xor_b32 s4, exec_lo, s2
	s_cbranch_execz .LBB50_47
; %bb.46:
	s_mov_b32 s1, 0x7fffff
	v_mov_b32_e32 v13, 0
	v_and_or_b32 v20, v10, s1, 0x800000
	v_lshrrev_b32_e32 v18, 23, v10
	v_mad_u64_u32 v[11:12], null, 0xfe5163ab, v20, 0
	v_add_nc_u32_e32 v19, 0xffffff88, v18
	v_cmp_lt_u32_e32 vcc_lo, 63, v19
	v_mad_u64_u32 v[14:15], null, 0x3c439041, v20, v[12:13]
	v_cndmask_b32_e64 v21, 0, 0xffffffc0, vcc_lo
	v_mov_b32_e32 v12, v15
	v_add_nc_u32_e32 v21, v21, v19
	v_mad_u64_u32 v[15:16], null, 0xdb629599, v20, v[12:13]
	v_cmp_lt_u32_e64 s1, 31, v21
	v_cndmask_b32_e64 v22, 0, 0xffffffe0, s1
	v_mov_b32_e32 v12, v16
	v_cndmask_b32_e32 v11, v15, v11, vcc_lo
	v_mad_u64_u32 v[16:17], null, 0xf534ddc0, v20, v[12:13]
	v_mov_b32_e32 v12, v17
	v_cndmask_b32_e32 v14, v16, v14, vcc_lo
	v_mad_u64_u32 v[17:18], null, 0xfc2757d1, v20, v[12:13]
	v_cndmask_b32_e64 v11, v14, v11, s1
	v_mov_b32_e32 v12, v18
	v_mad_u64_u32 v[18:19], null, 0x4e441529, v20, v[12:13]
	v_mov_b32_e32 v12, v19
	v_add_nc_u32_e32 v19, v22, v21
	v_cndmask_b32_e32 v21, v18, v16, vcc_lo
	v_mad_u64_u32 v[12:13], null, 0xa2f9836e, v20, v[12:13]
	v_cmp_lt_u32_e64 s2, 31, v19
	v_cndmask_b32_e64 v20, 0, 0xffffffe0, s2
	v_cndmask_b32_e32 v12, v12, v17, vcc_lo
	v_cndmask_b32_e32 v13, v13, v18, vcc_lo
	;; [unrolled: 1-line block ×3, first 2 shown]
	v_add_nc_u32_e32 v18, v20, v19
	v_cndmask_b32_e64 v16, v12, v21, s1
	v_cndmask_b32_e64 v12, v13, v12, s1
	;; [unrolled: 1-line block ×4, first 2 shown]
	v_sub_nc_u32_e32 v19, 32, v18
	v_cmp_eq_u32_e32 vcc_lo, 0, v18
	v_cndmask_b32_e64 v12, v12, v16, s2
	v_cndmask_b32_e64 v16, v16, v13, s2
	;; [unrolled: 1-line block ×4, first 2 shown]
	v_alignbit_b32 v20, v12, v16, v19
	v_alignbit_b32 v15, v16, v13, v19
	;; [unrolled: 1-line block ×3, first 2 shown]
	v_cndmask_b32_e32 v12, v20, v12, vcc_lo
	v_cndmask_b32_e32 v14, v15, v16, vcc_lo
	;; [unrolled: 1-line block ×3, first 2 shown]
	v_bfe_u32 v15, v12, 29, 1
	v_alignbit_b32 v16, v12, v14, 30
	v_alignbit_b32 v14, v14, v13, 30
	;; [unrolled: 1-line block ×3, first 2 shown]
	v_sub_nc_u32_e32 v17, 0, v15
	v_xor_b32_e32 v16, v16, v17
	v_xor_b32_e32 v13, v14, v17
	;; [unrolled: 1-line block ×3, first 2 shown]
	v_lshrrev_b32_e32 v17, 29, v12
	v_lshrrev_b32_e32 v12, 30, v12
	v_ffbh_u32_e32 v18, v16
	v_add_nc_u32_e32 v12, v15, v12
	v_min_u32_e32 v18, 32, v18
	v_sub_nc_u32_e32 v14, 31, v18
	v_lshlrev_b32_e32 v19, 23, v18
	v_alignbit_b32 v16, v16, v13, v14
	v_alignbit_b32 v11, v13, v11, v14
	v_lshlrev_b32_e32 v13, 31, v17
	v_alignbit_b32 v14, v16, v11, 9
	v_or_b32_e32 v17, 0.5, v13
	v_lshrrev_b32_e32 v16, 9, v16
	v_or_b32_e32 v13, 0x33000000, v13
	v_ffbh_u32_e32 v20, v14
	v_sub_nc_u32_e32 v17, v17, v19
	v_min_u32_e32 v19, 32, v20
	v_or_b32_e32 v16, v16, v17
	v_not_b32_e32 v17, v19
	v_mul_f32_e32 v20, 0x3fc90fda, v16
	v_add_lshl_u32 v18, v19, v18, 23
	v_alignbit_b32 v11, v14, v11, v17
	v_fma_f32 v14, 0x3fc90fda, v16, -v20
	v_sub_nc_u32_e32 v13, v13, v18
	v_lshrrev_b32_e32 v11, 9, v11
	v_fmamk_f32 v14, v16, 0x33a22168, v14
	v_or_b32_e32 v11, v13, v11
	v_fmac_f32_e32 v14, 0x3fc90fda, v11
	v_add_f32_e32 v11, v20, v14
.LBB50_47:
	s_andn2_saveexec_b32 s1, s4
; %bb.48:
	v_mul_f32_e64 v11, 0x3f22f983, |v8|
	v_rndne_f32_e32 v12, v11
	v_fma_f32 v11, 0xbfc90fda, v12, |v8|
	v_fmamk_f32 v11, v12, 0xb3a22168, v11
	v_fmamk_f32 v11, v12, 0xa7c234c4, v11
	v_cvt_i32_f32_e32 v12, v12
; %bb.49:
	s_or_b32 exec_lo, exec_lo, s1
	v_mul_f32_e32 v13, v11, v11
	s_mov_b32 s1, 0xb94c1982
	s_mov_b32 s2, 0x37d75334
	v_and_b32_e32 v16, 1, v12
	v_lshlrev_b32_e32 v12, 30, v12
	v_fmaak_f32 v14, s1, v13, 0x3c0881c4
	v_fmaak_f32 v15, s2, v13, 0xbab64f3b
	v_xor_b32_e32 v10, v10, v8
	v_cmp_eq_u32_e32 vcc_lo, 0, v16
	v_and_b32_e32 v12, 0x80000000, v12
	v_fmaak_f32 v14, v13, v14, 0xbe2aaa9d
	v_fmaak_f32 v15, v13, v15, 0x3d2aabf7
	v_sub_f32_e32 v9, 1.0, v9
	v_mul_f32_e32 v14, v13, v14
	v_fmaak_f32 v15, v13, v15, 0xbf000004
	v_fmac_f32_e32 v11, v11, v14
	v_fma_f32 v13, v13, v15, 1.0
	v_cndmask_b32_e32 v11, v13, v11, vcc_lo
	v_cmp_class_f32_e64 vcc_lo, v8, 0x1f8
	v_xor3_b32 v10, v10, v12, v11
	v_cndmask_b32_e32 v8, 0x7fc00000, v10, vcc_lo
	v_mul_f32_e32 v8, v8, v8
	v_div_scale_f32 v10, null, v8, v8, 0xc11de9e7
	v_div_scale_f32 v13, vcc_lo, 0xc11de9e7, v8, 0xc11de9e7
	v_rcp_f32_e32 v11, v10
	v_fma_f32 v12, -v10, v11, 1.0
	v_fmac_f32_e32 v11, v12, v11
	v_mul_f32_e32 v12, v13, v11
	v_fma_f32 v14, -v10, v12, v13
	v_fmac_f32_e32 v12, v14, v11
	v_fma_f32 v10, -v10, v12, v13
	v_div_fmas_f32 v10, v10, v11, v12
	v_div_fixup_f32 v8, v10, v8, 0xc11de9e7
	v_add_f32_e32 v10, 0, v8
	v_mov_b32_e32 v8, -1.0
.LBB50_50:
	s_or_b32 exec_lo, exec_lo, s3
	v_add_f32_e32 v11, 1.0, v9
	v_mul_f32_e32 v9, v9, v9
	v_mul_f32_e32 v12, v11, v11
	v_add_f32_e32 v11, 1.0, v11
	v_div_scale_f32 v13, null, v9, v9, 1.0
	v_div_scale_f32 v15, vcc_lo, 1.0, v9, 1.0
	v_mul_f32_e32 v16, v11, v11
	v_div_scale_f32 v14, null, v12, v12, 1.0
	v_rcp_f32_e32 v17, v13
	v_div_scale_f32 v20, s1, 1.0, v12, 1.0
	v_div_scale_f32 v19, null, v16, v16, 1.0
	v_rcp_f32_e32 v18, v14
	v_add_f32_e32 v11, 1.0, v11
	v_div_scale_f32 v21, s2, 1.0, v16, 1.0
	v_rcp_f32_e32 v22, v19
	v_fma_f32 v24, -v13, v17, 1.0
	v_mul_f32_e32 v23, v11, v11
	v_add_f32_e32 v11, 1.0, v11
	v_fma_f32 v25, -v14, v18, 1.0
	v_fmac_f32_e32 v17, v24, v17
	v_mul_f32_e32 v27, v11, v11
	v_add_f32_e32 v11, 1.0, v11
	v_fma_f32 v24, -v19, v22, 1.0
	v_fmac_f32_e32 v18, v25, v18
	v_mul_f32_e32 v28, v15, v17
	v_div_scale_f32 v26, null, v23, v23, 1.0
	v_fmac_f32_e32 v22, v24, v22
	v_mul_f32_e32 v29, v20, v18
	v_fma_f32 v30, -v13, v28, v15
	v_add_f32_e32 v33, 1.0, v11
	v_rcp_f32_e32 v25, v26
	v_mul_f32_e32 v32, v21, v22
	v_fma_f32 v31, -v14, v29, v20
	v_fmac_f32_e32 v28, v30, v17
	v_mul_f32_e32 v11, v11, v11
	v_div_scale_f32 v24, null, v27, v27, 1.0
	v_fma_f32 v30, -v19, v32, v21
	v_fmac_f32_e32 v29, v31, v18
	v_fma_f32 v13, -v13, v28, v15
	v_mul_f32_e32 v15, v33, v33
	v_rcp_f32_e32 v31, v24
	v_fmac_f32_e32 v32, v30, v22
	v_fma_f32 v14, -v14, v29, v20
	v_div_fmas_f32 v13, v13, v17, v28
	s_mov_b32 vcc_lo, s1
	v_fma_f32 v34, -v26, v25, 1.0
	v_fma_f32 v17, -v19, v32, v21
	v_div_fmas_f32 v14, v14, v18, v29
	s_mov_b32 vcc_lo, s2
	v_div_scale_f32 v18, null, v11, v11, 1.0
	v_div_fmas_f32 v17, v17, v22, v32
	v_div_scale_f32 v19, null, v15, v15, 1.0
	v_add_f32_e32 v22, v33, v33
	v_rcp_f32_e32 v21, v18
	v_fmac_f32_e32 v25, v34, v25
	v_rcp_f32_e32 v29, v19
	v_div_scale_f32 v20, vcc_lo, 1.0, v23, 1.0
	v_div_scale_f32 v32, null, v22, v22, 1.0
	v_fma_f32 v28, -v24, v31, 1.0
	v_mul_f32_e32 v30, v20, v25
	v_div_fixup_f32 v9, v13, v9, 1.0
	v_rcp_f32_e32 v35, v32
	v_fma_f32 v34, -v18, v21, 1.0
	v_fmac_f32_e32 v31, v28, v31
	v_div_scale_f32 v28, s1, 1.0, v27, 1.0
	v_fma_f32 v37, -v19, v29, 1.0
	v_fma_f32 v36, -v26, v30, v20
	v_fmac_f32_e32 v21, v34, v21
	v_div_scale_f32 v34, s2, 1.0, v11, 1.0
	v_mul_f32_e32 v38, v28, v31
	v_fmac_f32_e32 v29, v37, v29
	v_div_scale_f32 v37, s3, 1.0, v15, 1.0
	v_fma_f32 v39, -v32, v35, 1.0
	v_fmac_f32_e32 v30, v36, v25
	v_mul_f32_e32 v40, v34, v21
	v_fma_f32 v36, -v24, v38, v28
	v_mul_f32_e32 v41, v37, v29
	v_fmac_f32_e32 v35, v39, v35
	v_div_scale_f32 v39, s4, 1.0, v22, 1.0
	v_fma_f32 v20, -v26, v30, v20
	v_fma_f32 v26, -v18, v40, v34
	v_fmac_f32_e32 v38, v36, v31
	v_fma_f32 v36, -v19, v41, v37
	v_mul_f32_e32 v42, v39, v35
	v_div_fmas_f32 v20, v20, v25, v30
	v_fmac_f32_e32 v40, v26, v21
	v_fma_f32 v24, -v24, v38, v28
	v_fmac_f32_e32 v41, v36, v29
	v_fma_f32 v25, -v32, v42, v39
	s_mov_b32 vcc_lo, s1
	v_fma_f32 v18, -v18, v40, v34
	v_div_fmas_f32 v24, v24, v31, v38
	v_fma_f32 v19, -v19, v41, v37
	v_fmac_f32_e32 v42, v25, v35
	s_mov_b32 vcc_lo, s2
	s_mov_b32 s1, 0xbcc30c31
	v_div_fmas_f32 v18, v18, v21, v40
	s_mov_b32 vcc_lo, s3
	v_fma_f32 v21, -v32, v42, v39
	v_div_fmas_f32 v19, v19, v29, v41
	s_mov_b32 vcc_lo, s4
	v_add_f32_e32 v9, v10, v9
	v_div_fixup_f32 v10, v14, v12, 1.0
	v_div_fmas_f32 v21, v21, v35, v42
	v_div_fixup_f32 v15, v19, v15, 1.0
	v_add_f32_e32 v9, v9, v10
	v_div_fixup_f32 v19, v21, v22, 1.0
	v_fmaak_f32 v21, s1, v15, 0x3d088889
	v_div_fixup_f32 v10, v17, v16, 1.0
	v_add_f32_e32 v19, 1.0, v19
	v_fma_f32 v21, -v15, v21, 0x3e2aaaab
	v_add_f32_e32 v9, v9, v10
	v_div_fixup_f32 v10, v20, v23, 1.0
	v_fmac_f32_e32 v19, v15, v21
	v_add_f32_e32 v9, v9, v10
	v_div_fixup_f32 v10, v24, v27, 1.0
	v_div_scale_f32 v15, null, v33, v33, v19
	v_div_scale_f32 v12, vcc_lo, v19, v33, v19
	v_add_f32_e32 v9, v9, v10
	v_rcp_f32_e32 v21, v15
	v_div_fixup_f32 v10, v18, v11, 1.0
	v_add_f32_e32 v9, v9, v10
	v_fma_f32 v13, -v15, v21, 1.0
	v_fmac_f32_e32 v21, v13, v21
	v_mul_f32_e32 v13, v12, v21
	v_fma_f32 v14, -v15, v13, v12
	v_fmac_f32_e32 v13, v14, v21
	v_fma_f32 v12, -v15, v13, v12
	v_div_fmas_f32 v11, v12, v21, v13
	v_div_fixup_f32 v10, v11, v33, v19
	v_add_f32_e32 v9, v9, v10
	v_mul_f32_e32 v8, v8, v9
.LBB50_51:
	s_or_b32 exec_lo, exec_lo, s7
	s_waitcnt vmcnt(0)
	v_or_b32_e32 v9, 0x200, v0
	s_mov_b32 s7, exec_lo
	v_cmpx_gt_i32_e64 s5, v9
	s_cbranch_execz .LBB50_59
; %bb.52:
	v_mov_b32_e32 v9, 0
	v_mov_b32_e32 v7, 1.0
	s_mov_b32 s3, exec_lo
	v_cmpx_gt_f32_e32 0.5, v5
	s_cbranch_execz .LBB50_58
; %bb.53:
	v_mul_f32_e32 v7, 0x40490fdb, v5
                                        ; implicit-def: $vgpr11
                                        ; implicit-def: $vgpr10
	s_mov_b32 s2, exec_lo
	v_and_b32_e32 v9, 0x7fffffff, v7
	v_cmpx_ngt_f32_e64 0x48000000, |v7|
	s_xor_b32 s4, exec_lo, s2
	s_cbranch_execz .LBB50_55
; %bb.54:
	s_mov_b32 s1, 0x7fffff
	v_mov_b32_e32 v12, 0
	v_and_or_b32 v19, v9, s1, 0x800000
	v_lshrrev_b32_e32 v17, 23, v9
	v_mad_u64_u32 v[10:11], null, 0xfe5163ab, v19, 0
	v_add_nc_u32_e32 v18, 0xffffff88, v17
	v_cmp_lt_u32_e32 vcc_lo, 63, v18
	v_mad_u64_u32 v[13:14], null, 0x3c439041, v19, v[11:12]
	v_cndmask_b32_e64 v20, 0, 0xffffffc0, vcc_lo
	v_mov_b32_e32 v11, v14
	v_add_nc_u32_e32 v20, v20, v18
	v_mad_u64_u32 v[14:15], null, 0xdb629599, v19, v[11:12]
	v_cmp_lt_u32_e64 s1, 31, v20
	v_cndmask_b32_e64 v21, 0, 0xffffffe0, s1
	v_mov_b32_e32 v11, v15
	v_cndmask_b32_e32 v10, v14, v10, vcc_lo
	v_mad_u64_u32 v[15:16], null, 0xf534ddc0, v19, v[11:12]
	v_mov_b32_e32 v11, v16
	v_cndmask_b32_e32 v13, v15, v13, vcc_lo
	v_mad_u64_u32 v[16:17], null, 0xfc2757d1, v19, v[11:12]
	v_cndmask_b32_e64 v10, v13, v10, s1
	v_mov_b32_e32 v11, v17
	v_mad_u64_u32 v[17:18], null, 0x4e441529, v19, v[11:12]
	v_mov_b32_e32 v11, v18
	v_add_nc_u32_e32 v18, v21, v20
	v_cndmask_b32_e32 v20, v17, v15, vcc_lo
	v_mad_u64_u32 v[11:12], null, 0xa2f9836e, v19, v[11:12]
	v_cmp_lt_u32_e64 s2, 31, v18
	v_cndmask_b32_e64 v19, 0, 0xffffffe0, s2
	v_cndmask_b32_e32 v11, v11, v16, vcc_lo
	v_cndmask_b32_e32 v12, v12, v17, vcc_lo
	;; [unrolled: 1-line block ×3, first 2 shown]
	v_add_nc_u32_e32 v17, v19, v18
	v_cndmask_b32_e64 v15, v11, v20, s1
	v_cndmask_b32_e64 v11, v12, v11, s1
	;; [unrolled: 1-line block ×4, first 2 shown]
	v_sub_nc_u32_e32 v18, 32, v17
	v_cmp_eq_u32_e32 vcc_lo, 0, v17
	v_cndmask_b32_e64 v11, v11, v15, s2
	v_cndmask_b32_e64 v15, v15, v12, s2
	;; [unrolled: 1-line block ×4, first 2 shown]
	v_alignbit_b32 v19, v11, v15, v18
	v_alignbit_b32 v14, v15, v12, v18
	;; [unrolled: 1-line block ×3, first 2 shown]
	v_cndmask_b32_e32 v11, v19, v11, vcc_lo
	v_cndmask_b32_e32 v13, v14, v15, vcc_lo
	v_cndmask_b32_e32 v12, v17, v12, vcc_lo
	v_bfe_u32 v14, v11, 29, 1
	v_alignbit_b32 v15, v11, v13, 30
	v_alignbit_b32 v13, v13, v12, 30
	;; [unrolled: 1-line block ×3, first 2 shown]
	v_sub_nc_u32_e32 v16, 0, v14
	v_xor_b32_e32 v15, v15, v16
	v_xor_b32_e32 v12, v13, v16
	;; [unrolled: 1-line block ×3, first 2 shown]
	v_lshrrev_b32_e32 v16, 29, v11
	v_lshrrev_b32_e32 v11, 30, v11
	v_ffbh_u32_e32 v17, v15
	v_add_nc_u32_e32 v11, v14, v11
	v_min_u32_e32 v17, 32, v17
	v_sub_nc_u32_e32 v13, 31, v17
	v_lshlrev_b32_e32 v18, 23, v17
	v_alignbit_b32 v15, v15, v12, v13
	v_alignbit_b32 v10, v12, v10, v13
	v_lshlrev_b32_e32 v12, 31, v16
	v_alignbit_b32 v13, v15, v10, 9
	v_or_b32_e32 v16, 0.5, v12
	v_lshrrev_b32_e32 v15, 9, v15
	v_or_b32_e32 v12, 0x33000000, v12
	v_ffbh_u32_e32 v19, v13
	v_sub_nc_u32_e32 v16, v16, v18
	v_min_u32_e32 v18, 32, v19
	v_or_b32_e32 v15, v15, v16
	v_not_b32_e32 v16, v18
	v_mul_f32_e32 v19, 0x3fc90fda, v15
	v_add_lshl_u32 v17, v18, v17, 23
	v_alignbit_b32 v10, v13, v10, v16
	v_fma_f32 v13, 0x3fc90fda, v15, -v19
	v_sub_nc_u32_e32 v12, v12, v17
	v_lshrrev_b32_e32 v10, 9, v10
	v_fmamk_f32 v13, v15, 0x33a22168, v13
	v_or_b32_e32 v10, v12, v10
	v_fmac_f32_e32 v13, 0x3fc90fda, v10
	v_add_f32_e32 v10, v19, v13
.LBB50_55:
	s_andn2_saveexec_b32 s1, s4
; %bb.56:
	v_mul_f32_e64 v10, 0x3f22f983, |v7|
	v_rndne_f32_e32 v11, v10
	v_fma_f32 v10, 0xbfc90fda, v11, |v7|
	v_fmamk_f32 v10, v11, 0xb3a22168, v10
	v_fmamk_f32 v10, v11, 0xa7c234c4, v10
	v_cvt_i32_f32_e32 v11, v11
; %bb.57:
	s_or_b32 exec_lo, exec_lo, s1
	v_mul_f32_e32 v12, v10, v10
	s_mov_b32 s1, 0xb94c1982
	s_mov_b32 s2, 0x37d75334
	v_and_b32_e32 v15, 1, v11
	v_lshlrev_b32_e32 v11, 30, v11
	v_fmaak_f32 v13, s1, v12, 0x3c0881c4
	v_fmaak_f32 v14, s2, v12, 0xbab64f3b
	v_xor_b32_e32 v9, v9, v7
	v_cmp_eq_u32_e32 vcc_lo, 0, v15
	v_and_b32_e32 v11, 0x80000000, v11
	v_fmaak_f32 v13, v12, v13, 0xbe2aaa9d
	v_fmaak_f32 v14, v12, v14, 0x3d2aabf7
	v_sub_f32_e32 v5, 1.0, v5
	v_mul_f32_e32 v13, v12, v13
	v_fmaak_f32 v14, v12, v14, 0xbf000004
	v_fmac_f32_e32 v10, v10, v13
	v_fma_f32 v12, v12, v14, 1.0
	v_cndmask_b32_e32 v10, v12, v10, vcc_lo
	v_cmp_class_f32_e64 vcc_lo, v7, 0x1f8
	v_xor3_b32 v9, v9, v11, v10
	v_cndmask_b32_e32 v7, 0x7fc00000, v9, vcc_lo
	v_mul_f32_e32 v7, v7, v7
	v_div_scale_f32 v9, null, v7, v7, 0xc11de9e7
	v_div_scale_f32 v12, vcc_lo, 0xc11de9e7, v7, 0xc11de9e7
	v_rcp_f32_e32 v10, v9
	v_fma_f32 v11, -v9, v10, 1.0
	v_fmac_f32_e32 v10, v11, v10
	v_mul_f32_e32 v11, v12, v10
	v_fma_f32 v13, -v9, v11, v12
	v_fmac_f32_e32 v11, v13, v10
	v_fma_f32 v9, -v9, v11, v12
	v_div_fmas_f32 v9, v9, v10, v11
	v_div_fixup_f32 v7, v9, v7, 0xc11de9e7
	v_add_f32_e32 v9, 0, v7
	v_mov_b32_e32 v7, -1.0
.LBB50_58:
	s_or_b32 exec_lo, exec_lo, s3
	v_add_f32_e32 v10, 1.0, v5
	v_mul_f32_e32 v5, v5, v5
	v_mul_f32_e32 v11, v10, v10
	v_add_f32_e32 v10, 1.0, v10
	v_div_scale_f32 v12, null, v5, v5, 1.0
	v_div_scale_f32 v14, vcc_lo, 1.0, v5, 1.0
	v_mul_f32_e32 v15, v10, v10
	v_div_scale_f32 v13, null, v11, v11, 1.0
	v_rcp_f32_e32 v16, v12
	v_div_scale_f32 v19, s1, 1.0, v11, 1.0
	v_div_scale_f32 v18, null, v15, v15, 1.0
	v_rcp_f32_e32 v17, v13
	v_add_f32_e32 v10, 1.0, v10
	v_div_scale_f32 v20, s2, 1.0, v15, 1.0
	v_rcp_f32_e32 v21, v18
	v_fma_f32 v23, -v12, v16, 1.0
	v_mul_f32_e32 v22, v10, v10
	v_add_f32_e32 v10, 1.0, v10
	v_fma_f32 v24, -v13, v17, 1.0
	v_fmac_f32_e32 v16, v23, v16
	v_mul_f32_e32 v26, v10, v10
	v_add_f32_e32 v10, 1.0, v10
	v_fma_f32 v23, -v18, v21, 1.0
	v_fmac_f32_e32 v17, v24, v17
	v_mul_f32_e32 v27, v14, v16
	v_div_scale_f32 v25, null, v22, v22, 1.0
	v_fmac_f32_e32 v21, v23, v21
	v_mul_f32_e32 v28, v19, v17
	v_fma_f32 v29, -v12, v27, v14
	v_add_f32_e32 v32, 1.0, v10
	v_rcp_f32_e32 v24, v25
	v_mul_f32_e32 v31, v20, v21
	v_fma_f32 v30, -v13, v28, v19
	v_fmac_f32_e32 v27, v29, v16
	v_mul_f32_e32 v10, v10, v10
	v_div_scale_f32 v23, null, v26, v26, 1.0
	v_fma_f32 v29, -v18, v31, v20
	v_fmac_f32_e32 v28, v30, v17
	v_fma_f32 v12, -v12, v27, v14
	v_mul_f32_e32 v14, v32, v32
	v_rcp_f32_e32 v30, v23
	v_fmac_f32_e32 v31, v29, v21
	v_fma_f32 v13, -v13, v28, v19
	v_div_fmas_f32 v12, v12, v16, v27
	s_mov_b32 vcc_lo, s1
	v_fma_f32 v33, -v25, v24, 1.0
	v_fma_f32 v16, -v18, v31, v20
	v_div_fmas_f32 v13, v13, v17, v28
	s_mov_b32 vcc_lo, s2
	v_div_scale_f32 v17, null, v10, v10, 1.0
	v_div_fmas_f32 v16, v16, v21, v31
	v_div_scale_f32 v18, null, v14, v14, 1.0
	v_add_f32_e32 v21, v32, v32
	v_rcp_f32_e32 v20, v17
	v_fmac_f32_e32 v24, v33, v24
	v_rcp_f32_e32 v28, v18
	v_div_scale_f32 v19, vcc_lo, 1.0, v22, 1.0
	v_div_scale_f32 v31, null, v21, v21, 1.0
	v_fma_f32 v27, -v23, v30, 1.0
	v_mul_f32_e32 v29, v19, v24
	v_div_fixup_f32 v5, v12, v5, 1.0
	v_rcp_f32_e32 v34, v31
	v_fma_f32 v33, -v17, v20, 1.0
	v_fmac_f32_e32 v30, v27, v30
	v_div_scale_f32 v27, s1, 1.0, v26, 1.0
	v_fma_f32 v36, -v18, v28, 1.0
	v_fma_f32 v35, -v25, v29, v19
	v_fmac_f32_e32 v20, v33, v20
	v_div_scale_f32 v33, s2, 1.0, v10, 1.0
	v_mul_f32_e32 v37, v27, v30
	v_fmac_f32_e32 v28, v36, v28
	v_div_scale_f32 v36, s3, 1.0, v14, 1.0
	v_fma_f32 v38, -v31, v34, 1.0
	v_fmac_f32_e32 v29, v35, v24
	v_mul_f32_e32 v39, v33, v20
	v_fma_f32 v35, -v23, v37, v27
	v_mul_f32_e32 v40, v36, v28
	v_fmac_f32_e32 v34, v38, v34
	v_div_scale_f32 v38, s4, 1.0, v21, 1.0
	v_fma_f32 v19, -v25, v29, v19
	v_fma_f32 v25, -v17, v39, v33
	v_fmac_f32_e32 v37, v35, v30
	v_fma_f32 v35, -v18, v40, v36
	v_mul_f32_e32 v41, v38, v34
	v_div_fmas_f32 v19, v19, v24, v29
	v_fmac_f32_e32 v39, v25, v20
	v_fma_f32 v23, -v23, v37, v27
	v_fmac_f32_e32 v40, v35, v28
	v_fma_f32 v24, -v31, v41, v38
	s_mov_b32 vcc_lo, s1
	v_fma_f32 v17, -v17, v39, v33
	v_div_fmas_f32 v23, v23, v30, v37
	v_fma_f32 v18, -v18, v40, v36
	v_fmac_f32_e32 v41, v24, v34
	s_mov_b32 vcc_lo, s2
	s_mov_b32 s1, 0xbcc30c31
	v_div_fmas_f32 v17, v17, v20, v39
	s_mov_b32 vcc_lo, s3
	v_fma_f32 v20, -v31, v41, v38
	v_div_fmas_f32 v18, v18, v28, v40
	s_mov_b32 vcc_lo, s4
	v_add_f32_e32 v5, v9, v5
	v_div_fixup_f32 v9, v13, v11, 1.0
	v_div_fmas_f32 v20, v20, v34, v41
	v_div_fixup_f32 v14, v18, v14, 1.0
	v_add_f32_e32 v5, v5, v9
	v_div_fixup_f32 v18, v20, v21, 1.0
	v_fmaak_f32 v20, s1, v14, 0x3d088889
	v_div_fixup_f32 v9, v16, v15, 1.0
	v_add_f32_e32 v18, 1.0, v18
	v_fma_f32 v20, -v14, v20, 0x3e2aaaab
	v_add_f32_e32 v5, v5, v9
	v_div_fixup_f32 v9, v19, v22, 1.0
	v_fmac_f32_e32 v18, v14, v20
	v_add_f32_e32 v5, v5, v9
	v_div_fixup_f32 v9, v23, v26, 1.0
	v_div_scale_f32 v14, null, v32, v32, v18
	v_div_scale_f32 v11, vcc_lo, v18, v32, v18
	v_add_f32_e32 v5, v5, v9
	v_rcp_f32_e32 v20, v14
	v_div_fixup_f32 v9, v17, v10, 1.0
	v_add_f32_e32 v5, v5, v9
	v_fma_f32 v12, -v14, v20, 1.0
	v_fmac_f32_e32 v20, v12, v20
	v_mul_f32_e32 v12, v11, v20
	v_fma_f32 v13, -v14, v12, v11
	v_fmac_f32_e32 v12, v13, v20
	v_fma_f32 v11, -v14, v12, v11
	v_div_fmas_f32 v10, v11, v20, v12
	v_div_fixup_f32 v9, v10, v32, v18
	v_add_f32_e32 v5, v5, v9
	v_mul_f32_e32 v7, v7, v5
.LBB50_59:
	s_or_b32 exec_lo, exec_lo, s7
	v_or_b32_e32 v5, 0x300, v0
	s_mov_b32 s7, exec_lo
	v_cmpx_gt_i32_e64 s5, v5
	s_cbranch_execnz .LBB50_66
; %bb.60:
	s_or_b32 exec_lo, exec_lo, s7
	s_and_saveexec_b32 s1, s0
	s_xor_b32 s0, exec_lo, s1
	s_cbranch_execnz .LBB50_73
.LBB50_61:
	s_or_b32 exec_lo, exec_lo, s0
	s_mov_b32 s0, exec_lo
	v_cmpx_gt_i32_e64 s5, v0
	s_cbranch_execnz .LBB50_74
.LBB50_62:
	s_or_b32 exec_lo, exec_lo, s0
	s_mov_b32 s0, exec_lo
	v_cmpx_gt_i32_e64 s5, v0
	s_cbranch_execnz .LBB50_75
.LBB50_63:
	s_or_b32 exec_lo, exec_lo, s0
	s_mov_b32 s0, exec_lo
	v_cmpx_gt_i32_e64 s5, v0
	s_cbranch_execz .LBB50_65
.LBB50_64:
	v_add_nc_u32_e32 v0, s6, v0
	v_mov_b32_e32 v1, 0
	v_lshlrev_b64 v[0:1], 2, v[0:1]
	v_add_co_u32 v0, vcc_lo, s8, v0
	v_add_co_ci_u32_e64 v1, null, s9, v1, vcc_lo
	global_store_dword v[0:1], v6, off
.LBB50_65:
	s_endpgm
.LBB50_66:
	v_mov_b32_e32 v6, 0
	v_mov_b32_e32 v5, 1.0
	s_mov_b32 s3, exec_lo
	v_cmpx_gt_f32_e32 0.5, v2
	s_cbranch_execz .LBB50_72
; %bb.67:
	v_mul_f32_e32 v5, 0x40490fdb, v2
                                        ; implicit-def: $vgpr10
                                        ; implicit-def: $vgpr9
	s_mov_b32 s2, exec_lo
	v_and_b32_e32 v6, 0x7fffffff, v5
	v_cmpx_ngt_f32_e64 0x48000000, |v5|
	s_xor_b32 s4, exec_lo, s2
	s_cbranch_execz .LBB50_69
; %bb.68:
	s_mov_b32 s1, 0x7fffff
	v_mov_b32_e32 v11, 0
	v_and_or_b32 v18, v6, s1, 0x800000
	v_lshrrev_b32_e32 v16, 23, v6
	v_mad_u64_u32 v[9:10], null, 0xfe5163ab, v18, 0
	v_add_nc_u32_e32 v17, 0xffffff88, v16
	v_cmp_lt_u32_e32 vcc_lo, 63, v17
	v_mad_u64_u32 v[12:13], null, 0x3c439041, v18, v[10:11]
	v_cndmask_b32_e64 v19, 0, 0xffffffc0, vcc_lo
	v_mov_b32_e32 v10, v13
	v_add_nc_u32_e32 v19, v19, v17
	v_mad_u64_u32 v[13:14], null, 0xdb629599, v18, v[10:11]
	v_cmp_lt_u32_e64 s1, 31, v19
	v_cndmask_b32_e64 v20, 0, 0xffffffe0, s1
	v_mov_b32_e32 v10, v14
	v_cndmask_b32_e32 v9, v13, v9, vcc_lo
	v_mad_u64_u32 v[14:15], null, 0xf534ddc0, v18, v[10:11]
	v_mov_b32_e32 v10, v15
	v_cndmask_b32_e32 v12, v14, v12, vcc_lo
	v_mad_u64_u32 v[15:16], null, 0xfc2757d1, v18, v[10:11]
	v_cndmask_b32_e64 v9, v12, v9, s1
	v_mov_b32_e32 v10, v16
	v_mad_u64_u32 v[16:17], null, 0x4e441529, v18, v[10:11]
	v_mov_b32_e32 v10, v17
	v_add_nc_u32_e32 v17, v20, v19
	v_cndmask_b32_e32 v19, v16, v14, vcc_lo
	v_mad_u64_u32 v[10:11], null, 0xa2f9836e, v18, v[10:11]
	v_cmp_lt_u32_e64 s2, 31, v17
	v_cndmask_b32_e64 v18, 0, 0xffffffe0, s2
	v_cndmask_b32_e32 v10, v10, v15, vcc_lo
	v_cndmask_b32_e32 v11, v11, v16, vcc_lo
	;; [unrolled: 1-line block ×3, first 2 shown]
	v_add_nc_u32_e32 v16, v18, v17
	v_cndmask_b32_e64 v14, v10, v19, s1
	v_cndmask_b32_e64 v10, v11, v10, s1
	;; [unrolled: 1-line block ×4, first 2 shown]
	v_sub_nc_u32_e32 v17, 32, v16
	v_cmp_eq_u32_e32 vcc_lo, 0, v16
	v_cndmask_b32_e64 v10, v10, v14, s2
	v_cndmask_b32_e64 v14, v14, v11, s2
	;; [unrolled: 1-line block ×4, first 2 shown]
	v_alignbit_b32 v18, v10, v14, v17
	v_alignbit_b32 v13, v14, v11, v17
	v_alignbit_b32 v16, v11, v9, v17
	v_cndmask_b32_e32 v10, v18, v10, vcc_lo
	v_cndmask_b32_e32 v12, v13, v14, vcc_lo
	;; [unrolled: 1-line block ×3, first 2 shown]
	v_bfe_u32 v13, v10, 29, 1
	v_alignbit_b32 v14, v10, v12, 30
	v_alignbit_b32 v12, v12, v11, 30
	;; [unrolled: 1-line block ×3, first 2 shown]
	v_sub_nc_u32_e32 v15, 0, v13
	v_xor_b32_e32 v14, v14, v15
	v_xor_b32_e32 v11, v12, v15
	;; [unrolled: 1-line block ×3, first 2 shown]
	v_lshrrev_b32_e32 v15, 29, v10
	v_lshrrev_b32_e32 v10, 30, v10
	v_ffbh_u32_e32 v16, v14
	v_add_nc_u32_e32 v10, v13, v10
	v_min_u32_e32 v16, 32, v16
	v_sub_nc_u32_e32 v12, 31, v16
	v_lshlrev_b32_e32 v17, 23, v16
	v_alignbit_b32 v14, v14, v11, v12
	v_alignbit_b32 v9, v11, v9, v12
	v_lshlrev_b32_e32 v11, 31, v15
	v_alignbit_b32 v12, v14, v9, 9
	v_or_b32_e32 v15, 0.5, v11
	v_lshrrev_b32_e32 v14, 9, v14
	v_or_b32_e32 v11, 0x33000000, v11
	v_ffbh_u32_e32 v18, v12
	v_sub_nc_u32_e32 v15, v15, v17
	v_min_u32_e32 v17, 32, v18
	v_or_b32_e32 v14, v14, v15
	v_not_b32_e32 v15, v17
	v_mul_f32_e32 v18, 0x3fc90fda, v14
	v_add_lshl_u32 v16, v17, v16, 23
	v_alignbit_b32 v9, v12, v9, v15
	v_fma_f32 v12, 0x3fc90fda, v14, -v18
	v_sub_nc_u32_e32 v11, v11, v16
	v_lshrrev_b32_e32 v9, 9, v9
	v_fmamk_f32 v12, v14, 0x33a22168, v12
	v_or_b32_e32 v9, v11, v9
	v_fmac_f32_e32 v12, 0x3fc90fda, v9
	v_add_f32_e32 v9, v18, v12
.LBB50_69:
	s_andn2_saveexec_b32 s1, s4
; %bb.70:
	v_mul_f32_e64 v9, 0x3f22f983, |v5|
	v_rndne_f32_e32 v10, v9
	v_fma_f32 v9, 0xbfc90fda, v10, |v5|
	v_fmamk_f32 v9, v10, 0xb3a22168, v9
	v_fmamk_f32 v9, v10, 0xa7c234c4, v9
	v_cvt_i32_f32_e32 v10, v10
; %bb.71:
	s_or_b32 exec_lo, exec_lo, s1
	v_mul_f32_e32 v11, v9, v9
	s_mov_b32 s1, 0xb94c1982
	s_mov_b32 s2, 0x37d75334
	v_and_b32_e32 v14, 1, v10
	v_lshlrev_b32_e32 v10, 30, v10
	v_fmaak_f32 v12, s1, v11, 0x3c0881c4
	v_fmaak_f32 v13, s2, v11, 0xbab64f3b
	v_xor_b32_e32 v6, v6, v5
	v_cmp_eq_u32_e32 vcc_lo, 0, v14
	v_and_b32_e32 v10, 0x80000000, v10
	v_fmaak_f32 v12, v11, v12, 0xbe2aaa9d
	v_fmaak_f32 v13, v11, v13, 0x3d2aabf7
	v_sub_f32_e32 v2, 1.0, v2
	v_mul_f32_e32 v12, v11, v12
	v_fmaak_f32 v13, v11, v13, 0xbf000004
	v_fmac_f32_e32 v9, v9, v12
	v_fma_f32 v11, v11, v13, 1.0
	v_cndmask_b32_e32 v9, v11, v9, vcc_lo
	v_cmp_class_f32_e64 vcc_lo, v5, 0x1f8
	v_xor3_b32 v6, v6, v10, v9
	v_cndmask_b32_e32 v5, 0x7fc00000, v6, vcc_lo
	v_mul_f32_e32 v5, v5, v5
	v_div_scale_f32 v6, null, v5, v5, 0xc11de9e7
	v_div_scale_f32 v11, vcc_lo, 0xc11de9e7, v5, 0xc11de9e7
	v_rcp_f32_e32 v9, v6
	v_fma_f32 v10, -v6, v9, 1.0
	v_fmac_f32_e32 v9, v10, v9
	v_mul_f32_e32 v10, v11, v9
	v_fma_f32 v12, -v6, v10, v11
	v_fmac_f32_e32 v10, v12, v9
	v_fma_f32 v6, -v6, v10, v11
	v_div_fmas_f32 v6, v6, v9, v10
	v_div_fixup_f32 v5, v6, v5, 0xc11de9e7
	v_add_f32_e32 v6, 0, v5
	v_mov_b32_e32 v5, -1.0
.LBB50_72:
	s_or_b32 exec_lo, exec_lo, s3
	v_add_f32_e32 v9, 1.0, v2
	v_mul_f32_e32 v2, v2, v2
	v_mul_f32_e32 v10, v9, v9
	v_add_f32_e32 v9, 1.0, v9
	v_div_scale_f32 v11, null, v2, v2, 1.0
	v_div_scale_f32 v13, vcc_lo, 1.0, v2, 1.0
	v_mul_f32_e32 v14, v9, v9
	v_div_scale_f32 v12, null, v10, v10, 1.0
	v_rcp_f32_e32 v15, v11
	v_div_scale_f32 v18, s1, 1.0, v10, 1.0
	v_div_scale_f32 v17, null, v14, v14, 1.0
	v_rcp_f32_e32 v16, v12
	v_add_f32_e32 v9, 1.0, v9
	v_div_scale_f32 v19, s2, 1.0, v14, 1.0
	v_rcp_f32_e32 v20, v17
	v_fma_f32 v22, -v11, v15, 1.0
	v_mul_f32_e32 v21, v9, v9
	v_add_f32_e32 v9, 1.0, v9
	v_fma_f32 v23, -v12, v16, 1.0
	v_fmac_f32_e32 v15, v22, v15
	v_mul_f32_e32 v25, v9, v9
	v_add_f32_e32 v9, 1.0, v9
	v_fma_f32 v22, -v17, v20, 1.0
	v_fmac_f32_e32 v16, v23, v16
	v_mul_f32_e32 v26, v13, v15
	v_div_scale_f32 v24, null, v21, v21, 1.0
	v_fmac_f32_e32 v20, v22, v20
	v_mul_f32_e32 v27, v18, v16
	v_fma_f32 v28, -v11, v26, v13
	v_add_f32_e32 v31, 1.0, v9
	v_rcp_f32_e32 v23, v24
	v_mul_f32_e32 v30, v19, v20
	v_fma_f32 v29, -v12, v27, v18
	v_fmac_f32_e32 v26, v28, v15
	v_mul_f32_e32 v9, v9, v9
	v_div_scale_f32 v22, null, v25, v25, 1.0
	v_fma_f32 v28, -v17, v30, v19
	v_fmac_f32_e32 v27, v29, v16
	v_fma_f32 v11, -v11, v26, v13
	v_mul_f32_e32 v13, v31, v31
	v_rcp_f32_e32 v29, v22
	v_fmac_f32_e32 v30, v28, v20
	v_fma_f32 v12, -v12, v27, v18
	v_div_fmas_f32 v11, v11, v15, v26
	s_mov_b32 vcc_lo, s1
	v_fma_f32 v32, -v24, v23, 1.0
	v_fma_f32 v15, -v17, v30, v19
	v_div_fmas_f32 v12, v12, v16, v27
	s_mov_b32 vcc_lo, s2
	v_div_scale_f32 v16, null, v9, v9, 1.0
	v_div_fmas_f32 v15, v15, v20, v30
	v_div_scale_f32 v17, null, v13, v13, 1.0
	v_add_f32_e32 v20, v31, v31
	v_rcp_f32_e32 v19, v16
	v_fmac_f32_e32 v23, v32, v23
	v_rcp_f32_e32 v27, v17
	v_div_scale_f32 v18, vcc_lo, 1.0, v21, 1.0
	v_div_scale_f32 v30, null, v20, v20, 1.0
	v_fma_f32 v26, -v22, v29, 1.0
	v_mul_f32_e32 v28, v18, v23
	v_div_fixup_f32 v2, v11, v2, 1.0
	v_rcp_f32_e32 v33, v30
	v_fma_f32 v32, -v16, v19, 1.0
	v_fmac_f32_e32 v29, v26, v29
	v_div_scale_f32 v26, s1, 1.0, v25, 1.0
	v_fma_f32 v35, -v17, v27, 1.0
	v_fma_f32 v34, -v24, v28, v18
	v_fmac_f32_e32 v19, v32, v19
	v_div_scale_f32 v32, s2, 1.0, v9, 1.0
	v_mul_f32_e32 v36, v26, v29
	v_fmac_f32_e32 v27, v35, v27
	v_div_scale_f32 v35, s3, 1.0, v13, 1.0
	v_fma_f32 v37, -v30, v33, 1.0
	v_fmac_f32_e32 v28, v34, v23
	v_mul_f32_e32 v38, v32, v19
	v_fma_f32 v34, -v22, v36, v26
	v_mul_f32_e32 v39, v35, v27
	v_fmac_f32_e32 v33, v37, v33
	v_div_scale_f32 v37, s4, 1.0, v20, 1.0
	v_fma_f32 v18, -v24, v28, v18
	v_fma_f32 v24, -v16, v38, v32
	v_fmac_f32_e32 v36, v34, v29
	v_fma_f32 v34, -v17, v39, v35
	v_mul_f32_e32 v40, v37, v33
	v_div_fmas_f32 v18, v18, v23, v28
	v_fmac_f32_e32 v38, v24, v19
	v_fma_f32 v22, -v22, v36, v26
	v_fmac_f32_e32 v39, v34, v27
	v_fma_f32 v23, -v30, v40, v37
	s_mov_b32 vcc_lo, s1
	v_fma_f32 v16, -v16, v38, v32
	v_div_fmas_f32 v22, v22, v29, v36
	v_fma_f32 v17, -v17, v39, v35
	v_fmac_f32_e32 v40, v23, v33
	s_mov_b32 vcc_lo, s2
	s_mov_b32 s1, 0xbcc30c31
	v_div_fmas_f32 v16, v16, v19, v38
	s_mov_b32 vcc_lo, s3
	v_fma_f32 v19, -v30, v40, v37
	v_div_fmas_f32 v17, v17, v27, v39
	s_mov_b32 vcc_lo, s4
	v_add_f32_e32 v2, v6, v2
	v_div_fixup_f32 v6, v12, v10, 1.0
	v_div_fmas_f32 v19, v19, v33, v40
	v_div_fixup_f32 v13, v17, v13, 1.0
	v_add_f32_e32 v2, v2, v6
	v_div_fixup_f32 v17, v19, v20, 1.0
	v_fmaak_f32 v19, s1, v13, 0x3d088889
	v_div_fixup_f32 v6, v15, v14, 1.0
	v_add_f32_e32 v17, 1.0, v17
	v_fma_f32 v19, -v13, v19, 0x3e2aaaab
	v_add_f32_e32 v2, v2, v6
	v_div_fixup_f32 v6, v18, v21, 1.0
	v_fmac_f32_e32 v17, v13, v19
	v_add_f32_e32 v2, v2, v6
	v_div_fixup_f32 v6, v22, v25, 1.0
	v_div_scale_f32 v13, null, v31, v31, v17
	v_div_scale_f32 v10, vcc_lo, v17, v31, v17
	v_add_f32_e32 v2, v2, v6
	v_rcp_f32_e32 v19, v13
	v_div_fixup_f32 v6, v16, v9, 1.0
	v_add_f32_e32 v2, v2, v6
	v_fma_f32 v11, -v13, v19, 1.0
	v_fmac_f32_e32 v19, v11, v19
	v_mul_f32_e32 v11, v10, v19
	v_fma_f32 v12, -v13, v11, v10
	v_fmac_f32_e32 v11, v12, v19
	v_fma_f32 v10, -v13, v11, v10
	v_div_fmas_f32 v9, v10, v19, v11
	v_div_fixup_f32 v6, v9, v31, v17
	v_add_f32_e32 v2, v2, v6
	v_mul_f32_e32 v6, v5, v2
	s_or_b32 exec_lo, exec_lo, s7
	s_and_saveexec_b32 s1, s0
	s_xor_b32 s0, exec_lo, s1
	s_cbranch_execz .LBB50_61
.LBB50_73:
	v_mov_b32_e32 v2, 0
	v_lshlrev_b64 v[0:1], 2, v[1:2]
	v_add_co_u32 v9, vcc_lo, s8, v0
	v_add_co_ci_u32_e64 v10, null, s9, v1, vcc_lo
	v_mov_b32_e32 v0, v3
	global_store_dword v[9:10], v4, off
	s_or_b32 exec_lo, exec_lo, s0
	s_mov_b32 s0, exec_lo
	v_cmpx_gt_i32_e64 s5, v0
	s_cbranch_execz .LBB50_62
.LBB50_74:
	v_add_nc_u32_e32 v1, s6, v0
	v_mov_b32_e32 v2, 0
	v_add_nc_u32_e32 v0, 0x100, v0
	v_lshlrev_b64 v[1:2], 2, v[1:2]
	v_add_co_u32 v1, vcc_lo, s8, v1
	v_add_co_ci_u32_e64 v2, null, s9, v2, vcc_lo
	global_store_dword v[1:2], v8, off
	s_or_b32 exec_lo, exec_lo, s0
	s_mov_b32 s0, exec_lo
	v_cmpx_gt_i32_e64 s5, v0
	s_cbranch_execz .LBB50_63
.LBB50_75:
	v_add_nc_u32_e32 v1, s6, v0
	v_mov_b32_e32 v2, 0
	v_add_nc_u32_e32 v0, 0x100, v0
	v_lshlrev_b64 v[1:2], 2, v[1:2]
	v_add_co_u32 v1, vcc_lo, s8, v1
	v_add_co_ci_u32_e64 v2, null, s9, v2, vcc_lo
	global_store_dword v[1:2], v7, off
	s_or_b32 exec_lo, exec_lo, s0
	s_mov_b32 s0, exec_lo
	v_cmpx_gt_i32_e64 s5, v0
	s_cbranch_execnz .LBB50_64
	s_branch .LBB50_65
	.section	.rodata,"a",@progbits
	.p2align	6, 0x0
	.amdhsa_kernel _ZN2at6native29vectorized_elementwise_kernelILi16EZZZNS0_20trigamma_kernel_cudaERNS_18TensorIteratorBaseEENKUlvE_clEvENKUlvE0_clEvEUlfE_St5arrayIPcLm2EEEEviT0_T1_
		.amdhsa_group_segment_fixed_size 0
		.amdhsa_private_segment_fixed_size 0
		.amdhsa_kernarg_size 24
		.amdhsa_user_sgpr_count 6
		.amdhsa_user_sgpr_private_segment_buffer 1
		.amdhsa_user_sgpr_dispatch_ptr 0
		.amdhsa_user_sgpr_queue_ptr 0
		.amdhsa_user_sgpr_kernarg_segment_ptr 1
		.amdhsa_user_sgpr_dispatch_id 0
		.amdhsa_user_sgpr_flat_scratch_init 0
		.amdhsa_user_sgpr_private_segment_size 0
		.amdhsa_wavefront_size32 1
		.amdhsa_uses_dynamic_stack 0
		.amdhsa_system_sgpr_private_segment_wavefront_offset 0
		.amdhsa_system_sgpr_workgroup_id_x 1
		.amdhsa_system_sgpr_workgroup_id_y 0
		.amdhsa_system_sgpr_workgroup_id_z 0
		.amdhsa_system_sgpr_workgroup_info 0
		.amdhsa_system_vgpr_workitem_id 0
		.amdhsa_next_free_vgpr 43
		.amdhsa_next_free_sgpr 12
		.amdhsa_reserve_vcc 1
		.amdhsa_reserve_flat_scratch 0
		.amdhsa_float_round_mode_32 0
		.amdhsa_float_round_mode_16_64 0
		.amdhsa_float_denorm_mode_32 3
		.amdhsa_float_denorm_mode_16_64 3
		.amdhsa_dx10_clamp 1
		.amdhsa_ieee_mode 1
		.amdhsa_fp16_overflow 0
		.amdhsa_workgroup_processor_mode 1
		.amdhsa_memory_ordered 1
		.amdhsa_forward_progress 1
		.amdhsa_shared_vgpr_count 0
		.amdhsa_exception_fp_ieee_invalid_op 0
		.amdhsa_exception_fp_denorm_src 0
		.amdhsa_exception_fp_ieee_div_zero 0
		.amdhsa_exception_fp_ieee_overflow 0
		.amdhsa_exception_fp_ieee_underflow 0
		.amdhsa_exception_fp_ieee_inexact 0
		.amdhsa_exception_int_div_zero 0
	.end_amdhsa_kernel
	.section	.text._ZN2at6native29vectorized_elementwise_kernelILi16EZZZNS0_20trigamma_kernel_cudaERNS_18TensorIteratorBaseEENKUlvE_clEvENKUlvE0_clEvEUlfE_St5arrayIPcLm2EEEEviT0_T1_,"axG",@progbits,_ZN2at6native29vectorized_elementwise_kernelILi16EZZZNS0_20trigamma_kernel_cudaERNS_18TensorIteratorBaseEENKUlvE_clEvENKUlvE0_clEvEUlfE_St5arrayIPcLm2EEEEviT0_T1_,comdat
.Lfunc_end50:
	.size	_ZN2at6native29vectorized_elementwise_kernelILi16EZZZNS0_20trigamma_kernel_cudaERNS_18TensorIteratorBaseEENKUlvE_clEvENKUlvE0_clEvEUlfE_St5arrayIPcLm2EEEEviT0_T1_, .Lfunc_end50-_ZN2at6native29vectorized_elementwise_kernelILi16EZZZNS0_20trigamma_kernel_cudaERNS_18TensorIteratorBaseEENKUlvE_clEvENKUlvE0_clEvEUlfE_St5arrayIPcLm2EEEEviT0_T1_
                                        ; -- End function
	.set _ZN2at6native29vectorized_elementwise_kernelILi16EZZZNS0_20trigamma_kernel_cudaERNS_18TensorIteratorBaseEENKUlvE_clEvENKUlvE0_clEvEUlfE_St5arrayIPcLm2EEEEviT0_T1_.num_vgpr, 43
	.set _ZN2at6native29vectorized_elementwise_kernelILi16EZZZNS0_20trigamma_kernel_cudaERNS_18TensorIteratorBaseEENKUlvE_clEvENKUlvE0_clEvEUlfE_St5arrayIPcLm2EEEEviT0_T1_.num_agpr, 0
	.set _ZN2at6native29vectorized_elementwise_kernelILi16EZZZNS0_20trigamma_kernel_cudaERNS_18TensorIteratorBaseEENKUlvE_clEvENKUlvE0_clEvEUlfE_St5arrayIPcLm2EEEEviT0_T1_.numbered_sgpr, 12
	.set _ZN2at6native29vectorized_elementwise_kernelILi16EZZZNS0_20trigamma_kernel_cudaERNS_18TensorIteratorBaseEENKUlvE_clEvENKUlvE0_clEvEUlfE_St5arrayIPcLm2EEEEviT0_T1_.num_named_barrier, 0
	.set _ZN2at6native29vectorized_elementwise_kernelILi16EZZZNS0_20trigamma_kernel_cudaERNS_18TensorIteratorBaseEENKUlvE_clEvENKUlvE0_clEvEUlfE_St5arrayIPcLm2EEEEviT0_T1_.private_seg_size, 0
	.set _ZN2at6native29vectorized_elementwise_kernelILi16EZZZNS0_20trigamma_kernel_cudaERNS_18TensorIteratorBaseEENKUlvE_clEvENKUlvE0_clEvEUlfE_St5arrayIPcLm2EEEEviT0_T1_.uses_vcc, 1
	.set _ZN2at6native29vectorized_elementwise_kernelILi16EZZZNS0_20trigamma_kernel_cudaERNS_18TensorIteratorBaseEENKUlvE_clEvENKUlvE0_clEvEUlfE_St5arrayIPcLm2EEEEviT0_T1_.uses_flat_scratch, 0
	.set _ZN2at6native29vectorized_elementwise_kernelILi16EZZZNS0_20trigamma_kernel_cudaERNS_18TensorIteratorBaseEENKUlvE_clEvENKUlvE0_clEvEUlfE_St5arrayIPcLm2EEEEviT0_T1_.has_dyn_sized_stack, 0
	.set _ZN2at6native29vectorized_elementwise_kernelILi16EZZZNS0_20trigamma_kernel_cudaERNS_18TensorIteratorBaseEENKUlvE_clEvENKUlvE0_clEvEUlfE_St5arrayIPcLm2EEEEviT0_T1_.has_recursion, 0
	.set _ZN2at6native29vectorized_elementwise_kernelILi16EZZZNS0_20trigamma_kernel_cudaERNS_18TensorIteratorBaseEENKUlvE_clEvENKUlvE0_clEvEUlfE_St5arrayIPcLm2EEEEviT0_T1_.has_indirect_call, 0
	.section	.AMDGPU.csdata,"",@progbits
; Kernel info:
; codeLenInByte = 14368
; TotalNumSgprs: 14
; NumVgprs: 43
; ScratchSize: 0
; MemoryBound: 0
; FloatMode: 240
; IeeeMode: 1
; LDSByteSize: 0 bytes/workgroup (compile time only)
; SGPRBlocks: 0
; VGPRBlocks: 5
; NumSGPRsForWavesPerEU: 14
; NumVGPRsForWavesPerEU: 43
; Occupancy: 16
; WaveLimiterHint : 0
; COMPUTE_PGM_RSRC2:SCRATCH_EN: 0
; COMPUTE_PGM_RSRC2:USER_SGPR: 6
; COMPUTE_PGM_RSRC2:TRAP_HANDLER: 0
; COMPUTE_PGM_RSRC2:TGID_X_EN: 1
; COMPUTE_PGM_RSRC2:TGID_Y_EN: 0
; COMPUTE_PGM_RSRC2:TGID_Z_EN: 0
; COMPUTE_PGM_RSRC2:TIDIG_COMP_CNT: 0
	.section	.text._ZN2at6native29vectorized_elementwise_kernelILi8EZZZNS0_20trigamma_kernel_cudaERNS_18TensorIteratorBaseEENKUlvE_clEvENKUlvE0_clEvEUlfE_St5arrayIPcLm2EEEEviT0_T1_,"axG",@progbits,_ZN2at6native29vectorized_elementwise_kernelILi8EZZZNS0_20trigamma_kernel_cudaERNS_18TensorIteratorBaseEENKUlvE_clEvENKUlvE0_clEvEUlfE_St5arrayIPcLm2EEEEviT0_T1_,comdat
	.globl	_ZN2at6native29vectorized_elementwise_kernelILi8EZZZNS0_20trigamma_kernel_cudaERNS_18TensorIteratorBaseEENKUlvE_clEvENKUlvE0_clEvEUlfE_St5arrayIPcLm2EEEEviT0_T1_ ; -- Begin function _ZN2at6native29vectorized_elementwise_kernelILi8EZZZNS0_20trigamma_kernel_cudaERNS_18TensorIteratorBaseEENKUlvE_clEvENKUlvE0_clEvEUlfE_St5arrayIPcLm2EEEEviT0_T1_
	.p2align	8
	.type	_ZN2at6native29vectorized_elementwise_kernelILi8EZZZNS0_20trigamma_kernel_cudaERNS_18TensorIteratorBaseEENKUlvE_clEvENKUlvE0_clEvEUlfE_St5arrayIPcLm2EEEEviT0_T1_,@function
_ZN2at6native29vectorized_elementwise_kernelILi8EZZZNS0_20trigamma_kernel_cudaERNS_18TensorIteratorBaseEENKUlvE_clEvENKUlvE0_clEvEUlfE_St5arrayIPcLm2EEEEviT0_T1_: ; @_ZN2at6native29vectorized_elementwise_kernelILi8EZZZNS0_20trigamma_kernel_cudaERNS_18TensorIteratorBaseEENKUlvE_clEvENKUlvE0_clEvEUlfE_St5arrayIPcLm2EEEEviT0_T1_
; %bb.0:
	s_clause 0x1
	s_load_dword s0, s[4:5], 0x0
	s_load_dwordx4 s[8:11], s[4:5], 0x8
	s_lshl_b32 s6, s6, 10
	s_waitcnt lgkmcnt(0)
	s_sub_i32 s5, s0, s6
	s_mov_b32 s0, -1
	s_cmpk_gt_i32 s5, 0x3ff
	s_cbranch_scc0 .LBB51_26
; %bb.1:
	s_ashr_i32 s7, s6, 31
	v_lshlrev_b32_e32 v5, 4, v0
	s_lshl_b64 s[2:3], s[6:7], 2
	v_mov_b32_e32 v7, 0
	s_add_u32 s0, s10, s2
	s_addc_u32 s1, s11, s3
	v_mov_b32_e32 v6, 1.0
	global_load_dwordx4 v[1:4], v5, s[0:1]
	s_mov_b32 s4, exec_lo
	s_waitcnt vmcnt(0)
	v_cmpx_gt_f32_e32 0.5, v1
	s_cbranch_execz .LBB51_7
; %bb.2:
	v_mul_f32_e32 v6, 0x40490fdb, v1
                                        ; implicit-def: $vgpr9
                                        ; implicit-def: $vgpr8
	s_mov_b32 s1, exec_lo
	v_and_b32_e32 v7, 0x7fffffff, v6
	v_cmpx_ngt_f32_e64 0x48000000, |v6|
	s_xor_b32 s7, exec_lo, s1
	s_cbranch_execz .LBB51_4
; %bb.3:
	s_mov_b32 s0, 0x7fffff
	v_mov_b32_e32 v10, 0
	v_and_or_b32 v17, v7, s0, 0x800000
	v_lshrrev_b32_e32 v15, 23, v7
	v_mad_u64_u32 v[8:9], null, 0xfe5163ab, v17, 0
	v_add_nc_u32_e32 v16, 0xffffff88, v15
	v_cmp_lt_u32_e32 vcc_lo, 63, v16
	v_mad_u64_u32 v[11:12], null, 0x3c439041, v17, v[9:10]
	v_cndmask_b32_e64 v18, 0, 0xffffffc0, vcc_lo
	v_mov_b32_e32 v9, v12
	v_add_nc_u32_e32 v18, v18, v16
	v_mad_u64_u32 v[12:13], null, 0xdb629599, v17, v[9:10]
	v_cmp_lt_u32_e64 s0, 31, v18
	v_cndmask_b32_e64 v19, 0, 0xffffffe0, s0
	v_mov_b32_e32 v9, v13
	v_cndmask_b32_e32 v8, v12, v8, vcc_lo
	v_mad_u64_u32 v[13:14], null, 0xf534ddc0, v17, v[9:10]
	v_mov_b32_e32 v9, v14
	v_cndmask_b32_e32 v11, v13, v11, vcc_lo
	v_mad_u64_u32 v[14:15], null, 0xfc2757d1, v17, v[9:10]
	v_cndmask_b32_e64 v8, v11, v8, s0
	v_mov_b32_e32 v9, v15
	v_mad_u64_u32 v[15:16], null, 0x4e441529, v17, v[9:10]
	v_mov_b32_e32 v9, v16
	v_add_nc_u32_e32 v16, v19, v18
	v_cndmask_b32_e32 v18, v15, v13, vcc_lo
	v_mad_u64_u32 v[9:10], null, 0xa2f9836e, v17, v[9:10]
	v_cmp_lt_u32_e64 s1, 31, v16
	v_cndmask_b32_e64 v17, 0, 0xffffffe0, s1
	v_cndmask_b32_e32 v9, v9, v14, vcc_lo
	v_cndmask_b32_e32 v10, v10, v15, vcc_lo
	;; [unrolled: 1-line block ×3, first 2 shown]
	v_add_nc_u32_e32 v15, v17, v16
	v_cndmask_b32_e64 v13, v9, v18, s0
	v_cndmask_b32_e64 v9, v10, v9, s0
	;; [unrolled: 1-line block ×4, first 2 shown]
	v_sub_nc_u32_e32 v16, 32, v15
	v_cmp_eq_u32_e32 vcc_lo, 0, v15
	v_cndmask_b32_e64 v9, v9, v13, s1
	v_cndmask_b32_e64 v13, v13, v10, s1
	;; [unrolled: 1-line block ×4, first 2 shown]
	v_alignbit_b32 v17, v9, v13, v16
	v_alignbit_b32 v12, v13, v10, v16
	;; [unrolled: 1-line block ×3, first 2 shown]
	v_cndmask_b32_e32 v9, v17, v9, vcc_lo
	v_cndmask_b32_e32 v11, v12, v13, vcc_lo
	v_cndmask_b32_e32 v10, v15, v10, vcc_lo
	v_bfe_u32 v12, v9, 29, 1
	v_alignbit_b32 v13, v9, v11, 30
	v_alignbit_b32 v11, v11, v10, 30
	;; [unrolled: 1-line block ×3, first 2 shown]
	v_sub_nc_u32_e32 v14, 0, v12
	v_xor_b32_e32 v13, v13, v14
	v_xor_b32_e32 v10, v11, v14
	;; [unrolled: 1-line block ×3, first 2 shown]
	v_lshrrev_b32_e32 v14, 29, v9
	v_lshrrev_b32_e32 v9, 30, v9
	v_ffbh_u32_e32 v15, v13
	v_add_nc_u32_e32 v9, v12, v9
	v_min_u32_e32 v15, 32, v15
	v_sub_nc_u32_e32 v11, 31, v15
	v_lshlrev_b32_e32 v16, 23, v15
	v_alignbit_b32 v13, v13, v10, v11
	v_alignbit_b32 v8, v10, v8, v11
	v_lshlrev_b32_e32 v10, 31, v14
	v_alignbit_b32 v11, v13, v8, 9
	v_or_b32_e32 v14, 0.5, v10
	v_lshrrev_b32_e32 v13, 9, v13
	v_or_b32_e32 v10, 0x33000000, v10
	v_ffbh_u32_e32 v17, v11
	v_sub_nc_u32_e32 v14, v14, v16
	v_min_u32_e32 v16, 32, v17
	v_or_b32_e32 v13, v13, v14
	v_not_b32_e32 v14, v16
	v_mul_f32_e32 v17, 0x3fc90fda, v13
	v_add_lshl_u32 v15, v16, v15, 23
	v_alignbit_b32 v8, v11, v8, v14
	v_fma_f32 v11, 0x3fc90fda, v13, -v17
	v_sub_nc_u32_e32 v10, v10, v15
	v_lshrrev_b32_e32 v8, 9, v8
	v_fmamk_f32 v11, v13, 0x33a22168, v11
	v_or_b32_e32 v8, v10, v8
	v_fmac_f32_e32 v11, 0x3fc90fda, v8
	v_add_f32_e32 v8, v17, v11
.LBB51_4:
	s_andn2_saveexec_b32 s0, s7
; %bb.5:
	v_mul_f32_e64 v8, 0x3f22f983, |v6|
	v_rndne_f32_e32 v9, v8
	v_fma_f32 v8, 0xbfc90fda, v9, |v6|
	v_fmamk_f32 v8, v9, 0xb3a22168, v8
	v_fmamk_f32 v8, v9, 0xa7c234c4, v8
	v_cvt_i32_f32_e32 v9, v9
; %bb.6:
	s_or_b32 exec_lo, exec_lo, s0
	v_mul_f32_e32 v10, v8, v8
	s_mov_b32 s0, 0xb94c1982
	s_mov_b32 s1, 0x37d75334
	v_and_b32_e32 v13, 1, v9
	v_lshlrev_b32_e32 v9, 30, v9
	v_fmaak_f32 v11, s0, v10, 0x3c0881c4
	v_fmaak_f32 v12, s1, v10, 0xbab64f3b
	v_xor_b32_e32 v7, v7, v6
	v_cmp_eq_u32_e32 vcc_lo, 0, v13
	v_and_b32_e32 v9, 0x80000000, v9
	v_fmaak_f32 v11, v10, v11, 0xbe2aaa9d
	v_fmaak_f32 v12, v10, v12, 0x3d2aabf7
	v_sub_f32_e32 v1, 1.0, v1
	v_mul_f32_e32 v11, v10, v11
	v_fmaak_f32 v12, v10, v12, 0xbf000004
	v_fmac_f32_e32 v8, v8, v11
	v_fma_f32 v10, v10, v12, 1.0
	v_cndmask_b32_e32 v8, v10, v8, vcc_lo
	v_cmp_class_f32_e64 vcc_lo, v6, 0x1f8
	v_xor3_b32 v7, v7, v9, v8
	v_cndmask_b32_e32 v6, 0x7fc00000, v7, vcc_lo
	v_mul_f32_e32 v6, v6, v6
	v_div_scale_f32 v7, null, v6, v6, 0xc11de9e7
	v_div_scale_f32 v10, vcc_lo, 0xc11de9e7, v6, 0xc11de9e7
	v_rcp_f32_e32 v8, v7
	v_fma_f32 v9, -v7, v8, 1.0
	v_fmac_f32_e32 v8, v9, v8
	v_mul_f32_e32 v9, v10, v8
	v_fma_f32 v11, -v7, v9, v10
	v_fmac_f32_e32 v9, v11, v8
	v_fma_f32 v7, -v7, v9, v10
	v_div_fmas_f32 v7, v7, v8, v9
	v_div_fixup_f32 v6, v7, v6, 0xc11de9e7
	v_add_f32_e32 v7, 0, v6
	v_mov_b32_e32 v6, -1.0
.LBB51_7:
	s_or_b32 exec_lo, exec_lo, s4
	v_mov_b32_e32 v11, 0
	v_mov_b32_e32 v9, 1.0
	s_mov_b32 s4, exec_lo
	v_cmpx_gt_f32_e32 0.5, v2
	s_cbranch_execz .LBB51_13
; %bb.8:
	v_mul_f32_e32 v8, 0x40490fdb, v2
                                        ; implicit-def: $vgpr11
                                        ; implicit-def: $vgpr10
	s_mov_b32 s1, exec_lo
	v_and_b32_e32 v9, 0x7fffffff, v8
	v_cmpx_ngt_f32_e64 0x48000000, |v8|
	s_xor_b32 s7, exec_lo, s1
	s_cbranch_execz .LBB51_10
; %bb.9:
	s_mov_b32 s0, 0x7fffff
	v_mov_b32_e32 v12, 0
	v_and_or_b32 v19, v9, s0, 0x800000
	v_lshrrev_b32_e32 v17, 23, v9
	v_mad_u64_u32 v[10:11], null, 0xfe5163ab, v19, 0
	v_add_nc_u32_e32 v18, 0xffffff88, v17
	v_cmp_lt_u32_e32 vcc_lo, 63, v18
	v_mad_u64_u32 v[13:14], null, 0x3c439041, v19, v[11:12]
	v_cndmask_b32_e64 v20, 0, 0xffffffc0, vcc_lo
	v_mov_b32_e32 v11, v14
	v_add_nc_u32_e32 v20, v20, v18
	v_mad_u64_u32 v[14:15], null, 0xdb629599, v19, v[11:12]
	v_cmp_lt_u32_e64 s0, 31, v20
	v_cndmask_b32_e64 v21, 0, 0xffffffe0, s0
	v_mov_b32_e32 v11, v15
	v_cndmask_b32_e32 v10, v14, v10, vcc_lo
	v_mad_u64_u32 v[15:16], null, 0xf534ddc0, v19, v[11:12]
	v_mov_b32_e32 v11, v16
	v_cndmask_b32_e32 v13, v15, v13, vcc_lo
	v_mad_u64_u32 v[16:17], null, 0xfc2757d1, v19, v[11:12]
	v_cndmask_b32_e64 v10, v13, v10, s0
	v_mov_b32_e32 v11, v17
	v_mad_u64_u32 v[17:18], null, 0x4e441529, v19, v[11:12]
	v_mov_b32_e32 v11, v18
	v_add_nc_u32_e32 v18, v21, v20
	v_cndmask_b32_e32 v20, v17, v15, vcc_lo
	v_mad_u64_u32 v[11:12], null, 0xa2f9836e, v19, v[11:12]
	v_cmp_lt_u32_e64 s1, 31, v18
	v_cndmask_b32_e64 v19, 0, 0xffffffe0, s1
	v_cndmask_b32_e32 v11, v11, v16, vcc_lo
	v_cndmask_b32_e32 v12, v12, v17, vcc_lo
	;; [unrolled: 1-line block ×3, first 2 shown]
	v_add_nc_u32_e32 v17, v19, v18
	v_cndmask_b32_e64 v15, v11, v20, s0
	v_cndmask_b32_e64 v11, v12, v11, s0
	;; [unrolled: 1-line block ×4, first 2 shown]
	v_sub_nc_u32_e32 v18, 32, v17
	v_cmp_eq_u32_e32 vcc_lo, 0, v17
	v_cndmask_b32_e64 v11, v11, v15, s1
	v_cndmask_b32_e64 v15, v15, v12, s1
	;; [unrolled: 1-line block ×4, first 2 shown]
	v_alignbit_b32 v19, v11, v15, v18
	v_alignbit_b32 v14, v15, v12, v18
	v_alignbit_b32 v17, v12, v10, v18
	v_cndmask_b32_e32 v11, v19, v11, vcc_lo
	v_cndmask_b32_e32 v13, v14, v15, vcc_lo
	;; [unrolled: 1-line block ×3, first 2 shown]
	v_bfe_u32 v14, v11, 29, 1
	v_alignbit_b32 v15, v11, v13, 30
	v_alignbit_b32 v13, v13, v12, 30
	;; [unrolled: 1-line block ×3, first 2 shown]
	v_sub_nc_u32_e32 v16, 0, v14
	v_xor_b32_e32 v15, v15, v16
	v_xor_b32_e32 v12, v13, v16
	;; [unrolled: 1-line block ×3, first 2 shown]
	v_lshrrev_b32_e32 v16, 29, v11
	v_lshrrev_b32_e32 v11, 30, v11
	v_ffbh_u32_e32 v17, v15
	v_add_nc_u32_e32 v11, v14, v11
	v_min_u32_e32 v17, 32, v17
	v_sub_nc_u32_e32 v13, 31, v17
	v_lshlrev_b32_e32 v18, 23, v17
	v_alignbit_b32 v15, v15, v12, v13
	v_alignbit_b32 v10, v12, v10, v13
	v_lshlrev_b32_e32 v12, 31, v16
	v_alignbit_b32 v13, v15, v10, 9
	v_or_b32_e32 v16, 0.5, v12
	v_lshrrev_b32_e32 v15, 9, v15
	v_or_b32_e32 v12, 0x33000000, v12
	v_ffbh_u32_e32 v19, v13
	v_sub_nc_u32_e32 v16, v16, v18
	v_min_u32_e32 v18, 32, v19
	v_or_b32_e32 v15, v15, v16
	v_not_b32_e32 v16, v18
	v_mul_f32_e32 v19, 0x3fc90fda, v15
	v_add_lshl_u32 v17, v18, v17, 23
	v_alignbit_b32 v10, v13, v10, v16
	v_fma_f32 v13, 0x3fc90fda, v15, -v19
	v_sub_nc_u32_e32 v12, v12, v17
	v_lshrrev_b32_e32 v10, 9, v10
	v_fmamk_f32 v13, v15, 0x33a22168, v13
	v_or_b32_e32 v10, v12, v10
	v_fmac_f32_e32 v13, 0x3fc90fda, v10
	v_add_f32_e32 v10, v19, v13
.LBB51_10:
	s_andn2_saveexec_b32 s0, s7
; %bb.11:
	v_mul_f32_e64 v10, 0x3f22f983, |v8|
	v_rndne_f32_e32 v11, v10
	v_fma_f32 v10, 0xbfc90fda, v11, |v8|
	v_fmamk_f32 v10, v11, 0xb3a22168, v10
	v_fmamk_f32 v10, v11, 0xa7c234c4, v10
	v_cvt_i32_f32_e32 v11, v11
; %bb.12:
	s_or_b32 exec_lo, exec_lo, s0
	v_mul_f32_e32 v12, v10, v10
	s_mov_b32 s0, 0xb94c1982
	s_mov_b32 s1, 0x37d75334
	v_and_b32_e32 v15, 1, v11
	v_lshlrev_b32_e32 v11, 30, v11
	v_fmaak_f32 v13, s0, v12, 0x3c0881c4
	v_fmaak_f32 v14, s1, v12, 0xbab64f3b
	v_xor_b32_e32 v9, v9, v8
	v_cmp_eq_u32_e32 vcc_lo, 0, v15
	v_and_b32_e32 v11, 0x80000000, v11
	v_fmaak_f32 v13, v12, v13, 0xbe2aaa9d
	v_fmaak_f32 v14, v12, v14, 0x3d2aabf7
	v_sub_f32_e32 v2, 1.0, v2
	v_mul_f32_e32 v13, v12, v13
	v_fmaak_f32 v14, v12, v14, 0xbf000004
	v_fmac_f32_e32 v10, v10, v13
	v_fma_f32 v12, v12, v14, 1.0
	v_cndmask_b32_e32 v10, v12, v10, vcc_lo
	v_cmp_class_f32_e64 vcc_lo, v8, 0x1f8
	v_xor3_b32 v9, v9, v11, v10
	v_cndmask_b32_e32 v8, 0x7fc00000, v9, vcc_lo
	v_mul_f32_e32 v8, v8, v8
	v_div_scale_f32 v9, null, v8, v8, 0xc11de9e7
	v_div_scale_f32 v12, vcc_lo, 0xc11de9e7, v8, 0xc11de9e7
	v_rcp_f32_e32 v10, v9
	v_fma_f32 v11, -v9, v10, 1.0
	v_fmac_f32_e32 v10, v11, v10
	v_mul_f32_e32 v11, v12, v10
	v_fma_f32 v13, -v9, v11, v12
	v_fmac_f32_e32 v11, v13, v10
	v_fma_f32 v9, -v9, v11, v12
	v_div_fmas_f32 v9, v9, v10, v11
	v_div_fixup_f32 v8, v9, v8, 0xc11de9e7
	v_mov_b32_e32 v9, -1.0
	v_add_f32_e32 v11, 0, v8
.LBB51_13:
	s_or_b32 exec_lo, exec_lo, s4
	v_mov_b32_e32 v13, 0
	v_mov_b32_e32 v12, 1.0
	s_mov_b32 s4, exec_lo
	v_cmpx_gt_f32_e32 0.5, v3
	s_cbranch_execz .LBB51_19
; %bb.14:
	v_mul_f32_e32 v8, 0x40490fdb, v3
                                        ; implicit-def: $vgpr13
                                        ; implicit-def: $vgpr12
	s_mov_b32 s1, exec_lo
	v_and_b32_e32 v10, 0x7fffffff, v8
	v_cmpx_ngt_f32_e64 0x48000000, |v8|
	s_xor_b32 s7, exec_lo, s1
	s_cbranch_execz .LBB51_16
; %bb.15:
	s_mov_b32 s0, 0x7fffff
	v_mov_b32_e32 v14, 0
	v_and_or_b32 v21, v10, s0, 0x800000
	v_lshrrev_b32_e32 v19, 23, v10
	v_mad_u64_u32 v[12:13], null, 0xfe5163ab, v21, 0
	v_add_nc_u32_e32 v20, 0xffffff88, v19
	v_cmp_lt_u32_e32 vcc_lo, 63, v20
	v_mad_u64_u32 v[15:16], null, 0x3c439041, v21, v[13:14]
	v_cndmask_b32_e64 v22, 0, 0xffffffc0, vcc_lo
	v_mov_b32_e32 v13, v16
	v_add_nc_u32_e32 v22, v22, v20
	v_mad_u64_u32 v[16:17], null, 0xdb629599, v21, v[13:14]
	v_cmp_lt_u32_e64 s0, 31, v22
	v_cndmask_b32_e64 v23, 0, 0xffffffe0, s0
	v_mov_b32_e32 v13, v17
	v_cndmask_b32_e32 v12, v16, v12, vcc_lo
	v_mad_u64_u32 v[17:18], null, 0xf534ddc0, v21, v[13:14]
	v_mov_b32_e32 v13, v18
	v_cndmask_b32_e32 v15, v17, v15, vcc_lo
	v_mad_u64_u32 v[18:19], null, 0xfc2757d1, v21, v[13:14]
	v_cndmask_b32_e64 v12, v15, v12, s0
	v_mov_b32_e32 v13, v19
	v_mad_u64_u32 v[19:20], null, 0x4e441529, v21, v[13:14]
	v_mov_b32_e32 v13, v20
	v_add_nc_u32_e32 v20, v23, v22
	v_cndmask_b32_e32 v22, v19, v17, vcc_lo
	v_mad_u64_u32 v[13:14], null, 0xa2f9836e, v21, v[13:14]
	v_cmp_lt_u32_e64 s1, 31, v20
	v_cndmask_b32_e64 v21, 0, 0xffffffe0, s1
	v_cndmask_b32_e32 v13, v13, v18, vcc_lo
	v_cndmask_b32_e32 v14, v14, v19, vcc_lo
	;; [unrolled: 1-line block ×3, first 2 shown]
	v_add_nc_u32_e32 v19, v21, v20
	v_cndmask_b32_e64 v17, v13, v22, s0
	v_cndmask_b32_e64 v13, v14, v13, s0
	;; [unrolled: 1-line block ×4, first 2 shown]
	v_sub_nc_u32_e32 v20, 32, v19
	v_cmp_eq_u32_e32 vcc_lo, 0, v19
	v_cndmask_b32_e64 v13, v13, v17, s1
	v_cndmask_b32_e64 v17, v17, v14, s1
	v_cndmask_b32_e64 v14, v14, v18, s1
	v_cndmask_b32_e64 v12, v18, v12, s1
	v_alignbit_b32 v21, v13, v17, v20
	v_alignbit_b32 v16, v17, v14, v20
	;; [unrolled: 1-line block ×3, first 2 shown]
	v_cndmask_b32_e32 v13, v21, v13, vcc_lo
	v_cndmask_b32_e32 v15, v16, v17, vcc_lo
	;; [unrolled: 1-line block ×3, first 2 shown]
	v_bfe_u32 v16, v13, 29, 1
	v_alignbit_b32 v17, v13, v15, 30
	v_alignbit_b32 v15, v15, v14, 30
	;; [unrolled: 1-line block ×3, first 2 shown]
	v_sub_nc_u32_e32 v18, 0, v16
	v_xor_b32_e32 v17, v17, v18
	v_xor_b32_e32 v14, v15, v18
	;; [unrolled: 1-line block ×3, first 2 shown]
	v_lshrrev_b32_e32 v18, 29, v13
	v_lshrrev_b32_e32 v13, 30, v13
	v_ffbh_u32_e32 v19, v17
	v_add_nc_u32_e32 v13, v16, v13
	v_min_u32_e32 v19, 32, v19
	v_sub_nc_u32_e32 v15, 31, v19
	v_lshlrev_b32_e32 v20, 23, v19
	v_alignbit_b32 v17, v17, v14, v15
	v_alignbit_b32 v12, v14, v12, v15
	v_lshlrev_b32_e32 v14, 31, v18
	v_alignbit_b32 v15, v17, v12, 9
	v_or_b32_e32 v18, 0.5, v14
	v_lshrrev_b32_e32 v17, 9, v17
	v_or_b32_e32 v14, 0x33000000, v14
	v_ffbh_u32_e32 v21, v15
	v_sub_nc_u32_e32 v18, v18, v20
	v_min_u32_e32 v20, 32, v21
	v_or_b32_e32 v17, v17, v18
	v_not_b32_e32 v18, v20
	v_mul_f32_e32 v21, 0x3fc90fda, v17
	v_add_lshl_u32 v19, v20, v19, 23
	v_alignbit_b32 v12, v15, v12, v18
	v_fma_f32 v15, 0x3fc90fda, v17, -v21
	v_sub_nc_u32_e32 v14, v14, v19
	v_lshrrev_b32_e32 v12, 9, v12
	v_fmamk_f32 v15, v17, 0x33a22168, v15
	v_or_b32_e32 v12, v14, v12
	v_fmac_f32_e32 v15, 0x3fc90fda, v12
	v_add_f32_e32 v12, v21, v15
.LBB51_16:
	s_andn2_saveexec_b32 s0, s7
; %bb.17:
	v_mul_f32_e64 v12, 0x3f22f983, |v8|
	v_rndne_f32_e32 v13, v12
	v_fma_f32 v12, 0xbfc90fda, v13, |v8|
	v_fmamk_f32 v12, v13, 0xb3a22168, v12
	v_fmamk_f32 v12, v13, 0xa7c234c4, v12
	v_cvt_i32_f32_e32 v13, v13
; %bb.18:
	s_or_b32 exec_lo, exec_lo, s0
	v_mul_f32_e32 v14, v12, v12
	s_mov_b32 s0, 0xb94c1982
	s_mov_b32 s1, 0x37d75334
	v_and_b32_e32 v17, 1, v13
	v_lshlrev_b32_e32 v13, 30, v13
	v_fmaak_f32 v15, s0, v14, 0x3c0881c4
	v_fmaak_f32 v16, s1, v14, 0xbab64f3b
	v_xor_b32_e32 v10, v10, v8
	v_cmp_eq_u32_e32 vcc_lo, 0, v17
	v_and_b32_e32 v13, 0x80000000, v13
	v_fmaak_f32 v15, v14, v15, 0xbe2aaa9d
	v_fmaak_f32 v16, v14, v16, 0x3d2aabf7
	v_sub_f32_e32 v3, 1.0, v3
	v_mul_f32_e32 v15, v14, v15
	v_fmaak_f32 v16, v14, v16, 0xbf000004
	v_fmac_f32_e32 v12, v12, v15
	v_fma_f32 v14, v14, v16, 1.0
	v_cndmask_b32_e32 v12, v14, v12, vcc_lo
	v_cmp_class_f32_e64 vcc_lo, v8, 0x1f8
	v_xor3_b32 v10, v10, v13, v12
	v_cndmask_b32_e32 v8, 0x7fc00000, v10, vcc_lo
	v_mul_f32_e32 v8, v8, v8
	v_div_scale_f32 v10, null, v8, v8, 0xc11de9e7
	v_div_scale_f32 v14, vcc_lo, 0xc11de9e7, v8, 0xc11de9e7
	v_rcp_f32_e32 v12, v10
	v_fma_f32 v13, -v10, v12, 1.0
	v_fmac_f32_e32 v12, v13, v12
	v_mul_f32_e32 v13, v14, v12
	v_fma_f32 v15, -v10, v13, v14
	v_fmac_f32_e32 v13, v15, v12
	v_fma_f32 v10, -v10, v13, v14
	v_div_fmas_f32 v10, v10, v12, v13
	v_mov_b32_e32 v12, -1.0
	v_div_fixup_f32 v8, v10, v8, 0xc11de9e7
	v_add_f32_e32 v13, 0, v8
.LBB51_19:
	s_or_b32 exec_lo, exec_lo, s4
	v_mov_b32_e32 v10, 0
	v_mov_b32_e32 v8, 1.0
	s_mov_b32 s4, exec_lo
	v_cmpx_gt_f32_e32 0.5, v4
	s_cbranch_execz .LBB51_25
; %bb.20:
	v_mul_f32_e32 v8, 0x40490fdb, v4
                                        ; implicit-def: $vgpr15
                                        ; implicit-def: $vgpr14
	s_mov_b32 s1, exec_lo
	v_and_b32_e32 v10, 0x7fffffff, v8
	v_cmpx_ngt_f32_e64 0x48000000, |v8|
	s_xor_b32 s7, exec_lo, s1
	s_cbranch_execz .LBB51_22
; %bb.21:
	s_mov_b32 s0, 0x7fffff
	v_mov_b32_e32 v16, 0
	v_and_or_b32 v23, v10, s0, 0x800000
	v_lshrrev_b32_e32 v21, 23, v10
	v_mad_u64_u32 v[14:15], null, 0xfe5163ab, v23, 0
	v_add_nc_u32_e32 v22, 0xffffff88, v21
	v_cmp_lt_u32_e32 vcc_lo, 63, v22
	v_mad_u64_u32 v[17:18], null, 0x3c439041, v23, v[15:16]
	v_cndmask_b32_e64 v24, 0, 0xffffffc0, vcc_lo
	v_mov_b32_e32 v15, v18
	v_add_nc_u32_e32 v24, v24, v22
	v_mad_u64_u32 v[18:19], null, 0xdb629599, v23, v[15:16]
	v_cmp_lt_u32_e64 s0, 31, v24
	v_cndmask_b32_e64 v25, 0, 0xffffffe0, s0
	v_mov_b32_e32 v15, v19
	v_cndmask_b32_e32 v14, v18, v14, vcc_lo
	v_mad_u64_u32 v[19:20], null, 0xf534ddc0, v23, v[15:16]
	v_mov_b32_e32 v15, v20
	v_cndmask_b32_e32 v17, v19, v17, vcc_lo
	v_mad_u64_u32 v[20:21], null, 0xfc2757d1, v23, v[15:16]
	v_cndmask_b32_e64 v14, v17, v14, s0
	v_mov_b32_e32 v15, v21
	v_mad_u64_u32 v[21:22], null, 0x4e441529, v23, v[15:16]
	v_mov_b32_e32 v15, v22
	v_add_nc_u32_e32 v22, v25, v24
	v_cndmask_b32_e32 v24, v21, v19, vcc_lo
	v_mad_u64_u32 v[15:16], null, 0xa2f9836e, v23, v[15:16]
	v_cmp_lt_u32_e64 s1, 31, v22
	v_cndmask_b32_e64 v23, 0, 0xffffffe0, s1
	v_cndmask_b32_e32 v15, v15, v20, vcc_lo
	v_cndmask_b32_e32 v16, v16, v21, vcc_lo
	;; [unrolled: 1-line block ×3, first 2 shown]
	v_add_nc_u32_e32 v21, v23, v22
	v_cndmask_b32_e64 v19, v15, v24, s0
	v_cndmask_b32_e64 v15, v16, v15, s0
	;; [unrolled: 1-line block ×4, first 2 shown]
	v_sub_nc_u32_e32 v22, 32, v21
	v_cmp_eq_u32_e32 vcc_lo, 0, v21
	v_cndmask_b32_e64 v15, v15, v19, s1
	v_cndmask_b32_e64 v19, v19, v16, s1
	;; [unrolled: 1-line block ×4, first 2 shown]
	v_alignbit_b32 v23, v15, v19, v22
	v_alignbit_b32 v18, v19, v16, v22
	;; [unrolled: 1-line block ×3, first 2 shown]
	v_cndmask_b32_e32 v15, v23, v15, vcc_lo
	v_cndmask_b32_e32 v17, v18, v19, vcc_lo
	;; [unrolled: 1-line block ×3, first 2 shown]
	v_bfe_u32 v18, v15, 29, 1
	v_alignbit_b32 v19, v15, v17, 30
	v_alignbit_b32 v17, v17, v16, 30
	v_alignbit_b32 v14, v16, v14, 30
	v_sub_nc_u32_e32 v20, 0, v18
	v_xor_b32_e32 v19, v19, v20
	v_xor_b32_e32 v16, v17, v20
	;; [unrolled: 1-line block ×3, first 2 shown]
	v_lshrrev_b32_e32 v20, 29, v15
	v_lshrrev_b32_e32 v15, 30, v15
	v_ffbh_u32_e32 v21, v19
	v_add_nc_u32_e32 v15, v18, v15
	v_min_u32_e32 v21, 32, v21
	v_sub_nc_u32_e32 v17, 31, v21
	v_lshlrev_b32_e32 v22, 23, v21
	v_alignbit_b32 v19, v19, v16, v17
	v_alignbit_b32 v14, v16, v14, v17
	v_lshlrev_b32_e32 v16, 31, v20
	v_alignbit_b32 v17, v19, v14, 9
	v_or_b32_e32 v20, 0.5, v16
	v_lshrrev_b32_e32 v19, 9, v19
	v_or_b32_e32 v16, 0x33000000, v16
	v_ffbh_u32_e32 v23, v17
	v_sub_nc_u32_e32 v20, v20, v22
	v_min_u32_e32 v22, 32, v23
	v_or_b32_e32 v19, v19, v20
	v_not_b32_e32 v20, v22
	v_mul_f32_e32 v23, 0x3fc90fda, v19
	v_add_lshl_u32 v21, v22, v21, 23
	v_alignbit_b32 v14, v17, v14, v20
	v_fma_f32 v17, 0x3fc90fda, v19, -v23
	v_sub_nc_u32_e32 v16, v16, v21
	v_lshrrev_b32_e32 v14, 9, v14
	v_fmamk_f32 v17, v19, 0x33a22168, v17
	v_or_b32_e32 v14, v16, v14
	v_fmac_f32_e32 v17, 0x3fc90fda, v14
	v_add_f32_e32 v14, v23, v17
.LBB51_22:
	s_andn2_saveexec_b32 s0, s7
; %bb.23:
	v_mul_f32_e64 v14, 0x3f22f983, |v8|
	v_rndne_f32_e32 v15, v14
	v_fma_f32 v14, 0xbfc90fda, v15, |v8|
	v_fmamk_f32 v14, v15, 0xb3a22168, v14
	v_fmamk_f32 v14, v15, 0xa7c234c4, v14
	v_cvt_i32_f32_e32 v15, v15
; %bb.24:
	s_or_b32 exec_lo, exec_lo, s0
	v_mul_f32_e32 v16, v14, v14
	s_mov_b32 s0, 0xb94c1982
	s_mov_b32 s1, 0x37d75334
	v_and_b32_e32 v19, 1, v15
	v_lshlrev_b32_e32 v15, 30, v15
	v_fmaak_f32 v17, s0, v16, 0x3c0881c4
	v_fmaak_f32 v18, s1, v16, 0xbab64f3b
	v_xor_b32_e32 v10, v10, v8
	v_cmp_eq_u32_e32 vcc_lo, 0, v19
	v_and_b32_e32 v15, 0x80000000, v15
	v_fmaak_f32 v17, v16, v17, 0xbe2aaa9d
	v_fmaak_f32 v18, v16, v18, 0x3d2aabf7
	v_sub_f32_e32 v4, 1.0, v4
	v_mul_f32_e32 v17, v16, v17
	v_fmaak_f32 v18, v16, v18, 0xbf000004
	v_fmac_f32_e32 v14, v14, v17
	v_fma_f32 v16, v16, v18, 1.0
	v_cndmask_b32_e32 v14, v16, v14, vcc_lo
	v_cmp_class_f32_e64 vcc_lo, v8, 0x1f8
	v_xor3_b32 v10, v10, v15, v14
	v_cndmask_b32_e32 v8, 0x7fc00000, v10, vcc_lo
	v_mul_f32_e32 v8, v8, v8
	v_div_scale_f32 v10, null, v8, v8, 0xc11de9e7
	v_div_scale_f32 v16, vcc_lo, 0xc11de9e7, v8, 0xc11de9e7
	v_rcp_f32_e32 v14, v10
	v_fma_f32 v15, -v10, v14, 1.0
	v_fmac_f32_e32 v14, v15, v14
	v_mul_f32_e32 v15, v16, v14
	v_fma_f32 v17, -v10, v15, v16
	v_fmac_f32_e32 v15, v17, v14
	v_fma_f32 v10, -v10, v15, v16
	v_div_fmas_f32 v10, v10, v14, v15
	v_div_fixup_f32 v8, v10, v8, 0xc11de9e7
	v_add_f32_e32 v10, 0, v8
	v_mov_b32_e32 v8, -1.0
.LBB51_25:
	s_or_b32 exec_lo, exec_lo, s4
	v_mul_f32_e32 v14, v3, v3
	v_add_f32_e32 v3, 1.0, v3
	s_mov_b32 s0, 0xbcc30c31
	v_div_scale_f32 v15, null, v14, v14, 1.0
	v_rcp_f32_e32 v16, v15
	v_fma_f32 v17, -v15, v16, 1.0
	v_fmac_f32_e32 v16, v17, v16
	v_div_scale_f32 v17, vcc_lo, 1.0, v14, 1.0
	v_mul_f32_e32 v18, v17, v16
	v_fma_f32 v19, -v15, v18, v17
	v_fmac_f32_e32 v18, v19, v16
	v_fma_f32 v15, -v15, v18, v17
	v_div_fmas_f32 v15, v15, v16, v18
	v_div_fixup_f32 v14, v15, v14, 1.0
	v_add_f32_e32 v13, v13, v14
	v_mul_f32_e32 v14, v3, v3
	v_add_f32_e32 v3, 1.0, v3
	v_div_scale_f32 v15, null, v14, v14, 1.0
	v_rcp_f32_e32 v16, v15
	v_fma_f32 v17, -v15, v16, 1.0
	v_fmac_f32_e32 v16, v17, v16
	v_div_scale_f32 v17, vcc_lo, 1.0, v14, 1.0
	v_mul_f32_e32 v18, v17, v16
	v_fma_f32 v19, -v15, v18, v17
	v_fmac_f32_e32 v18, v19, v16
	v_fma_f32 v15, -v15, v18, v17
	v_div_fmas_f32 v15, v15, v16, v18
	v_div_fixup_f32 v14, v15, v14, 1.0
	v_add_f32_e32 v13, v13, v14
	v_mul_f32_e32 v14, v3, v3
	v_add_f32_e32 v3, 1.0, v3
	;; [unrolled: 14-line block ×5, first 2 shown]
	v_div_scale_f32 v15, null, v14, v14, 1.0
	v_rcp_f32_e32 v16, v15
	v_fma_f32 v17, -v15, v16, 1.0
	v_fmac_f32_e32 v16, v17, v16
	v_div_scale_f32 v17, vcc_lo, 1.0, v14, 1.0
	v_mul_f32_e32 v18, v17, v16
	v_fma_f32 v19, -v15, v18, v17
	v_fmac_f32_e32 v18, v19, v16
	v_fma_f32 v15, -v15, v18, v17
	v_div_fmas_f32 v15, v15, v16, v18
	v_div_fixup_f32 v14, v15, v14, 1.0
	v_add_f32_e32 v13, v13, v14
	v_add_f32_e32 v14, v3, v3
	v_div_scale_f32 v15, null, v14, v14, 1.0
	v_rcp_f32_e32 v16, v15
	v_fma_f32 v17, -v15, v16, 1.0
	v_fmac_f32_e32 v16, v17, v16
	v_div_scale_f32 v17, vcc_lo, 1.0, v14, 1.0
	v_mul_f32_e32 v18, v17, v16
	v_fma_f32 v19, -v15, v18, v17
	v_fmac_f32_e32 v18, v19, v16
	v_fma_f32 v15, -v15, v18, v17
	v_div_fmas_f32 v15, v15, v16, v18
	v_div_fixup_f32 v14, v15, v14, 1.0
	v_mul_f32_e32 v15, v3, v3
	v_add_f32_e32 v14, 1.0, v14
	v_div_scale_f32 v16, null, v15, v15, 1.0
	v_rcp_f32_e32 v17, v16
	v_fma_f32 v18, -v16, v17, 1.0
	v_fmac_f32_e32 v17, v18, v17
	v_div_scale_f32 v18, vcc_lo, 1.0, v15, 1.0
	v_mul_f32_e32 v19, v18, v17
	v_fma_f32 v20, -v16, v19, v18
	v_fmac_f32_e32 v19, v20, v17
	v_fma_f32 v16, -v16, v19, v18
	v_div_fmas_f32 v16, v16, v17, v19
	v_div_fixup_f32 v15, v16, v15, 1.0
	v_fmaak_f32 v16, s0, v15, 0x3d088889
	v_fma_f32 v16, -v15, v16, 0x3e2aaaab
	v_fmac_f32_e32 v14, v15, v16
	v_div_scale_f32 v15, null, v3, v3, v14
	v_rcp_f32_e32 v16, v15
	v_fma_f32 v17, -v15, v16, 1.0
	v_fmac_f32_e32 v16, v17, v16
	v_div_scale_f32 v17, vcc_lo, v14, v3, v14
	v_mul_f32_e32 v18, v17, v16
	v_fma_f32 v19, -v15, v18, v17
	v_fmac_f32_e32 v18, v19, v16
	v_fma_f32 v15, -v15, v18, v17
	v_div_fmas_f32 v15, v15, v16, v18
	v_div_fixup_f32 v3, v15, v3, v14
	v_add_f32_e32 v3, v13, v3
	v_mul_f32_e32 v3, v12, v3
	v_mul_f32_e32 v12, v2, v2
	v_add_f32_e32 v2, 1.0, v2
	v_div_scale_f32 v13, null, v12, v12, 1.0
	v_rcp_f32_e32 v14, v13
	v_fma_f32 v15, -v13, v14, 1.0
	v_fmac_f32_e32 v14, v15, v14
	v_div_scale_f32 v15, vcc_lo, 1.0, v12, 1.0
	v_mul_f32_e32 v16, v15, v14
	v_fma_f32 v17, -v13, v16, v15
	v_fmac_f32_e32 v16, v17, v14
	v_fma_f32 v13, -v13, v16, v15
	v_div_fmas_f32 v13, v13, v14, v16
	v_div_fixup_f32 v12, v13, v12, 1.0
	v_add_f32_e32 v11, v11, v12
	v_mul_f32_e32 v12, v2, v2
	v_add_f32_e32 v2, 1.0, v2
	v_div_scale_f32 v13, null, v12, v12, 1.0
	v_rcp_f32_e32 v14, v13
	v_fma_f32 v15, -v13, v14, 1.0
	v_fmac_f32_e32 v14, v15, v14
	v_div_scale_f32 v15, vcc_lo, 1.0, v12, 1.0
	v_mul_f32_e32 v16, v15, v14
	v_fma_f32 v17, -v13, v16, v15
	v_fmac_f32_e32 v16, v17, v14
	v_fma_f32 v13, -v13, v16, v15
	v_div_fmas_f32 v13, v13, v14, v16
	v_div_fixup_f32 v12, v13, v12, 1.0
	v_add_f32_e32 v11, v11, v12
	;; [unrolled: 14-line block ×6, first 2 shown]
	v_add_f32_e32 v12, v2, v2
	v_div_scale_f32 v13, null, v12, v12, 1.0
	v_rcp_f32_e32 v14, v13
	v_fma_f32 v15, -v13, v14, 1.0
	v_fmac_f32_e32 v14, v15, v14
	v_div_scale_f32 v15, vcc_lo, 1.0, v12, 1.0
	v_mul_f32_e32 v16, v15, v14
	v_fma_f32 v17, -v13, v16, v15
	v_fmac_f32_e32 v16, v17, v14
	v_fma_f32 v13, -v13, v16, v15
	v_div_fmas_f32 v13, v13, v14, v16
	v_div_fixup_f32 v12, v13, v12, 1.0
	v_mul_f32_e32 v13, v2, v2
	v_add_f32_e32 v12, 1.0, v12
	v_div_scale_f32 v14, null, v13, v13, 1.0
	v_rcp_f32_e32 v15, v14
	v_fma_f32 v16, -v14, v15, 1.0
	v_fmac_f32_e32 v15, v16, v15
	v_div_scale_f32 v16, vcc_lo, 1.0, v13, 1.0
	v_mul_f32_e32 v17, v16, v15
	v_fma_f32 v18, -v14, v17, v16
	v_fmac_f32_e32 v17, v18, v15
	v_fma_f32 v14, -v14, v17, v16
	v_div_fmas_f32 v14, v14, v15, v17
	v_div_fixup_f32 v13, v14, v13, 1.0
	v_fmaak_f32 v14, s0, v13, 0x3d088889
	v_fma_f32 v14, -v13, v14, 0x3e2aaaab
	v_fmac_f32_e32 v12, v13, v14
	v_div_scale_f32 v13, null, v2, v2, v12
	v_rcp_f32_e32 v14, v13
	v_fma_f32 v15, -v13, v14, 1.0
	v_fmac_f32_e32 v14, v15, v14
	v_div_scale_f32 v15, vcc_lo, v12, v2, v12
	v_mul_f32_e32 v16, v15, v14
	v_fma_f32 v17, -v13, v16, v15
	v_fmac_f32_e32 v16, v17, v14
	v_fma_f32 v13, -v13, v16, v15
	v_div_fmas_f32 v13, v13, v14, v16
	v_div_fixup_f32 v2, v13, v2, v12
	v_add_f32_e32 v2, v11, v2
	v_mul_f32_e32 v2, v9, v2
	v_mul_f32_e32 v9, v1, v1
	v_add_f32_e32 v1, 1.0, v1
	v_div_scale_f32 v11, null, v9, v9, 1.0
	v_rcp_f32_e32 v12, v11
	v_fma_f32 v13, -v11, v12, 1.0
	v_fmac_f32_e32 v12, v13, v12
	v_div_scale_f32 v13, vcc_lo, 1.0, v9, 1.0
	v_mul_f32_e32 v14, v13, v12
	v_fma_f32 v15, -v11, v14, v13
	v_fmac_f32_e32 v14, v15, v12
	v_fma_f32 v11, -v11, v14, v13
	v_div_fmas_f32 v11, v11, v12, v14
	v_div_fixup_f32 v9, v11, v9, 1.0
	v_add_f32_e32 v7, v7, v9
	v_mul_f32_e32 v9, v1, v1
	v_add_f32_e32 v1, 1.0, v1
	v_div_scale_f32 v11, null, v9, v9, 1.0
	v_rcp_f32_e32 v12, v11
	v_fma_f32 v13, -v11, v12, 1.0
	v_fmac_f32_e32 v12, v13, v12
	v_div_scale_f32 v13, vcc_lo, 1.0, v9, 1.0
	v_mul_f32_e32 v14, v13, v12
	v_fma_f32 v15, -v11, v14, v13
	v_fmac_f32_e32 v14, v15, v12
	v_fma_f32 v11, -v11, v14, v13
	v_div_fmas_f32 v11, v11, v12, v14
	v_div_fixup_f32 v9, v11, v9, 1.0
	v_add_f32_e32 v7, v7, v9
	;; [unrolled: 14-line block ×6, first 2 shown]
	v_add_f32_e32 v9, v1, v1
	v_div_scale_f32 v11, null, v9, v9, 1.0
	v_rcp_f32_e32 v12, v11
	v_fma_f32 v13, -v11, v12, 1.0
	v_fmac_f32_e32 v12, v13, v12
	v_div_scale_f32 v13, vcc_lo, 1.0, v9, 1.0
	v_mul_f32_e32 v14, v13, v12
	v_fma_f32 v15, -v11, v14, v13
	v_fmac_f32_e32 v14, v15, v12
	v_fma_f32 v11, -v11, v14, v13
	v_div_fmas_f32 v11, v11, v12, v14
	v_div_fixup_f32 v9, v11, v9, 1.0
	v_mul_f32_e32 v11, v1, v1
	v_add_f32_e32 v9, 1.0, v9
	v_div_scale_f32 v12, null, v11, v11, 1.0
	v_rcp_f32_e32 v13, v12
	v_fma_f32 v14, -v12, v13, 1.0
	v_fmac_f32_e32 v13, v14, v13
	v_div_scale_f32 v14, vcc_lo, 1.0, v11, 1.0
	v_mul_f32_e32 v15, v14, v13
	v_fma_f32 v16, -v12, v15, v14
	v_fmac_f32_e32 v15, v16, v13
	v_fma_f32 v12, -v12, v15, v14
	v_div_fmas_f32 v12, v12, v13, v15
	v_div_fixup_f32 v11, v12, v11, 1.0
	v_fmaak_f32 v12, s0, v11, 0x3d088889
	v_fma_f32 v12, -v11, v12, 0x3e2aaaab
	v_fmac_f32_e32 v9, v11, v12
	v_div_scale_f32 v11, null, v1, v1, v9
	v_rcp_f32_e32 v12, v11
	v_fma_f32 v13, -v11, v12, 1.0
	v_fmac_f32_e32 v12, v13, v12
	v_div_scale_f32 v13, vcc_lo, v9, v1, v9
	v_mul_f32_e32 v14, v13, v12
	v_fma_f32 v15, -v11, v14, v13
	v_fmac_f32_e32 v14, v15, v12
	v_fma_f32 v11, -v11, v14, v13
	v_div_fmas_f32 v11, v11, v12, v14
	v_div_fixup_f32 v1, v11, v1, v9
	v_add_f32_e32 v1, v7, v1
	v_mul_f32_e32 v1, v6, v1
	v_mul_f32_e32 v6, v4, v4
	v_add_f32_e32 v4, 1.0, v4
	v_div_scale_f32 v7, null, v6, v6, 1.0
	v_rcp_f32_e32 v9, v7
	v_fma_f32 v11, -v7, v9, 1.0
	v_fmac_f32_e32 v9, v11, v9
	v_div_scale_f32 v11, vcc_lo, 1.0, v6, 1.0
	v_mul_f32_e32 v12, v11, v9
	v_fma_f32 v13, -v7, v12, v11
	v_fmac_f32_e32 v12, v13, v9
	v_fma_f32 v7, -v7, v12, v11
	v_div_fmas_f32 v7, v7, v9, v12
	v_div_fixup_f32 v6, v7, v6, 1.0
	v_mul_f32_e32 v7, v4, v4
	v_add_f32_e32 v4, 1.0, v4
	v_add_f32_e32 v6, v10, v6
	v_div_scale_f32 v9, null, v7, v7, 1.0
	v_rcp_f32_e32 v10, v9
	v_fma_f32 v11, -v9, v10, 1.0
	v_fmac_f32_e32 v10, v11, v10
	v_div_scale_f32 v11, vcc_lo, 1.0, v7, 1.0
	v_mul_f32_e32 v12, v11, v10
	v_fma_f32 v13, -v9, v12, v11
	v_fmac_f32_e32 v12, v13, v10
	v_fma_f32 v9, -v9, v12, v11
	v_div_fmas_f32 v9, v9, v10, v12
	v_div_fixup_f32 v7, v9, v7, 1.0
	v_add_f32_e32 v6, v6, v7
	v_mul_f32_e32 v7, v4, v4
	v_add_f32_e32 v4, 1.0, v4
	v_div_scale_f32 v9, null, v7, v7, 1.0
	v_rcp_f32_e32 v10, v9
	v_fma_f32 v11, -v9, v10, 1.0
	v_fmac_f32_e32 v10, v11, v10
	v_div_scale_f32 v11, vcc_lo, 1.0, v7, 1.0
	v_mul_f32_e32 v12, v11, v10
	v_fma_f32 v13, -v9, v12, v11
	v_fmac_f32_e32 v12, v13, v10
	v_fma_f32 v9, -v9, v12, v11
	v_div_fmas_f32 v9, v9, v10, v12
	v_div_fixup_f32 v7, v9, v7, 1.0
	v_add_f32_e32 v6, v6, v7
	v_mul_f32_e32 v7, v4, v4
	v_add_f32_e32 v4, 1.0, v4
	;; [unrolled: 14-line block ×4, first 2 shown]
	v_div_scale_f32 v9, null, v7, v7, 1.0
	v_rcp_f32_e32 v10, v9
	v_fma_f32 v11, -v9, v10, 1.0
	v_fmac_f32_e32 v10, v11, v10
	v_div_scale_f32 v11, vcc_lo, 1.0, v7, 1.0
	v_mul_f32_e32 v12, v11, v10
	v_fma_f32 v13, -v9, v12, v11
	v_fmac_f32_e32 v12, v13, v10
	v_fma_f32 v9, -v9, v12, v11
	v_div_fmas_f32 v9, v9, v10, v12
	v_div_fixup_f32 v7, v9, v7, 1.0
	v_add_f32_e32 v6, v6, v7
	v_mul_f32_e32 v7, v4, v4
	v_div_scale_f32 v9, null, v7, v7, 1.0
	v_rcp_f32_e32 v10, v9
	v_fma_f32 v11, -v9, v10, 1.0
	v_fmac_f32_e32 v10, v11, v10
	v_div_scale_f32 v11, vcc_lo, 1.0, v7, 1.0
	v_mul_f32_e32 v12, v11, v10
	v_fma_f32 v13, -v9, v12, v11
	v_fmac_f32_e32 v12, v13, v10
	v_fma_f32 v9, -v9, v12, v11
	v_div_fmas_f32 v9, v9, v10, v12
	v_div_fixup_f32 v7, v9, v7, 1.0
	v_add_f32_e32 v9, v4, v4
	v_div_scale_f32 v10, null, v9, v9, 1.0
	v_rcp_f32_e32 v11, v10
	v_fma_f32 v12, -v10, v11, 1.0
	v_fmac_f32_e32 v11, v12, v11
	v_div_scale_f32 v12, vcc_lo, 1.0, v9, 1.0
	v_mul_f32_e32 v13, v12, v11
	v_fma_f32 v14, -v10, v13, v12
	v_fmac_f32_e32 v13, v14, v11
	v_fma_f32 v10, -v10, v13, v12
	v_div_fmas_f32 v10, v10, v11, v13
	v_div_fixup_f32 v9, v10, v9, 1.0
	v_fmaak_f32 v10, s0, v7, 0x3d088889
	s_add_u32 s0, s8, s2
	s_addc_u32 s1, s9, s3
	v_add_f32_e32 v9, 1.0, v9
	v_fma_f32 v10, -v7, v10, 0x3e2aaaab
	v_fmac_f32_e32 v9, v7, v10
	v_div_scale_f32 v7, null, v4, v4, v9
	v_rcp_f32_e32 v10, v7
	v_fma_f32 v11, -v7, v10, 1.0
	v_fmac_f32_e32 v10, v11, v10
	v_div_scale_f32 v11, vcc_lo, v9, v4, v9
	v_mul_f32_e32 v12, v11, v10
	v_fma_f32 v13, -v7, v12, v11
	v_fmac_f32_e32 v12, v13, v10
	v_fma_f32 v7, -v7, v12, v11
	v_div_fmas_f32 v7, v7, v10, v12
	v_div_fixup_f32 v4, v7, v4, v9
	v_add_f32_e32 v4, v6, v4
	v_mul_f32_e32 v4, v8, v4
	global_store_dwordx4 v5, v[1:4], s[0:1]
	s_mov_b32 s0, 0
.LBB51_26:
	s_and_b32 vcc_lo, exec_lo, s0
	s_cbranch_vccz .LBB51_65
; %bb.27:
	v_cmp_gt_i32_e64 s0, s5, v0
	v_mov_b32_e32 v9, 0
	v_or_b32_e32 v1, s6, v0
	v_or_b32_e32 v3, 0x100, v0
	v_mov_b32_e32 v10, 0
	v_mov_b32_e32 v4, v0
	s_and_saveexec_b32 s1, s0
	s_cbranch_execz .LBB51_29
; %bb.28:
	v_mov_b32_e32 v2, 0
	v_lshlrev_b64 v[4:5], 2, v[1:2]
	v_add_co_u32 v4, vcc_lo, s10, v4
	v_add_co_ci_u32_e64 v5, null, s11, v5, vcc_lo
	global_load_dword v10, v[4:5], off
	v_or_b32_e32 v4, 0x100, v0
.LBB51_29:
	s_or_b32 exec_lo, exec_lo, s1
	s_mov_b32 s1, exec_lo
	v_cmpx_gt_i32_e64 s5, v4
	s_cbranch_execz .LBB51_31
; %bb.30:
	v_add_nc_u32_e32 v5, s6, v4
	v_mov_b32_e32 v6, 0
	v_add_nc_u32_e32 v4, 0x100, v4
	v_lshlrev_b64 v[5:6], 2, v[5:6]
	v_add_co_u32 v5, vcc_lo, s10, v5
	v_add_co_ci_u32_e64 v6, null, s11, v6, vcc_lo
	global_load_dword v9, v[5:6], off
.LBB51_31:
	s_or_b32 exec_lo, exec_lo, s1
	v_mov_b32_e32 v2, 0
	v_mov_b32_e32 v5, 0
	s_mov_b32 s1, exec_lo
	v_cmpx_gt_i32_e64 s5, v4
	s_cbranch_execz .LBB51_33
; %bb.32:
	v_add_nc_u32_e32 v5, s6, v4
	v_mov_b32_e32 v6, 0
	v_add_nc_u32_e32 v4, 0x100, v4
	v_lshlrev_b64 v[5:6], 2, v[5:6]
	v_add_co_u32 v5, vcc_lo, s10, v5
	v_add_co_ci_u32_e64 v6, null, s11, v6, vcc_lo
	global_load_dword v5, v[5:6], off
.LBB51_33:
	s_or_b32 exec_lo, exec_lo, s1
	s_mov_b32 s1, exec_lo
	v_cmpx_gt_i32_e64 s5, v4
	s_cbranch_execz .LBB51_35
; %bb.34:
	v_add_nc_u32_e32 v6, s6, v4
	v_mov_b32_e32 v7, 0
	v_lshlrev_b64 v[6:7], 2, v[6:7]
	v_add_co_u32 v6, vcc_lo, s10, v6
	v_add_co_ci_u32_e64 v7, null, s11, v7, vcc_lo
	global_load_dword v2, v[6:7], off
.LBB51_35:
	s_or_b32 exec_lo, exec_lo, s1
	v_mov_b32_e32 v4, 0
	v_mov_b32_e32 v8, v4
	;; [unrolled: 1-line block ×4, first 2 shown]
	s_and_saveexec_b32 s7, s0
	s_cbranch_execz .LBB51_43
; %bb.36:
	v_mov_b32_e32 v6, 1.0
	s_mov_b32 s3, exec_lo
	s_waitcnt vmcnt(0)
	v_cmpx_gt_f32_e32 0.5, v10
	s_cbranch_execz .LBB51_42
; %bb.37:
	v_mul_f32_e32 v4, 0x40490fdb, v10
                                        ; implicit-def: $vgpr8
                                        ; implicit-def: $vgpr7
	s_mov_b32 s2, exec_lo
	v_and_b32_e32 v6, 0x7fffffff, v4
	v_cmpx_ngt_f32_e64 0x48000000, |v4|
	s_xor_b32 s4, exec_lo, s2
	s_cbranch_execz .LBB51_39
; %bb.38:
	s_mov_b32 s1, 0x7fffff
	v_mov_b32_e32 v12, 0
	v_and_or_b32 v19, v6, s1, 0x800000
	v_mad_u64_u32 v[7:8], null, 0xfe5163ab, v19, 0
	v_mov_b32_e32 v11, v8
	v_lshrrev_b32_e32 v8, 23, v6
	v_mad_u64_u32 v[13:14], null, 0x3c439041, v19, v[11:12]
	v_add_nc_u32_e32 v8, 0xffffff88, v8
	v_cmp_lt_u32_e32 vcc_lo, 63, v8
	v_mov_b32_e32 v11, v14
	v_cndmask_b32_e64 v18, 0, 0xffffffc0, vcc_lo
	v_mad_u64_u32 v[14:15], null, 0xdb629599, v19, v[11:12]
	v_add_nc_u32_e32 v8, v18, v8
	v_mov_b32_e32 v11, v15
	v_cmp_lt_u32_e64 s1, 31, v8
	v_cndmask_b32_e32 v7, v14, v7, vcc_lo
	v_mad_u64_u32 v[15:16], null, 0xf534ddc0, v19, v[11:12]
	v_cndmask_b32_e64 v20, 0, 0xffffffe0, s1
	v_add_nc_u32_e32 v8, v20, v8
	v_mov_b32_e32 v11, v16
	v_cndmask_b32_e32 v13, v15, v13, vcc_lo
	v_cmp_lt_u32_e64 s2, 31, v8
	v_mad_u64_u32 v[16:17], null, 0xfc2757d1, v19, v[11:12]
	v_cndmask_b32_e64 v7, v13, v7, s1
	v_mov_b32_e32 v11, v17
	v_mad_u64_u32 v[17:18], null, 0x4e441529, v19, v[11:12]
	v_mov_b32_e32 v11, v18
	v_cndmask_b32_e64 v18, 0, 0xffffffe0, s2
	v_mad_u64_u32 v[11:12], null, 0xa2f9836e, v19, v[11:12]
	v_cndmask_b32_e32 v19, v17, v15, vcc_lo
	v_add_nc_u32_e32 v8, v18, v8
	v_cndmask_b32_e32 v11, v11, v16, vcc_lo
	v_cndmask_b32_e32 v12, v12, v17, vcc_lo
	;; [unrolled: 1-line block ×3, first 2 shown]
	v_sub_nc_u32_e32 v17, 32, v8
	v_cmp_eq_u32_e32 vcc_lo, 0, v8
	v_cndmask_b32_e64 v15, v11, v19, s1
	v_cndmask_b32_e64 v11, v12, v11, s1
	;; [unrolled: 1-line block ×8, first 2 shown]
	v_alignbit_b32 v18, v11, v15, v17
	v_alignbit_b32 v14, v15, v12, v17
	;; [unrolled: 1-line block ×3, first 2 shown]
	v_cndmask_b32_e32 v8, v18, v11, vcc_lo
	v_cndmask_b32_e32 v11, v14, v15, vcc_lo
	;; [unrolled: 1-line block ×3, first 2 shown]
	v_bfe_u32 v13, v8, 29, 1
	v_alignbit_b32 v14, v8, v11, 30
	v_alignbit_b32 v11, v11, v12, 30
	;; [unrolled: 1-line block ×3, first 2 shown]
	v_sub_nc_u32_e32 v15, 0, v13
	v_xor_b32_e32 v14, v14, v15
	v_xor_b32_e32 v11, v11, v15
	;; [unrolled: 1-line block ×3, first 2 shown]
	v_lshrrev_b32_e32 v15, 29, v8
	v_lshrrev_b32_e32 v8, 30, v8
	v_ffbh_u32_e32 v16, v14
	v_add_nc_u32_e32 v8, v13, v8
	v_min_u32_e32 v16, 32, v16
	v_sub_nc_u32_e32 v12, 31, v16
	v_lshlrev_b32_e32 v17, 23, v16
	v_alignbit_b32 v14, v14, v11, v12
	v_alignbit_b32 v7, v11, v7, v12
	v_lshlrev_b32_e32 v11, 31, v15
	v_alignbit_b32 v12, v14, v7, 9
	v_or_b32_e32 v15, 0.5, v11
	v_lshrrev_b32_e32 v14, 9, v14
	v_or_b32_e32 v11, 0x33000000, v11
	v_ffbh_u32_e32 v18, v12
	v_sub_nc_u32_e32 v15, v15, v17
	v_min_u32_e32 v17, 32, v18
	v_or_b32_e32 v14, v14, v15
	v_not_b32_e32 v15, v17
	v_mul_f32_e32 v18, 0x3fc90fda, v14
	v_add_lshl_u32 v16, v17, v16, 23
	v_alignbit_b32 v7, v12, v7, v15
	v_fma_f32 v12, 0x3fc90fda, v14, -v18
	v_sub_nc_u32_e32 v11, v11, v16
	v_lshrrev_b32_e32 v7, 9, v7
	v_fmamk_f32 v12, v14, 0x33a22168, v12
	v_or_b32_e32 v7, v11, v7
	v_fmac_f32_e32 v12, 0x3fc90fda, v7
	v_add_f32_e32 v7, v18, v12
.LBB51_39:
	s_andn2_saveexec_b32 s1, s4
; %bb.40:
	v_mul_f32_e64 v7, 0x3f22f983, |v4|
	v_rndne_f32_e32 v8, v7
	v_fma_f32 v7, 0xbfc90fda, v8, |v4|
	v_fmamk_f32 v7, v8, 0xb3a22168, v7
	v_fmamk_f32 v7, v8, 0xa7c234c4, v7
	v_cvt_i32_f32_e32 v8, v8
; %bb.41:
	s_or_b32 exec_lo, exec_lo, s1
	v_mul_f32_e32 v11, v7, v7
	s_mov_b32 s1, 0xb94c1982
	s_mov_b32 s2, 0x37d75334
	v_and_b32_e32 v14, 1, v8
	v_lshlrev_b32_e32 v8, 30, v8
	v_fmaak_f32 v12, s1, v11, 0x3c0881c4
	v_fmaak_f32 v13, s2, v11, 0xbab64f3b
	v_xor_b32_e32 v6, v6, v4
	v_cmp_eq_u32_e32 vcc_lo, 0, v14
	v_and_b32_e32 v8, 0x80000000, v8
	v_fmaak_f32 v12, v11, v12, 0xbe2aaa9d
	v_fmaak_f32 v13, v11, v13, 0x3d2aabf7
	v_sub_f32_e32 v10, 1.0, v10
	v_mul_f32_e32 v12, v11, v12
	v_fmaak_f32 v13, v11, v13, 0xbf000004
	v_fmac_f32_e32 v7, v7, v12
	v_fma_f32 v11, v11, v13, 1.0
	v_cndmask_b32_e32 v7, v11, v7, vcc_lo
	v_cmp_class_f32_e64 vcc_lo, v4, 0x1f8
	v_xor3_b32 v6, v6, v8, v7
	v_cndmask_b32_e32 v4, 0x7fc00000, v6, vcc_lo
	v_mul_f32_e32 v4, v4, v4
	v_div_scale_f32 v6, null, v4, v4, 0xc11de9e7
	v_div_scale_f32 v11, vcc_lo, 0xc11de9e7, v4, 0xc11de9e7
	v_rcp_f32_e32 v7, v6
	v_fma_f32 v8, -v6, v7, 1.0
	v_fmac_f32_e32 v7, v8, v7
	v_mul_f32_e32 v8, v11, v7
	v_fma_f32 v12, -v6, v8, v11
	v_fmac_f32_e32 v8, v12, v7
	v_fma_f32 v6, -v6, v8, v11
	v_div_fmas_f32 v6, v6, v7, v8
	v_div_fixup_f32 v4, v6, v4, 0xc11de9e7
	v_mov_b32_e32 v6, -1.0
	v_add_f32_e32 v4, 0, v4
.LBB51_42:
	s_or_b32 exec_lo, exec_lo, s3
	v_add_f32_e32 v7, 1.0, v10
	v_mul_f32_e32 v8, v10, v10
	v_mul_f32_e32 v10, v7, v7
	v_add_f32_e32 v7, 1.0, v7
	v_div_scale_f32 v11, null, v8, v8, 1.0
	v_div_scale_f32 v13, vcc_lo, 1.0, v8, 1.0
	v_mul_f32_e32 v14, v7, v7
	v_div_scale_f32 v12, null, v10, v10, 1.0
	v_rcp_f32_e32 v15, v11
	v_div_scale_f32 v18, s1, 1.0, v10, 1.0
	v_div_scale_f32 v17, null, v14, v14, 1.0
	v_rcp_f32_e32 v16, v12
	v_add_f32_e32 v7, 1.0, v7
	v_div_scale_f32 v19, s2, 1.0, v14, 1.0
	v_rcp_f32_e32 v20, v17
	v_fma_f32 v22, -v11, v15, 1.0
	v_mul_f32_e32 v21, v7, v7
	v_add_f32_e32 v7, 1.0, v7
	v_fma_f32 v23, -v12, v16, 1.0
	v_fmac_f32_e32 v15, v22, v15
	v_mul_f32_e32 v25, v7, v7
	v_add_f32_e32 v7, 1.0, v7
	v_fma_f32 v22, -v17, v20, 1.0
	v_fmac_f32_e32 v16, v23, v16
	v_mul_f32_e32 v26, v13, v15
	v_div_scale_f32 v24, null, v21, v21, 1.0
	v_fmac_f32_e32 v20, v22, v20
	v_mul_f32_e32 v27, v18, v16
	v_fma_f32 v28, -v11, v26, v13
	v_add_f32_e32 v31, 1.0, v7
	v_rcp_f32_e32 v23, v24
	v_mul_f32_e32 v30, v19, v20
	v_fma_f32 v29, -v12, v27, v18
	v_fmac_f32_e32 v26, v28, v15
	v_mul_f32_e32 v7, v7, v7
	v_div_scale_f32 v22, null, v25, v25, 1.0
	v_fma_f32 v28, -v17, v30, v19
	v_fmac_f32_e32 v27, v29, v16
	v_fma_f32 v11, -v11, v26, v13
	v_mul_f32_e32 v13, v31, v31
	v_rcp_f32_e32 v29, v22
	v_fmac_f32_e32 v30, v28, v20
	v_fma_f32 v12, -v12, v27, v18
	v_div_fmas_f32 v11, v11, v15, v26
	s_mov_b32 vcc_lo, s1
	v_fma_f32 v32, -v24, v23, 1.0
	v_fma_f32 v15, -v17, v30, v19
	v_div_fmas_f32 v12, v12, v16, v27
	s_mov_b32 vcc_lo, s2
	v_div_scale_f32 v16, null, v7, v7, 1.0
	v_div_fmas_f32 v15, v15, v20, v30
	v_div_scale_f32 v17, null, v13, v13, 1.0
	v_add_f32_e32 v20, v31, v31
	v_rcp_f32_e32 v19, v16
	v_fmac_f32_e32 v23, v32, v23
	v_rcp_f32_e32 v27, v17
	v_div_scale_f32 v18, vcc_lo, 1.0, v21, 1.0
	v_div_scale_f32 v30, null, v20, v20, 1.0
	v_fma_f32 v26, -v22, v29, 1.0
	v_mul_f32_e32 v28, v18, v23
	v_div_fixup_f32 v8, v11, v8, 1.0
	v_rcp_f32_e32 v33, v30
	v_fma_f32 v32, -v16, v19, 1.0
	v_fmac_f32_e32 v29, v26, v29
	v_div_scale_f32 v26, s1, 1.0, v25, 1.0
	v_fma_f32 v35, -v17, v27, 1.0
	v_fma_f32 v34, -v24, v28, v18
	v_fmac_f32_e32 v19, v32, v19
	v_div_scale_f32 v32, s2, 1.0, v7, 1.0
	v_mul_f32_e32 v36, v26, v29
	v_fmac_f32_e32 v27, v35, v27
	v_div_scale_f32 v35, s3, 1.0, v13, 1.0
	v_fma_f32 v37, -v30, v33, 1.0
	v_fmac_f32_e32 v28, v34, v23
	v_mul_f32_e32 v38, v32, v19
	v_fma_f32 v34, -v22, v36, v26
	v_mul_f32_e32 v39, v35, v27
	v_fmac_f32_e32 v33, v37, v33
	v_div_scale_f32 v37, s4, 1.0, v20, 1.0
	v_fma_f32 v18, -v24, v28, v18
	v_fma_f32 v24, -v16, v38, v32
	v_fmac_f32_e32 v36, v34, v29
	v_fma_f32 v34, -v17, v39, v35
	v_mul_f32_e32 v40, v37, v33
	v_div_fmas_f32 v18, v18, v23, v28
	v_fmac_f32_e32 v38, v24, v19
	v_fma_f32 v22, -v22, v36, v26
	v_fmac_f32_e32 v39, v34, v27
	v_fma_f32 v23, -v30, v40, v37
	s_mov_b32 vcc_lo, s1
	v_fma_f32 v16, -v16, v38, v32
	v_div_fmas_f32 v22, v22, v29, v36
	v_fma_f32 v17, -v17, v39, v35
	v_fmac_f32_e32 v40, v23, v33
	s_mov_b32 vcc_lo, s2
	s_mov_b32 s1, 0xbcc30c31
	v_div_fmas_f32 v16, v16, v19, v38
	s_mov_b32 vcc_lo, s3
	v_fma_f32 v19, -v30, v40, v37
	v_div_fmas_f32 v17, v17, v27, v39
	s_mov_b32 vcc_lo, s4
	v_add_f32_e32 v4, v4, v8
	v_div_fixup_f32 v8, v12, v10, 1.0
	v_div_fmas_f32 v19, v19, v33, v40
	v_div_fixup_f32 v13, v17, v13, 1.0
	v_div_fixup_f32 v7, v16, v7, 1.0
	v_add_f32_e32 v4, v4, v8
	v_div_fixup_f32 v17, v19, v20, 1.0
	v_fmaak_f32 v19, s1, v13, 0x3d088889
	v_div_fixup_f32 v8, v15, v14, 1.0
	v_add_f32_e32 v17, 1.0, v17
	v_fma_f32 v19, -v13, v19, 0x3e2aaaab
	v_add_f32_e32 v4, v4, v8
	v_div_fixup_f32 v8, v18, v21, 1.0
	v_fmac_f32_e32 v17, v13, v19
	v_add_f32_e32 v4, v4, v8
	v_div_fixup_f32 v8, v22, v25, 1.0
	v_div_scale_f32 v13, null, v31, v31, v17
	v_div_scale_f32 v10, vcc_lo, v17, v31, v17
	v_add_f32_e32 v4, v4, v8
	v_rcp_f32_e32 v19, v13
	v_add_f32_e32 v4, v4, v7
	v_fma_f32 v11, -v13, v19, 1.0
	v_fmac_f32_e32 v19, v11, v19
	v_mul_f32_e32 v11, v10, v19
	v_fma_f32 v12, -v13, v11, v10
	v_fmac_f32_e32 v11, v12, v19
	v_fma_f32 v10, -v13, v11, v10
	v_div_fmas_f32 v8, v10, v19, v11
	v_div_fixup_f32 v7, v8, v31, v17
	v_mov_b32_e32 v8, 0
	v_add_f32_e32 v4, v4, v7
	v_mov_b32_e32 v7, v8
	v_mul_f32_e32 v4, v6, v4
	v_mov_b32_e32 v6, v8
.LBB51_43:
	s_or_b32 exec_lo, exec_lo, s7
	s_mov_b32 s7, exec_lo
	v_cmpx_gt_i32_e64 s5, v3
	s_cbranch_execz .LBB51_51
; %bb.44:
	s_waitcnt vmcnt(0)
	v_mov_b32_e32 v10, 0
	v_mov_b32_e32 v8, 1.0
	s_mov_b32 s3, exec_lo
	v_cmpx_gt_f32_e32 0.5, v9
	s_cbranch_execz .LBB51_50
; %bb.45:
	v_mul_f32_e32 v8, 0x40490fdb, v9
                                        ; implicit-def: $vgpr12
                                        ; implicit-def: $vgpr11
	s_mov_b32 s2, exec_lo
	v_and_b32_e32 v10, 0x7fffffff, v8
	v_cmpx_ngt_f32_e64 0x48000000, |v8|
	s_xor_b32 s4, exec_lo, s2
	s_cbranch_execz .LBB51_47
; %bb.46:
	s_mov_b32 s1, 0x7fffff
	v_mov_b32_e32 v13, 0
	v_and_or_b32 v20, v10, s1, 0x800000
	v_lshrrev_b32_e32 v18, 23, v10
	v_mad_u64_u32 v[11:12], null, 0xfe5163ab, v20, 0
	v_add_nc_u32_e32 v19, 0xffffff88, v18
	v_cmp_lt_u32_e32 vcc_lo, 63, v19
	v_mad_u64_u32 v[14:15], null, 0x3c439041, v20, v[12:13]
	v_cndmask_b32_e64 v21, 0, 0xffffffc0, vcc_lo
	v_mov_b32_e32 v12, v15
	v_add_nc_u32_e32 v21, v21, v19
	v_mad_u64_u32 v[15:16], null, 0xdb629599, v20, v[12:13]
	v_cmp_lt_u32_e64 s1, 31, v21
	v_cndmask_b32_e64 v22, 0, 0xffffffe0, s1
	v_mov_b32_e32 v12, v16
	v_cndmask_b32_e32 v11, v15, v11, vcc_lo
	v_mad_u64_u32 v[16:17], null, 0xf534ddc0, v20, v[12:13]
	v_mov_b32_e32 v12, v17
	v_cndmask_b32_e32 v14, v16, v14, vcc_lo
	v_mad_u64_u32 v[17:18], null, 0xfc2757d1, v20, v[12:13]
	v_cndmask_b32_e64 v11, v14, v11, s1
	v_mov_b32_e32 v12, v18
	v_mad_u64_u32 v[18:19], null, 0x4e441529, v20, v[12:13]
	v_mov_b32_e32 v12, v19
	v_add_nc_u32_e32 v19, v22, v21
	v_cndmask_b32_e32 v21, v18, v16, vcc_lo
	v_mad_u64_u32 v[12:13], null, 0xa2f9836e, v20, v[12:13]
	v_cmp_lt_u32_e64 s2, 31, v19
	v_cndmask_b32_e64 v20, 0, 0xffffffe0, s2
	v_cndmask_b32_e32 v12, v12, v17, vcc_lo
	v_cndmask_b32_e32 v13, v13, v18, vcc_lo
	;; [unrolled: 1-line block ×3, first 2 shown]
	v_add_nc_u32_e32 v18, v20, v19
	v_cndmask_b32_e64 v16, v12, v21, s1
	v_cndmask_b32_e64 v12, v13, v12, s1
	;; [unrolled: 1-line block ×4, first 2 shown]
	v_sub_nc_u32_e32 v19, 32, v18
	v_cmp_eq_u32_e32 vcc_lo, 0, v18
	v_cndmask_b32_e64 v12, v12, v16, s2
	v_cndmask_b32_e64 v16, v16, v13, s2
	;; [unrolled: 1-line block ×4, first 2 shown]
	v_alignbit_b32 v20, v12, v16, v19
	v_alignbit_b32 v15, v16, v13, v19
	;; [unrolled: 1-line block ×3, first 2 shown]
	v_cndmask_b32_e32 v12, v20, v12, vcc_lo
	v_cndmask_b32_e32 v14, v15, v16, vcc_lo
	;; [unrolled: 1-line block ×3, first 2 shown]
	v_bfe_u32 v15, v12, 29, 1
	v_alignbit_b32 v16, v12, v14, 30
	v_alignbit_b32 v14, v14, v13, 30
	;; [unrolled: 1-line block ×3, first 2 shown]
	v_sub_nc_u32_e32 v17, 0, v15
	v_xor_b32_e32 v16, v16, v17
	v_xor_b32_e32 v13, v14, v17
	;; [unrolled: 1-line block ×3, first 2 shown]
	v_lshrrev_b32_e32 v17, 29, v12
	v_lshrrev_b32_e32 v12, 30, v12
	v_ffbh_u32_e32 v18, v16
	v_add_nc_u32_e32 v12, v15, v12
	v_min_u32_e32 v18, 32, v18
	v_sub_nc_u32_e32 v14, 31, v18
	v_lshlrev_b32_e32 v19, 23, v18
	v_alignbit_b32 v16, v16, v13, v14
	v_alignbit_b32 v11, v13, v11, v14
	v_lshlrev_b32_e32 v13, 31, v17
	v_alignbit_b32 v14, v16, v11, 9
	v_or_b32_e32 v17, 0.5, v13
	v_lshrrev_b32_e32 v16, 9, v16
	v_or_b32_e32 v13, 0x33000000, v13
	v_ffbh_u32_e32 v20, v14
	v_sub_nc_u32_e32 v17, v17, v19
	v_min_u32_e32 v19, 32, v20
	v_or_b32_e32 v16, v16, v17
	v_not_b32_e32 v17, v19
	v_mul_f32_e32 v20, 0x3fc90fda, v16
	v_add_lshl_u32 v18, v19, v18, 23
	v_alignbit_b32 v11, v14, v11, v17
	v_fma_f32 v14, 0x3fc90fda, v16, -v20
	v_sub_nc_u32_e32 v13, v13, v18
	v_lshrrev_b32_e32 v11, 9, v11
	v_fmamk_f32 v14, v16, 0x33a22168, v14
	v_or_b32_e32 v11, v13, v11
	v_fmac_f32_e32 v14, 0x3fc90fda, v11
	v_add_f32_e32 v11, v20, v14
.LBB51_47:
	s_andn2_saveexec_b32 s1, s4
; %bb.48:
	v_mul_f32_e64 v11, 0x3f22f983, |v8|
	v_rndne_f32_e32 v12, v11
	v_fma_f32 v11, 0xbfc90fda, v12, |v8|
	v_fmamk_f32 v11, v12, 0xb3a22168, v11
	v_fmamk_f32 v11, v12, 0xa7c234c4, v11
	v_cvt_i32_f32_e32 v12, v12
; %bb.49:
	s_or_b32 exec_lo, exec_lo, s1
	v_mul_f32_e32 v13, v11, v11
	s_mov_b32 s1, 0xb94c1982
	s_mov_b32 s2, 0x37d75334
	v_and_b32_e32 v16, 1, v12
	v_lshlrev_b32_e32 v12, 30, v12
	v_fmaak_f32 v14, s1, v13, 0x3c0881c4
	v_fmaak_f32 v15, s2, v13, 0xbab64f3b
	v_xor_b32_e32 v10, v10, v8
	v_cmp_eq_u32_e32 vcc_lo, 0, v16
	v_and_b32_e32 v12, 0x80000000, v12
	v_fmaak_f32 v14, v13, v14, 0xbe2aaa9d
	v_fmaak_f32 v15, v13, v15, 0x3d2aabf7
	v_sub_f32_e32 v9, 1.0, v9
	v_mul_f32_e32 v14, v13, v14
	v_fmaak_f32 v15, v13, v15, 0xbf000004
	v_fmac_f32_e32 v11, v11, v14
	v_fma_f32 v13, v13, v15, 1.0
	v_cndmask_b32_e32 v11, v13, v11, vcc_lo
	v_cmp_class_f32_e64 vcc_lo, v8, 0x1f8
	v_xor3_b32 v10, v10, v12, v11
	v_cndmask_b32_e32 v8, 0x7fc00000, v10, vcc_lo
	v_mul_f32_e32 v8, v8, v8
	v_div_scale_f32 v10, null, v8, v8, 0xc11de9e7
	v_div_scale_f32 v13, vcc_lo, 0xc11de9e7, v8, 0xc11de9e7
	v_rcp_f32_e32 v11, v10
	v_fma_f32 v12, -v10, v11, 1.0
	v_fmac_f32_e32 v11, v12, v11
	v_mul_f32_e32 v12, v13, v11
	v_fma_f32 v14, -v10, v12, v13
	v_fmac_f32_e32 v12, v14, v11
	v_fma_f32 v10, -v10, v12, v13
	v_div_fmas_f32 v10, v10, v11, v12
	v_div_fixup_f32 v8, v10, v8, 0xc11de9e7
	v_add_f32_e32 v10, 0, v8
	v_mov_b32_e32 v8, -1.0
.LBB51_50:
	s_or_b32 exec_lo, exec_lo, s3
	v_add_f32_e32 v11, 1.0, v9
	v_mul_f32_e32 v9, v9, v9
	v_mul_f32_e32 v12, v11, v11
	v_add_f32_e32 v11, 1.0, v11
	v_div_scale_f32 v13, null, v9, v9, 1.0
	v_div_scale_f32 v15, vcc_lo, 1.0, v9, 1.0
	v_mul_f32_e32 v16, v11, v11
	v_div_scale_f32 v14, null, v12, v12, 1.0
	v_rcp_f32_e32 v17, v13
	v_div_scale_f32 v20, s1, 1.0, v12, 1.0
	v_div_scale_f32 v19, null, v16, v16, 1.0
	v_rcp_f32_e32 v18, v14
	v_add_f32_e32 v11, 1.0, v11
	v_div_scale_f32 v21, s2, 1.0, v16, 1.0
	v_rcp_f32_e32 v22, v19
	v_fma_f32 v24, -v13, v17, 1.0
	v_mul_f32_e32 v23, v11, v11
	v_add_f32_e32 v11, 1.0, v11
	v_fma_f32 v25, -v14, v18, 1.0
	v_fmac_f32_e32 v17, v24, v17
	v_mul_f32_e32 v27, v11, v11
	v_add_f32_e32 v11, 1.0, v11
	v_fma_f32 v24, -v19, v22, 1.0
	v_fmac_f32_e32 v18, v25, v18
	v_mul_f32_e32 v28, v15, v17
	v_div_scale_f32 v26, null, v23, v23, 1.0
	v_fmac_f32_e32 v22, v24, v22
	v_mul_f32_e32 v29, v20, v18
	v_fma_f32 v30, -v13, v28, v15
	v_add_f32_e32 v33, 1.0, v11
	v_rcp_f32_e32 v25, v26
	v_mul_f32_e32 v32, v21, v22
	v_fma_f32 v31, -v14, v29, v20
	v_fmac_f32_e32 v28, v30, v17
	v_mul_f32_e32 v11, v11, v11
	v_div_scale_f32 v24, null, v27, v27, 1.0
	v_fma_f32 v30, -v19, v32, v21
	v_fmac_f32_e32 v29, v31, v18
	v_fma_f32 v13, -v13, v28, v15
	v_mul_f32_e32 v15, v33, v33
	v_rcp_f32_e32 v31, v24
	v_fmac_f32_e32 v32, v30, v22
	v_fma_f32 v14, -v14, v29, v20
	v_div_fmas_f32 v13, v13, v17, v28
	s_mov_b32 vcc_lo, s1
	v_fma_f32 v34, -v26, v25, 1.0
	v_fma_f32 v17, -v19, v32, v21
	v_div_fmas_f32 v14, v14, v18, v29
	s_mov_b32 vcc_lo, s2
	v_div_scale_f32 v18, null, v11, v11, 1.0
	v_div_fmas_f32 v17, v17, v22, v32
	v_div_scale_f32 v19, null, v15, v15, 1.0
	v_add_f32_e32 v22, v33, v33
	v_rcp_f32_e32 v21, v18
	v_fmac_f32_e32 v25, v34, v25
	v_rcp_f32_e32 v29, v19
	v_div_scale_f32 v20, vcc_lo, 1.0, v23, 1.0
	v_div_scale_f32 v32, null, v22, v22, 1.0
	v_fma_f32 v28, -v24, v31, 1.0
	v_mul_f32_e32 v30, v20, v25
	v_div_fixup_f32 v9, v13, v9, 1.0
	v_rcp_f32_e32 v35, v32
	v_fma_f32 v34, -v18, v21, 1.0
	v_fmac_f32_e32 v31, v28, v31
	v_div_scale_f32 v28, s1, 1.0, v27, 1.0
	v_fma_f32 v37, -v19, v29, 1.0
	v_fma_f32 v36, -v26, v30, v20
	v_fmac_f32_e32 v21, v34, v21
	v_div_scale_f32 v34, s2, 1.0, v11, 1.0
	v_mul_f32_e32 v38, v28, v31
	v_fmac_f32_e32 v29, v37, v29
	v_div_scale_f32 v37, s3, 1.0, v15, 1.0
	v_fma_f32 v39, -v32, v35, 1.0
	v_fmac_f32_e32 v30, v36, v25
	v_mul_f32_e32 v40, v34, v21
	v_fma_f32 v36, -v24, v38, v28
	v_mul_f32_e32 v41, v37, v29
	v_fmac_f32_e32 v35, v39, v35
	v_div_scale_f32 v39, s4, 1.0, v22, 1.0
	v_fma_f32 v20, -v26, v30, v20
	v_fma_f32 v26, -v18, v40, v34
	v_fmac_f32_e32 v38, v36, v31
	v_fma_f32 v36, -v19, v41, v37
	v_mul_f32_e32 v42, v39, v35
	v_div_fmas_f32 v20, v20, v25, v30
	v_fmac_f32_e32 v40, v26, v21
	v_fma_f32 v24, -v24, v38, v28
	v_fmac_f32_e32 v41, v36, v29
	v_fma_f32 v25, -v32, v42, v39
	s_mov_b32 vcc_lo, s1
	v_fma_f32 v18, -v18, v40, v34
	v_div_fmas_f32 v24, v24, v31, v38
	v_fma_f32 v19, -v19, v41, v37
	v_fmac_f32_e32 v42, v25, v35
	s_mov_b32 vcc_lo, s2
	s_mov_b32 s1, 0xbcc30c31
	v_div_fmas_f32 v18, v18, v21, v40
	s_mov_b32 vcc_lo, s3
	v_fma_f32 v21, -v32, v42, v39
	v_div_fmas_f32 v19, v19, v29, v41
	s_mov_b32 vcc_lo, s4
	v_add_f32_e32 v9, v10, v9
	v_div_fixup_f32 v10, v14, v12, 1.0
	v_div_fmas_f32 v21, v21, v35, v42
	v_div_fixup_f32 v15, v19, v15, 1.0
	v_add_f32_e32 v9, v9, v10
	v_div_fixup_f32 v19, v21, v22, 1.0
	v_fmaak_f32 v21, s1, v15, 0x3d088889
	v_div_fixup_f32 v10, v17, v16, 1.0
	v_add_f32_e32 v19, 1.0, v19
	v_fma_f32 v21, -v15, v21, 0x3e2aaaab
	v_add_f32_e32 v9, v9, v10
	v_div_fixup_f32 v10, v20, v23, 1.0
	v_fmac_f32_e32 v19, v15, v21
	v_add_f32_e32 v9, v9, v10
	v_div_fixup_f32 v10, v24, v27, 1.0
	v_div_scale_f32 v15, null, v33, v33, v19
	v_div_scale_f32 v12, vcc_lo, v19, v33, v19
	v_add_f32_e32 v9, v9, v10
	v_rcp_f32_e32 v21, v15
	v_div_fixup_f32 v10, v18, v11, 1.0
	v_add_f32_e32 v9, v9, v10
	v_fma_f32 v13, -v15, v21, 1.0
	v_fmac_f32_e32 v21, v13, v21
	v_mul_f32_e32 v13, v12, v21
	v_fma_f32 v14, -v15, v13, v12
	v_fmac_f32_e32 v13, v14, v21
	v_fma_f32 v12, -v15, v13, v12
	v_div_fmas_f32 v11, v12, v21, v13
	v_div_fixup_f32 v10, v11, v33, v19
	v_add_f32_e32 v9, v9, v10
	v_mul_f32_e32 v8, v8, v9
.LBB51_51:
	s_or_b32 exec_lo, exec_lo, s7
	s_waitcnt vmcnt(0)
	v_or_b32_e32 v9, 0x200, v0
	s_mov_b32 s7, exec_lo
	v_cmpx_gt_i32_e64 s5, v9
	s_cbranch_execz .LBB51_59
; %bb.52:
	v_mov_b32_e32 v9, 0
	v_mov_b32_e32 v7, 1.0
	s_mov_b32 s3, exec_lo
	v_cmpx_gt_f32_e32 0.5, v5
	s_cbranch_execz .LBB51_58
; %bb.53:
	v_mul_f32_e32 v7, 0x40490fdb, v5
                                        ; implicit-def: $vgpr11
                                        ; implicit-def: $vgpr10
	s_mov_b32 s2, exec_lo
	v_and_b32_e32 v9, 0x7fffffff, v7
	v_cmpx_ngt_f32_e64 0x48000000, |v7|
	s_xor_b32 s4, exec_lo, s2
	s_cbranch_execz .LBB51_55
; %bb.54:
	s_mov_b32 s1, 0x7fffff
	v_mov_b32_e32 v12, 0
	v_and_or_b32 v19, v9, s1, 0x800000
	v_lshrrev_b32_e32 v17, 23, v9
	v_mad_u64_u32 v[10:11], null, 0xfe5163ab, v19, 0
	v_add_nc_u32_e32 v18, 0xffffff88, v17
	v_cmp_lt_u32_e32 vcc_lo, 63, v18
	v_mad_u64_u32 v[13:14], null, 0x3c439041, v19, v[11:12]
	v_cndmask_b32_e64 v20, 0, 0xffffffc0, vcc_lo
	v_mov_b32_e32 v11, v14
	v_add_nc_u32_e32 v20, v20, v18
	v_mad_u64_u32 v[14:15], null, 0xdb629599, v19, v[11:12]
	v_cmp_lt_u32_e64 s1, 31, v20
	v_cndmask_b32_e64 v21, 0, 0xffffffe0, s1
	v_mov_b32_e32 v11, v15
	v_cndmask_b32_e32 v10, v14, v10, vcc_lo
	v_mad_u64_u32 v[15:16], null, 0xf534ddc0, v19, v[11:12]
	v_mov_b32_e32 v11, v16
	v_cndmask_b32_e32 v13, v15, v13, vcc_lo
	v_mad_u64_u32 v[16:17], null, 0xfc2757d1, v19, v[11:12]
	v_cndmask_b32_e64 v10, v13, v10, s1
	v_mov_b32_e32 v11, v17
	v_mad_u64_u32 v[17:18], null, 0x4e441529, v19, v[11:12]
	v_mov_b32_e32 v11, v18
	v_add_nc_u32_e32 v18, v21, v20
	v_cndmask_b32_e32 v20, v17, v15, vcc_lo
	v_mad_u64_u32 v[11:12], null, 0xa2f9836e, v19, v[11:12]
	v_cmp_lt_u32_e64 s2, 31, v18
	v_cndmask_b32_e64 v19, 0, 0xffffffe0, s2
	v_cndmask_b32_e32 v11, v11, v16, vcc_lo
	v_cndmask_b32_e32 v12, v12, v17, vcc_lo
	;; [unrolled: 1-line block ×3, first 2 shown]
	v_add_nc_u32_e32 v17, v19, v18
	v_cndmask_b32_e64 v15, v11, v20, s1
	v_cndmask_b32_e64 v11, v12, v11, s1
	;; [unrolled: 1-line block ×4, first 2 shown]
	v_sub_nc_u32_e32 v18, 32, v17
	v_cmp_eq_u32_e32 vcc_lo, 0, v17
	v_cndmask_b32_e64 v11, v11, v15, s2
	v_cndmask_b32_e64 v15, v15, v12, s2
	;; [unrolled: 1-line block ×4, first 2 shown]
	v_alignbit_b32 v19, v11, v15, v18
	v_alignbit_b32 v14, v15, v12, v18
	;; [unrolled: 1-line block ×3, first 2 shown]
	v_cndmask_b32_e32 v11, v19, v11, vcc_lo
	v_cndmask_b32_e32 v13, v14, v15, vcc_lo
	;; [unrolled: 1-line block ×3, first 2 shown]
	v_bfe_u32 v14, v11, 29, 1
	v_alignbit_b32 v15, v11, v13, 30
	v_alignbit_b32 v13, v13, v12, 30
	;; [unrolled: 1-line block ×3, first 2 shown]
	v_sub_nc_u32_e32 v16, 0, v14
	v_xor_b32_e32 v15, v15, v16
	v_xor_b32_e32 v12, v13, v16
	;; [unrolled: 1-line block ×3, first 2 shown]
	v_lshrrev_b32_e32 v16, 29, v11
	v_lshrrev_b32_e32 v11, 30, v11
	v_ffbh_u32_e32 v17, v15
	v_add_nc_u32_e32 v11, v14, v11
	v_min_u32_e32 v17, 32, v17
	v_sub_nc_u32_e32 v13, 31, v17
	v_lshlrev_b32_e32 v18, 23, v17
	v_alignbit_b32 v15, v15, v12, v13
	v_alignbit_b32 v10, v12, v10, v13
	v_lshlrev_b32_e32 v12, 31, v16
	v_alignbit_b32 v13, v15, v10, 9
	v_or_b32_e32 v16, 0.5, v12
	v_lshrrev_b32_e32 v15, 9, v15
	v_or_b32_e32 v12, 0x33000000, v12
	v_ffbh_u32_e32 v19, v13
	v_sub_nc_u32_e32 v16, v16, v18
	v_min_u32_e32 v18, 32, v19
	v_or_b32_e32 v15, v15, v16
	v_not_b32_e32 v16, v18
	v_mul_f32_e32 v19, 0x3fc90fda, v15
	v_add_lshl_u32 v17, v18, v17, 23
	v_alignbit_b32 v10, v13, v10, v16
	v_fma_f32 v13, 0x3fc90fda, v15, -v19
	v_sub_nc_u32_e32 v12, v12, v17
	v_lshrrev_b32_e32 v10, 9, v10
	v_fmamk_f32 v13, v15, 0x33a22168, v13
	v_or_b32_e32 v10, v12, v10
	v_fmac_f32_e32 v13, 0x3fc90fda, v10
	v_add_f32_e32 v10, v19, v13
.LBB51_55:
	s_andn2_saveexec_b32 s1, s4
; %bb.56:
	v_mul_f32_e64 v10, 0x3f22f983, |v7|
	v_rndne_f32_e32 v11, v10
	v_fma_f32 v10, 0xbfc90fda, v11, |v7|
	v_fmamk_f32 v10, v11, 0xb3a22168, v10
	v_fmamk_f32 v10, v11, 0xa7c234c4, v10
	v_cvt_i32_f32_e32 v11, v11
; %bb.57:
	s_or_b32 exec_lo, exec_lo, s1
	v_mul_f32_e32 v12, v10, v10
	s_mov_b32 s1, 0xb94c1982
	s_mov_b32 s2, 0x37d75334
	v_and_b32_e32 v15, 1, v11
	v_lshlrev_b32_e32 v11, 30, v11
	v_fmaak_f32 v13, s1, v12, 0x3c0881c4
	v_fmaak_f32 v14, s2, v12, 0xbab64f3b
	v_xor_b32_e32 v9, v9, v7
	v_cmp_eq_u32_e32 vcc_lo, 0, v15
	v_and_b32_e32 v11, 0x80000000, v11
	v_fmaak_f32 v13, v12, v13, 0xbe2aaa9d
	v_fmaak_f32 v14, v12, v14, 0x3d2aabf7
	v_sub_f32_e32 v5, 1.0, v5
	v_mul_f32_e32 v13, v12, v13
	v_fmaak_f32 v14, v12, v14, 0xbf000004
	v_fmac_f32_e32 v10, v10, v13
	v_fma_f32 v12, v12, v14, 1.0
	v_cndmask_b32_e32 v10, v12, v10, vcc_lo
	v_cmp_class_f32_e64 vcc_lo, v7, 0x1f8
	v_xor3_b32 v9, v9, v11, v10
	v_cndmask_b32_e32 v7, 0x7fc00000, v9, vcc_lo
	v_mul_f32_e32 v7, v7, v7
	v_div_scale_f32 v9, null, v7, v7, 0xc11de9e7
	v_div_scale_f32 v12, vcc_lo, 0xc11de9e7, v7, 0xc11de9e7
	v_rcp_f32_e32 v10, v9
	v_fma_f32 v11, -v9, v10, 1.0
	v_fmac_f32_e32 v10, v11, v10
	v_mul_f32_e32 v11, v12, v10
	v_fma_f32 v13, -v9, v11, v12
	v_fmac_f32_e32 v11, v13, v10
	v_fma_f32 v9, -v9, v11, v12
	v_div_fmas_f32 v9, v9, v10, v11
	v_div_fixup_f32 v7, v9, v7, 0xc11de9e7
	v_add_f32_e32 v9, 0, v7
	v_mov_b32_e32 v7, -1.0
.LBB51_58:
	s_or_b32 exec_lo, exec_lo, s3
	v_add_f32_e32 v10, 1.0, v5
	v_mul_f32_e32 v5, v5, v5
	v_mul_f32_e32 v11, v10, v10
	v_add_f32_e32 v10, 1.0, v10
	v_div_scale_f32 v12, null, v5, v5, 1.0
	v_div_scale_f32 v14, vcc_lo, 1.0, v5, 1.0
	v_mul_f32_e32 v15, v10, v10
	v_div_scale_f32 v13, null, v11, v11, 1.0
	v_rcp_f32_e32 v16, v12
	v_div_scale_f32 v19, s1, 1.0, v11, 1.0
	v_div_scale_f32 v18, null, v15, v15, 1.0
	v_rcp_f32_e32 v17, v13
	v_add_f32_e32 v10, 1.0, v10
	v_div_scale_f32 v20, s2, 1.0, v15, 1.0
	v_rcp_f32_e32 v21, v18
	v_fma_f32 v23, -v12, v16, 1.0
	v_mul_f32_e32 v22, v10, v10
	v_add_f32_e32 v10, 1.0, v10
	v_fma_f32 v24, -v13, v17, 1.0
	v_fmac_f32_e32 v16, v23, v16
	v_mul_f32_e32 v26, v10, v10
	v_add_f32_e32 v10, 1.0, v10
	v_fma_f32 v23, -v18, v21, 1.0
	v_fmac_f32_e32 v17, v24, v17
	v_mul_f32_e32 v27, v14, v16
	v_div_scale_f32 v25, null, v22, v22, 1.0
	v_fmac_f32_e32 v21, v23, v21
	v_mul_f32_e32 v28, v19, v17
	v_fma_f32 v29, -v12, v27, v14
	v_add_f32_e32 v32, 1.0, v10
	v_rcp_f32_e32 v24, v25
	v_mul_f32_e32 v31, v20, v21
	v_fma_f32 v30, -v13, v28, v19
	v_fmac_f32_e32 v27, v29, v16
	v_mul_f32_e32 v10, v10, v10
	v_div_scale_f32 v23, null, v26, v26, 1.0
	v_fma_f32 v29, -v18, v31, v20
	v_fmac_f32_e32 v28, v30, v17
	v_fma_f32 v12, -v12, v27, v14
	v_mul_f32_e32 v14, v32, v32
	v_rcp_f32_e32 v30, v23
	v_fmac_f32_e32 v31, v29, v21
	v_fma_f32 v13, -v13, v28, v19
	v_div_fmas_f32 v12, v12, v16, v27
	s_mov_b32 vcc_lo, s1
	v_fma_f32 v33, -v25, v24, 1.0
	v_fma_f32 v16, -v18, v31, v20
	v_div_fmas_f32 v13, v13, v17, v28
	s_mov_b32 vcc_lo, s2
	v_div_scale_f32 v17, null, v10, v10, 1.0
	v_div_fmas_f32 v16, v16, v21, v31
	v_div_scale_f32 v18, null, v14, v14, 1.0
	v_add_f32_e32 v21, v32, v32
	v_rcp_f32_e32 v20, v17
	v_fmac_f32_e32 v24, v33, v24
	v_rcp_f32_e32 v28, v18
	v_div_scale_f32 v19, vcc_lo, 1.0, v22, 1.0
	v_div_scale_f32 v31, null, v21, v21, 1.0
	v_fma_f32 v27, -v23, v30, 1.0
	v_mul_f32_e32 v29, v19, v24
	v_div_fixup_f32 v5, v12, v5, 1.0
	v_rcp_f32_e32 v34, v31
	v_fma_f32 v33, -v17, v20, 1.0
	v_fmac_f32_e32 v30, v27, v30
	v_div_scale_f32 v27, s1, 1.0, v26, 1.0
	v_fma_f32 v36, -v18, v28, 1.0
	v_fma_f32 v35, -v25, v29, v19
	v_fmac_f32_e32 v20, v33, v20
	v_div_scale_f32 v33, s2, 1.0, v10, 1.0
	v_mul_f32_e32 v37, v27, v30
	v_fmac_f32_e32 v28, v36, v28
	v_div_scale_f32 v36, s3, 1.0, v14, 1.0
	v_fma_f32 v38, -v31, v34, 1.0
	v_fmac_f32_e32 v29, v35, v24
	v_mul_f32_e32 v39, v33, v20
	v_fma_f32 v35, -v23, v37, v27
	v_mul_f32_e32 v40, v36, v28
	v_fmac_f32_e32 v34, v38, v34
	v_div_scale_f32 v38, s4, 1.0, v21, 1.0
	v_fma_f32 v19, -v25, v29, v19
	v_fma_f32 v25, -v17, v39, v33
	v_fmac_f32_e32 v37, v35, v30
	v_fma_f32 v35, -v18, v40, v36
	v_mul_f32_e32 v41, v38, v34
	v_div_fmas_f32 v19, v19, v24, v29
	v_fmac_f32_e32 v39, v25, v20
	v_fma_f32 v23, -v23, v37, v27
	v_fmac_f32_e32 v40, v35, v28
	v_fma_f32 v24, -v31, v41, v38
	s_mov_b32 vcc_lo, s1
	v_fma_f32 v17, -v17, v39, v33
	v_div_fmas_f32 v23, v23, v30, v37
	v_fma_f32 v18, -v18, v40, v36
	v_fmac_f32_e32 v41, v24, v34
	s_mov_b32 vcc_lo, s2
	s_mov_b32 s1, 0xbcc30c31
	v_div_fmas_f32 v17, v17, v20, v39
	s_mov_b32 vcc_lo, s3
	v_fma_f32 v20, -v31, v41, v38
	v_div_fmas_f32 v18, v18, v28, v40
	s_mov_b32 vcc_lo, s4
	v_add_f32_e32 v5, v9, v5
	v_div_fixup_f32 v9, v13, v11, 1.0
	v_div_fmas_f32 v20, v20, v34, v41
	v_div_fixup_f32 v14, v18, v14, 1.0
	v_add_f32_e32 v5, v5, v9
	v_div_fixup_f32 v18, v20, v21, 1.0
	v_fmaak_f32 v20, s1, v14, 0x3d088889
	v_div_fixup_f32 v9, v16, v15, 1.0
	v_add_f32_e32 v18, 1.0, v18
	v_fma_f32 v20, -v14, v20, 0x3e2aaaab
	v_add_f32_e32 v5, v5, v9
	v_div_fixup_f32 v9, v19, v22, 1.0
	v_fmac_f32_e32 v18, v14, v20
	v_add_f32_e32 v5, v5, v9
	v_div_fixup_f32 v9, v23, v26, 1.0
	v_div_scale_f32 v14, null, v32, v32, v18
	v_div_scale_f32 v11, vcc_lo, v18, v32, v18
	v_add_f32_e32 v5, v5, v9
	v_rcp_f32_e32 v20, v14
	v_div_fixup_f32 v9, v17, v10, 1.0
	v_add_f32_e32 v5, v5, v9
	v_fma_f32 v12, -v14, v20, 1.0
	v_fmac_f32_e32 v20, v12, v20
	v_mul_f32_e32 v12, v11, v20
	v_fma_f32 v13, -v14, v12, v11
	v_fmac_f32_e32 v12, v13, v20
	v_fma_f32 v11, -v14, v12, v11
	v_div_fmas_f32 v10, v11, v20, v12
	v_div_fixup_f32 v9, v10, v32, v18
	v_add_f32_e32 v5, v5, v9
	v_mul_f32_e32 v7, v7, v5
.LBB51_59:
	s_or_b32 exec_lo, exec_lo, s7
	v_or_b32_e32 v5, 0x300, v0
	s_mov_b32 s7, exec_lo
	v_cmpx_gt_i32_e64 s5, v5
	s_cbranch_execnz .LBB51_66
; %bb.60:
	s_or_b32 exec_lo, exec_lo, s7
	s_and_saveexec_b32 s1, s0
	s_xor_b32 s0, exec_lo, s1
	s_cbranch_execnz .LBB51_73
.LBB51_61:
	s_or_b32 exec_lo, exec_lo, s0
	s_mov_b32 s0, exec_lo
	v_cmpx_gt_i32_e64 s5, v0
	s_cbranch_execnz .LBB51_74
.LBB51_62:
	s_or_b32 exec_lo, exec_lo, s0
	s_mov_b32 s0, exec_lo
	v_cmpx_gt_i32_e64 s5, v0
	s_cbranch_execnz .LBB51_75
.LBB51_63:
	s_or_b32 exec_lo, exec_lo, s0
	s_mov_b32 s0, exec_lo
	v_cmpx_gt_i32_e64 s5, v0
	s_cbranch_execz .LBB51_65
.LBB51_64:
	v_add_nc_u32_e32 v0, s6, v0
	v_mov_b32_e32 v1, 0
	v_lshlrev_b64 v[0:1], 2, v[0:1]
	v_add_co_u32 v0, vcc_lo, s8, v0
	v_add_co_ci_u32_e64 v1, null, s9, v1, vcc_lo
	global_store_dword v[0:1], v6, off
.LBB51_65:
	s_endpgm
.LBB51_66:
	v_mov_b32_e32 v6, 0
	v_mov_b32_e32 v5, 1.0
	s_mov_b32 s3, exec_lo
	v_cmpx_gt_f32_e32 0.5, v2
	s_cbranch_execz .LBB51_72
; %bb.67:
	v_mul_f32_e32 v5, 0x40490fdb, v2
                                        ; implicit-def: $vgpr10
                                        ; implicit-def: $vgpr9
	s_mov_b32 s2, exec_lo
	v_and_b32_e32 v6, 0x7fffffff, v5
	v_cmpx_ngt_f32_e64 0x48000000, |v5|
	s_xor_b32 s4, exec_lo, s2
	s_cbranch_execz .LBB51_69
; %bb.68:
	s_mov_b32 s1, 0x7fffff
	v_mov_b32_e32 v11, 0
	v_and_or_b32 v18, v6, s1, 0x800000
	v_lshrrev_b32_e32 v16, 23, v6
	v_mad_u64_u32 v[9:10], null, 0xfe5163ab, v18, 0
	v_add_nc_u32_e32 v17, 0xffffff88, v16
	v_cmp_lt_u32_e32 vcc_lo, 63, v17
	v_mad_u64_u32 v[12:13], null, 0x3c439041, v18, v[10:11]
	v_cndmask_b32_e64 v19, 0, 0xffffffc0, vcc_lo
	v_mov_b32_e32 v10, v13
	v_add_nc_u32_e32 v19, v19, v17
	v_mad_u64_u32 v[13:14], null, 0xdb629599, v18, v[10:11]
	v_cmp_lt_u32_e64 s1, 31, v19
	v_cndmask_b32_e64 v20, 0, 0xffffffe0, s1
	v_mov_b32_e32 v10, v14
	v_cndmask_b32_e32 v9, v13, v9, vcc_lo
	v_mad_u64_u32 v[14:15], null, 0xf534ddc0, v18, v[10:11]
	v_mov_b32_e32 v10, v15
	v_cndmask_b32_e32 v12, v14, v12, vcc_lo
	v_mad_u64_u32 v[15:16], null, 0xfc2757d1, v18, v[10:11]
	v_cndmask_b32_e64 v9, v12, v9, s1
	v_mov_b32_e32 v10, v16
	v_mad_u64_u32 v[16:17], null, 0x4e441529, v18, v[10:11]
	v_mov_b32_e32 v10, v17
	v_add_nc_u32_e32 v17, v20, v19
	v_cndmask_b32_e32 v19, v16, v14, vcc_lo
	v_mad_u64_u32 v[10:11], null, 0xa2f9836e, v18, v[10:11]
	v_cmp_lt_u32_e64 s2, 31, v17
	v_cndmask_b32_e64 v18, 0, 0xffffffe0, s2
	v_cndmask_b32_e32 v10, v10, v15, vcc_lo
	v_cndmask_b32_e32 v11, v11, v16, vcc_lo
	;; [unrolled: 1-line block ×3, first 2 shown]
	v_add_nc_u32_e32 v16, v18, v17
	v_cndmask_b32_e64 v14, v10, v19, s1
	v_cndmask_b32_e64 v10, v11, v10, s1
	;; [unrolled: 1-line block ×4, first 2 shown]
	v_sub_nc_u32_e32 v17, 32, v16
	v_cmp_eq_u32_e32 vcc_lo, 0, v16
	v_cndmask_b32_e64 v10, v10, v14, s2
	v_cndmask_b32_e64 v14, v14, v11, s2
	;; [unrolled: 1-line block ×4, first 2 shown]
	v_alignbit_b32 v18, v10, v14, v17
	v_alignbit_b32 v13, v14, v11, v17
	;; [unrolled: 1-line block ×3, first 2 shown]
	v_cndmask_b32_e32 v10, v18, v10, vcc_lo
	v_cndmask_b32_e32 v12, v13, v14, vcc_lo
	;; [unrolled: 1-line block ×3, first 2 shown]
	v_bfe_u32 v13, v10, 29, 1
	v_alignbit_b32 v14, v10, v12, 30
	v_alignbit_b32 v12, v12, v11, 30
	;; [unrolled: 1-line block ×3, first 2 shown]
	v_sub_nc_u32_e32 v15, 0, v13
	v_xor_b32_e32 v14, v14, v15
	v_xor_b32_e32 v11, v12, v15
	v_xor_b32_e32 v9, v9, v15
	v_lshrrev_b32_e32 v15, 29, v10
	v_lshrrev_b32_e32 v10, 30, v10
	v_ffbh_u32_e32 v16, v14
	v_add_nc_u32_e32 v10, v13, v10
	v_min_u32_e32 v16, 32, v16
	v_sub_nc_u32_e32 v12, 31, v16
	v_lshlrev_b32_e32 v17, 23, v16
	v_alignbit_b32 v14, v14, v11, v12
	v_alignbit_b32 v9, v11, v9, v12
	v_lshlrev_b32_e32 v11, 31, v15
	v_alignbit_b32 v12, v14, v9, 9
	v_or_b32_e32 v15, 0.5, v11
	v_lshrrev_b32_e32 v14, 9, v14
	v_or_b32_e32 v11, 0x33000000, v11
	v_ffbh_u32_e32 v18, v12
	v_sub_nc_u32_e32 v15, v15, v17
	v_min_u32_e32 v17, 32, v18
	v_or_b32_e32 v14, v14, v15
	v_not_b32_e32 v15, v17
	v_mul_f32_e32 v18, 0x3fc90fda, v14
	v_add_lshl_u32 v16, v17, v16, 23
	v_alignbit_b32 v9, v12, v9, v15
	v_fma_f32 v12, 0x3fc90fda, v14, -v18
	v_sub_nc_u32_e32 v11, v11, v16
	v_lshrrev_b32_e32 v9, 9, v9
	v_fmamk_f32 v12, v14, 0x33a22168, v12
	v_or_b32_e32 v9, v11, v9
	v_fmac_f32_e32 v12, 0x3fc90fda, v9
	v_add_f32_e32 v9, v18, v12
.LBB51_69:
	s_andn2_saveexec_b32 s1, s4
; %bb.70:
	v_mul_f32_e64 v9, 0x3f22f983, |v5|
	v_rndne_f32_e32 v10, v9
	v_fma_f32 v9, 0xbfc90fda, v10, |v5|
	v_fmamk_f32 v9, v10, 0xb3a22168, v9
	v_fmamk_f32 v9, v10, 0xa7c234c4, v9
	v_cvt_i32_f32_e32 v10, v10
; %bb.71:
	s_or_b32 exec_lo, exec_lo, s1
	v_mul_f32_e32 v11, v9, v9
	s_mov_b32 s1, 0xb94c1982
	s_mov_b32 s2, 0x37d75334
	v_and_b32_e32 v14, 1, v10
	v_lshlrev_b32_e32 v10, 30, v10
	v_fmaak_f32 v12, s1, v11, 0x3c0881c4
	v_fmaak_f32 v13, s2, v11, 0xbab64f3b
	v_xor_b32_e32 v6, v6, v5
	v_cmp_eq_u32_e32 vcc_lo, 0, v14
	v_and_b32_e32 v10, 0x80000000, v10
	v_fmaak_f32 v12, v11, v12, 0xbe2aaa9d
	v_fmaak_f32 v13, v11, v13, 0x3d2aabf7
	v_sub_f32_e32 v2, 1.0, v2
	v_mul_f32_e32 v12, v11, v12
	v_fmaak_f32 v13, v11, v13, 0xbf000004
	v_fmac_f32_e32 v9, v9, v12
	v_fma_f32 v11, v11, v13, 1.0
	v_cndmask_b32_e32 v9, v11, v9, vcc_lo
	v_cmp_class_f32_e64 vcc_lo, v5, 0x1f8
	v_xor3_b32 v6, v6, v10, v9
	v_cndmask_b32_e32 v5, 0x7fc00000, v6, vcc_lo
	v_mul_f32_e32 v5, v5, v5
	v_div_scale_f32 v6, null, v5, v5, 0xc11de9e7
	v_div_scale_f32 v11, vcc_lo, 0xc11de9e7, v5, 0xc11de9e7
	v_rcp_f32_e32 v9, v6
	v_fma_f32 v10, -v6, v9, 1.0
	v_fmac_f32_e32 v9, v10, v9
	v_mul_f32_e32 v10, v11, v9
	v_fma_f32 v12, -v6, v10, v11
	v_fmac_f32_e32 v10, v12, v9
	v_fma_f32 v6, -v6, v10, v11
	v_div_fmas_f32 v6, v6, v9, v10
	v_div_fixup_f32 v5, v6, v5, 0xc11de9e7
	v_add_f32_e32 v6, 0, v5
	v_mov_b32_e32 v5, -1.0
.LBB51_72:
	s_or_b32 exec_lo, exec_lo, s3
	v_add_f32_e32 v9, 1.0, v2
	v_mul_f32_e32 v2, v2, v2
	v_mul_f32_e32 v10, v9, v9
	v_add_f32_e32 v9, 1.0, v9
	v_div_scale_f32 v11, null, v2, v2, 1.0
	v_div_scale_f32 v13, vcc_lo, 1.0, v2, 1.0
	v_mul_f32_e32 v14, v9, v9
	v_div_scale_f32 v12, null, v10, v10, 1.0
	v_rcp_f32_e32 v15, v11
	v_div_scale_f32 v18, s1, 1.0, v10, 1.0
	v_div_scale_f32 v17, null, v14, v14, 1.0
	v_rcp_f32_e32 v16, v12
	v_add_f32_e32 v9, 1.0, v9
	v_div_scale_f32 v19, s2, 1.0, v14, 1.0
	v_rcp_f32_e32 v20, v17
	v_fma_f32 v22, -v11, v15, 1.0
	v_mul_f32_e32 v21, v9, v9
	v_add_f32_e32 v9, 1.0, v9
	v_fma_f32 v23, -v12, v16, 1.0
	v_fmac_f32_e32 v15, v22, v15
	v_mul_f32_e32 v25, v9, v9
	v_add_f32_e32 v9, 1.0, v9
	v_fma_f32 v22, -v17, v20, 1.0
	v_fmac_f32_e32 v16, v23, v16
	v_mul_f32_e32 v26, v13, v15
	v_div_scale_f32 v24, null, v21, v21, 1.0
	v_fmac_f32_e32 v20, v22, v20
	v_mul_f32_e32 v27, v18, v16
	v_fma_f32 v28, -v11, v26, v13
	v_add_f32_e32 v31, 1.0, v9
	v_rcp_f32_e32 v23, v24
	v_mul_f32_e32 v30, v19, v20
	v_fma_f32 v29, -v12, v27, v18
	v_fmac_f32_e32 v26, v28, v15
	v_mul_f32_e32 v9, v9, v9
	v_div_scale_f32 v22, null, v25, v25, 1.0
	v_fma_f32 v28, -v17, v30, v19
	v_fmac_f32_e32 v27, v29, v16
	v_fma_f32 v11, -v11, v26, v13
	v_mul_f32_e32 v13, v31, v31
	v_rcp_f32_e32 v29, v22
	v_fmac_f32_e32 v30, v28, v20
	v_fma_f32 v12, -v12, v27, v18
	v_div_fmas_f32 v11, v11, v15, v26
	s_mov_b32 vcc_lo, s1
	v_fma_f32 v32, -v24, v23, 1.0
	v_fma_f32 v15, -v17, v30, v19
	v_div_fmas_f32 v12, v12, v16, v27
	s_mov_b32 vcc_lo, s2
	v_div_scale_f32 v16, null, v9, v9, 1.0
	v_div_fmas_f32 v15, v15, v20, v30
	v_div_scale_f32 v17, null, v13, v13, 1.0
	v_add_f32_e32 v20, v31, v31
	v_rcp_f32_e32 v19, v16
	v_fmac_f32_e32 v23, v32, v23
	v_rcp_f32_e32 v27, v17
	v_div_scale_f32 v18, vcc_lo, 1.0, v21, 1.0
	v_div_scale_f32 v30, null, v20, v20, 1.0
	v_fma_f32 v26, -v22, v29, 1.0
	v_mul_f32_e32 v28, v18, v23
	v_div_fixup_f32 v2, v11, v2, 1.0
	v_rcp_f32_e32 v33, v30
	v_fma_f32 v32, -v16, v19, 1.0
	v_fmac_f32_e32 v29, v26, v29
	v_div_scale_f32 v26, s1, 1.0, v25, 1.0
	v_fma_f32 v35, -v17, v27, 1.0
	v_fma_f32 v34, -v24, v28, v18
	v_fmac_f32_e32 v19, v32, v19
	v_div_scale_f32 v32, s2, 1.0, v9, 1.0
	v_mul_f32_e32 v36, v26, v29
	v_fmac_f32_e32 v27, v35, v27
	v_div_scale_f32 v35, s3, 1.0, v13, 1.0
	v_fma_f32 v37, -v30, v33, 1.0
	v_fmac_f32_e32 v28, v34, v23
	v_mul_f32_e32 v38, v32, v19
	v_fma_f32 v34, -v22, v36, v26
	v_mul_f32_e32 v39, v35, v27
	v_fmac_f32_e32 v33, v37, v33
	v_div_scale_f32 v37, s4, 1.0, v20, 1.0
	v_fma_f32 v18, -v24, v28, v18
	v_fma_f32 v24, -v16, v38, v32
	v_fmac_f32_e32 v36, v34, v29
	v_fma_f32 v34, -v17, v39, v35
	v_mul_f32_e32 v40, v37, v33
	v_div_fmas_f32 v18, v18, v23, v28
	v_fmac_f32_e32 v38, v24, v19
	v_fma_f32 v22, -v22, v36, v26
	v_fmac_f32_e32 v39, v34, v27
	v_fma_f32 v23, -v30, v40, v37
	s_mov_b32 vcc_lo, s1
	v_fma_f32 v16, -v16, v38, v32
	v_div_fmas_f32 v22, v22, v29, v36
	v_fma_f32 v17, -v17, v39, v35
	v_fmac_f32_e32 v40, v23, v33
	s_mov_b32 vcc_lo, s2
	s_mov_b32 s1, 0xbcc30c31
	v_div_fmas_f32 v16, v16, v19, v38
	s_mov_b32 vcc_lo, s3
	v_fma_f32 v19, -v30, v40, v37
	v_div_fmas_f32 v17, v17, v27, v39
	s_mov_b32 vcc_lo, s4
	v_add_f32_e32 v2, v6, v2
	v_div_fixup_f32 v6, v12, v10, 1.0
	v_div_fmas_f32 v19, v19, v33, v40
	v_div_fixup_f32 v13, v17, v13, 1.0
	v_add_f32_e32 v2, v2, v6
	v_div_fixup_f32 v17, v19, v20, 1.0
	v_fmaak_f32 v19, s1, v13, 0x3d088889
	v_div_fixup_f32 v6, v15, v14, 1.0
	v_add_f32_e32 v17, 1.0, v17
	v_fma_f32 v19, -v13, v19, 0x3e2aaaab
	v_add_f32_e32 v2, v2, v6
	v_div_fixup_f32 v6, v18, v21, 1.0
	v_fmac_f32_e32 v17, v13, v19
	v_add_f32_e32 v2, v2, v6
	v_div_fixup_f32 v6, v22, v25, 1.0
	v_div_scale_f32 v13, null, v31, v31, v17
	v_div_scale_f32 v10, vcc_lo, v17, v31, v17
	v_add_f32_e32 v2, v2, v6
	v_rcp_f32_e32 v19, v13
	v_div_fixup_f32 v6, v16, v9, 1.0
	v_add_f32_e32 v2, v2, v6
	v_fma_f32 v11, -v13, v19, 1.0
	v_fmac_f32_e32 v19, v11, v19
	v_mul_f32_e32 v11, v10, v19
	v_fma_f32 v12, -v13, v11, v10
	v_fmac_f32_e32 v11, v12, v19
	v_fma_f32 v10, -v13, v11, v10
	v_div_fmas_f32 v9, v10, v19, v11
	v_div_fixup_f32 v6, v9, v31, v17
	v_add_f32_e32 v2, v2, v6
	v_mul_f32_e32 v6, v5, v2
	s_or_b32 exec_lo, exec_lo, s7
	s_and_saveexec_b32 s1, s0
	s_xor_b32 s0, exec_lo, s1
	s_cbranch_execz .LBB51_61
.LBB51_73:
	v_mov_b32_e32 v2, 0
	v_lshlrev_b64 v[0:1], 2, v[1:2]
	v_add_co_u32 v9, vcc_lo, s8, v0
	v_add_co_ci_u32_e64 v10, null, s9, v1, vcc_lo
	v_mov_b32_e32 v0, v3
	global_store_dword v[9:10], v4, off
	s_or_b32 exec_lo, exec_lo, s0
	s_mov_b32 s0, exec_lo
	v_cmpx_gt_i32_e64 s5, v0
	s_cbranch_execz .LBB51_62
.LBB51_74:
	v_add_nc_u32_e32 v1, s6, v0
	v_mov_b32_e32 v2, 0
	v_add_nc_u32_e32 v0, 0x100, v0
	v_lshlrev_b64 v[1:2], 2, v[1:2]
	v_add_co_u32 v1, vcc_lo, s8, v1
	v_add_co_ci_u32_e64 v2, null, s9, v2, vcc_lo
	global_store_dword v[1:2], v8, off
	s_or_b32 exec_lo, exec_lo, s0
	s_mov_b32 s0, exec_lo
	v_cmpx_gt_i32_e64 s5, v0
	s_cbranch_execz .LBB51_63
.LBB51_75:
	v_add_nc_u32_e32 v1, s6, v0
	v_mov_b32_e32 v2, 0
	v_add_nc_u32_e32 v0, 0x100, v0
	v_lshlrev_b64 v[1:2], 2, v[1:2]
	v_add_co_u32 v1, vcc_lo, s8, v1
	v_add_co_ci_u32_e64 v2, null, s9, v2, vcc_lo
	global_store_dword v[1:2], v7, off
	s_or_b32 exec_lo, exec_lo, s0
	s_mov_b32 s0, exec_lo
	v_cmpx_gt_i32_e64 s5, v0
	s_cbranch_execnz .LBB51_64
	s_branch .LBB51_65
	.section	.rodata,"a",@progbits
	.p2align	6, 0x0
	.amdhsa_kernel _ZN2at6native29vectorized_elementwise_kernelILi8EZZZNS0_20trigamma_kernel_cudaERNS_18TensorIteratorBaseEENKUlvE_clEvENKUlvE0_clEvEUlfE_St5arrayIPcLm2EEEEviT0_T1_
		.amdhsa_group_segment_fixed_size 0
		.amdhsa_private_segment_fixed_size 0
		.amdhsa_kernarg_size 24
		.amdhsa_user_sgpr_count 6
		.amdhsa_user_sgpr_private_segment_buffer 1
		.amdhsa_user_sgpr_dispatch_ptr 0
		.amdhsa_user_sgpr_queue_ptr 0
		.amdhsa_user_sgpr_kernarg_segment_ptr 1
		.amdhsa_user_sgpr_dispatch_id 0
		.amdhsa_user_sgpr_flat_scratch_init 0
		.amdhsa_user_sgpr_private_segment_size 0
		.amdhsa_wavefront_size32 1
		.amdhsa_uses_dynamic_stack 0
		.amdhsa_system_sgpr_private_segment_wavefront_offset 0
		.amdhsa_system_sgpr_workgroup_id_x 1
		.amdhsa_system_sgpr_workgroup_id_y 0
		.amdhsa_system_sgpr_workgroup_id_z 0
		.amdhsa_system_sgpr_workgroup_info 0
		.amdhsa_system_vgpr_workitem_id 0
		.amdhsa_next_free_vgpr 43
		.amdhsa_next_free_sgpr 12
		.amdhsa_reserve_vcc 1
		.amdhsa_reserve_flat_scratch 0
		.amdhsa_float_round_mode_32 0
		.amdhsa_float_round_mode_16_64 0
		.amdhsa_float_denorm_mode_32 3
		.amdhsa_float_denorm_mode_16_64 3
		.amdhsa_dx10_clamp 1
		.amdhsa_ieee_mode 1
		.amdhsa_fp16_overflow 0
		.amdhsa_workgroup_processor_mode 1
		.amdhsa_memory_ordered 1
		.amdhsa_forward_progress 1
		.amdhsa_shared_vgpr_count 0
		.amdhsa_exception_fp_ieee_invalid_op 0
		.amdhsa_exception_fp_denorm_src 0
		.amdhsa_exception_fp_ieee_div_zero 0
		.amdhsa_exception_fp_ieee_overflow 0
		.amdhsa_exception_fp_ieee_underflow 0
		.amdhsa_exception_fp_ieee_inexact 0
		.amdhsa_exception_int_div_zero 0
	.end_amdhsa_kernel
	.section	.text._ZN2at6native29vectorized_elementwise_kernelILi8EZZZNS0_20trigamma_kernel_cudaERNS_18TensorIteratorBaseEENKUlvE_clEvENKUlvE0_clEvEUlfE_St5arrayIPcLm2EEEEviT0_T1_,"axG",@progbits,_ZN2at6native29vectorized_elementwise_kernelILi8EZZZNS0_20trigamma_kernel_cudaERNS_18TensorIteratorBaseEENKUlvE_clEvENKUlvE0_clEvEUlfE_St5arrayIPcLm2EEEEviT0_T1_,comdat
.Lfunc_end51:
	.size	_ZN2at6native29vectorized_elementwise_kernelILi8EZZZNS0_20trigamma_kernel_cudaERNS_18TensorIteratorBaseEENKUlvE_clEvENKUlvE0_clEvEUlfE_St5arrayIPcLm2EEEEviT0_T1_, .Lfunc_end51-_ZN2at6native29vectorized_elementwise_kernelILi8EZZZNS0_20trigamma_kernel_cudaERNS_18TensorIteratorBaseEENKUlvE_clEvENKUlvE0_clEvEUlfE_St5arrayIPcLm2EEEEviT0_T1_
                                        ; -- End function
	.set _ZN2at6native29vectorized_elementwise_kernelILi8EZZZNS0_20trigamma_kernel_cudaERNS_18TensorIteratorBaseEENKUlvE_clEvENKUlvE0_clEvEUlfE_St5arrayIPcLm2EEEEviT0_T1_.num_vgpr, 43
	.set _ZN2at6native29vectorized_elementwise_kernelILi8EZZZNS0_20trigamma_kernel_cudaERNS_18TensorIteratorBaseEENKUlvE_clEvENKUlvE0_clEvEUlfE_St5arrayIPcLm2EEEEviT0_T1_.num_agpr, 0
	.set _ZN2at6native29vectorized_elementwise_kernelILi8EZZZNS0_20trigamma_kernel_cudaERNS_18TensorIteratorBaseEENKUlvE_clEvENKUlvE0_clEvEUlfE_St5arrayIPcLm2EEEEviT0_T1_.numbered_sgpr, 12
	.set _ZN2at6native29vectorized_elementwise_kernelILi8EZZZNS0_20trigamma_kernel_cudaERNS_18TensorIteratorBaseEENKUlvE_clEvENKUlvE0_clEvEUlfE_St5arrayIPcLm2EEEEviT0_T1_.num_named_barrier, 0
	.set _ZN2at6native29vectorized_elementwise_kernelILi8EZZZNS0_20trigamma_kernel_cudaERNS_18TensorIteratorBaseEENKUlvE_clEvENKUlvE0_clEvEUlfE_St5arrayIPcLm2EEEEviT0_T1_.private_seg_size, 0
	.set _ZN2at6native29vectorized_elementwise_kernelILi8EZZZNS0_20trigamma_kernel_cudaERNS_18TensorIteratorBaseEENKUlvE_clEvENKUlvE0_clEvEUlfE_St5arrayIPcLm2EEEEviT0_T1_.uses_vcc, 1
	.set _ZN2at6native29vectorized_elementwise_kernelILi8EZZZNS0_20trigamma_kernel_cudaERNS_18TensorIteratorBaseEENKUlvE_clEvENKUlvE0_clEvEUlfE_St5arrayIPcLm2EEEEviT0_T1_.uses_flat_scratch, 0
	.set _ZN2at6native29vectorized_elementwise_kernelILi8EZZZNS0_20trigamma_kernel_cudaERNS_18TensorIteratorBaseEENKUlvE_clEvENKUlvE0_clEvEUlfE_St5arrayIPcLm2EEEEviT0_T1_.has_dyn_sized_stack, 0
	.set _ZN2at6native29vectorized_elementwise_kernelILi8EZZZNS0_20trigamma_kernel_cudaERNS_18TensorIteratorBaseEENKUlvE_clEvENKUlvE0_clEvEUlfE_St5arrayIPcLm2EEEEviT0_T1_.has_recursion, 0
	.set _ZN2at6native29vectorized_elementwise_kernelILi8EZZZNS0_20trigamma_kernel_cudaERNS_18TensorIteratorBaseEENKUlvE_clEvENKUlvE0_clEvEUlfE_St5arrayIPcLm2EEEEviT0_T1_.has_indirect_call, 0
	.section	.AMDGPU.csdata,"",@progbits
; Kernel info:
; codeLenInByte = 14368
; TotalNumSgprs: 14
; NumVgprs: 43
; ScratchSize: 0
; MemoryBound: 0
; FloatMode: 240
; IeeeMode: 1
; LDSByteSize: 0 bytes/workgroup (compile time only)
; SGPRBlocks: 0
; VGPRBlocks: 5
; NumSGPRsForWavesPerEU: 14
; NumVGPRsForWavesPerEU: 43
; Occupancy: 16
; WaveLimiterHint : 0
; COMPUTE_PGM_RSRC2:SCRATCH_EN: 0
; COMPUTE_PGM_RSRC2:USER_SGPR: 6
; COMPUTE_PGM_RSRC2:TRAP_HANDLER: 0
; COMPUTE_PGM_RSRC2:TGID_X_EN: 1
; COMPUTE_PGM_RSRC2:TGID_Y_EN: 0
; COMPUTE_PGM_RSRC2:TGID_Z_EN: 0
; COMPUTE_PGM_RSRC2:TIDIG_COMP_CNT: 0
	.section	.text._ZN2at6native29vectorized_elementwise_kernelILi4EZZZNS0_20trigamma_kernel_cudaERNS_18TensorIteratorBaseEENKUlvE_clEvENKUlvE0_clEvEUlfE_St5arrayIPcLm2EEEEviT0_T1_,"axG",@progbits,_ZN2at6native29vectorized_elementwise_kernelILi4EZZZNS0_20trigamma_kernel_cudaERNS_18TensorIteratorBaseEENKUlvE_clEvENKUlvE0_clEvEUlfE_St5arrayIPcLm2EEEEviT0_T1_,comdat
	.globl	_ZN2at6native29vectorized_elementwise_kernelILi4EZZZNS0_20trigamma_kernel_cudaERNS_18TensorIteratorBaseEENKUlvE_clEvENKUlvE0_clEvEUlfE_St5arrayIPcLm2EEEEviT0_T1_ ; -- Begin function _ZN2at6native29vectorized_elementwise_kernelILi4EZZZNS0_20trigamma_kernel_cudaERNS_18TensorIteratorBaseEENKUlvE_clEvENKUlvE0_clEvEUlfE_St5arrayIPcLm2EEEEviT0_T1_
	.p2align	8
	.type	_ZN2at6native29vectorized_elementwise_kernelILi4EZZZNS0_20trigamma_kernel_cudaERNS_18TensorIteratorBaseEENKUlvE_clEvENKUlvE0_clEvEUlfE_St5arrayIPcLm2EEEEviT0_T1_,@function
_ZN2at6native29vectorized_elementwise_kernelILi4EZZZNS0_20trigamma_kernel_cudaERNS_18TensorIteratorBaseEENKUlvE_clEvENKUlvE0_clEvEUlfE_St5arrayIPcLm2EEEEviT0_T1_: ; @_ZN2at6native29vectorized_elementwise_kernelILi4EZZZNS0_20trigamma_kernel_cudaERNS_18TensorIteratorBaseEENKUlvE_clEvENKUlvE0_clEvEUlfE_St5arrayIPcLm2EEEEviT0_T1_
; %bb.0:
	s_clause 0x1
	s_load_dword s0, s[4:5], 0x0
	s_load_dwordx4 s[8:11], s[4:5], 0x8
	s_lshl_b32 s6, s6, 10
	s_waitcnt lgkmcnt(0)
	s_sub_i32 s5, s0, s6
	s_mov_b32 s0, -1
	s_cmpk_gt_i32 s5, 0x3ff
	s_cbranch_scc0 .LBB52_26
; %bb.1:
	s_ashr_i32 s7, s6, 31
	v_lshlrev_b32_e32 v5, 4, v0
	s_lshl_b64 s[2:3], s[6:7], 2
	v_mov_b32_e32 v7, 0
	s_add_u32 s0, s10, s2
	s_addc_u32 s1, s11, s3
	v_mov_b32_e32 v6, 1.0
	global_load_dwordx4 v[1:4], v5, s[0:1]
	s_mov_b32 s4, exec_lo
	s_waitcnt vmcnt(0)
	v_cmpx_gt_f32_e32 0.5, v1
	s_cbranch_execz .LBB52_7
; %bb.2:
	v_mul_f32_e32 v6, 0x40490fdb, v1
                                        ; implicit-def: $vgpr9
                                        ; implicit-def: $vgpr8
	s_mov_b32 s1, exec_lo
	v_and_b32_e32 v7, 0x7fffffff, v6
	v_cmpx_ngt_f32_e64 0x48000000, |v6|
	s_xor_b32 s7, exec_lo, s1
	s_cbranch_execz .LBB52_4
; %bb.3:
	s_mov_b32 s0, 0x7fffff
	v_mov_b32_e32 v10, 0
	v_and_or_b32 v17, v7, s0, 0x800000
	v_lshrrev_b32_e32 v15, 23, v7
	v_mad_u64_u32 v[8:9], null, 0xfe5163ab, v17, 0
	v_add_nc_u32_e32 v16, 0xffffff88, v15
	v_cmp_lt_u32_e32 vcc_lo, 63, v16
	v_mad_u64_u32 v[11:12], null, 0x3c439041, v17, v[9:10]
	v_cndmask_b32_e64 v18, 0, 0xffffffc0, vcc_lo
	v_mov_b32_e32 v9, v12
	v_add_nc_u32_e32 v18, v18, v16
	v_mad_u64_u32 v[12:13], null, 0xdb629599, v17, v[9:10]
	v_cmp_lt_u32_e64 s0, 31, v18
	v_cndmask_b32_e64 v19, 0, 0xffffffe0, s0
	v_mov_b32_e32 v9, v13
	v_cndmask_b32_e32 v8, v12, v8, vcc_lo
	v_mad_u64_u32 v[13:14], null, 0xf534ddc0, v17, v[9:10]
	v_mov_b32_e32 v9, v14
	v_cndmask_b32_e32 v11, v13, v11, vcc_lo
	v_mad_u64_u32 v[14:15], null, 0xfc2757d1, v17, v[9:10]
	v_cndmask_b32_e64 v8, v11, v8, s0
	v_mov_b32_e32 v9, v15
	v_mad_u64_u32 v[15:16], null, 0x4e441529, v17, v[9:10]
	v_mov_b32_e32 v9, v16
	v_add_nc_u32_e32 v16, v19, v18
	v_cndmask_b32_e32 v18, v15, v13, vcc_lo
	v_mad_u64_u32 v[9:10], null, 0xa2f9836e, v17, v[9:10]
	v_cmp_lt_u32_e64 s1, 31, v16
	v_cndmask_b32_e64 v17, 0, 0xffffffe0, s1
	v_cndmask_b32_e32 v9, v9, v14, vcc_lo
	v_cndmask_b32_e32 v10, v10, v15, vcc_lo
	;; [unrolled: 1-line block ×3, first 2 shown]
	v_add_nc_u32_e32 v15, v17, v16
	v_cndmask_b32_e64 v13, v9, v18, s0
	v_cndmask_b32_e64 v9, v10, v9, s0
	;; [unrolled: 1-line block ×4, first 2 shown]
	v_sub_nc_u32_e32 v16, 32, v15
	v_cmp_eq_u32_e32 vcc_lo, 0, v15
	v_cndmask_b32_e64 v9, v9, v13, s1
	v_cndmask_b32_e64 v13, v13, v10, s1
	;; [unrolled: 1-line block ×4, first 2 shown]
	v_alignbit_b32 v17, v9, v13, v16
	v_alignbit_b32 v12, v13, v10, v16
	;; [unrolled: 1-line block ×3, first 2 shown]
	v_cndmask_b32_e32 v9, v17, v9, vcc_lo
	v_cndmask_b32_e32 v11, v12, v13, vcc_lo
	;; [unrolled: 1-line block ×3, first 2 shown]
	v_bfe_u32 v12, v9, 29, 1
	v_alignbit_b32 v13, v9, v11, 30
	v_alignbit_b32 v11, v11, v10, 30
	;; [unrolled: 1-line block ×3, first 2 shown]
	v_sub_nc_u32_e32 v14, 0, v12
	v_xor_b32_e32 v13, v13, v14
	v_xor_b32_e32 v10, v11, v14
	v_xor_b32_e32 v8, v8, v14
	v_lshrrev_b32_e32 v14, 29, v9
	v_lshrrev_b32_e32 v9, 30, v9
	v_ffbh_u32_e32 v15, v13
	v_add_nc_u32_e32 v9, v12, v9
	v_min_u32_e32 v15, 32, v15
	v_sub_nc_u32_e32 v11, 31, v15
	v_lshlrev_b32_e32 v16, 23, v15
	v_alignbit_b32 v13, v13, v10, v11
	v_alignbit_b32 v8, v10, v8, v11
	v_lshlrev_b32_e32 v10, 31, v14
	v_alignbit_b32 v11, v13, v8, 9
	v_or_b32_e32 v14, 0.5, v10
	v_lshrrev_b32_e32 v13, 9, v13
	v_or_b32_e32 v10, 0x33000000, v10
	v_ffbh_u32_e32 v17, v11
	v_sub_nc_u32_e32 v14, v14, v16
	v_min_u32_e32 v16, 32, v17
	v_or_b32_e32 v13, v13, v14
	v_not_b32_e32 v14, v16
	v_mul_f32_e32 v17, 0x3fc90fda, v13
	v_add_lshl_u32 v15, v16, v15, 23
	v_alignbit_b32 v8, v11, v8, v14
	v_fma_f32 v11, 0x3fc90fda, v13, -v17
	v_sub_nc_u32_e32 v10, v10, v15
	v_lshrrev_b32_e32 v8, 9, v8
	v_fmamk_f32 v11, v13, 0x33a22168, v11
	v_or_b32_e32 v8, v10, v8
	v_fmac_f32_e32 v11, 0x3fc90fda, v8
	v_add_f32_e32 v8, v17, v11
.LBB52_4:
	s_andn2_saveexec_b32 s0, s7
; %bb.5:
	v_mul_f32_e64 v8, 0x3f22f983, |v6|
	v_rndne_f32_e32 v9, v8
	v_fma_f32 v8, 0xbfc90fda, v9, |v6|
	v_fmamk_f32 v8, v9, 0xb3a22168, v8
	v_fmamk_f32 v8, v9, 0xa7c234c4, v8
	v_cvt_i32_f32_e32 v9, v9
; %bb.6:
	s_or_b32 exec_lo, exec_lo, s0
	v_mul_f32_e32 v10, v8, v8
	s_mov_b32 s0, 0xb94c1982
	s_mov_b32 s1, 0x37d75334
	v_and_b32_e32 v13, 1, v9
	v_lshlrev_b32_e32 v9, 30, v9
	v_fmaak_f32 v11, s0, v10, 0x3c0881c4
	v_fmaak_f32 v12, s1, v10, 0xbab64f3b
	v_xor_b32_e32 v7, v7, v6
	v_cmp_eq_u32_e32 vcc_lo, 0, v13
	v_and_b32_e32 v9, 0x80000000, v9
	v_fmaak_f32 v11, v10, v11, 0xbe2aaa9d
	v_fmaak_f32 v12, v10, v12, 0x3d2aabf7
	v_sub_f32_e32 v1, 1.0, v1
	v_mul_f32_e32 v11, v10, v11
	v_fmaak_f32 v12, v10, v12, 0xbf000004
	v_fmac_f32_e32 v8, v8, v11
	v_fma_f32 v10, v10, v12, 1.0
	v_cndmask_b32_e32 v8, v10, v8, vcc_lo
	v_cmp_class_f32_e64 vcc_lo, v6, 0x1f8
	v_xor3_b32 v7, v7, v9, v8
	v_cndmask_b32_e32 v6, 0x7fc00000, v7, vcc_lo
	v_mul_f32_e32 v6, v6, v6
	v_div_scale_f32 v7, null, v6, v6, 0xc11de9e7
	v_div_scale_f32 v10, vcc_lo, 0xc11de9e7, v6, 0xc11de9e7
	v_rcp_f32_e32 v8, v7
	v_fma_f32 v9, -v7, v8, 1.0
	v_fmac_f32_e32 v8, v9, v8
	v_mul_f32_e32 v9, v10, v8
	v_fma_f32 v11, -v7, v9, v10
	v_fmac_f32_e32 v9, v11, v8
	v_fma_f32 v7, -v7, v9, v10
	v_div_fmas_f32 v7, v7, v8, v9
	v_div_fixup_f32 v6, v7, v6, 0xc11de9e7
	v_add_f32_e32 v7, 0, v6
	v_mov_b32_e32 v6, -1.0
.LBB52_7:
	s_or_b32 exec_lo, exec_lo, s4
	v_mov_b32_e32 v11, 0
	v_mov_b32_e32 v9, 1.0
	s_mov_b32 s4, exec_lo
	v_cmpx_gt_f32_e32 0.5, v2
	s_cbranch_execz .LBB52_13
; %bb.8:
	v_mul_f32_e32 v8, 0x40490fdb, v2
                                        ; implicit-def: $vgpr11
                                        ; implicit-def: $vgpr10
	s_mov_b32 s1, exec_lo
	v_and_b32_e32 v9, 0x7fffffff, v8
	v_cmpx_ngt_f32_e64 0x48000000, |v8|
	s_xor_b32 s7, exec_lo, s1
	s_cbranch_execz .LBB52_10
; %bb.9:
	s_mov_b32 s0, 0x7fffff
	v_mov_b32_e32 v12, 0
	v_and_or_b32 v19, v9, s0, 0x800000
	v_lshrrev_b32_e32 v17, 23, v9
	v_mad_u64_u32 v[10:11], null, 0xfe5163ab, v19, 0
	v_add_nc_u32_e32 v18, 0xffffff88, v17
	v_cmp_lt_u32_e32 vcc_lo, 63, v18
	v_mad_u64_u32 v[13:14], null, 0x3c439041, v19, v[11:12]
	v_cndmask_b32_e64 v20, 0, 0xffffffc0, vcc_lo
	v_mov_b32_e32 v11, v14
	v_add_nc_u32_e32 v20, v20, v18
	v_mad_u64_u32 v[14:15], null, 0xdb629599, v19, v[11:12]
	v_cmp_lt_u32_e64 s0, 31, v20
	v_cndmask_b32_e64 v21, 0, 0xffffffe0, s0
	v_mov_b32_e32 v11, v15
	v_cndmask_b32_e32 v10, v14, v10, vcc_lo
	v_mad_u64_u32 v[15:16], null, 0xf534ddc0, v19, v[11:12]
	v_mov_b32_e32 v11, v16
	v_cndmask_b32_e32 v13, v15, v13, vcc_lo
	v_mad_u64_u32 v[16:17], null, 0xfc2757d1, v19, v[11:12]
	v_cndmask_b32_e64 v10, v13, v10, s0
	v_mov_b32_e32 v11, v17
	v_mad_u64_u32 v[17:18], null, 0x4e441529, v19, v[11:12]
	v_mov_b32_e32 v11, v18
	v_add_nc_u32_e32 v18, v21, v20
	v_cndmask_b32_e32 v20, v17, v15, vcc_lo
	v_mad_u64_u32 v[11:12], null, 0xa2f9836e, v19, v[11:12]
	v_cmp_lt_u32_e64 s1, 31, v18
	v_cndmask_b32_e64 v19, 0, 0xffffffe0, s1
	v_cndmask_b32_e32 v11, v11, v16, vcc_lo
	v_cndmask_b32_e32 v12, v12, v17, vcc_lo
	;; [unrolled: 1-line block ×3, first 2 shown]
	v_add_nc_u32_e32 v17, v19, v18
	v_cndmask_b32_e64 v15, v11, v20, s0
	v_cndmask_b32_e64 v11, v12, v11, s0
	;; [unrolled: 1-line block ×4, first 2 shown]
	v_sub_nc_u32_e32 v18, 32, v17
	v_cmp_eq_u32_e32 vcc_lo, 0, v17
	v_cndmask_b32_e64 v11, v11, v15, s1
	v_cndmask_b32_e64 v15, v15, v12, s1
	;; [unrolled: 1-line block ×4, first 2 shown]
	v_alignbit_b32 v19, v11, v15, v18
	v_alignbit_b32 v14, v15, v12, v18
	;; [unrolled: 1-line block ×3, first 2 shown]
	v_cndmask_b32_e32 v11, v19, v11, vcc_lo
	v_cndmask_b32_e32 v13, v14, v15, vcc_lo
	;; [unrolled: 1-line block ×3, first 2 shown]
	v_bfe_u32 v14, v11, 29, 1
	v_alignbit_b32 v15, v11, v13, 30
	v_alignbit_b32 v13, v13, v12, 30
	;; [unrolled: 1-line block ×3, first 2 shown]
	v_sub_nc_u32_e32 v16, 0, v14
	v_xor_b32_e32 v15, v15, v16
	v_xor_b32_e32 v12, v13, v16
	;; [unrolled: 1-line block ×3, first 2 shown]
	v_lshrrev_b32_e32 v16, 29, v11
	v_lshrrev_b32_e32 v11, 30, v11
	v_ffbh_u32_e32 v17, v15
	v_add_nc_u32_e32 v11, v14, v11
	v_min_u32_e32 v17, 32, v17
	v_sub_nc_u32_e32 v13, 31, v17
	v_lshlrev_b32_e32 v18, 23, v17
	v_alignbit_b32 v15, v15, v12, v13
	v_alignbit_b32 v10, v12, v10, v13
	v_lshlrev_b32_e32 v12, 31, v16
	v_alignbit_b32 v13, v15, v10, 9
	v_or_b32_e32 v16, 0.5, v12
	v_lshrrev_b32_e32 v15, 9, v15
	v_or_b32_e32 v12, 0x33000000, v12
	v_ffbh_u32_e32 v19, v13
	v_sub_nc_u32_e32 v16, v16, v18
	v_min_u32_e32 v18, 32, v19
	v_or_b32_e32 v15, v15, v16
	v_not_b32_e32 v16, v18
	v_mul_f32_e32 v19, 0x3fc90fda, v15
	v_add_lshl_u32 v17, v18, v17, 23
	v_alignbit_b32 v10, v13, v10, v16
	v_fma_f32 v13, 0x3fc90fda, v15, -v19
	v_sub_nc_u32_e32 v12, v12, v17
	v_lshrrev_b32_e32 v10, 9, v10
	v_fmamk_f32 v13, v15, 0x33a22168, v13
	v_or_b32_e32 v10, v12, v10
	v_fmac_f32_e32 v13, 0x3fc90fda, v10
	v_add_f32_e32 v10, v19, v13
.LBB52_10:
	s_andn2_saveexec_b32 s0, s7
; %bb.11:
	v_mul_f32_e64 v10, 0x3f22f983, |v8|
	v_rndne_f32_e32 v11, v10
	v_fma_f32 v10, 0xbfc90fda, v11, |v8|
	v_fmamk_f32 v10, v11, 0xb3a22168, v10
	v_fmamk_f32 v10, v11, 0xa7c234c4, v10
	v_cvt_i32_f32_e32 v11, v11
; %bb.12:
	s_or_b32 exec_lo, exec_lo, s0
	v_mul_f32_e32 v12, v10, v10
	s_mov_b32 s0, 0xb94c1982
	s_mov_b32 s1, 0x37d75334
	v_and_b32_e32 v15, 1, v11
	v_lshlrev_b32_e32 v11, 30, v11
	v_fmaak_f32 v13, s0, v12, 0x3c0881c4
	v_fmaak_f32 v14, s1, v12, 0xbab64f3b
	v_xor_b32_e32 v9, v9, v8
	v_cmp_eq_u32_e32 vcc_lo, 0, v15
	v_and_b32_e32 v11, 0x80000000, v11
	v_fmaak_f32 v13, v12, v13, 0xbe2aaa9d
	v_fmaak_f32 v14, v12, v14, 0x3d2aabf7
	v_sub_f32_e32 v2, 1.0, v2
	v_mul_f32_e32 v13, v12, v13
	v_fmaak_f32 v14, v12, v14, 0xbf000004
	v_fmac_f32_e32 v10, v10, v13
	v_fma_f32 v12, v12, v14, 1.0
	v_cndmask_b32_e32 v10, v12, v10, vcc_lo
	v_cmp_class_f32_e64 vcc_lo, v8, 0x1f8
	v_xor3_b32 v9, v9, v11, v10
	v_cndmask_b32_e32 v8, 0x7fc00000, v9, vcc_lo
	v_mul_f32_e32 v8, v8, v8
	v_div_scale_f32 v9, null, v8, v8, 0xc11de9e7
	v_div_scale_f32 v12, vcc_lo, 0xc11de9e7, v8, 0xc11de9e7
	v_rcp_f32_e32 v10, v9
	v_fma_f32 v11, -v9, v10, 1.0
	v_fmac_f32_e32 v10, v11, v10
	v_mul_f32_e32 v11, v12, v10
	v_fma_f32 v13, -v9, v11, v12
	v_fmac_f32_e32 v11, v13, v10
	v_fma_f32 v9, -v9, v11, v12
	v_div_fmas_f32 v9, v9, v10, v11
	v_div_fixup_f32 v8, v9, v8, 0xc11de9e7
	v_mov_b32_e32 v9, -1.0
	v_add_f32_e32 v11, 0, v8
.LBB52_13:
	s_or_b32 exec_lo, exec_lo, s4
	v_mov_b32_e32 v13, 0
	v_mov_b32_e32 v12, 1.0
	s_mov_b32 s4, exec_lo
	v_cmpx_gt_f32_e32 0.5, v3
	s_cbranch_execz .LBB52_19
; %bb.14:
	v_mul_f32_e32 v8, 0x40490fdb, v3
                                        ; implicit-def: $vgpr13
                                        ; implicit-def: $vgpr12
	s_mov_b32 s1, exec_lo
	v_and_b32_e32 v10, 0x7fffffff, v8
	v_cmpx_ngt_f32_e64 0x48000000, |v8|
	s_xor_b32 s7, exec_lo, s1
	s_cbranch_execz .LBB52_16
; %bb.15:
	s_mov_b32 s0, 0x7fffff
	v_mov_b32_e32 v14, 0
	v_and_or_b32 v21, v10, s0, 0x800000
	v_lshrrev_b32_e32 v19, 23, v10
	v_mad_u64_u32 v[12:13], null, 0xfe5163ab, v21, 0
	v_add_nc_u32_e32 v20, 0xffffff88, v19
	v_cmp_lt_u32_e32 vcc_lo, 63, v20
	v_mad_u64_u32 v[15:16], null, 0x3c439041, v21, v[13:14]
	v_cndmask_b32_e64 v22, 0, 0xffffffc0, vcc_lo
	v_mov_b32_e32 v13, v16
	v_add_nc_u32_e32 v22, v22, v20
	v_mad_u64_u32 v[16:17], null, 0xdb629599, v21, v[13:14]
	v_cmp_lt_u32_e64 s0, 31, v22
	v_cndmask_b32_e64 v23, 0, 0xffffffe0, s0
	v_mov_b32_e32 v13, v17
	v_cndmask_b32_e32 v12, v16, v12, vcc_lo
	v_mad_u64_u32 v[17:18], null, 0xf534ddc0, v21, v[13:14]
	v_mov_b32_e32 v13, v18
	v_cndmask_b32_e32 v15, v17, v15, vcc_lo
	v_mad_u64_u32 v[18:19], null, 0xfc2757d1, v21, v[13:14]
	v_cndmask_b32_e64 v12, v15, v12, s0
	v_mov_b32_e32 v13, v19
	v_mad_u64_u32 v[19:20], null, 0x4e441529, v21, v[13:14]
	v_mov_b32_e32 v13, v20
	v_add_nc_u32_e32 v20, v23, v22
	v_cndmask_b32_e32 v22, v19, v17, vcc_lo
	v_mad_u64_u32 v[13:14], null, 0xa2f9836e, v21, v[13:14]
	v_cmp_lt_u32_e64 s1, 31, v20
	v_cndmask_b32_e64 v21, 0, 0xffffffe0, s1
	v_cndmask_b32_e32 v13, v13, v18, vcc_lo
	v_cndmask_b32_e32 v14, v14, v19, vcc_lo
	;; [unrolled: 1-line block ×3, first 2 shown]
	v_add_nc_u32_e32 v19, v21, v20
	v_cndmask_b32_e64 v17, v13, v22, s0
	v_cndmask_b32_e64 v13, v14, v13, s0
	;; [unrolled: 1-line block ×4, first 2 shown]
	v_sub_nc_u32_e32 v20, 32, v19
	v_cmp_eq_u32_e32 vcc_lo, 0, v19
	v_cndmask_b32_e64 v13, v13, v17, s1
	v_cndmask_b32_e64 v17, v17, v14, s1
	;; [unrolled: 1-line block ×4, first 2 shown]
	v_alignbit_b32 v21, v13, v17, v20
	v_alignbit_b32 v16, v17, v14, v20
	;; [unrolled: 1-line block ×3, first 2 shown]
	v_cndmask_b32_e32 v13, v21, v13, vcc_lo
	v_cndmask_b32_e32 v15, v16, v17, vcc_lo
	;; [unrolled: 1-line block ×3, first 2 shown]
	v_bfe_u32 v16, v13, 29, 1
	v_alignbit_b32 v17, v13, v15, 30
	v_alignbit_b32 v15, v15, v14, 30
	;; [unrolled: 1-line block ×3, first 2 shown]
	v_sub_nc_u32_e32 v18, 0, v16
	v_xor_b32_e32 v17, v17, v18
	v_xor_b32_e32 v14, v15, v18
	;; [unrolled: 1-line block ×3, first 2 shown]
	v_lshrrev_b32_e32 v18, 29, v13
	v_lshrrev_b32_e32 v13, 30, v13
	v_ffbh_u32_e32 v19, v17
	v_add_nc_u32_e32 v13, v16, v13
	v_min_u32_e32 v19, 32, v19
	v_sub_nc_u32_e32 v15, 31, v19
	v_lshlrev_b32_e32 v20, 23, v19
	v_alignbit_b32 v17, v17, v14, v15
	v_alignbit_b32 v12, v14, v12, v15
	v_lshlrev_b32_e32 v14, 31, v18
	v_alignbit_b32 v15, v17, v12, 9
	v_or_b32_e32 v18, 0.5, v14
	v_lshrrev_b32_e32 v17, 9, v17
	v_or_b32_e32 v14, 0x33000000, v14
	v_ffbh_u32_e32 v21, v15
	v_sub_nc_u32_e32 v18, v18, v20
	v_min_u32_e32 v20, 32, v21
	v_or_b32_e32 v17, v17, v18
	v_not_b32_e32 v18, v20
	v_mul_f32_e32 v21, 0x3fc90fda, v17
	v_add_lshl_u32 v19, v20, v19, 23
	v_alignbit_b32 v12, v15, v12, v18
	v_fma_f32 v15, 0x3fc90fda, v17, -v21
	v_sub_nc_u32_e32 v14, v14, v19
	v_lshrrev_b32_e32 v12, 9, v12
	v_fmamk_f32 v15, v17, 0x33a22168, v15
	v_or_b32_e32 v12, v14, v12
	v_fmac_f32_e32 v15, 0x3fc90fda, v12
	v_add_f32_e32 v12, v21, v15
.LBB52_16:
	s_andn2_saveexec_b32 s0, s7
; %bb.17:
	v_mul_f32_e64 v12, 0x3f22f983, |v8|
	v_rndne_f32_e32 v13, v12
	v_fma_f32 v12, 0xbfc90fda, v13, |v8|
	v_fmamk_f32 v12, v13, 0xb3a22168, v12
	v_fmamk_f32 v12, v13, 0xa7c234c4, v12
	v_cvt_i32_f32_e32 v13, v13
; %bb.18:
	s_or_b32 exec_lo, exec_lo, s0
	v_mul_f32_e32 v14, v12, v12
	s_mov_b32 s0, 0xb94c1982
	s_mov_b32 s1, 0x37d75334
	v_and_b32_e32 v17, 1, v13
	v_lshlrev_b32_e32 v13, 30, v13
	v_fmaak_f32 v15, s0, v14, 0x3c0881c4
	v_fmaak_f32 v16, s1, v14, 0xbab64f3b
	v_xor_b32_e32 v10, v10, v8
	v_cmp_eq_u32_e32 vcc_lo, 0, v17
	v_and_b32_e32 v13, 0x80000000, v13
	v_fmaak_f32 v15, v14, v15, 0xbe2aaa9d
	v_fmaak_f32 v16, v14, v16, 0x3d2aabf7
	v_sub_f32_e32 v3, 1.0, v3
	v_mul_f32_e32 v15, v14, v15
	v_fmaak_f32 v16, v14, v16, 0xbf000004
	v_fmac_f32_e32 v12, v12, v15
	v_fma_f32 v14, v14, v16, 1.0
	v_cndmask_b32_e32 v12, v14, v12, vcc_lo
	v_cmp_class_f32_e64 vcc_lo, v8, 0x1f8
	v_xor3_b32 v10, v10, v13, v12
	v_cndmask_b32_e32 v8, 0x7fc00000, v10, vcc_lo
	v_mul_f32_e32 v8, v8, v8
	v_div_scale_f32 v10, null, v8, v8, 0xc11de9e7
	v_div_scale_f32 v14, vcc_lo, 0xc11de9e7, v8, 0xc11de9e7
	v_rcp_f32_e32 v12, v10
	v_fma_f32 v13, -v10, v12, 1.0
	v_fmac_f32_e32 v12, v13, v12
	v_mul_f32_e32 v13, v14, v12
	v_fma_f32 v15, -v10, v13, v14
	v_fmac_f32_e32 v13, v15, v12
	v_fma_f32 v10, -v10, v13, v14
	v_div_fmas_f32 v10, v10, v12, v13
	v_mov_b32_e32 v12, -1.0
	v_div_fixup_f32 v8, v10, v8, 0xc11de9e7
	v_add_f32_e32 v13, 0, v8
.LBB52_19:
	s_or_b32 exec_lo, exec_lo, s4
	v_mov_b32_e32 v10, 0
	v_mov_b32_e32 v8, 1.0
	s_mov_b32 s4, exec_lo
	v_cmpx_gt_f32_e32 0.5, v4
	s_cbranch_execz .LBB52_25
; %bb.20:
	v_mul_f32_e32 v8, 0x40490fdb, v4
                                        ; implicit-def: $vgpr15
                                        ; implicit-def: $vgpr14
	s_mov_b32 s1, exec_lo
	v_and_b32_e32 v10, 0x7fffffff, v8
	v_cmpx_ngt_f32_e64 0x48000000, |v8|
	s_xor_b32 s7, exec_lo, s1
	s_cbranch_execz .LBB52_22
; %bb.21:
	s_mov_b32 s0, 0x7fffff
	v_mov_b32_e32 v16, 0
	v_and_or_b32 v23, v10, s0, 0x800000
	v_lshrrev_b32_e32 v21, 23, v10
	v_mad_u64_u32 v[14:15], null, 0xfe5163ab, v23, 0
	v_add_nc_u32_e32 v22, 0xffffff88, v21
	v_cmp_lt_u32_e32 vcc_lo, 63, v22
	v_mad_u64_u32 v[17:18], null, 0x3c439041, v23, v[15:16]
	v_cndmask_b32_e64 v24, 0, 0xffffffc0, vcc_lo
	v_mov_b32_e32 v15, v18
	v_add_nc_u32_e32 v24, v24, v22
	v_mad_u64_u32 v[18:19], null, 0xdb629599, v23, v[15:16]
	v_cmp_lt_u32_e64 s0, 31, v24
	v_cndmask_b32_e64 v25, 0, 0xffffffe0, s0
	v_mov_b32_e32 v15, v19
	v_cndmask_b32_e32 v14, v18, v14, vcc_lo
	v_mad_u64_u32 v[19:20], null, 0xf534ddc0, v23, v[15:16]
	v_mov_b32_e32 v15, v20
	v_cndmask_b32_e32 v17, v19, v17, vcc_lo
	v_mad_u64_u32 v[20:21], null, 0xfc2757d1, v23, v[15:16]
	v_cndmask_b32_e64 v14, v17, v14, s0
	v_mov_b32_e32 v15, v21
	v_mad_u64_u32 v[21:22], null, 0x4e441529, v23, v[15:16]
	v_mov_b32_e32 v15, v22
	v_add_nc_u32_e32 v22, v25, v24
	v_cndmask_b32_e32 v24, v21, v19, vcc_lo
	v_mad_u64_u32 v[15:16], null, 0xa2f9836e, v23, v[15:16]
	v_cmp_lt_u32_e64 s1, 31, v22
	v_cndmask_b32_e64 v23, 0, 0xffffffe0, s1
	v_cndmask_b32_e32 v15, v15, v20, vcc_lo
	v_cndmask_b32_e32 v16, v16, v21, vcc_lo
	;; [unrolled: 1-line block ×3, first 2 shown]
	v_add_nc_u32_e32 v21, v23, v22
	v_cndmask_b32_e64 v19, v15, v24, s0
	v_cndmask_b32_e64 v15, v16, v15, s0
	;; [unrolled: 1-line block ×4, first 2 shown]
	v_sub_nc_u32_e32 v22, 32, v21
	v_cmp_eq_u32_e32 vcc_lo, 0, v21
	v_cndmask_b32_e64 v15, v15, v19, s1
	v_cndmask_b32_e64 v19, v19, v16, s1
	;; [unrolled: 1-line block ×4, first 2 shown]
	v_alignbit_b32 v23, v15, v19, v22
	v_alignbit_b32 v18, v19, v16, v22
	;; [unrolled: 1-line block ×3, first 2 shown]
	v_cndmask_b32_e32 v15, v23, v15, vcc_lo
	v_cndmask_b32_e32 v17, v18, v19, vcc_lo
	;; [unrolled: 1-line block ×3, first 2 shown]
	v_bfe_u32 v18, v15, 29, 1
	v_alignbit_b32 v19, v15, v17, 30
	v_alignbit_b32 v17, v17, v16, 30
	;; [unrolled: 1-line block ×3, first 2 shown]
	v_sub_nc_u32_e32 v20, 0, v18
	v_xor_b32_e32 v19, v19, v20
	v_xor_b32_e32 v16, v17, v20
	;; [unrolled: 1-line block ×3, first 2 shown]
	v_lshrrev_b32_e32 v20, 29, v15
	v_lshrrev_b32_e32 v15, 30, v15
	v_ffbh_u32_e32 v21, v19
	v_add_nc_u32_e32 v15, v18, v15
	v_min_u32_e32 v21, 32, v21
	v_sub_nc_u32_e32 v17, 31, v21
	v_lshlrev_b32_e32 v22, 23, v21
	v_alignbit_b32 v19, v19, v16, v17
	v_alignbit_b32 v14, v16, v14, v17
	v_lshlrev_b32_e32 v16, 31, v20
	v_alignbit_b32 v17, v19, v14, 9
	v_or_b32_e32 v20, 0.5, v16
	v_lshrrev_b32_e32 v19, 9, v19
	v_or_b32_e32 v16, 0x33000000, v16
	v_ffbh_u32_e32 v23, v17
	v_sub_nc_u32_e32 v20, v20, v22
	v_min_u32_e32 v22, 32, v23
	v_or_b32_e32 v19, v19, v20
	v_not_b32_e32 v20, v22
	v_mul_f32_e32 v23, 0x3fc90fda, v19
	v_add_lshl_u32 v21, v22, v21, 23
	v_alignbit_b32 v14, v17, v14, v20
	v_fma_f32 v17, 0x3fc90fda, v19, -v23
	v_sub_nc_u32_e32 v16, v16, v21
	v_lshrrev_b32_e32 v14, 9, v14
	v_fmamk_f32 v17, v19, 0x33a22168, v17
	v_or_b32_e32 v14, v16, v14
	v_fmac_f32_e32 v17, 0x3fc90fda, v14
	v_add_f32_e32 v14, v23, v17
.LBB52_22:
	s_andn2_saveexec_b32 s0, s7
; %bb.23:
	v_mul_f32_e64 v14, 0x3f22f983, |v8|
	v_rndne_f32_e32 v15, v14
	v_fma_f32 v14, 0xbfc90fda, v15, |v8|
	v_fmamk_f32 v14, v15, 0xb3a22168, v14
	v_fmamk_f32 v14, v15, 0xa7c234c4, v14
	v_cvt_i32_f32_e32 v15, v15
; %bb.24:
	s_or_b32 exec_lo, exec_lo, s0
	v_mul_f32_e32 v16, v14, v14
	s_mov_b32 s0, 0xb94c1982
	s_mov_b32 s1, 0x37d75334
	v_and_b32_e32 v19, 1, v15
	v_lshlrev_b32_e32 v15, 30, v15
	v_fmaak_f32 v17, s0, v16, 0x3c0881c4
	v_fmaak_f32 v18, s1, v16, 0xbab64f3b
	v_xor_b32_e32 v10, v10, v8
	v_cmp_eq_u32_e32 vcc_lo, 0, v19
	v_and_b32_e32 v15, 0x80000000, v15
	v_fmaak_f32 v17, v16, v17, 0xbe2aaa9d
	v_fmaak_f32 v18, v16, v18, 0x3d2aabf7
	v_sub_f32_e32 v4, 1.0, v4
	v_mul_f32_e32 v17, v16, v17
	v_fmaak_f32 v18, v16, v18, 0xbf000004
	v_fmac_f32_e32 v14, v14, v17
	v_fma_f32 v16, v16, v18, 1.0
	v_cndmask_b32_e32 v14, v16, v14, vcc_lo
	v_cmp_class_f32_e64 vcc_lo, v8, 0x1f8
	v_xor3_b32 v10, v10, v15, v14
	v_cndmask_b32_e32 v8, 0x7fc00000, v10, vcc_lo
	v_mul_f32_e32 v8, v8, v8
	v_div_scale_f32 v10, null, v8, v8, 0xc11de9e7
	v_div_scale_f32 v16, vcc_lo, 0xc11de9e7, v8, 0xc11de9e7
	v_rcp_f32_e32 v14, v10
	v_fma_f32 v15, -v10, v14, 1.0
	v_fmac_f32_e32 v14, v15, v14
	v_mul_f32_e32 v15, v16, v14
	v_fma_f32 v17, -v10, v15, v16
	v_fmac_f32_e32 v15, v17, v14
	v_fma_f32 v10, -v10, v15, v16
	v_div_fmas_f32 v10, v10, v14, v15
	v_div_fixup_f32 v8, v10, v8, 0xc11de9e7
	v_add_f32_e32 v10, 0, v8
	v_mov_b32_e32 v8, -1.0
.LBB52_25:
	s_or_b32 exec_lo, exec_lo, s4
	v_mul_f32_e32 v14, v3, v3
	v_add_f32_e32 v3, 1.0, v3
	s_mov_b32 s0, 0xbcc30c31
	v_div_scale_f32 v15, null, v14, v14, 1.0
	v_rcp_f32_e32 v16, v15
	v_fma_f32 v17, -v15, v16, 1.0
	v_fmac_f32_e32 v16, v17, v16
	v_div_scale_f32 v17, vcc_lo, 1.0, v14, 1.0
	v_mul_f32_e32 v18, v17, v16
	v_fma_f32 v19, -v15, v18, v17
	v_fmac_f32_e32 v18, v19, v16
	v_fma_f32 v15, -v15, v18, v17
	v_div_fmas_f32 v15, v15, v16, v18
	v_div_fixup_f32 v14, v15, v14, 1.0
	v_add_f32_e32 v13, v13, v14
	v_mul_f32_e32 v14, v3, v3
	v_add_f32_e32 v3, 1.0, v3
	v_div_scale_f32 v15, null, v14, v14, 1.0
	v_rcp_f32_e32 v16, v15
	v_fma_f32 v17, -v15, v16, 1.0
	v_fmac_f32_e32 v16, v17, v16
	v_div_scale_f32 v17, vcc_lo, 1.0, v14, 1.0
	v_mul_f32_e32 v18, v17, v16
	v_fma_f32 v19, -v15, v18, v17
	v_fmac_f32_e32 v18, v19, v16
	v_fma_f32 v15, -v15, v18, v17
	v_div_fmas_f32 v15, v15, v16, v18
	v_div_fixup_f32 v14, v15, v14, 1.0
	v_add_f32_e32 v13, v13, v14
	v_mul_f32_e32 v14, v3, v3
	v_add_f32_e32 v3, 1.0, v3
	;; [unrolled: 14-line block ×5, first 2 shown]
	v_div_scale_f32 v15, null, v14, v14, 1.0
	v_rcp_f32_e32 v16, v15
	v_fma_f32 v17, -v15, v16, 1.0
	v_fmac_f32_e32 v16, v17, v16
	v_div_scale_f32 v17, vcc_lo, 1.0, v14, 1.0
	v_mul_f32_e32 v18, v17, v16
	v_fma_f32 v19, -v15, v18, v17
	v_fmac_f32_e32 v18, v19, v16
	v_fma_f32 v15, -v15, v18, v17
	v_div_fmas_f32 v15, v15, v16, v18
	v_div_fixup_f32 v14, v15, v14, 1.0
	v_add_f32_e32 v13, v13, v14
	v_add_f32_e32 v14, v3, v3
	v_div_scale_f32 v15, null, v14, v14, 1.0
	v_rcp_f32_e32 v16, v15
	v_fma_f32 v17, -v15, v16, 1.0
	v_fmac_f32_e32 v16, v17, v16
	v_div_scale_f32 v17, vcc_lo, 1.0, v14, 1.0
	v_mul_f32_e32 v18, v17, v16
	v_fma_f32 v19, -v15, v18, v17
	v_fmac_f32_e32 v18, v19, v16
	v_fma_f32 v15, -v15, v18, v17
	v_div_fmas_f32 v15, v15, v16, v18
	v_div_fixup_f32 v14, v15, v14, 1.0
	v_mul_f32_e32 v15, v3, v3
	v_add_f32_e32 v14, 1.0, v14
	v_div_scale_f32 v16, null, v15, v15, 1.0
	v_rcp_f32_e32 v17, v16
	v_fma_f32 v18, -v16, v17, 1.0
	v_fmac_f32_e32 v17, v18, v17
	v_div_scale_f32 v18, vcc_lo, 1.0, v15, 1.0
	v_mul_f32_e32 v19, v18, v17
	v_fma_f32 v20, -v16, v19, v18
	v_fmac_f32_e32 v19, v20, v17
	v_fma_f32 v16, -v16, v19, v18
	v_div_fmas_f32 v16, v16, v17, v19
	v_div_fixup_f32 v15, v16, v15, 1.0
	v_fmaak_f32 v16, s0, v15, 0x3d088889
	v_fma_f32 v16, -v15, v16, 0x3e2aaaab
	v_fmac_f32_e32 v14, v15, v16
	v_div_scale_f32 v15, null, v3, v3, v14
	v_rcp_f32_e32 v16, v15
	v_fma_f32 v17, -v15, v16, 1.0
	v_fmac_f32_e32 v16, v17, v16
	v_div_scale_f32 v17, vcc_lo, v14, v3, v14
	v_mul_f32_e32 v18, v17, v16
	v_fma_f32 v19, -v15, v18, v17
	v_fmac_f32_e32 v18, v19, v16
	v_fma_f32 v15, -v15, v18, v17
	v_div_fmas_f32 v15, v15, v16, v18
	v_div_fixup_f32 v3, v15, v3, v14
	v_add_f32_e32 v3, v13, v3
	v_mul_f32_e32 v3, v12, v3
	v_mul_f32_e32 v12, v2, v2
	v_add_f32_e32 v2, 1.0, v2
	v_div_scale_f32 v13, null, v12, v12, 1.0
	v_rcp_f32_e32 v14, v13
	v_fma_f32 v15, -v13, v14, 1.0
	v_fmac_f32_e32 v14, v15, v14
	v_div_scale_f32 v15, vcc_lo, 1.0, v12, 1.0
	v_mul_f32_e32 v16, v15, v14
	v_fma_f32 v17, -v13, v16, v15
	v_fmac_f32_e32 v16, v17, v14
	v_fma_f32 v13, -v13, v16, v15
	v_div_fmas_f32 v13, v13, v14, v16
	v_div_fixup_f32 v12, v13, v12, 1.0
	v_add_f32_e32 v11, v11, v12
	v_mul_f32_e32 v12, v2, v2
	v_add_f32_e32 v2, 1.0, v2
	v_div_scale_f32 v13, null, v12, v12, 1.0
	v_rcp_f32_e32 v14, v13
	v_fma_f32 v15, -v13, v14, 1.0
	v_fmac_f32_e32 v14, v15, v14
	v_div_scale_f32 v15, vcc_lo, 1.0, v12, 1.0
	v_mul_f32_e32 v16, v15, v14
	v_fma_f32 v17, -v13, v16, v15
	v_fmac_f32_e32 v16, v17, v14
	v_fma_f32 v13, -v13, v16, v15
	v_div_fmas_f32 v13, v13, v14, v16
	v_div_fixup_f32 v12, v13, v12, 1.0
	v_add_f32_e32 v11, v11, v12
	;; [unrolled: 14-line block ×6, first 2 shown]
	v_add_f32_e32 v12, v2, v2
	v_div_scale_f32 v13, null, v12, v12, 1.0
	v_rcp_f32_e32 v14, v13
	v_fma_f32 v15, -v13, v14, 1.0
	v_fmac_f32_e32 v14, v15, v14
	v_div_scale_f32 v15, vcc_lo, 1.0, v12, 1.0
	v_mul_f32_e32 v16, v15, v14
	v_fma_f32 v17, -v13, v16, v15
	v_fmac_f32_e32 v16, v17, v14
	v_fma_f32 v13, -v13, v16, v15
	v_div_fmas_f32 v13, v13, v14, v16
	v_div_fixup_f32 v12, v13, v12, 1.0
	v_mul_f32_e32 v13, v2, v2
	v_add_f32_e32 v12, 1.0, v12
	v_div_scale_f32 v14, null, v13, v13, 1.0
	v_rcp_f32_e32 v15, v14
	v_fma_f32 v16, -v14, v15, 1.0
	v_fmac_f32_e32 v15, v16, v15
	v_div_scale_f32 v16, vcc_lo, 1.0, v13, 1.0
	v_mul_f32_e32 v17, v16, v15
	v_fma_f32 v18, -v14, v17, v16
	v_fmac_f32_e32 v17, v18, v15
	v_fma_f32 v14, -v14, v17, v16
	v_div_fmas_f32 v14, v14, v15, v17
	v_div_fixup_f32 v13, v14, v13, 1.0
	v_fmaak_f32 v14, s0, v13, 0x3d088889
	v_fma_f32 v14, -v13, v14, 0x3e2aaaab
	v_fmac_f32_e32 v12, v13, v14
	v_div_scale_f32 v13, null, v2, v2, v12
	v_rcp_f32_e32 v14, v13
	v_fma_f32 v15, -v13, v14, 1.0
	v_fmac_f32_e32 v14, v15, v14
	v_div_scale_f32 v15, vcc_lo, v12, v2, v12
	v_mul_f32_e32 v16, v15, v14
	v_fma_f32 v17, -v13, v16, v15
	v_fmac_f32_e32 v16, v17, v14
	v_fma_f32 v13, -v13, v16, v15
	v_div_fmas_f32 v13, v13, v14, v16
	v_div_fixup_f32 v2, v13, v2, v12
	v_add_f32_e32 v2, v11, v2
	v_mul_f32_e32 v2, v9, v2
	v_mul_f32_e32 v9, v1, v1
	v_add_f32_e32 v1, 1.0, v1
	v_div_scale_f32 v11, null, v9, v9, 1.0
	v_rcp_f32_e32 v12, v11
	v_fma_f32 v13, -v11, v12, 1.0
	v_fmac_f32_e32 v12, v13, v12
	v_div_scale_f32 v13, vcc_lo, 1.0, v9, 1.0
	v_mul_f32_e32 v14, v13, v12
	v_fma_f32 v15, -v11, v14, v13
	v_fmac_f32_e32 v14, v15, v12
	v_fma_f32 v11, -v11, v14, v13
	v_div_fmas_f32 v11, v11, v12, v14
	v_div_fixup_f32 v9, v11, v9, 1.0
	v_add_f32_e32 v7, v7, v9
	v_mul_f32_e32 v9, v1, v1
	v_add_f32_e32 v1, 1.0, v1
	v_div_scale_f32 v11, null, v9, v9, 1.0
	v_rcp_f32_e32 v12, v11
	v_fma_f32 v13, -v11, v12, 1.0
	v_fmac_f32_e32 v12, v13, v12
	v_div_scale_f32 v13, vcc_lo, 1.0, v9, 1.0
	v_mul_f32_e32 v14, v13, v12
	v_fma_f32 v15, -v11, v14, v13
	v_fmac_f32_e32 v14, v15, v12
	v_fma_f32 v11, -v11, v14, v13
	v_div_fmas_f32 v11, v11, v12, v14
	v_div_fixup_f32 v9, v11, v9, 1.0
	v_add_f32_e32 v7, v7, v9
	v_mul_f32_e32 v9, v1, v1
	v_add_f32_e32 v1, 1.0, v1
	v_div_scale_f32 v11, null, v9, v9, 1.0
	v_rcp_f32_e32 v12, v11
	v_fma_f32 v13, -v11, v12, 1.0
	v_fmac_f32_e32 v12, v13, v12
	v_div_scale_f32 v13, vcc_lo, 1.0, v9, 1.0
	v_mul_f32_e32 v14, v13, v12
	v_fma_f32 v15, -v11, v14, v13
	v_fmac_f32_e32 v14, v15, v12
	v_fma_f32 v11, -v11, v14, v13
	v_div_fmas_f32 v11, v11, v12, v14
	v_div_fixup_f32 v9, v11, v9, 1.0
	v_add_f32_e32 v7, v7, v9
	v_mul_f32_e32 v9, v1, v1
	v_add_f32_e32 v1, 1.0, v1
	v_div_scale_f32 v11, null, v9, v9, 1.0
	v_rcp_f32_e32 v12, v11
	v_fma_f32 v13, -v11, v12, 1.0
	v_fmac_f32_e32 v12, v13, v12
	v_div_scale_f32 v13, vcc_lo, 1.0, v9, 1.0
	v_mul_f32_e32 v14, v13, v12
	v_fma_f32 v15, -v11, v14, v13
	v_fmac_f32_e32 v14, v15, v12
	v_fma_f32 v11, -v11, v14, v13
	v_div_fmas_f32 v11, v11, v12, v14
	v_div_fixup_f32 v9, v11, v9, 1.0
	v_add_f32_e32 v7, v7, v9
	v_mul_f32_e32 v9, v1, v1
	v_add_f32_e32 v1, 1.0, v1
	v_div_scale_f32 v11, null, v9, v9, 1.0
	v_rcp_f32_e32 v12, v11
	v_fma_f32 v13, -v11, v12, 1.0
	v_fmac_f32_e32 v12, v13, v12
	v_div_scale_f32 v13, vcc_lo, 1.0, v9, 1.0
	v_mul_f32_e32 v14, v13, v12
	v_fma_f32 v15, -v11, v14, v13
	v_fmac_f32_e32 v14, v15, v12
	v_fma_f32 v11, -v11, v14, v13
	v_div_fmas_f32 v11, v11, v12, v14
	v_div_fixup_f32 v9, v11, v9, 1.0
	v_add_f32_e32 v7, v7, v9
	v_mul_f32_e32 v9, v1, v1
	v_add_f32_e32 v1, 1.0, v1
	v_div_scale_f32 v11, null, v9, v9, 1.0
	v_rcp_f32_e32 v12, v11
	v_fma_f32 v13, -v11, v12, 1.0
	v_fmac_f32_e32 v12, v13, v12
	v_div_scale_f32 v13, vcc_lo, 1.0, v9, 1.0
	v_mul_f32_e32 v14, v13, v12
	v_fma_f32 v15, -v11, v14, v13
	v_fmac_f32_e32 v14, v15, v12
	v_fma_f32 v11, -v11, v14, v13
	v_div_fmas_f32 v11, v11, v12, v14
	v_div_fixup_f32 v9, v11, v9, 1.0
	v_add_f32_e32 v7, v7, v9
	v_add_f32_e32 v9, v1, v1
	v_div_scale_f32 v11, null, v9, v9, 1.0
	v_rcp_f32_e32 v12, v11
	v_fma_f32 v13, -v11, v12, 1.0
	v_fmac_f32_e32 v12, v13, v12
	v_div_scale_f32 v13, vcc_lo, 1.0, v9, 1.0
	v_mul_f32_e32 v14, v13, v12
	v_fma_f32 v15, -v11, v14, v13
	v_fmac_f32_e32 v14, v15, v12
	v_fma_f32 v11, -v11, v14, v13
	v_div_fmas_f32 v11, v11, v12, v14
	v_div_fixup_f32 v9, v11, v9, 1.0
	v_mul_f32_e32 v11, v1, v1
	v_add_f32_e32 v9, 1.0, v9
	v_div_scale_f32 v12, null, v11, v11, 1.0
	v_rcp_f32_e32 v13, v12
	v_fma_f32 v14, -v12, v13, 1.0
	v_fmac_f32_e32 v13, v14, v13
	v_div_scale_f32 v14, vcc_lo, 1.0, v11, 1.0
	v_mul_f32_e32 v15, v14, v13
	v_fma_f32 v16, -v12, v15, v14
	v_fmac_f32_e32 v15, v16, v13
	v_fma_f32 v12, -v12, v15, v14
	v_div_fmas_f32 v12, v12, v13, v15
	v_div_fixup_f32 v11, v12, v11, 1.0
	v_fmaak_f32 v12, s0, v11, 0x3d088889
	v_fma_f32 v12, -v11, v12, 0x3e2aaaab
	v_fmac_f32_e32 v9, v11, v12
	v_div_scale_f32 v11, null, v1, v1, v9
	v_rcp_f32_e32 v12, v11
	v_fma_f32 v13, -v11, v12, 1.0
	v_fmac_f32_e32 v12, v13, v12
	v_div_scale_f32 v13, vcc_lo, v9, v1, v9
	v_mul_f32_e32 v14, v13, v12
	v_fma_f32 v15, -v11, v14, v13
	v_fmac_f32_e32 v14, v15, v12
	v_fma_f32 v11, -v11, v14, v13
	v_div_fmas_f32 v11, v11, v12, v14
	v_div_fixup_f32 v1, v11, v1, v9
	v_add_f32_e32 v1, v7, v1
	v_mul_f32_e32 v1, v6, v1
	v_mul_f32_e32 v6, v4, v4
	v_add_f32_e32 v4, 1.0, v4
	v_div_scale_f32 v7, null, v6, v6, 1.0
	v_rcp_f32_e32 v9, v7
	v_fma_f32 v11, -v7, v9, 1.0
	v_fmac_f32_e32 v9, v11, v9
	v_div_scale_f32 v11, vcc_lo, 1.0, v6, 1.0
	v_mul_f32_e32 v12, v11, v9
	v_fma_f32 v13, -v7, v12, v11
	v_fmac_f32_e32 v12, v13, v9
	v_fma_f32 v7, -v7, v12, v11
	v_div_fmas_f32 v7, v7, v9, v12
	v_div_fixup_f32 v6, v7, v6, 1.0
	v_mul_f32_e32 v7, v4, v4
	v_add_f32_e32 v4, 1.0, v4
	v_add_f32_e32 v6, v10, v6
	v_div_scale_f32 v9, null, v7, v7, 1.0
	v_rcp_f32_e32 v10, v9
	v_fma_f32 v11, -v9, v10, 1.0
	v_fmac_f32_e32 v10, v11, v10
	v_div_scale_f32 v11, vcc_lo, 1.0, v7, 1.0
	v_mul_f32_e32 v12, v11, v10
	v_fma_f32 v13, -v9, v12, v11
	v_fmac_f32_e32 v12, v13, v10
	v_fma_f32 v9, -v9, v12, v11
	v_div_fmas_f32 v9, v9, v10, v12
	v_div_fixup_f32 v7, v9, v7, 1.0
	v_add_f32_e32 v6, v6, v7
	v_mul_f32_e32 v7, v4, v4
	v_add_f32_e32 v4, 1.0, v4
	v_div_scale_f32 v9, null, v7, v7, 1.0
	v_rcp_f32_e32 v10, v9
	v_fma_f32 v11, -v9, v10, 1.0
	v_fmac_f32_e32 v10, v11, v10
	v_div_scale_f32 v11, vcc_lo, 1.0, v7, 1.0
	v_mul_f32_e32 v12, v11, v10
	v_fma_f32 v13, -v9, v12, v11
	v_fmac_f32_e32 v12, v13, v10
	v_fma_f32 v9, -v9, v12, v11
	v_div_fmas_f32 v9, v9, v10, v12
	v_div_fixup_f32 v7, v9, v7, 1.0
	v_add_f32_e32 v6, v6, v7
	v_mul_f32_e32 v7, v4, v4
	v_add_f32_e32 v4, 1.0, v4
	;; [unrolled: 14-line block ×4, first 2 shown]
	v_div_scale_f32 v9, null, v7, v7, 1.0
	v_rcp_f32_e32 v10, v9
	v_fma_f32 v11, -v9, v10, 1.0
	v_fmac_f32_e32 v10, v11, v10
	v_div_scale_f32 v11, vcc_lo, 1.0, v7, 1.0
	v_mul_f32_e32 v12, v11, v10
	v_fma_f32 v13, -v9, v12, v11
	v_fmac_f32_e32 v12, v13, v10
	v_fma_f32 v9, -v9, v12, v11
	v_div_fmas_f32 v9, v9, v10, v12
	v_div_fixup_f32 v7, v9, v7, 1.0
	v_add_f32_e32 v6, v6, v7
	v_mul_f32_e32 v7, v4, v4
	v_div_scale_f32 v9, null, v7, v7, 1.0
	v_rcp_f32_e32 v10, v9
	v_fma_f32 v11, -v9, v10, 1.0
	v_fmac_f32_e32 v10, v11, v10
	v_div_scale_f32 v11, vcc_lo, 1.0, v7, 1.0
	v_mul_f32_e32 v12, v11, v10
	v_fma_f32 v13, -v9, v12, v11
	v_fmac_f32_e32 v12, v13, v10
	v_fma_f32 v9, -v9, v12, v11
	v_div_fmas_f32 v9, v9, v10, v12
	v_div_fixup_f32 v7, v9, v7, 1.0
	v_add_f32_e32 v9, v4, v4
	v_div_scale_f32 v10, null, v9, v9, 1.0
	v_rcp_f32_e32 v11, v10
	v_fma_f32 v12, -v10, v11, 1.0
	v_fmac_f32_e32 v11, v12, v11
	v_div_scale_f32 v12, vcc_lo, 1.0, v9, 1.0
	v_mul_f32_e32 v13, v12, v11
	v_fma_f32 v14, -v10, v13, v12
	v_fmac_f32_e32 v13, v14, v11
	v_fma_f32 v10, -v10, v13, v12
	v_div_fmas_f32 v10, v10, v11, v13
	v_div_fixup_f32 v9, v10, v9, 1.0
	v_fmaak_f32 v10, s0, v7, 0x3d088889
	s_add_u32 s0, s8, s2
	s_addc_u32 s1, s9, s3
	v_add_f32_e32 v9, 1.0, v9
	v_fma_f32 v10, -v7, v10, 0x3e2aaaab
	v_fmac_f32_e32 v9, v7, v10
	v_div_scale_f32 v7, null, v4, v4, v9
	v_rcp_f32_e32 v10, v7
	v_fma_f32 v11, -v7, v10, 1.0
	v_fmac_f32_e32 v10, v11, v10
	v_div_scale_f32 v11, vcc_lo, v9, v4, v9
	v_mul_f32_e32 v12, v11, v10
	v_fma_f32 v13, -v7, v12, v11
	v_fmac_f32_e32 v12, v13, v10
	v_fma_f32 v7, -v7, v12, v11
	v_div_fmas_f32 v7, v7, v10, v12
	v_div_fixup_f32 v4, v7, v4, v9
	v_add_f32_e32 v4, v6, v4
	v_mul_f32_e32 v4, v8, v4
	global_store_dwordx4 v5, v[1:4], s[0:1]
	s_mov_b32 s0, 0
.LBB52_26:
	s_and_b32 vcc_lo, exec_lo, s0
	s_cbranch_vccz .LBB52_65
; %bb.27:
	v_cmp_gt_i32_e64 s0, s5, v0
	v_mov_b32_e32 v9, 0
	v_or_b32_e32 v1, s6, v0
	v_or_b32_e32 v3, 0x100, v0
	v_mov_b32_e32 v10, 0
	v_mov_b32_e32 v4, v0
	s_and_saveexec_b32 s1, s0
	s_cbranch_execz .LBB52_29
; %bb.28:
	v_mov_b32_e32 v2, 0
	v_lshlrev_b64 v[4:5], 2, v[1:2]
	v_add_co_u32 v4, vcc_lo, s10, v4
	v_add_co_ci_u32_e64 v5, null, s11, v5, vcc_lo
	global_load_dword v10, v[4:5], off
	v_or_b32_e32 v4, 0x100, v0
.LBB52_29:
	s_or_b32 exec_lo, exec_lo, s1
	s_mov_b32 s1, exec_lo
	v_cmpx_gt_i32_e64 s5, v4
	s_cbranch_execz .LBB52_31
; %bb.30:
	v_add_nc_u32_e32 v5, s6, v4
	v_mov_b32_e32 v6, 0
	v_add_nc_u32_e32 v4, 0x100, v4
	v_lshlrev_b64 v[5:6], 2, v[5:6]
	v_add_co_u32 v5, vcc_lo, s10, v5
	v_add_co_ci_u32_e64 v6, null, s11, v6, vcc_lo
	global_load_dword v9, v[5:6], off
.LBB52_31:
	s_or_b32 exec_lo, exec_lo, s1
	v_mov_b32_e32 v2, 0
	v_mov_b32_e32 v5, 0
	s_mov_b32 s1, exec_lo
	v_cmpx_gt_i32_e64 s5, v4
	s_cbranch_execz .LBB52_33
; %bb.32:
	v_add_nc_u32_e32 v5, s6, v4
	v_mov_b32_e32 v6, 0
	v_add_nc_u32_e32 v4, 0x100, v4
	v_lshlrev_b64 v[5:6], 2, v[5:6]
	v_add_co_u32 v5, vcc_lo, s10, v5
	v_add_co_ci_u32_e64 v6, null, s11, v6, vcc_lo
	global_load_dword v5, v[5:6], off
.LBB52_33:
	s_or_b32 exec_lo, exec_lo, s1
	s_mov_b32 s1, exec_lo
	v_cmpx_gt_i32_e64 s5, v4
	s_cbranch_execz .LBB52_35
; %bb.34:
	v_add_nc_u32_e32 v6, s6, v4
	v_mov_b32_e32 v7, 0
	v_lshlrev_b64 v[6:7], 2, v[6:7]
	v_add_co_u32 v6, vcc_lo, s10, v6
	v_add_co_ci_u32_e64 v7, null, s11, v7, vcc_lo
	global_load_dword v2, v[6:7], off
.LBB52_35:
	s_or_b32 exec_lo, exec_lo, s1
	v_mov_b32_e32 v4, 0
	v_mov_b32_e32 v8, v4
	;; [unrolled: 1-line block ×4, first 2 shown]
	s_and_saveexec_b32 s7, s0
	s_cbranch_execz .LBB52_43
; %bb.36:
	v_mov_b32_e32 v6, 1.0
	s_mov_b32 s3, exec_lo
	s_waitcnt vmcnt(0)
	v_cmpx_gt_f32_e32 0.5, v10
	s_cbranch_execz .LBB52_42
; %bb.37:
	v_mul_f32_e32 v4, 0x40490fdb, v10
                                        ; implicit-def: $vgpr8
                                        ; implicit-def: $vgpr7
	s_mov_b32 s2, exec_lo
	v_and_b32_e32 v6, 0x7fffffff, v4
	v_cmpx_ngt_f32_e64 0x48000000, |v4|
	s_xor_b32 s4, exec_lo, s2
	s_cbranch_execz .LBB52_39
; %bb.38:
	s_mov_b32 s1, 0x7fffff
	v_mov_b32_e32 v12, 0
	v_and_or_b32 v19, v6, s1, 0x800000
	v_mad_u64_u32 v[7:8], null, 0xfe5163ab, v19, 0
	v_mov_b32_e32 v11, v8
	v_lshrrev_b32_e32 v8, 23, v6
	v_mad_u64_u32 v[13:14], null, 0x3c439041, v19, v[11:12]
	v_add_nc_u32_e32 v8, 0xffffff88, v8
	v_cmp_lt_u32_e32 vcc_lo, 63, v8
	v_mov_b32_e32 v11, v14
	v_cndmask_b32_e64 v18, 0, 0xffffffc0, vcc_lo
	v_mad_u64_u32 v[14:15], null, 0xdb629599, v19, v[11:12]
	v_add_nc_u32_e32 v8, v18, v8
	v_mov_b32_e32 v11, v15
	v_cmp_lt_u32_e64 s1, 31, v8
	v_cndmask_b32_e32 v7, v14, v7, vcc_lo
	v_mad_u64_u32 v[15:16], null, 0xf534ddc0, v19, v[11:12]
	v_cndmask_b32_e64 v20, 0, 0xffffffe0, s1
	v_add_nc_u32_e32 v8, v20, v8
	v_mov_b32_e32 v11, v16
	v_cndmask_b32_e32 v13, v15, v13, vcc_lo
	v_cmp_lt_u32_e64 s2, 31, v8
	v_mad_u64_u32 v[16:17], null, 0xfc2757d1, v19, v[11:12]
	v_cndmask_b32_e64 v7, v13, v7, s1
	v_mov_b32_e32 v11, v17
	v_mad_u64_u32 v[17:18], null, 0x4e441529, v19, v[11:12]
	v_mov_b32_e32 v11, v18
	v_cndmask_b32_e64 v18, 0, 0xffffffe0, s2
	v_mad_u64_u32 v[11:12], null, 0xa2f9836e, v19, v[11:12]
	v_cndmask_b32_e32 v19, v17, v15, vcc_lo
	v_add_nc_u32_e32 v8, v18, v8
	v_cndmask_b32_e32 v11, v11, v16, vcc_lo
	v_cndmask_b32_e32 v12, v12, v17, vcc_lo
	;; [unrolled: 1-line block ×3, first 2 shown]
	v_sub_nc_u32_e32 v17, 32, v8
	v_cmp_eq_u32_e32 vcc_lo, 0, v8
	v_cndmask_b32_e64 v15, v11, v19, s1
	v_cndmask_b32_e64 v11, v12, v11, s1
	;; [unrolled: 1-line block ×8, first 2 shown]
	v_alignbit_b32 v18, v11, v15, v17
	v_alignbit_b32 v14, v15, v12, v17
	;; [unrolled: 1-line block ×3, first 2 shown]
	v_cndmask_b32_e32 v8, v18, v11, vcc_lo
	v_cndmask_b32_e32 v11, v14, v15, vcc_lo
	;; [unrolled: 1-line block ×3, first 2 shown]
	v_bfe_u32 v13, v8, 29, 1
	v_alignbit_b32 v14, v8, v11, 30
	v_alignbit_b32 v11, v11, v12, 30
	;; [unrolled: 1-line block ×3, first 2 shown]
	v_sub_nc_u32_e32 v15, 0, v13
	v_xor_b32_e32 v14, v14, v15
	v_xor_b32_e32 v11, v11, v15
	;; [unrolled: 1-line block ×3, first 2 shown]
	v_lshrrev_b32_e32 v15, 29, v8
	v_lshrrev_b32_e32 v8, 30, v8
	v_ffbh_u32_e32 v16, v14
	v_add_nc_u32_e32 v8, v13, v8
	v_min_u32_e32 v16, 32, v16
	v_sub_nc_u32_e32 v12, 31, v16
	v_lshlrev_b32_e32 v17, 23, v16
	v_alignbit_b32 v14, v14, v11, v12
	v_alignbit_b32 v7, v11, v7, v12
	v_lshlrev_b32_e32 v11, 31, v15
	v_alignbit_b32 v12, v14, v7, 9
	v_or_b32_e32 v15, 0.5, v11
	v_lshrrev_b32_e32 v14, 9, v14
	v_or_b32_e32 v11, 0x33000000, v11
	v_ffbh_u32_e32 v18, v12
	v_sub_nc_u32_e32 v15, v15, v17
	v_min_u32_e32 v17, 32, v18
	v_or_b32_e32 v14, v14, v15
	v_not_b32_e32 v15, v17
	v_mul_f32_e32 v18, 0x3fc90fda, v14
	v_add_lshl_u32 v16, v17, v16, 23
	v_alignbit_b32 v7, v12, v7, v15
	v_fma_f32 v12, 0x3fc90fda, v14, -v18
	v_sub_nc_u32_e32 v11, v11, v16
	v_lshrrev_b32_e32 v7, 9, v7
	v_fmamk_f32 v12, v14, 0x33a22168, v12
	v_or_b32_e32 v7, v11, v7
	v_fmac_f32_e32 v12, 0x3fc90fda, v7
	v_add_f32_e32 v7, v18, v12
.LBB52_39:
	s_andn2_saveexec_b32 s1, s4
; %bb.40:
	v_mul_f32_e64 v7, 0x3f22f983, |v4|
	v_rndne_f32_e32 v8, v7
	v_fma_f32 v7, 0xbfc90fda, v8, |v4|
	v_fmamk_f32 v7, v8, 0xb3a22168, v7
	v_fmamk_f32 v7, v8, 0xa7c234c4, v7
	v_cvt_i32_f32_e32 v8, v8
; %bb.41:
	s_or_b32 exec_lo, exec_lo, s1
	v_mul_f32_e32 v11, v7, v7
	s_mov_b32 s1, 0xb94c1982
	s_mov_b32 s2, 0x37d75334
	v_and_b32_e32 v14, 1, v8
	v_lshlrev_b32_e32 v8, 30, v8
	v_fmaak_f32 v12, s1, v11, 0x3c0881c4
	v_fmaak_f32 v13, s2, v11, 0xbab64f3b
	v_xor_b32_e32 v6, v6, v4
	v_cmp_eq_u32_e32 vcc_lo, 0, v14
	v_and_b32_e32 v8, 0x80000000, v8
	v_fmaak_f32 v12, v11, v12, 0xbe2aaa9d
	v_fmaak_f32 v13, v11, v13, 0x3d2aabf7
	v_sub_f32_e32 v10, 1.0, v10
	v_mul_f32_e32 v12, v11, v12
	v_fmaak_f32 v13, v11, v13, 0xbf000004
	v_fmac_f32_e32 v7, v7, v12
	v_fma_f32 v11, v11, v13, 1.0
	v_cndmask_b32_e32 v7, v11, v7, vcc_lo
	v_cmp_class_f32_e64 vcc_lo, v4, 0x1f8
	v_xor3_b32 v6, v6, v8, v7
	v_cndmask_b32_e32 v4, 0x7fc00000, v6, vcc_lo
	v_mul_f32_e32 v4, v4, v4
	v_div_scale_f32 v6, null, v4, v4, 0xc11de9e7
	v_div_scale_f32 v11, vcc_lo, 0xc11de9e7, v4, 0xc11de9e7
	v_rcp_f32_e32 v7, v6
	v_fma_f32 v8, -v6, v7, 1.0
	v_fmac_f32_e32 v7, v8, v7
	v_mul_f32_e32 v8, v11, v7
	v_fma_f32 v12, -v6, v8, v11
	v_fmac_f32_e32 v8, v12, v7
	v_fma_f32 v6, -v6, v8, v11
	v_div_fmas_f32 v6, v6, v7, v8
	v_div_fixup_f32 v4, v6, v4, 0xc11de9e7
	v_mov_b32_e32 v6, -1.0
	v_add_f32_e32 v4, 0, v4
.LBB52_42:
	s_or_b32 exec_lo, exec_lo, s3
	v_add_f32_e32 v7, 1.0, v10
	v_mul_f32_e32 v8, v10, v10
	v_mul_f32_e32 v10, v7, v7
	v_add_f32_e32 v7, 1.0, v7
	v_div_scale_f32 v11, null, v8, v8, 1.0
	v_div_scale_f32 v13, vcc_lo, 1.0, v8, 1.0
	v_mul_f32_e32 v14, v7, v7
	v_div_scale_f32 v12, null, v10, v10, 1.0
	v_rcp_f32_e32 v15, v11
	v_div_scale_f32 v18, s1, 1.0, v10, 1.0
	v_div_scale_f32 v17, null, v14, v14, 1.0
	v_rcp_f32_e32 v16, v12
	v_add_f32_e32 v7, 1.0, v7
	v_div_scale_f32 v19, s2, 1.0, v14, 1.0
	v_rcp_f32_e32 v20, v17
	v_fma_f32 v22, -v11, v15, 1.0
	v_mul_f32_e32 v21, v7, v7
	v_add_f32_e32 v7, 1.0, v7
	v_fma_f32 v23, -v12, v16, 1.0
	v_fmac_f32_e32 v15, v22, v15
	v_mul_f32_e32 v25, v7, v7
	v_add_f32_e32 v7, 1.0, v7
	v_fma_f32 v22, -v17, v20, 1.0
	v_fmac_f32_e32 v16, v23, v16
	v_mul_f32_e32 v26, v13, v15
	v_div_scale_f32 v24, null, v21, v21, 1.0
	v_fmac_f32_e32 v20, v22, v20
	v_mul_f32_e32 v27, v18, v16
	v_fma_f32 v28, -v11, v26, v13
	v_add_f32_e32 v31, 1.0, v7
	v_rcp_f32_e32 v23, v24
	v_mul_f32_e32 v30, v19, v20
	v_fma_f32 v29, -v12, v27, v18
	v_fmac_f32_e32 v26, v28, v15
	v_mul_f32_e32 v7, v7, v7
	v_div_scale_f32 v22, null, v25, v25, 1.0
	v_fma_f32 v28, -v17, v30, v19
	v_fmac_f32_e32 v27, v29, v16
	v_fma_f32 v11, -v11, v26, v13
	v_mul_f32_e32 v13, v31, v31
	v_rcp_f32_e32 v29, v22
	v_fmac_f32_e32 v30, v28, v20
	v_fma_f32 v12, -v12, v27, v18
	v_div_fmas_f32 v11, v11, v15, v26
	s_mov_b32 vcc_lo, s1
	v_fma_f32 v32, -v24, v23, 1.0
	v_fma_f32 v15, -v17, v30, v19
	v_div_fmas_f32 v12, v12, v16, v27
	s_mov_b32 vcc_lo, s2
	v_div_scale_f32 v16, null, v7, v7, 1.0
	v_div_fmas_f32 v15, v15, v20, v30
	v_div_scale_f32 v17, null, v13, v13, 1.0
	v_add_f32_e32 v20, v31, v31
	v_rcp_f32_e32 v19, v16
	v_fmac_f32_e32 v23, v32, v23
	v_rcp_f32_e32 v27, v17
	v_div_scale_f32 v18, vcc_lo, 1.0, v21, 1.0
	v_div_scale_f32 v30, null, v20, v20, 1.0
	v_fma_f32 v26, -v22, v29, 1.0
	v_mul_f32_e32 v28, v18, v23
	v_div_fixup_f32 v8, v11, v8, 1.0
	v_rcp_f32_e32 v33, v30
	v_fma_f32 v32, -v16, v19, 1.0
	v_fmac_f32_e32 v29, v26, v29
	v_div_scale_f32 v26, s1, 1.0, v25, 1.0
	v_fma_f32 v35, -v17, v27, 1.0
	v_fma_f32 v34, -v24, v28, v18
	v_fmac_f32_e32 v19, v32, v19
	v_div_scale_f32 v32, s2, 1.0, v7, 1.0
	v_mul_f32_e32 v36, v26, v29
	v_fmac_f32_e32 v27, v35, v27
	v_div_scale_f32 v35, s3, 1.0, v13, 1.0
	v_fma_f32 v37, -v30, v33, 1.0
	v_fmac_f32_e32 v28, v34, v23
	v_mul_f32_e32 v38, v32, v19
	v_fma_f32 v34, -v22, v36, v26
	v_mul_f32_e32 v39, v35, v27
	v_fmac_f32_e32 v33, v37, v33
	v_div_scale_f32 v37, s4, 1.0, v20, 1.0
	v_fma_f32 v18, -v24, v28, v18
	v_fma_f32 v24, -v16, v38, v32
	v_fmac_f32_e32 v36, v34, v29
	v_fma_f32 v34, -v17, v39, v35
	v_mul_f32_e32 v40, v37, v33
	v_div_fmas_f32 v18, v18, v23, v28
	v_fmac_f32_e32 v38, v24, v19
	v_fma_f32 v22, -v22, v36, v26
	v_fmac_f32_e32 v39, v34, v27
	v_fma_f32 v23, -v30, v40, v37
	s_mov_b32 vcc_lo, s1
	v_fma_f32 v16, -v16, v38, v32
	v_div_fmas_f32 v22, v22, v29, v36
	v_fma_f32 v17, -v17, v39, v35
	v_fmac_f32_e32 v40, v23, v33
	s_mov_b32 vcc_lo, s2
	s_mov_b32 s1, 0xbcc30c31
	v_div_fmas_f32 v16, v16, v19, v38
	s_mov_b32 vcc_lo, s3
	v_fma_f32 v19, -v30, v40, v37
	v_div_fmas_f32 v17, v17, v27, v39
	s_mov_b32 vcc_lo, s4
	v_add_f32_e32 v4, v4, v8
	v_div_fixup_f32 v8, v12, v10, 1.0
	v_div_fmas_f32 v19, v19, v33, v40
	v_div_fixup_f32 v13, v17, v13, 1.0
	v_div_fixup_f32 v7, v16, v7, 1.0
	v_add_f32_e32 v4, v4, v8
	v_div_fixup_f32 v17, v19, v20, 1.0
	v_fmaak_f32 v19, s1, v13, 0x3d088889
	v_div_fixup_f32 v8, v15, v14, 1.0
	v_add_f32_e32 v17, 1.0, v17
	v_fma_f32 v19, -v13, v19, 0x3e2aaaab
	v_add_f32_e32 v4, v4, v8
	v_div_fixup_f32 v8, v18, v21, 1.0
	v_fmac_f32_e32 v17, v13, v19
	v_add_f32_e32 v4, v4, v8
	v_div_fixup_f32 v8, v22, v25, 1.0
	v_div_scale_f32 v13, null, v31, v31, v17
	v_div_scale_f32 v10, vcc_lo, v17, v31, v17
	v_add_f32_e32 v4, v4, v8
	v_rcp_f32_e32 v19, v13
	v_add_f32_e32 v4, v4, v7
	v_fma_f32 v11, -v13, v19, 1.0
	v_fmac_f32_e32 v19, v11, v19
	v_mul_f32_e32 v11, v10, v19
	v_fma_f32 v12, -v13, v11, v10
	v_fmac_f32_e32 v11, v12, v19
	v_fma_f32 v10, -v13, v11, v10
	v_div_fmas_f32 v8, v10, v19, v11
	v_div_fixup_f32 v7, v8, v31, v17
	v_mov_b32_e32 v8, 0
	v_add_f32_e32 v4, v4, v7
	v_mov_b32_e32 v7, v8
	v_mul_f32_e32 v4, v6, v4
	v_mov_b32_e32 v6, v8
.LBB52_43:
	s_or_b32 exec_lo, exec_lo, s7
	s_mov_b32 s7, exec_lo
	v_cmpx_gt_i32_e64 s5, v3
	s_cbranch_execz .LBB52_51
; %bb.44:
	s_waitcnt vmcnt(0)
	v_mov_b32_e32 v10, 0
	v_mov_b32_e32 v8, 1.0
	s_mov_b32 s3, exec_lo
	v_cmpx_gt_f32_e32 0.5, v9
	s_cbranch_execz .LBB52_50
; %bb.45:
	v_mul_f32_e32 v8, 0x40490fdb, v9
                                        ; implicit-def: $vgpr12
                                        ; implicit-def: $vgpr11
	s_mov_b32 s2, exec_lo
	v_and_b32_e32 v10, 0x7fffffff, v8
	v_cmpx_ngt_f32_e64 0x48000000, |v8|
	s_xor_b32 s4, exec_lo, s2
	s_cbranch_execz .LBB52_47
; %bb.46:
	s_mov_b32 s1, 0x7fffff
	v_mov_b32_e32 v13, 0
	v_and_or_b32 v20, v10, s1, 0x800000
	v_lshrrev_b32_e32 v18, 23, v10
	v_mad_u64_u32 v[11:12], null, 0xfe5163ab, v20, 0
	v_add_nc_u32_e32 v19, 0xffffff88, v18
	v_cmp_lt_u32_e32 vcc_lo, 63, v19
	v_mad_u64_u32 v[14:15], null, 0x3c439041, v20, v[12:13]
	v_cndmask_b32_e64 v21, 0, 0xffffffc0, vcc_lo
	v_mov_b32_e32 v12, v15
	v_add_nc_u32_e32 v21, v21, v19
	v_mad_u64_u32 v[15:16], null, 0xdb629599, v20, v[12:13]
	v_cmp_lt_u32_e64 s1, 31, v21
	v_cndmask_b32_e64 v22, 0, 0xffffffe0, s1
	v_mov_b32_e32 v12, v16
	v_cndmask_b32_e32 v11, v15, v11, vcc_lo
	v_mad_u64_u32 v[16:17], null, 0xf534ddc0, v20, v[12:13]
	v_mov_b32_e32 v12, v17
	v_cndmask_b32_e32 v14, v16, v14, vcc_lo
	v_mad_u64_u32 v[17:18], null, 0xfc2757d1, v20, v[12:13]
	v_cndmask_b32_e64 v11, v14, v11, s1
	v_mov_b32_e32 v12, v18
	v_mad_u64_u32 v[18:19], null, 0x4e441529, v20, v[12:13]
	v_mov_b32_e32 v12, v19
	v_add_nc_u32_e32 v19, v22, v21
	v_cndmask_b32_e32 v21, v18, v16, vcc_lo
	v_mad_u64_u32 v[12:13], null, 0xa2f9836e, v20, v[12:13]
	v_cmp_lt_u32_e64 s2, 31, v19
	v_cndmask_b32_e64 v20, 0, 0xffffffe0, s2
	v_cndmask_b32_e32 v12, v12, v17, vcc_lo
	v_cndmask_b32_e32 v13, v13, v18, vcc_lo
	v_cndmask_b32_e32 v17, v17, v15, vcc_lo
	v_add_nc_u32_e32 v18, v20, v19
	v_cndmask_b32_e64 v16, v12, v21, s1
	v_cndmask_b32_e64 v12, v13, v12, s1
	v_cndmask_b32_e64 v13, v21, v17, s1
	v_cndmask_b32_e64 v17, v17, v14, s1
	v_sub_nc_u32_e32 v19, 32, v18
	v_cmp_eq_u32_e32 vcc_lo, 0, v18
	v_cndmask_b32_e64 v12, v12, v16, s2
	v_cndmask_b32_e64 v16, v16, v13, s2
	;; [unrolled: 1-line block ×4, first 2 shown]
	v_alignbit_b32 v20, v12, v16, v19
	v_alignbit_b32 v15, v16, v13, v19
	;; [unrolled: 1-line block ×3, first 2 shown]
	v_cndmask_b32_e32 v12, v20, v12, vcc_lo
	v_cndmask_b32_e32 v14, v15, v16, vcc_lo
	;; [unrolled: 1-line block ×3, first 2 shown]
	v_bfe_u32 v15, v12, 29, 1
	v_alignbit_b32 v16, v12, v14, 30
	v_alignbit_b32 v14, v14, v13, 30
	v_alignbit_b32 v11, v13, v11, 30
	v_sub_nc_u32_e32 v17, 0, v15
	v_xor_b32_e32 v16, v16, v17
	v_xor_b32_e32 v13, v14, v17
	;; [unrolled: 1-line block ×3, first 2 shown]
	v_lshrrev_b32_e32 v17, 29, v12
	v_lshrrev_b32_e32 v12, 30, v12
	v_ffbh_u32_e32 v18, v16
	v_add_nc_u32_e32 v12, v15, v12
	v_min_u32_e32 v18, 32, v18
	v_sub_nc_u32_e32 v14, 31, v18
	v_lshlrev_b32_e32 v19, 23, v18
	v_alignbit_b32 v16, v16, v13, v14
	v_alignbit_b32 v11, v13, v11, v14
	v_lshlrev_b32_e32 v13, 31, v17
	v_alignbit_b32 v14, v16, v11, 9
	v_or_b32_e32 v17, 0.5, v13
	v_lshrrev_b32_e32 v16, 9, v16
	v_or_b32_e32 v13, 0x33000000, v13
	v_ffbh_u32_e32 v20, v14
	v_sub_nc_u32_e32 v17, v17, v19
	v_min_u32_e32 v19, 32, v20
	v_or_b32_e32 v16, v16, v17
	v_not_b32_e32 v17, v19
	v_mul_f32_e32 v20, 0x3fc90fda, v16
	v_add_lshl_u32 v18, v19, v18, 23
	v_alignbit_b32 v11, v14, v11, v17
	v_fma_f32 v14, 0x3fc90fda, v16, -v20
	v_sub_nc_u32_e32 v13, v13, v18
	v_lshrrev_b32_e32 v11, 9, v11
	v_fmamk_f32 v14, v16, 0x33a22168, v14
	v_or_b32_e32 v11, v13, v11
	v_fmac_f32_e32 v14, 0x3fc90fda, v11
	v_add_f32_e32 v11, v20, v14
.LBB52_47:
	s_andn2_saveexec_b32 s1, s4
; %bb.48:
	v_mul_f32_e64 v11, 0x3f22f983, |v8|
	v_rndne_f32_e32 v12, v11
	v_fma_f32 v11, 0xbfc90fda, v12, |v8|
	v_fmamk_f32 v11, v12, 0xb3a22168, v11
	v_fmamk_f32 v11, v12, 0xa7c234c4, v11
	v_cvt_i32_f32_e32 v12, v12
; %bb.49:
	s_or_b32 exec_lo, exec_lo, s1
	v_mul_f32_e32 v13, v11, v11
	s_mov_b32 s1, 0xb94c1982
	s_mov_b32 s2, 0x37d75334
	v_and_b32_e32 v16, 1, v12
	v_lshlrev_b32_e32 v12, 30, v12
	v_fmaak_f32 v14, s1, v13, 0x3c0881c4
	v_fmaak_f32 v15, s2, v13, 0xbab64f3b
	v_xor_b32_e32 v10, v10, v8
	v_cmp_eq_u32_e32 vcc_lo, 0, v16
	v_and_b32_e32 v12, 0x80000000, v12
	v_fmaak_f32 v14, v13, v14, 0xbe2aaa9d
	v_fmaak_f32 v15, v13, v15, 0x3d2aabf7
	v_sub_f32_e32 v9, 1.0, v9
	v_mul_f32_e32 v14, v13, v14
	v_fmaak_f32 v15, v13, v15, 0xbf000004
	v_fmac_f32_e32 v11, v11, v14
	v_fma_f32 v13, v13, v15, 1.0
	v_cndmask_b32_e32 v11, v13, v11, vcc_lo
	v_cmp_class_f32_e64 vcc_lo, v8, 0x1f8
	v_xor3_b32 v10, v10, v12, v11
	v_cndmask_b32_e32 v8, 0x7fc00000, v10, vcc_lo
	v_mul_f32_e32 v8, v8, v8
	v_div_scale_f32 v10, null, v8, v8, 0xc11de9e7
	v_div_scale_f32 v13, vcc_lo, 0xc11de9e7, v8, 0xc11de9e7
	v_rcp_f32_e32 v11, v10
	v_fma_f32 v12, -v10, v11, 1.0
	v_fmac_f32_e32 v11, v12, v11
	v_mul_f32_e32 v12, v13, v11
	v_fma_f32 v14, -v10, v12, v13
	v_fmac_f32_e32 v12, v14, v11
	v_fma_f32 v10, -v10, v12, v13
	v_div_fmas_f32 v10, v10, v11, v12
	v_div_fixup_f32 v8, v10, v8, 0xc11de9e7
	v_add_f32_e32 v10, 0, v8
	v_mov_b32_e32 v8, -1.0
.LBB52_50:
	s_or_b32 exec_lo, exec_lo, s3
	v_add_f32_e32 v11, 1.0, v9
	v_mul_f32_e32 v9, v9, v9
	v_mul_f32_e32 v12, v11, v11
	v_add_f32_e32 v11, 1.0, v11
	v_div_scale_f32 v13, null, v9, v9, 1.0
	v_div_scale_f32 v15, vcc_lo, 1.0, v9, 1.0
	v_mul_f32_e32 v16, v11, v11
	v_div_scale_f32 v14, null, v12, v12, 1.0
	v_rcp_f32_e32 v17, v13
	v_div_scale_f32 v20, s1, 1.0, v12, 1.0
	v_div_scale_f32 v19, null, v16, v16, 1.0
	v_rcp_f32_e32 v18, v14
	v_add_f32_e32 v11, 1.0, v11
	v_div_scale_f32 v21, s2, 1.0, v16, 1.0
	v_rcp_f32_e32 v22, v19
	v_fma_f32 v24, -v13, v17, 1.0
	v_mul_f32_e32 v23, v11, v11
	v_add_f32_e32 v11, 1.0, v11
	v_fma_f32 v25, -v14, v18, 1.0
	v_fmac_f32_e32 v17, v24, v17
	v_mul_f32_e32 v27, v11, v11
	v_add_f32_e32 v11, 1.0, v11
	v_fma_f32 v24, -v19, v22, 1.0
	v_fmac_f32_e32 v18, v25, v18
	v_mul_f32_e32 v28, v15, v17
	v_div_scale_f32 v26, null, v23, v23, 1.0
	v_fmac_f32_e32 v22, v24, v22
	v_mul_f32_e32 v29, v20, v18
	v_fma_f32 v30, -v13, v28, v15
	v_add_f32_e32 v33, 1.0, v11
	v_rcp_f32_e32 v25, v26
	v_mul_f32_e32 v32, v21, v22
	v_fma_f32 v31, -v14, v29, v20
	v_fmac_f32_e32 v28, v30, v17
	v_mul_f32_e32 v11, v11, v11
	v_div_scale_f32 v24, null, v27, v27, 1.0
	v_fma_f32 v30, -v19, v32, v21
	v_fmac_f32_e32 v29, v31, v18
	v_fma_f32 v13, -v13, v28, v15
	v_mul_f32_e32 v15, v33, v33
	v_rcp_f32_e32 v31, v24
	v_fmac_f32_e32 v32, v30, v22
	v_fma_f32 v14, -v14, v29, v20
	v_div_fmas_f32 v13, v13, v17, v28
	s_mov_b32 vcc_lo, s1
	v_fma_f32 v34, -v26, v25, 1.0
	v_fma_f32 v17, -v19, v32, v21
	v_div_fmas_f32 v14, v14, v18, v29
	s_mov_b32 vcc_lo, s2
	v_div_scale_f32 v18, null, v11, v11, 1.0
	v_div_fmas_f32 v17, v17, v22, v32
	v_div_scale_f32 v19, null, v15, v15, 1.0
	v_add_f32_e32 v22, v33, v33
	v_rcp_f32_e32 v21, v18
	v_fmac_f32_e32 v25, v34, v25
	v_rcp_f32_e32 v29, v19
	v_div_scale_f32 v20, vcc_lo, 1.0, v23, 1.0
	v_div_scale_f32 v32, null, v22, v22, 1.0
	v_fma_f32 v28, -v24, v31, 1.0
	v_mul_f32_e32 v30, v20, v25
	v_div_fixup_f32 v9, v13, v9, 1.0
	v_rcp_f32_e32 v35, v32
	v_fma_f32 v34, -v18, v21, 1.0
	v_fmac_f32_e32 v31, v28, v31
	v_div_scale_f32 v28, s1, 1.0, v27, 1.0
	v_fma_f32 v37, -v19, v29, 1.0
	v_fma_f32 v36, -v26, v30, v20
	v_fmac_f32_e32 v21, v34, v21
	v_div_scale_f32 v34, s2, 1.0, v11, 1.0
	v_mul_f32_e32 v38, v28, v31
	v_fmac_f32_e32 v29, v37, v29
	v_div_scale_f32 v37, s3, 1.0, v15, 1.0
	v_fma_f32 v39, -v32, v35, 1.0
	v_fmac_f32_e32 v30, v36, v25
	v_mul_f32_e32 v40, v34, v21
	v_fma_f32 v36, -v24, v38, v28
	v_mul_f32_e32 v41, v37, v29
	v_fmac_f32_e32 v35, v39, v35
	v_div_scale_f32 v39, s4, 1.0, v22, 1.0
	v_fma_f32 v20, -v26, v30, v20
	v_fma_f32 v26, -v18, v40, v34
	v_fmac_f32_e32 v38, v36, v31
	v_fma_f32 v36, -v19, v41, v37
	v_mul_f32_e32 v42, v39, v35
	v_div_fmas_f32 v20, v20, v25, v30
	v_fmac_f32_e32 v40, v26, v21
	v_fma_f32 v24, -v24, v38, v28
	v_fmac_f32_e32 v41, v36, v29
	v_fma_f32 v25, -v32, v42, v39
	s_mov_b32 vcc_lo, s1
	v_fma_f32 v18, -v18, v40, v34
	v_div_fmas_f32 v24, v24, v31, v38
	v_fma_f32 v19, -v19, v41, v37
	v_fmac_f32_e32 v42, v25, v35
	s_mov_b32 vcc_lo, s2
	s_mov_b32 s1, 0xbcc30c31
	v_div_fmas_f32 v18, v18, v21, v40
	s_mov_b32 vcc_lo, s3
	v_fma_f32 v21, -v32, v42, v39
	v_div_fmas_f32 v19, v19, v29, v41
	s_mov_b32 vcc_lo, s4
	v_add_f32_e32 v9, v10, v9
	v_div_fixup_f32 v10, v14, v12, 1.0
	v_div_fmas_f32 v21, v21, v35, v42
	v_div_fixup_f32 v15, v19, v15, 1.0
	v_add_f32_e32 v9, v9, v10
	v_div_fixup_f32 v19, v21, v22, 1.0
	v_fmaak_f32 v21, s1, v15, 0x3d088889
	v_div_fixup_f32 v10, v17, v16, 1.0
	v_add_f32_e32 v19, 1.0, v19
	v_fma_f32 v21, -v15, v21, 0x3e2aaaab
	v_add_f32_e32 v9, v9, v10
	v_div_fixup_f32 v10, v20, v23, 1.0
	v_fmac_f32_e32 v19, v15, v21
	v_add_f32_e32 v9, v9, v10
	v_div_fixup_f32 v10, v24, v27, 1.0
	v_div_scale_f32 v15, null, v33, v33, v19
	v_div_scale_f32 v12, vcc_lo, v19, v33, v19
	v_add_f32_e32 v9, v9, v10
	v_rcp_f32_e32 v21, v15
	v_div_fixup_f32 v10, v18, v11, 1.0
	v_add_f32_e32 v9, v9, v10
	v_fma_f32 v13, -v15, v21, 1.0
	v_fmac_f32_e32 v21, v13, v21
	v_mul_f32_e32 v13, v12, v21
	v_fma_f32 v14, -v15, v13, v12
	v_fmac_f32_e32 v13, v14, v21
	v_fma_f32 v12, -v15, v13, v12
	v_div_fmas_f32 v11, v12, v21, v13
	v_div_fixup_f32 v10, v11, v33, v19
	v_add_f32_e32 v9, v9, v10
	v_mul_f32_e32 v8, v8, v9
.LBB52_51:
	s_or_b32 exec_lo, exec_lo, s7
	s_waitcnt vmcnt(0)
	v_or_b32_e32 v9, 0x200, v0
	s_mov_b32 s7, exec_lo
	v_cmpx_gt_i32_e64 s5, v9
	s_cbranch_execz .LBB52_59
; %bb.52:
	v_mov_b32_e32 v9, 0
	v_mov_b32_e32 v7, 1.0
	s_mov_b32 s3, exec_lo
	v_cmpx_gt_f32_e32 0.5, v5
	s_cbranch_execz .LBB52_58
; %bb.53:
	v_mul_f32_e32 v7, 0x40490fdb, v5
                                        ; implicit-def: $vgpr11
                                        ; implicit-def: $vgpr10
	s_mov_b32 s2, exec_lo
	v_and_b32_e32 v9, 0x7fffffff, v7
	v_cmpx_ngt_f32_e64 0x48000000, |v7|
	s_xor_b32 s4, exec_lo, s2
	s_cbranch_execz .LBB52_55
; %bb.54:
	s_mov_b32 s1, 0x7fffff
	v_mov_b32_e32 v12, 0
	v_and_or_b32 v19, v9, s1, 0x800000
	v_lshrrev_b32_e32 v17, 23, v9
	v_mad_u64_u32 v[10:11], null, 0xfe5163ab, v19, 0
	v_add_nc_u32_e32 v18, 0xffffff88, v17
	v_cmp_lt_u32_e32 vcc_lo, 63, v18
	v_mad_u64_u32 v[13:14], null, 0x3c439041, v19, v[11:12]
	v_cndmask_b32_e64 v20, 0, 0xffffffc0, vcc_lo
	v_mov_b32_e32 v11, v14
	v_add_nc_u32_e32 v20, v20, v18
	v_mad_u64_u32 v[14:15], null, 0xdb629599, v19, v[11:12]
	v_cmp_lt_u32_e64 s1, 31, v20
	v_cndmask_b32_e64 v21, 0, 0xffffffe0, s1
	v_mov_b32_e32 v11, v15
	v_cndmask_b32_e32 v10, v14, v10, vcc_lo
	v_mad_u64_u32 v[15:16], null, 0xf534ddc0, v19, v[11:12]
	v_mov_b32_e32 v11, v16
	v_cndmask_b32_e32 v13, v15, v13, vcc_lo
	v_mad_u64_u32 v[16:17], null, 0xfc2757d1, v19, v[11:12]
	v_cndmask_b32_e64 v10, v13, v10, s1
	v_mov_b32_e32 v11, v17
	v_mad_u64_u32 v[17:18], null, 0x4e441529, v19, v[11:12]
	v_mov_b32_e32 v11, v18
	v_add_nc_u32_e32 v18, v21, v20
	v_cndmask_b32_e32 v20, v17, v15, vcc_lo
	v_mad_u64_u32 v[11:12], null, 0xa2f9836e, v19, v[11:12]
	v_cmp_lt_u32_e64 s2, 31, v18
	v_cndmask_b32_e64 v19, 0, 0xffffffe0, s2
	v_cndmask_b32_e32 v11, v11, v16, vcc_lo
	v_cndmask_b32_e32 v12, v12, v17, vcc_lo
	;; [unrolled: 1-line block ×3, first 2 shown]
	v_add_nc_u32_e32 v17, v19, v18
	v_cndmask_b32_e64 v15, v11, v20, s1
	v_cndmask_b32_e64 v11, v12, v11, s1
	;; [unrolled: 1-line block ×4, first 2 shown]
	v_sub_nc_u32_e32 v18, 32, v17
	v_cmp_eq_u32_e32 vcc_lo, 0, v17
	v_cndmask_b32_e64 v11, v11, v15, s2
	v_cndmask_b32_e64 v15, v15, v12, s2
	;; [unrolled: 1-line block ×4, first 2 shown]
	v_alignbit_b32 v19, v11, v15, v18
	v_alignbit_b32 v14, v15, v12, v18
	;; [unrolled: 1-line block ×3, first 2 shown]
	v_cndmask_b32_e32 v11, v19, v11, vcc_lo
	v_cndmask_b32_e32 v13, v14, v15, vcc_lo
	;; [unrolled: 1-line block ×3, first 2 shown]
	v_bfe_u32 v14, v11, 29, 1
	v_alignbit_b32 v15, v11, v13, 30
	v_alignbit_b32 v13, v13, v12, 30
	;; [unrolled: 1-line block ×3, first 2 shown]
	v_sub_nc_u32_e32 v16, 0, v14
	v_xor_b32_e32 v15, v15, v16
	v_xor_b32_e32 v12, v13, v16
	;; [unrolled: 1-line block ×3, first 2 shown]
	v_lshrrev_b32_e32 v16, 29, v11
	v_lshrrev_b32_e32 v11, 30, v11
	v_ffbh_u32_e32 v17, v15
	v_add_nc_u32_e32 v11, v14, v11
	v_min_u32_e32 v17, 32, v17
	v_sub_nc_u32_e32 v13, 31, v17
	v_lshlrev_b32_e32 v18, 23, v17
	v_alignbit_b32 v15, v15, v12, v13
	v_alignbit_b32 v10, v12, v10, v13
	v_lshlrev_b32_e32 v12, 31, v16
	v_alignbit_b32 v13, v15, v10, 9
	v_or_b32_e32 v16, 0.5, v12
	v_lshrrev_b32_e32 v15, 9, v15
	v_or_b32_e32 v12, 0x33000000, v12
	v_ffbh_u32_e32 v19, v13
	v_sub_nc_u32_e32 v16, v16, v18
	v_min_u32_e32 v18, 32, v19
	v_or_b32_e32 v15, v15, v16
	v_not_b32_e32 v16, v18
	v_mul_f32_e32 v19, 0x3fc90fda, v15
	v_add_lshl_u32 v17, v18, v17, 23
	v_alignbit_b32 v10, v13, v10, v16
	v_fma_f32 v13, 0x3fc90fda, v15, -v19
	v_sub_nc_u32_e32 v12, v12, v17
	v_lshrrev_b32_e32 v10, 9, v10
	v_fmamk_f32 v13, v15, 0x33a22168, v13
	v_or_b32_e32 v10, v12, v10
	v_fmac_f32_e32 v13, 0x3fc90fda, v10
	v_add_f32_e32 v10, v19, v13
.LBB52_55:
	s_andn2_saveexec_b32 s1, s4
; %bb.56:
	v_mul_f32_e64 v10, 0x3f22f983, |v7|
	v_rndne_f32_e32 v11, v10
	v_fma_f32 v10, 0xbfc90fda, v11, |v7|
	v_fmamk_f32 v10, v11, 0xb3a22168, v10
	v_fmamk_f32 v10, v11, 0xa7c234c4, v10
	v_cvt_i32_f32_e32 v11, v11
; %bb.57:
	s_or_b32 exec_lo, exec_lo, s1
	v_mul_f32_e32 v12, v10, v10
	s_mov_b32 s1, 0xb94c1982
	s_mov_b32 s2, 0x37d75334
	v_and_b32_e32 v15, 1, v11
	v_lshlrev_b32_e32 v11, 30, v11
	v_fmaak_f32 v13, s1, v12, 0x3c0881c4
	v_fmaak_f32 v14, s2, v12, 0xbab64f3b
	v_xor_b32_e32 v9, v9, v7
	v_cmp_eq_u32_e32 vcc_lo, 0, v15
	v_and_b32_e32 v11, 0x80000000, v11
	v_fmaak_f32 v13, v12, v13, 0xbe2aaa9d
	v_fmaak_f32 v14, v12, v14, 0x3d2aabf7
	v_sub_f32_e32 v5, 1.0, v5
	v_mul_f32_e32 v13, v12, v13
	v_fmaak_f32 v14, v12, v14, 0xbf000004
	v_fmac_f32_e32 v10, v10, v13
	v_fma_f32 v12, v12, v14, 1.0
	v_cndmask_b32_e32 v10, v12, v10, vcc_lo
	v_cmp_class_f32_e64 vcc_lo, v7, 0x1f8
	v_xor3_b32 v9, v9, v11, v10
	v_cndmask_b32_e32 v7, 0x7fc00000, v9, vcc_lo
	v_mul_f32_e32 v7, v7, v7
	v_div_scale_f32 v9, null, v7, v7, 0xc11de9e7
	v_div_scale_f32 v12, vcc_lo, 0xc11de9e7, v7, 0xc11de9e7
	v_rcp_f32_e32 v10, v9
	v_fma_f32 v11, -v9, v10, 1.0
	v_fmac_f32_e32 v10, v11, v10
	v_mul_f32_e32 v11, v12, v10
	v_fma_f32 v13, -v9, v11, v12
	v_fmac_f32_e32 v11, v13, v10
	v_fma_f32 v9, -v9, v11, v12
	v_div_fmas_f32 v9, v9, v10, v11
	v_div_fixup_f32 v7, v9, v7, 0xc11de9e7
	v_add_f32_e32 v9, 0, v7
	v_mov_b32_e32 v7, -1.0
.LBB52_58:
	s_or_b32 exec_lo, exec_lo, s3
	v_add_f32_e32 v10, 1.0, v5
	v_mul_f32_e32 v5, v5, v5
	v_mul_f32_e32 v11, v10, v10
	v_add_f32_e32 v10, 1.0, v10
	v_div_scale_f32 v12, null, v5, v5, 1.0
	v_div_scale_f32 v14, vcc_lo, 1.0, v5, 1.0
	v_mul_f32_e32 v15, v10, v10
	v_div_scale_f32 v13, null, v11, v11, 1.0
	v_rcp_f32_e32 v16, v12
	v_div_scale_f32 v19, s1, 1.0, v11, 1.0
	v_div_scale_f32 v18, null, v15, v15, 1.0
	v_rcp_f32_e32 v17, v13
	v_add_f32_e32 v10, 1.0, v10
	v_div_scale_f32 v20, s2, 1.0, v15, 1.0
	v_rcp_f32_e32 v21, v18
	v_fma_f32 v23, -v12, v16, 1.0
	v_mul_f32_e32 v22, v10, v10
	v_add_f32_e32 v10, 1.0, v10
	v_fma_f32 v24, -v13, v17, 1.0
	v_fmac_f32_e32 v16, v23, v16
	v_mul_f32_e32 v26, v10, v10
	v_add_f32_e32 v10, 1.0, v10
	v_fma_f32 v23, -v18, v21, 1.0
	v_fmac_f32_e32 v17, v24, v17
	v_mul_f32_e32 v27, v14, v16
	v_div_scale_f32 v25, null, v22, v22, 1.0
	v_fmac_f32_e32 v21, v23, v21
	v_mul_f32_e32 v28, v19, v17
	v_fma_f32 v29, -v12, v27, v14
	v_add_f32_e32 v32, 1.0, v10
	v_rcp_f32_e32 v24, v25
	v_mul_f32_e32 v31, v20, v21
	v_fma_f32 v30, -v13, v28, v19
	v_fmac_f32_e32 v27, v29, v16
	v_mul_f32_e32 v10, v10, v10
	v_div_scale_f32 v23, null, v26, v26, 1.0
	v_fma_f32 v29, -v18, v31, v20
	v_fmac_f32_e32 v28, v30, v17
	v_fma_f32 v12, -v12, v27, v14
	v_mul_f32_e32 v14, v32, v32
	v_rcp_f32_e32 v30, v23
	v_fmac_f32_e32 v31, v29, v21
	v_fma_f32 v13, -v13, v28, v19
	v_div_fmas_f32 v12, v12, v16, v27
	s_mov_b32 vcc_lo, s1
	v_fma_f32 v33, -v25, v24, 1.0
	v_fma_f32 v16, -v18, v31, v20
	v_div_fmas_f32 v13, v13, v17, v28
	s_mov_b32 vcc_lo, s2
	v_div_scale_f32 v17, null, v10, v10, 1.0
	v_div_fmas_f32 v16, v16, v21, v31
	v_div_scale_f32 v18, null, v14, v14, 1.0
	v_add_f32_e32 v21, v32, v32
	v_rcp_f32_e32 v20, v17
	v_fmac_f32_e32 v24, v33, v24
	v_rcp_f32_e32 v28, v18
	v_div_scale_f32 v19, vcc_lo, 1.0, v22, 1.0
	v_div_scale_f32 v31, null, v21, v21, 1.0
	v_fma_f32 v27, -v23, v30, 1.0
	v_mul_f32_e32 v29, v19, v24
	v_div_fixup_f32 v5, v12, v5, 1.0
	v_rcp_f32_e32 v34, v31
	v_fma_f32 v33, -v17, v20, 1.0
	v_fmac_f32_e32 v30, v27, v30
	v_div_scale_f32 v27, s1, 1.0, v26, 1.0
	v_fma_f32 v36, -v18, v28, 1.0
	v_fma_f32 v35, -v25, v29, v19
	v_fmac_f32_e32 v20, v33, v20
	v_div_scale_f32 v33, s2, 1.0, v10, 1.0
	v_mul_f32_e32 v37, v27, v30
	v_fmac_f32_e32 v28, v36, v28
	v_div_scale_f32 v36, s3, 1.0, v14, 1.0
	v_fma_f32 v38, -v31, v34, 1.0
	v_fmac_f32_e32 v29, v35, v24
	v_mul_f32_e32 v39, v33, v20
	v_fma_f32 v35, -v23, v37, v27
	v_mul_f32_e32 v40, v36, v28
	v_fmac_f32_e32 v34, v38, v34
	v_div_scale_f32 v38, s4, 1.0, v21, 1.0
	v_fma_f32 v19, -v25, v29, v19
	v_fma_f32 v25, -v17, v39, v33
	v_fmac_f32_e32 v37, v35, v30
	v_fma_f32 v35, -v18, v40, v36
	v_mul_f32_e32 v41, v38, v34
	v_div_fmas_f32 v19, v19, v24, v29
	v_fmac_f32_e32 v39, v25, v20
	v_fma_f32 v23, -v23, v37, v27
	v_fmac_f32_e32 v40, v35, v28
	v_fma_f32 v24, -v31, v41, v38
	s_mov_b32 vcc_lo, s1
	v_fma_f32 v17, -v17, v39, v33
	v_div_fmas_f32 v23, v23, v30, v37
	v_fma_f32 v18, -v18, v40, v36
	v_fmac_f32_e32 v41, v24, v34
	s_mov_b32 vcc_lo, s2
	s_mov_b32 s1, 0xbcc30c31
	v_div_fmas_f32 v17, v17, v20, v39
	s_mov_b32 vcc_lo, s3
	v_fma_f32 v20, -v31, v41, v38
	v_div_fmas_f32 v18, v18, v28, v40
	s_mov_b32 vcc_lo, s4
	v_add_f32_e32 v5, v9, v5
	v_div_fixup_f32 v9, v13, v11, 1.0
	v_div_fmas_f32 v20, v20, v34, v41
	v_div_fixup_f32 v14, v18, v14, 1.0
	v_add_f32_e32 v5, v5, v9
	v_div_fixup_f32 v18, v20, v21, 1.0
	v_fmaak_f32 v20, s1, v14, 0x3d088889
	v_div_fixup_f32 v9, v16, v15, 1.0
	v_add_f32_e32 v18, 1.0, v18
	v_fma_f32 v20, -v14, v20, 0x3e2aaaab
	v_add_f32_e32 v5, v5, v9
	v_div_fixup_f32 v9, v19, v22, 1.0
	v_fmac_f32_e32 v18, v14, v20
	v_add_f32_e32 v5, v5, v9
	v_div_fixup_f32 v9, v23, v26, 1.0
	v_div_scale_f32 v14, null, v32, v32, v18
	v_div_scale_f32 v11, vcc_lo, v18, v32, v18
	v_add_f32_e32 v5, v5, v9
	v_rcp_f32_e32 v20, v14
	v_div_fixup_f32 v9, v17, v10, 1.0
	v_add_f32_e32 v5, v5, v9
	v_fma_f32 v12, -v14, v20, 1.0
	v_fmac_f32_e32 v20, v12, v20
	v_mul_f32_e32 v12, v11, v20
	v_fma_f32 v13, -v14, v12, v11
	v_fmac_f32_e32 v12, v13, v20
	v_fma_f32 v11, -v14, v12, v11
	v_div_fmas_f32 v10, v11, v20, v12
	v_div_fixup_f32 v9, v10, v32, v18
	v_add_f32_e32 v5, v5, v9
	v_mul_f32_e32 v7, v7, v5
.LBB52_59:
	s_or_b32 exec_lo, exec_lo, s7
	v_or_b32_e32 v5, 0x300, v0
	s_mov_b32 s7, exec_lo
	v_cmpx_gt_i32_e64 s5, v5
	s_cbranch_execnz .LBB52_66
; %bb.60:
	s_or_b32 exec_lo, exec_lo, s7
	s_and_saveexec_b32 s1, s0
	s_xor_b32 s0, exec_lo, s1
	s_cbranch_execnz .LBB52_73
.LBB52_61:
	s_or_b32 exec_lo, exec_lo, s0
	s_mov_b32 s0, exec_lo
	v_cmpx_gt_i32_e64 s5, v0
	s_cbranch_execnz .LBB52_74
.LBB52_62:
	s_or_b32 exec_lo, exec_lo, s0
	s_mov_b32 s0, exec_lo
	v_cmpx_gt_i32_e64 s5, v0
	s_cbranch_execnz .LBB52_75
.LBB52_63:
	s_or_b32 exec_lo, exec_lo, s0
	s_mov_b32 s0, exec_lo
	v_cmpx_gt_i32_e64 s5, v0
	s_cbranch_execz .LBB52_65
.LBB52_64:
	v_add_nc_u32_e32 v0, s6, v0
	v_mov_b32_e32 v1, 0
	v_lshlrev_b64 v[0:1], 2, v[0:1]
	v_add_co_u32 v0, vcc_lo, s8, v0
	v_add_co_ci_u32_e64 v1, null, s9, v1, vcc_lo
	global_store_dword v[0:1], v6, off
.LBB52_65:
	s_endpgm
.LBB52_66:
	v_mov_b32_e32 v6, 0
	v_mov_b32_e32 v5, 1.0
	s_mov_b32 s3, exec_lo
	v_cmpx_gt_f32_e32 0.5, v2
	s_cbranch_execz .LBB52_72
; %bb.67:
	v_mul_f32_e32 v5, 0x40490fdb, v2
                                        ; implicit-def: $vgpr10
                                        ; implicit-def: $vgpr9
	s_mov_b32 s2, exec_lo
	v_and_b32_e32 v6, 0x7fffffff, v5
	v_cmpx_ngt_f32_e64 0x48000000, |v5|
	s_xor_b32 s4, exec_lo, s2
	s_cbranch_execz .LBB52_69
; %bb.68:
	s_mov_b32 s1, 0x7fffff
	v_mov_b32_e32 v11, 0
	v_and_or_b32 v18, v6, s1, 0x800000
	v_lshrrev_b32_e32 v16, 23, v6
	v_mad_u64_u32 v[9:10], null, 0xfe5163ab, v18, 0
	v_add_nc_u32_e32 v17, 0xffffff88, v16
	v_cmp_lt_u32_e32 vcc_lo, 63, v17
	v_mad_u64_u32 v[12:13], null, 0x3c439041, v18, v[10:11]
	v_cndmask_b32_e64 v19, 0, 0xffffffc0, vcc_lo
	v_mov_b32_e32 v10, v13
	v_add_nc_u32_e32 v19, v19, v17
	v_mad_u64_u32 v[13:14], null, 0xdb629599, v18, v[10:11]
	v_cmp_lt_u32_e64 s1, 31, v19
	v_cndmask_b32_e64 v20, 0, 0xffffffe0, s1
	v_mov_b32_e32 v10, v14
	v_cndmask_b32_e32 v9, v13, v9, vcc_lo
	v_mad_u64_u32 v[14:15], null, 0xf534ddc0, v18, v[10:11]
	v_mov_b32_e32 v10, v15
	v_cndmask_b32_e32 v12, v14, v12, vcc_lo
	v_mad_u64_u32 v[15:16], null, 0xfc2757d1, v18, v[10:11]
	v_cndmask_b32_e64 v9, v12, v9, s1
	v_mov_b32_e32 v10, v16
	v_mad_u64_u32 v[16:17], null, 0x4e441529, v18, v[10:11]
	v_mov_b32_e32 v10, v17
	v_add_nc_u32_e32 v17, v20, v19
	v_cndmask_b32_e32 v19, v16, v14, vcc_lo
	v_mad_u64_u32 v[10:11], null, 0xa2f9836e, v18, v[10:11]
	v_cmp_lt_u32_e64 s2, 31, v17
	v_cndmask_b32_e64 v18, 0, 0xffffffe0, s2
	v_cndmask_b32_e32 v10, v10, v15, vcc_lo
	v_cndmask_b32_e32 v11, v11, v16, vcc_lo
	;; [unrolled: 1-line block ×3, first 2 shown]
	v_add_nc_u32_e32 v16, v18, v17
	v_cndmask_b32_e64 v14, v10, v19, s1
	v_cndmask_b32_e64 v10, v11, v10, s1
	;; [unrolled: 1-line block ×4, first 2 shown]
	v_sub_nc_u32_e32 v17, 32, v16
	v_cmp_eq_u32_e32 vcc_lo, 0, v16
	v_cndmask_b32_e64 v10, v10, v14, s2
	v_cndmask_b32_e64 v14, v14, v11, s2
	;; [unrolled: 1-line block ×4, first 2 shown]
	v_alignbit_b32 v18, v10, v14, v17
	v_alignbit_b32 v13, v14, v11, v17
	;; [unrolled: 1-line block ×3, first 2 shown]
	v_cndmask_b32_e32 v10, v18, v10, vcc_lo
	v_cndmask_b32_e32 v12, v13, v14, vcc_lo
	;; [unrolled: 1-line block ×3, first 2 shown]
	v_bfe_u32 v13, v10, 29, 1
	v_alignbit_b32 v14, v10, v12, 30
	v_alignbit_b32 v12, v12, v11, 30
	;; [unrolled: 1-line block ×3, first 2 shown]
	v_sub_nc_u32_e32 v15, 0, v13
	v_xor_b32_e32 v14, v14, v15
	v_xor_b32_e32 v11, v12, v15
	;; [unrolled: 1-line block ×3, first 2 shown]
	v_lshrrev_b32_e32 v15, 29, v10
	v_lshrrev_b32_e32 v10, 30, v10
	v_ffbh_u32_e32 v16, v14
	v_add_nc_u32_e32 v10, v13, v10
	v_min_u32_e32 v16, 32, v16
	v_sub_nc_u32_e32 v12, 31, v16
	v_lshlrev_b32_e32 v17, 23, v16
	v_alignbit_b32 v14, v14, v11, v12
	v_alignbit_b32 v9, v11, v9, v12
	v_lshlrev_b32_e32 v11, 31, v15
	v_alignbit_b32 v12, v14, v9, 9
	v_or_b32_e32 v15, 0.5, v11
	v_lshrrev_b32_e32 v14, 9, v14
	v_or_b32_e32 v11, 0x33000000, v11
	v_ffbh_u32_e32 v18, v12
	v_sub_nc_u32_e32 v15, v15, v17
	v_min_u32_e32 v17, 32, v18
	v_or_b32_e32 v14, v14, v15
	v_not_b32_e32 v15, v17
	v_mul_f32_e32 v18, 0x3fc90fda, v14
	v_add_lshl_u32 v16, v17, v16, 23
	v_alignbit_b32 v9, v12, v9, v15
	v_fma_f32 v12, 0x3fc90fda, v14, -v18
	v_sub_nc_u32_e32 v11, v11, v16
	v_lshrrev_b32_e32 v9, 9, v9
	v_fmamk_f32 v12, v14, 0x33a22168, v12
	v_or_b32_e32 v9, v11, v9
	v_fmac_f32_e32 v12, 0x3fc90fda, v9
	v_add_f32_e32 v9, v18, v12
.LBB52_69:
	s_andn2_saveexec_b32 s1, s4
; %bb.70:
	v_mul_f32_e64 v9, 0x3f22f983, |v5|
	v_rndne_f32_e32 v10, v9
	v_fma_f32 v9, 0xbfc90fda, v10, |v5|
	v_fmamk_f32 v9, v10, 0xb3a22168, v9
	v_fmamk_f32 v9, v10, 0xa7c234c4, v9
	v_cvt_i32_f32_e32 v10, v10
; %bb.71:
	s_or_b32 exec_lo, exec_lo, s1
	v_mul_f32_e32 v11, v9, v9
	s_mov_b32 s1, 0xb94c1982
	s_mov_b32 s2, 0x37d75334
	v_and_b32_e32 v14, 1, v10
	v_lshlrev_b32_e32 v10, 30, v10
	v_fmaak_f32 v12, s1, v11, 0x3c0881c4
	v_fmaak_f32 v13, s2, v11, 0xbab64f3b
	v_xor_b32_e32 v6, v6, v5
	v_cmp_eq_u32_e32 vcc_lo, 0, v14
	v_and_b32_e32 v10, 0x80000000, v10
	v_fmaak_f32 v12, v11, v12, 0xbe2aaa9d
	v_fmaak_f32 v13, v11, v13, 0x3d2aabf7
	v_sub_f32_e32 v2, 1.0, v2
	v_mul_f32_e32 v12, v11, v12
	v_fmaak_f32 v13, v11, v13, 0xbf000004
	v_fmac_f32_e32 v9, v9, v12
	v_fma_f32 v11, v11, v13, 1.0
	v_cndmask_b32_e32 v9, v11, v9, vcc_lo
	v_cmp_class_f32_e64 vcc_lo, v5, 0x1f8
	v_xor3_b32 v6, v6, v10, v9
	v_cndmask_b32_e32 v5, 0x7fc00000, v6, vcc_lo
	v_mul_f32_e32 v5, v5, v5
	v_div_scale_f32 v6, null, v5, v5, 0xc11de9e7
	v_div_scale_f32 v11, vcc_lo, 0xc11de9e7, v5, 0xc11de9e7
	v_rcp_f32_e32 v9, v6
	v_fma_f32 v10, -v6, v9, 1.0
	v_fmac_f32_e32 v9, v10, v9
	v_mul_f32_e32 v10, v11, v9
	v_fma_f32 v12, -v6, v10, v11
	v_fmac_f32_e32 v10, v12, v9
	v_fma_f32 v6, -v6, v10, v11
	v_div_fmas_f32 v6, v6, v9, v10
	v_div_fixup_f32 v5, v6, v5, 0xc11de9e7
	v_add_f32_e32 v6, 0, v5
	v_mov_b32_e32 v5, -1.0
.LBB52_72:
	s_or_b32 exec_lo, exec_lo, s3
	v_add_f32_e32 v9, 1.0, v2
	v_mul_f32_e32 v2, v2, v2
	v_mul_f32_e32 v10, v9, v9
	v_add_f32_e32 v9, 1.0, v9
	v_div_scale_f32 v11, null, v2, v2, 1.0
	v_div_scale_f32 v13, vcc_lo, 1.0, v2, 1.0
	v_mul_f32_e32 v14, v9, v9
	v_div_scale_f32 v12, null, v10, v10, 1.0
	v_rcp_f32_e32 v15, v11
	v_div_scale_f32 v18, s1, 1.0, v10, 1.0
	v_div_scale_f32 v17, null, v14, v14, 1.0
	v_rcp_f32_e32 v16, v12
	v_add_f32_e32 v9, 1.0, v9
	v_div_scale_f32 v19, s2, 1.0, v14, 1.0
	v_rcp_f32_e32 v20, v17
	v_fma_f32 v22, -v11, v15, 1.0
	v_mul_f32_e32 v21, v9, v9
	v_add_f32_e32 v9, 1.0, v9
	v_fma_f32 v23, -v12, v16, 1.0
	v_fmac_f32_e32 v15, v22, v15
	v_mul_f32_e32 v25, v9, v9
	v_add_f32_e32 v9, 1.0, v9
	v_fma_f32 v22, -v17, v20, 1.0
	v_fmac_f32_e32 v16, v23, v16
	v_mul_f32_e32 v26, v13, v15
	v_div_scale_f32 v24, null, v21, v21, 1.0
	v_fmac_f32_e32 v20, v22, v20
	v_mul_f32_e32 v27, v18, v16
	v_fma_f32 v28, -v11, v26, v13
	v_add_f32_e32 v31, 1.0, v9
	v_rcp_f32_e32 v23, v24
	v_mul_f32_e32 v30, v19, v20
	v_fma_f32 v29, -v12, v27, v18
	v_fmac_f32_e32 v26, v28, v15
	v_mul_f32_e32 v9, v9, v9
	v_div_scale_f32 v22, null, v25, v25, 1.0
	v_fma_f32 v28, -v17, v30, v19
	v_fmac_f32_e32 v27, v29, v16
	v_fma_f32 v11, -v11, v26, v13
	v_mul_f32_e32 v13, v31, v31
	v_rcp_f32_e32 v29, v22
	v_fmac_f32_e32 v30, v28, v20
	v_fma_f32 v12, -v12, v27, v18
	v_div_fmas_f32 v11, v11, v15, v26
	s_mov_b32 vcc_lo, s1
	v_fma_f32 v32, -v24, v23, 1.0
	v_fma_f32 v15, -v17, v30, v19
	v_div_fmas_f32 v12, v12, v16, v27
	s_mov_b32 vcc_lo, s2
	v_div_scale_f32 v16, null, v9, v9, 1.0
	v_div_fmas_f32 v15, v15, v20, v30
	v_div_scale_f32 v17, null, v13, v13, 1.0
	v_add_f32_e32 v20, v31, v31
	v_rcp_f32_e32 v19, v16
	v_fmac_f32_e32 v23, v32, v23
	v_rcp_f32_e32 v27, v17
	v_div_scale_f32 v18, vcc_lo, 1.0, v21, 1.0
	v_div_scale_f32 v30, null, v20, v20, 1.0
	v_fma_f32 v26, -v22, v29, 1.0
	v_mul_f32_e32 v28, v18, v23
	v_div_fixup_f32 v2, v11, v2, 1.0
	v_rcp_f32_e32 v33, v30
	v_fma_f32 v32, -v16, v19, 1.0
	v_fmac_f32_e32 v29, v26, v29
	v_div_scale_f32 v26, s1, 1.0, v25, 1.0
	v_fma_f32 v35, -v17, v27, 1.0
	v_fma_f32 v34, -v24, v28, v18
	v_fmac_f32_e32 v19, v32, v19
	v_div_scale_f32 v32, s2, 1.0, v9, 1.0
	v_mul_f32_e32 v36, v26, v29
	v_fmac_f32_e32 v27, v35, v27
	v_div_scale_f32 v35, s3, 1.0, v13, 1.0
	v_fma_f32 v37, -v30, v33, 1.0
	v_fmac_f32_e32 v28, v34, v23
	v_mul_f32_e32 v38, v32, v19
	v_fma_f32 v34, -v22, v36, v26
	v_mul_f32_e32 v39, v35, v27
	v_fmac_f32_e32 v33, v37, v33
	v_div_scale_f32 v37, s4, 1.0, v20, 1.0
	v_fma_f32 v18, -v24, v28, v18
	v_fma_f32 v24, -v16, v38, v32
	v_fmac_f32_e32 v36, v34, v29
	v_fma_f32 v34, -v17, v39, v35
	v_mul_f32_e32 v40, v37, v33
	v_div_fmas_f32 v18, v18, v23, v28
	v_fmac_f32_e32 v38, v24, v19
	v_fma_f32 v22, -v22, v36, v26
	v_fmac_f32_e32 v39, v34, v27
	v_fma_f32 v23, -v30, v40, v37
	s_mov_b32 vcc_lo, s1
	v_fma_f32 v16, -v16, v38, v32
	v_div_fmas_f32 v22, v22, v29, v36
	v_fma_f32 v17, -v17, v39, v35
	v_fmac_f32_e32 v40, v23, v33
	s_mov_b32 vcc_lo, s2
	s_mov_b32 s1, 0xbcc30c31
	v_div_fmas_f32 v16, v16, v19, v38
	s_mov_b32 vcc_lo, s3
	v_fma_f32 v19, -v30, v40, v37
	v_div_fmas_f32 v17, v17, v27, v39
	s_mov_b32 vcc_lo, s4
	v_add_f32_e32 v2, v6, v2
	v_div_fixup_f32 v6, v12, v10, 1.0
	v_div_fmas_f32 v19, v19, v33, v40
	v_div_fixup_f32 v13, v17, v13, 1.0
	v_add_f32_e32 v2, v2, v6
	v_div_fixup_f32 v17, v19, v20, 1.0
	v_fmaak_f32 v19, s1, v13, 0x3d088889
	v_div_fixup_f32 v6, v15, v14, 1.0
	v_add_f32_e32 v17, 1.0, v17
	v_fma_f32 v19, -v13, v19, 0x3e2aaaab
	v_add_f32_e32 v2, v2, v6
	v_div_fixup_f32 v6, v18, v21, 1.0
	v_fmac_f32_e32 v17, v13, v19
	v_add_f32_e32 v2, v2, v6
	v_div_fixup_f32 v6, v22, v25, 1.0
	v_div_scale_f32 v13, null, v31, v31, v17
	v_div_scale_f32 v10, vcc_lo, v17, v31, v17
	v_add_f32_e32 v2, v2, v6
	v_rcp_f32_e32 v19, v13
	v_div_fixup_f32 v6, v16, v9, 1.0
	v_add_f32_e32 v2, v2, v6
	v_fma_f32 v11, -v13, v19, 1.0
	v_fmac_f32_e32 v19, v11, v19
	v_mul_f32_e32 v11, v10, v19
	v_fma_f32 v12, -v13, v11, v10
	v_fmac_f32_e32 v11, v12, v19
	v_fma_f32 v10, -v13, v11, v10
	v_div_fmas_f32 v9, v10, v19, v11
	v_div_fixup_f32 v6, v9, v31, v17
	v_add_f32_e32 v2, v2, v6
	v_mul_f32_e32 v6, v5, v2
	s_or_b32 exec_lo, exec_lo, s7
	s_and_saveexec_b32 s1, s0
	s_xor_b32 s0, exec_lo, s1
	s_cbranch_execz .LBB52_61
.LBB52_73:
	v_mov_b32_e32 v2, 0
	v_lshlrev_b64 v[0:1], 2, v[1:2]
	v_add_co_u32 v9, vcc_lo, s8, v0
	v_add_co_ci_u32_e64 v10, null, s9, v1, vcc_lo
	v_mov_b32_e32 v0, v3
	global_store_dword v[9:10], v4, off
	s_or_b32 exec_lo, exec_lo, s0
	s_mov_b32 s0, exec_lo
	v_cmpx_gt_i32_e64 s5, v0
	s_cbranch_execz .LBB52_62
.LBB52_74:
	v_add_nc_u32_e32 v1, s6, v0
	v_mov_b32_e32 v2, 0
	v_add_nc_u32_e32 v0, 0x100, v0
	v_lshlrev_b64 v[1:2], 2, v[1:2]
	v_add_co_u32 v1, vcc_lo, s8, v1
	v_add_co_ci_u32_e64 v2, null, s9, v2, vcc_lo
	global_store_dword v[1:2], v8, off
	s_or_b32 exec_lo, exec_lo, s0
	s_mov_b32 s0, exec_lo
	v_cmpx_gt_i32_e64 s5, v0
	s_cbranch_execz .LBB52_63
.LBB52_75:
	v_add_nc_u32_e32 v1, s6, v0
	v_mov_b32_e32 v2, 0
	v_add_nc_u32_e32 v0, 0x100, v0
	v_lshlrev_b64 v[1:2], 2, v[1:2]
	v_add_co_u32 v1, vcc_lo, s8, v1
	v_add_co_ci_u32_e64 v2, null, s9, v2, vcc_lo
	global_store_dword v[1:2], v7, off
	s_or_b32 exec_lo, exec_lo, s0
	s_mov_b32 s0, exec_lo
	v_cmpx_gt_i32_e64 s5, v0
	s_cbranch_execnz .LBB52_64
	s_branch .LBB52_65
	.section	.rodata,"a",@progbits
	.p2align	6, 0x0
	.amdhsa_kernel _ZN2at6native29vectorized_elementwise_kernelILi4EZZZNS0_20trigamma_kernel_cudaERNS_18TensorIteratorBaseEENKUlvE_clEvENKUlvE0_clEvEUlfE_St5arrayIPcLm2EEEEviT0_T1_
		.amdhsa_group_segment_fixed_size 0
		.amdhsa_private_segment_fixed_size 0
		.amdhsa_kernarg_size 24
		.amdhsa_user_sgpr_count 6
		.amdhsa_user_sgpr_private_segment_buffer 1
		.amdhsa_user_sgpr_dispatch_ptr 0
		.amdhsa_user_sgpr_queue_ptr 0
		.amdhsa_user_sgpr_kernarg_segment_ptr 1
		.amdhsa_user_sgpr_dispatch_id 0
		.amdhsa_user_sgpr_flat_scratch_init 0
		.amdhsa_user_sgpr_private_segment_size 0
		.amdhsa_wavefront_size32 1
		.amdhsa_uses_dynamic_stack 0
		.amdhsa_system_sgpr_private_segment_wavefront_offset 0
		.amdhsa_system_sgpr_workgroup_id_x 1
		.amdhsa_system_sgpr_workgroup_id_y 0
		.amdhsa_system_sgpr_workgroup_id_z 0
		.amdhsa_system_sgpr_workgroup_info 0
		.amdhsa_system_vgpr_workitem_id 0
		.amdhsa_next_free_vgpr 43
		.amdhsa_next_free_sgpr 12
		.amdhsa_reserve_vcc 1
		.amdhsa_reserve_flat_scratch 0
		.amdhsa_float_round_mode_32 0
		.amdhsa_float_round_mode_16_64 0
		.amdhsa_float_denorm_mode_32 3
		.amdhsa_float_denorm_mode_16_64 3
		.amdhsa_dx10_clamp 1
		.amdhsa_ieee_mode 1
		.amdhsa_fp16_overflow 0
		.amdhsa_workgroup_processor_mode 1
		.amdhsa_memory_ordered 1
		.amdhsa_forward_progress 1
		.amdhsa_shared_vgpr_count 0
		.amdhsa_exception_fp_ieee_invalid_op 0
		.amdhsa_exception_fp_denorm_src 0
		.amdhsa_exception_fp_ieee_div_zero 0
		.amdhsa_exception_fp_ieee_overflow 0
		.amdhsa_exception_fp_ieee_underflow 0
		.amdhsa_exception_fp_ieee_inexact 0
		.amdhsa_exception_int_div_zero 0
	.end_amdhsa_kernel
	.section	.text._ZN2at6native29vectorized_elementwise_kernelILi4EZZZNS0_20trigamma_kernel_cudaERNS_18TensorIteratorBaseEENKUlvE_clEvENKUlvE0_clEvEUlfE_St5arrayIPcLm2EEEEviT0_T1_,"axG",@progbits,_ZN2at6native29vectorized_elementwise_kernelILi4EZZZNS0_20trigamma_kernel_cudaERNS_18TensorIteratorBaseEENKUlvE_clEvENKUlvE0_clEvEUlfE_St5arrayIPcLm2EEEEviT0_T1_,comdat
.Lfunc_end52:
	.size	_ZN2at6native29vectorized_elementwise_kernelILi4EZZZNS0_20trigamma_kernel_cudaERNS_18TensorIteratorBaseEENKUlvE_clEvENKUlvE0_clEvEUlfE_St5arrayIPcLm2EEEEviT0_T1_, .Lfunc_end52-_ZN2at6native29vectorized_elementwise_kernelILi4EZZZNS0_20trigamma_kernel_cudaERNS_18TensorIteratorBaseEENKUlvE_clEvENKUlvE0_clEvEUlfE_St5arrayIPcLm2EEEEviT0_T1_
                                        ; -- End function
	.set _ZN2at6native29vectorized_elementwise_kernelILi4EZZZNS0_20trigamma_kernel_cudaERNS_18TensorIteratorBaseEENKUlvE_clEvENKUlvE0_clEvEUlfE_St5arrayIPcLm2EEEEviT0_T1_.num_vgpr, 43
	.set _ZN2at6native29vectorized_elementwise_kernelILi4EZZZNS0_20trigamma_kernel_cudaERNS_18TensorIteratorBaseEENKUlvE_clEvENKUlvE0_clEvEUlfE_St5arrayIPcLm2EEEEviT0_T1_.num_agpr, 0
	.set _ZN2at6native29vectorized_elementwise_kernelILi4EZZZNS0_20trigamma_kernel_cudaERNS_18TensorIteratorBaseEENKUlvE_clEvENKUlvE0_clEvEUlfE_St5arrayIPcLm2EEEEviT0_T1_.numbered_sgpr, 12
	.set _ZN2at6native29vectorized_elementwise_kernelILi4EZZZNS0_20trigamma_kernel_cudaERNS_18TensorIteratorBaseEENKUlvE_clEvENKUlvE0_clEvEUlfE_St5arrayIPcLm2EEEEviT0_T1_.num_named_barrier, 0
	.set _ZN2at6native29vectorized_elementwise_kernelILi4EZZZNS0_20trigamma_kernel_cudaERNS_18TensorIteratorBaseEENKUlvE_clEvENKUlvE0_clEvEUlfE_St5arrayIPcLm2EEEEviT0_T1_.private_seg_size, 0
	.set _ZN2at6native29vectorized_elementwise_kernelILi4EZZZNS0_20trigamma_kernel_cudaERNS_18TensorIteratorBaseEENKUlvE_clEvENKUlvE0_clEvEUlfE_St5arrayIPcLm2EEEEviT0_T1_.uses_vcc, 1
	.set _ZN2at6native29vectorized_elementwise_kernelILi4EZZZNS0_20trigamma_kernel_cudaERNS_18TensorIteratorBaseEENKUlvE_clEvENKUlvE0_clEvEUlfE_St5arrayIPcLm2EEEEviT0_T1_.uses_flat_scratch, 0
	.set _ZN2at6native29vectorized_elementwise_kernelILi4EZZZNS0_20trigamma_kernel_cudaERNS_18TensorIteratorBaseEENKUlvE_clEvENKUlvE0_clEvEUlfE_St5arrayIPcLm2EEEEviT0_T1_.has_dyn_sized_stack, 0
	.set _ZN2at6native29vectorized_elementwise_kernelILi4EZZZNS0_20trigamma_kernel_cudaERNS_18TensorIteratorBaseEENKUlvE_clEvENKUlvE0_clEvEUlfE_St5arrayIPcLm2EEEEviT0_T1_.has_recursion, 0
	.set _ZN2at6native29vectorized_elementwise_kernelILi4EZZZNS0_20trigamma_kernel_cudaERNS_18TensorIteratorBaseEENKUlvE_clEvENKUlvE0_clEvEUlfE_St5arrayIPcLm2EEEEviT0_T1_.has_indirect_call, 0
	.section	.AMDGPU.csdata,"",@progbits
; Kernel info:
; codeLenInByte = 14368
; TotalNumSgprs: 14
; NumVgprs: 43
; ScratchSize: 0
; MemoryBound: 0
; FloatMode: 240
; IeeeMode: 1
; LDSByteSize: 0 bytes/workgroup (compile time only)
; SGPRBlocks: 0
; VGPRBlocks: 5
; NumSGPRsForWavesPerEU: 14
; NumVGPRsForWavesPerEU: 43
; Occupancy: 16
; WaveLimiterHint : 0
; COMPUTE_PGM_RSRC2:SCRATCH_EN: 0
; COMPUTE_PGM_RSRC2:USER_SGPR: 6
; COMPUTE_PGM_RSRC2:TRAP_HANDLER: 0
; COMPUTE_PGM_RSRC2:TGID_X_EN: 1
; COMPUTE_PGM_RSRC2:TGID_Y_EN: 0
; COMPUTE_PGM_RSRC2:TGID_Z_EN: 0
; COMPUTE_PGM_RSRC2:TIDIG_COMP_CNT: 0
	.section	.text._ZN2at6native29vectorized_elementwise_kernelILi2EZZZNS0_20trigamma_kernel_cudaERNS_18TensorIteratorBaseEENKUlvE_clEvENKUlvE0_clEvEUlfE_St5arrayIPcLm2EEEEviT0_T1_,"axG",@progbits,_ZN2at6native29vectorized_elementwise_kernelILi2EZZZNS0_20trigamma_kernel_cudaERNS_18TensorIteratorBaseEENKUlvE_clEvENKUlvE0_clEvEUlfE_St5arrayIPcLm2EEEEviT0_T1_,comdat
	.globl	_ZN2at6native29vectorized_elementwise_kernelILi2EZZZNS0_20trigamma_kernel_cudaERNS_18TensorIteratorBaseEENKUlvE_clEvENKUlvE0_clEvEUlfE_St5arrayIPcLm2EEEEviT0_T1_ ; -- Begin function _ZN2at6native29vectorized_elementwise_kernelILi2EZZZNS0_20trigamma_kernel_cudaERNS_18TensorIteratorBaseEENKUlvE_clEvENKUlvE0_clEvEUlfE_St5arrayIPcLm2EEEEviT0_T1_
	.p2align	8
	.type	_ZN2at6native29vectorized_elementwise_kernelILi2EZZZNS0_20trigamma_kernel_cudaERNS_18TensorIteratorBaseEENKUlvE_clEvENKUlvE0_clEvEUlfE_St5arrayIPcLm2EEEEviT0_T1_,@function
_ZN2at6native29vectorized_elementwise_kernelILi2EZZZNS0_20trigamma_kernel_cudaERNS_18TensorIteratorBaseEENKUlvE_clEvENKUlvE0_clEvEUlfE_St5arrayIPcLm2EEEEviT0_T1_: ; @_ZN2at6native29vectorized_elementwise_kernelILi2EZZZNS0_20trigamma_kernel_cudaERNS_18TensorIteratorBaseEENKUlvE_clEvENKUlvE0_clEvEUlfE_St5arrayIPcLm2EEEEviT0_T1_
; %bb.0:
	s_clause 0x1
	s_load_dword s0, s[4:5], 0x0
	s_load_dwordx4 s[8:11], s[4:5], 0x8
	s_lshl_b32 s6, s6, 10
	s_waitcnt lgkmcnt(0)
	s_sub_i32 s5, s0, s6
	s_mov_b32 s0, -1
	s_cmpk_gt_i32 s5, 0x3ff
	s_cbranch_scc0 .LBB53_26
; %bb.1:
	s_ashr_i32 s7, s6, 31
	v_lshlrev_b32_e32 v5, 3, v0
	s_lshl_b64 s[12:13], s[6:7], 2
	v_mov_b32_e32 v7, 0
	s_add_u32 s0, s10, s12
	s_addc_u32 s1, s11, s13
	v_add_co_u32 v1, s2, s0, v5
	v_add_co_ci_u32_e64 v2, null, s1, 0, s2
	global_load_dwordx2 v[3:4], v5, s[0:1]
	v_add_co_u32 v1, vcc_lo, 0x800, v1
	v_add_co_ci_u32_e64 v2, null, 0, v2, vcc_lo
	v_mov_b32_e32 v6, 1.0
	s_mov_b32 s2, exec_lo
	global_load_dwordx2 v[1:2], v[1:2], off
	s_waitcnt vmcnt(1)
	v_cmpx_gt_f32_e32 0.5, v3
	s_cbranch_execz .LBB53_7
; %bb.2:
	v_mul_f32_e32 v6, 0x40490fdb, v3
                                        ; implicit-def: $vgpr9
                                        ; implicit-def: $vgpr8
	s_mov_b32 s1, exec_lo
	v_and_b32_e32 v7, 0x7fffffff, v6
	v_cmpx_ngt_f32_e64 0x48000000, |v6|
	s_xor_b32 s3, exec_lo, s1
	s_cbranch_execz .LBB53_4
; %bb.3:
	s_mov_b32 s0, 0x7fffff
	v_mov_b32_e32 v10, 0
	v_and_or_b32 v17, v7, s0, 0x800000
	v_lshrrev_b32_e32 v15, 23, v7
	v_mad_u64_u32 v[8:9], null, 0xfe5163ab, v17, 0
	v_add_nc_u32_e32 v16, 0xffffff88, v15
	v_cmp_lt_u32_e32 vcc_lo, 63, v16
	v_mad_u64_u32 v[11:12], null, 0x3c439041, v17, v[9:10]
	v_cndmask_b32_e64 v18, 0, 0xffffffc0, vcc_lo
	v_mov_b32_e32 v9, v12
	v_add_nc_u32_e32 v18, v18, v16
	v_mad_u64_u32 v[12:13], null, 0xdb629599, v17, v[9:10]
	v_cmp_lt_u32_e64 s0, 31, v18
	v_cndmask_b32_e64 v19, 0, 0xffffffe0, s0
	v_mov_b32_e32 v9, v13
	v_cndmask_b32_e32 v8, v12, v8, vcc_lo
	v_mad_u64_u32 v[13:14], null, 0xf534ddc0, v17, v[9:10]
	v_mov_b32_e32 v9, v14
	v_cndmask_b32_e32 v11, v13, v11, vcc_lo
	v_mad_u64_u32 v[14:15], null, 0xfc2757d1, v17, v[9:10]
	v_cndmask_b32_e64 v8, v11, v8, s0
	v_mov_b32_e32 v9, v15
	v_mad_u64_u32 v[15:16], null, 0x4e441529, v17, v[9:10]
	v_mov_b32_e32 v9, v16
	v_add_nc_u32_e32 v16, v19, v18
	v_cndmask_b32_e32 v18, v15, v13, vcc_lo
	v_mad_u64_u32 v[9:10], null, 0xa2f9836e, v17, v[9:10]
	v_cmp_lt_u32_e64 s1, 31, v16
	v_cndmask_b32_e64 v17, 0, 0xffffffe0, s1
	v_cndmask_b32_e32 v9, v9, v14, vcc_lo
	v_cndmask_b32_e32 v10, v10, v15, vcc_lo
	;; [unrolled: 1-line block ×3, first 2 shown]
	v_add_nc_u32_e32 v15, v17, v16
	v_cndmask_b32_e64 v13, v9, v18, s0
	v_cndmask_b32_e64 v9, v10, v9, s0
	;; [unrolled: 1-line block ×4, first 2 shown]
	v_sub_nc_u32_e32 v16, 32, v15
	v_cmp_eq_u32_e32 vcc_lo, 0, v15
	v_cndmask_b32_e64 v9, v9, v13, s1
	v_cndmask_b32_e64 v13, v13, v10, s1
	;; [unrolled: 1-line block ×4, first 2 shown]
	v_alignbit_b32 v17, v9, v13, v16
	v_alignbit_b32 v12, v13, v10, v16
	;; [unrolled: 1-line block ×3, first 2 shown]
	v_cndmask_b32_e32 v9, v17, v9, vcc_lo
	v_cndmask_b32_e32 v11, v12, v13, vcc_lo
	;; [unrolled: 1-line block ×3, first 2 shown]
	v_bfe_u32 v12, v9, 29, 1
	v_alignbit_b32 v13, v9, v11, 30
	v_alignbit_b32 v11, v11, v10, 30
	;; [unrolled: 1-line block ×3, first 2 shown]
	v_sub_nc_u32_e32 v14, 0, v12
	v_xor_b32_e32 v13, v13, v14
	v_xor_b32_e32 v10, v11, v14
	;; [unrolled: 1-line block ×3, first 2 shown]
	v_lshrrev_b32_e32 v14, 29, v9
	v_lshrrev_b32_e32 v9, 30, v9
	v_ffbh_u32_e32 v15, v13
	v_add_nc_u32_e32 v9, v12, v9
	v_min_u32_e32 v15, 32, v15
	v_sub_nc_u32_e32 v11, 31, v15
	v_lshlrev_b32_e32 v16, 23, v15
	v_alignbit_b32 v13, v13, v10, v11
	v_alignbit_b32 v8, v10, v8, v11
	v_lshlrev_b32_e32 v10, 31, v14
	v_alignbit_b32 v11, v13, v8, 9
	v_or_b32_e32 v14, 0.5, v10
	v_lshrrev_b32_e32 v13, 9, v13
	v_or_b32_e32 v10, 0x33000000, v10
	v_ffbh_u32_e32 v17, v11
	v_sub_nc_u32_e32 v14, v14, v16
	v_min_u32_e32 v16, 32, v17
	v_or_b32_e32 v13, v13, v14
	v_not_b32_e32 v14, v16
	v_mul_f32_e32 v17, 0x3fc90fda, v13
	v_add_lshl_u32 v15, v16, v15, 23
	v_alignbit_b32 v8, v11, v8, v14
	v_fma_f32 v11, 0x3fc90fda, v13, -v17
	v_sub_nc_u32_e32 v10, v10, v15
	v_lshrrev_b32_e32 v8, 9, v8
	v_fmamk_f32 v11, v13, 0x33a22168, v11
	v_or_b32_e32 v8, v10, v8
	v_fmac_f32_e32 v11, 0x3fc90fda, v8
	v_add_f32_e32 v8, v17, v11
.LBB53_4:
	s_andn2_saveexec_b32 s0, s3
; %bb.5:
	v_mul_f32_e64 v8, 0x3f22f983, |v6|
	v_rndne_f32_e32 v9, v8
	v_fma_f32 v8, 0xbfc90fda, v9, |v6|
	v_fmamk_f32 v8, v9, 0xb3a22168, v8
	v_fmamk_f32 v8, v9, 0xa7c234c4, v8
	v_cvt_i32_f32_e32 v9, v9
; %bb.6:
	s_or_b32 exec_lo, exec_lo, s0
	v_mul_f32_e32 v10, v8, v8
	s_mov_b32 s0, 0xb94c1982
	s_mov_b32 s1, 0x37d75334
	v_and_b32_e32 v13, 1, v9
	v_lshlrev_b32_e32 v9, 30, v9
	v_fmaak_f32 v11, s0, v10, 0x3c0881c4
	v_fmaak_f32 v12, s1, v10, 0xbab64f3b
	v_xor_b32_e32 v7, v7, v6
	v_cmp_eq_u32_e32 vcc_lo, 0, v13
	v_and_b32_e32 v9, 0x80000000, v9
	v_fmaak_f32 v11, v10, v11, 0xbe2aaa9d
	v_fmaak_f32 v12, v10, v12, 0x3d2aabf7
	v_sub_f32_e32 v3, 1.0, v3
	v_mul_f32_e32 v11, v10, v11
	v_fmaak_f32 v12, v10, v12, 0xbf000004
	v_fmac_f32_e32 v8, v8, v11
	v_fma_f32 v10, v10, v12, 1.0
	v_cndmask_b32_e32 v8, v10, v8, vcc_lo
	v_cmp_class_f32_e64 vcc_lo, v6, 0x1f8
	v_xor3_b32 v7, v7, v9, v8
	v_cndmask_b32_e32 v6, 0x7fc00000, v7, vcc_lo
	v_mul_f32_e32 v6, v6, v6
	v_div_scale_f32 v7, null, v6, v6, 0xc11de9e7
	v_div_scale_f32 v10, vcc_lo, 0xc11de9e7, v6, 0xc11de9e7
	v_rcp_f32_e32 v8, v7
	v_fma_f32 v9, -v7, v8, 1.0
	v_fmac_f32_e32 v8, v9, v8
	v_mul_f32_e32 v9, v10, v8
	v_fma_f32 v11, -v7, v9, v10
	v_fmac_f32_e32 v9, v11, v8
	v_fma_f32 v7, -v7, v9, v10
	v_div_fmas_f32 v7, v7, v8, v9
	v_div_fixup_f32 v6, v7, v6, 0xc11de9e7
	v_add_f32_e32 v7, 0, v6
	v_mov_b32_e32 v6, -1.0
.LBB53_7:
	s_or_b32 exec_lo, exec_lo, s2
	v_mov_b32_e32 v9, 0
	v_mov_b32_e32 v8, 1.0
	s_mov_b32 s2, exec_lo
	v_cmpx_gt_f32_e32 0.5, v4
	s_cbranch_execz .LBB53_13
; %bb.8:
	v_mul_f32_e32 v8, 0x40490fdb, v4
                                        ; implicit-def: $vgpr11
                                        ; implicit-def: $vgpr10
	s_mov_b32 s1, exec_lo
	v_and_b32_e32 v9, 0x7fffffff, v8
	v_cmpx_ngt_f32_e64 0x48000000, |v8|
	s_xor_b32 s3, exec_lo, s1
	s_cbranch_execz .LBB53_10
; %bb.9:
	s_mov_b32 s0, 0x7fffff
	v_mov_b32_e32 v12, 0
	v_and_or_b32 v19, v9, s0, 0x800000
	v_lshrrev_b32_e32 v17, 23, v9
	v_mad_u64_u32 v[10:11], null, 0xfe5163ab, v19, 0
	v_add_nc_u32_e32 v18, 0xffffff88, v17
	v_cmp_lt_u32_e32 vcc_lo, 63, v18
	v_mad_u64_u32 v[13:14], null, 0x3c439041, v19, v[11:12]
	v_cndmask_b32_e64 v20, 0, 0xffffffc0, vcc_lo
	v_mov_b32_e32 v11, v14
	v_add_nc_u32_e32 v20, v20, v18
	v_mad_u64_u32 v[14:15], null, 0xdb629599, v19, v[11:12]
	v_cmp_lt_u32_e64 s0, 31, v20
	v_cndmask_b32_e64 v21, 0, 0xffffffe0, s0
	v_mov_b32_e32 v11, v15
	v_cndmask_b32_e32 v10, v14, v10, vcc_lo
	v_mad_u64_u32 v[15:16], null, 0xf534ddc0, v19, v[11:12]
	v_mov_b32_e32 v11, v16
	v_cndmask_b32_e32 v13, v15, v13, vcc_lo
	v_mad_u64_u32 v[16:17], null, 0xfc2757d1, v19, v[11:12]
	v_cndmask_b32_e64 v10, v13, v10, s0
	v_mov_b32_e32 v11, v17
	v_mad_u64_u32 v[17:18], null, 0x4e441529, v19, v[11:12]
	v_mov_b32_e32 v11, v18
	v_add_nc_u32_e32 v18, v21, v20
	v_cndmask_b32_e32 v20, v17, v15, vcc_lo
	v_mad_u64_u32 v[11:12], null, 0xa2f9836e, v19, v[11:12]
	v_cmp_lt_u32_e64 s1, 31, v18
	v_cndmask_b32_e64 v19, 0, 0xffffffe0, s1
	v_cndmask_b32_e32 v11, v11, v16, vcc_lo
	v_cndmask_b32_e32 v12, v12, v17, vcc_lo
	;; [unrolled: 1-line block ×3, first 2 shown]
	v_add_nc_u32_e32 v17, v19, v18
	v_cndmask_b32_e64 v15, v11, v20, s0
	v_cndmask_b32_e64 v11, v12, v11, s0
	v_cndmask_b32_e64 v12, v20, v16, s0
	v_cndmask_b32_e64 v16, v16, v13, s0
	v_sub_nc_u32_e32 v18, 32, v17
	v_cmp_eq_u32_e32 vcc_lo, 0, v17
	v_cndmask_b32_e64 v11, v11, v15, s1
	v_cndmask_b32_e64 v15, v15, v12, s1
	;; [unrolled: 1-line block ×4, first 2 shown]
	v_alignbit_b32 v19, v11, v15, v18
	v_alignbit_b32 v14, v15, v12, v18
	;; [unrolled: 1-line block ×3, first 2 shown]
	v_cndmask_b32_e32 v11, v19, v11, vcc_lo
	v_cndmask_b32_e32 v13, v14, v15, vcc_lo
	;; [unrolled: 1-line block ×3, first 2 shown]
	v_bfe_u32 v14, v11, 29, 1
	v_alignbit_b32 v15, v11, v13, 30
	v_alignbit_b32 v13, v13, v12, 30
	;; [unrolled: 1-line block ×3, first 2 shown]
	v_sub_nc_u32_e32 v16, 0, v14
	v_xor_b32_e32 v15, v15, v16
	v_xor_b32_e32 v12, v13, v16
	;; [unrolled: 1-line block ×3, first 2 shown]
	v_lshrrev_b32_e32 v16, 29, v11
	v_lshrrev_b32_e32 v11, 30, v11
	v_ffbh_u32_e32 v17, v15
	v_add_nc_u32_e32 v11, v14, v11
	v_min_u32_e32 v17, 32, v17
	v_sub_nc_u32_e32 v13, 31, v17
	v_lshlrev_b32_e32 v18, 23, v17
	v_alignbit_b32 v15, v15, v12, v13
	v_alignbit_b32 v10, v12, v10, v13
	v_lshlrev_b32_e32 v12, 31, v16
	v_alignbit_b32 v13, v15, v10, 9
	v_or_b32_e32 v16, 0.5, v12
	v_lshrrev_b32_e32 v15, 9, v15
	v_or_b32_e32 v12, 0x33000000, v12
	v_ffbh_u32_e32 v19, v13
	v_sub_nc_u32_e32 v16, v16, v18
	v_min_u32_e32 v18, 32, v19
	v_or_b32_e32 v15, v15, v16
	v_not_b32_e32 v16, v18
	v_mul_f32_e32 v19, 0x3fc90fda, v15
	v_add_lshl_u32 v17, v18, v17, 23
	v_alignbit_b32 v10, v13, v10, v16
	v_fma_f32 v13, 0x3fc90fda, v15, -v19
	v_sub_nc_u32_e32 v12, v12, v17
	v_lshrrev_b32_e32 v10, 9, v10
	v_fmamk_f32 v13, v15, 0x33a22168, v13
	v_or_b32_e32 v10, v12, v10
	v_fmac_f32_e32 v13, 0x3fc90fda, v10
	v_add_f32_e32 v10, v19, v13
.LBB53_10:
	s_andn2_saveexec_b32 s0, s3
; %bb.11:
	v_mul_f32_e64 v10, 0x3f22f983, |v8|
	v_rndne_f32_e32 v11, v10
	v_fma_f32 v10, 0xbfc90fda, v11, |v8|
	v_fmamk_f32 v10, v11, 0xb3a22168, v10
	v_fmamk_f32 v10, v11, 0xa7c234c4, v10
	v_cvt_i32_f32_e32 v11, v11
; %bb.12:
	s_or_b32 exec_lo, exec_lo, s0
	v_mul_f32_e32 v12, v10, v10
	s_mov_b32 s0, 0xb94c1982
	s_mov_b32 s1, 0x37d75334
	v_and_b32_e32 v15, 1, v11
	v_lshlrev_b32_e32 v11, 30, v11
	v_fmaak_f32 v13, s0, v12, 0x3c0881c4
	v_fmaak_f32 v14, s1, v12, 0xbab64f3b
	v_xor_b32_e32 v9, v9, v8
	v_cmp_eq_u32_e32 vcc_lo, 0, v15
	v_and_b32_e32 v11, 0x80000000, v11
	v_fmaak_f32 v13, v12, v13, 0xbe2aaa9d
	v_fmaak_f32 v14, v12, v14, 0x3d2aabf7
	v_sub_f32_e32 v4, 1.0, v4
	v_mul_f32_e32 v13, v12, v13
	v_fmaak_f32 v14, v12, v14, 0xbf000004
	v_fmac_f32_e32 v10, v10, v13
	v_fma_f32 v12, v12, v14, 1.0
	v_cndmask_b32_e32 v10, v12, v10, vcc_lo
	v_cmp_class_f32_e64 vcc_lo, v8, 0x1f8
	v_xor3_b32 v9, v9, v11, v10
	v_cndmask_b32_e32 v8, 0x7fc00000, v9, vcc_lo
	v_mul_f32_e32 v8, v8, v8
	v_div_scale_f32 v9, null, v8, v8, 0xc11de9e7
	v_div_scale_f32 v12, vcc_lo, 0xc11de9e7, v8, 0xc11de9e7
	v_rcp_f32_e32 v10, v9
	v_fma_f32 v11, -v9, v10, 1.0
	v_fmac_f32_e32 v10, v11, v10
	v_mul_f32_e32 v11, v12, v10
	v_fma_f32 v13, -v9, v11, v12
	v_fmac_f32_e32 v11, v13, v10
	v_fma_f32 v9, -v9, v11, v12
	v_div_fmas_f32 v9, v9, v10, v11
	v_div_fixup_f32 v8, v9, v8, 0xc11de9e7
	v_add_f32_e32 v9, 0, v8
	v_mov_b32_e32 v8, -1.0
.LBB53_13:
	s_or_b32 exec_lo, exec_lo, s2
	v_mov_b32_e32 v11, 0
	v_mov_b32_e32 v10, 1.0
	s_mov_b32 s2, exec_lo
	s_waitcnt vmcnt(0)
	v_cmpx_gt_f32_e32 0.5, v1
	s_cbranch_execz .LBB53_19
; %bb.14:
	v_mul_f32_e32 v10, 0x40490fdb, v1
                                        ; implicit-def: $vgpr13
                                        ; implicit-def: $vgpr12
	s_mov_b32 s1, exec_lo
	v_and_b32_e32 v11, 0x7fffffff, v10
	v_cmpx_ngt_f32_e64 0x48000000, |v10|
	s_xor_b32 s3, exec_lo, s1
	s_cbranch_execz .LBB53_16
; %bb.15:
	s_mov_b32 s0, 0x7fffff
	v_mov_b32_e32 v14, 0
	v_and_or_b32 v21, v11, s0, 0x800000
	v_lshrrev_b32_e32 v19, 23, v11
	v_mad_u64_u32 v[12:13], null, 0xfe5163ab, v21, 0
	v_add_nc_u32_e32 v20, 0xffffff88, v19
	v_cmp_lt_u32_e32 vcc_lo, 63, v20
	v_mad_u64_u32 v[15:16], null, 0x3c439041, v21, v[13:14]
	v_cndmask_b32_e64 v22, 0, 0xffffffc0, vcc_lo
	v_mov_b32_e32 v13, v16
	v_add_nc_u32_e32 v22, v22, v20
	v_mad_u64_u32 v[16:17], null, 0xdb629599, v21, v[13:14]
	v_cmp_lt_u32_e64 s0, 31, v22
	v_cndmask_b32_e64 v23, 0, 0xffffffe0, s0
	v_mov_b32_e32 v13, v17
	v_cndmask_b32_e32 v12, v16, v12, vcc_lo
	v_mad_u64_u32 v[17:18], null, 0xf534ddc0, v21, v[13:14]
	v_mov_b32_e32 v13, v18
	v_cndmask_b32_e32 v15, v17, v15, vcc_lo
	v_mad_u64_u32 v[18:19], null, 0xfc2757d1, v21, v[13:14]
	v_cndmask_b32_e64 v12, v15, v12, s0
	v_mov_b32_e32 v13, v19
	v_mad_u64_u32 v[19:20], null, 0x4e441529, v21, v[13:14]
	v_mov_b32_e32 v13, v20
	v_add_nc_u32_e32 v20, v23, v22
	v_cndmask_b32_e32 v22, v19, v17, vcc_lo
	v_mad_u64_u32 v[13:14], null, 0xa2f9836e, v21, v[13:14]
	v_cmp_lt_u32_e64 s1, 31, v20
	v_cndmask_b32_e64 v21, 0, 0xffffffe0, s1
	v_cndmask_b32_e32 v13, v13, v18, vcc_lo
	v_cndmask_b32_e32 v14, v14, v19, vcc_lo
	v_cndmask_b32_e32 v18, v18, v16, vcc_lo
	v_add_nc_u32_e32 v19, v21, v20
	v_cndmask_b32_e64 v17, v13, v22, s0
	v_cndmask_b32_e64 v13, v14, v13, s0
	;; [unrolled: 1-line block ×4, first 2 shown]
	v_sub_nc_u32_e32 v20, 32, v19
	v_cmp_eq_u32_e32 vcc_lo, 0, v19
	v_cndmask_b32_e64 v13, v13, v17, s1
	v_cndmask_b32_e64 v17, v17, v14, s1
	;; [unrolled: 1-line block ×4, first 2 shown]
	v_alignbit_b32 v21, v13, v17, v20
	v_alignbit_b32 v16, v17, v14, v20
	;; [unrolled: 1-line block ×3, first 2 shown]
	v_cndmask_b32_e32 v13, v21, v13, vcc_lo
	v_cndmask_b32_e32 v15, v16, v17, vcc_lo
	;; [unrolled: 1-line block ×3, first 2 shown]
	v_bfe_u32 v16, v13, 29, 1
	v_alignbit_b32 v17, v13, v15, 30
	v_alignbit_b32 v15, v15, v14, 30
	;; [unrolled: 1-line block ×3, first 2 shown]
	v_sub_nc_u32_e32 v18, 0, v16
	v_xor_b32_e32 v17, v17, v18
	v_xor_b32_e32 v14, v15, v18
	;; [unrolled: 1-line block ×3, first 2 shown]
	v_lshrrev_b32_e32 v18, 29, v13
	v_lshrrev_b32_e32 v13, 30, v13
	v_ffbh_u32_e32 v19, v17
	v_add_nc_u32_e32 v13, v16, v13
	v_min_u32_e32 v19, 32, v19
	v_sub_nc_u32_e32 v15, 31, v19
	v_lshlrev_b32_e32 v20, 23, v19
	v_alignbit_b32 v17, v17, v14, v15
	v_alignbit_b32 v12, v14, v12, v15
	v_lshlrev_b32_e32 v14, 31, v18
	v_alignbit_b32 v15, v17, v12, 9
	v_or_b32_e32 v18, 0.5, v14
	v_lshrrev_b32_e32 v17, 9, v17
	v_or_b32_e32 v14, 0x33000000, v14
	v_ffbh_u32_e32 v21, v15
	v_sub_nc_u32_e32 v18, v18, v20
	v_min_u32_e32 v20, 32, v21
	v_or_b32_e32 v17, v17, v18
	v_not_b32_e32 v18, v20
	v_mul_f32_e32 v21, 0x3fc90fda, v17
	v_add_lshl_u32 v19, v20, v19, 23
	v_alignbit_b32 v12, v15, v12, v18
	v_fma_f32 v15, 0x3fc90fda, v17, -v21
	v_sub_nc_u32_e32 v14, v14, v19
	v_lshrrev_b32_e32 v12, 9, v12
	v_fmamk_f32 v15, v17, 0x33a22168, v15
	v_or_b32_e32 v12, v14, v12
	v_fmac_f32_e32 v15, 0x3fc90fda, v12
	v_add_f32_e32 v12, v21, v15
.LBB53_16:
	s_andn2_saveexec_b32 s0, s3
; %bb.17:
	v_mul_f32_e64 v12, 0x3f22f983, |v10|
	v_rndne_f32_e32 v13, v12
	v_fma_f32 v12, 0xbfc90fda, v13, |v10|
	v_fmamk_f32 v12, v13, 0xb3a22168, v12
	v_fmamk_f32 v12, v13, 0xa7c234c4, v12
	v_cvt_i32_f32_e32 v13, v13
; %bb.18:
	s_or_b32 exec_lo, exec_lo, s0
	v_mul_f32_e32 v14, v12, v12
	s_mov_b32 s0, 0xb94c1982
	s_mov_b32 s1, 0x37d75334
	v_and_b32_e32 v17, 1, v13
	v_lshlrev_b32_e32 v13, 30, v13
	v_fmaak_f32 v15, s0, v14, 0x3c0881c4
	v_fmaak_f32 v16, s1, v14, 0xbab64f3b
	v_xor_b32_e32 v11, v11, v10
	v_cmp_eq_u32_e32 vcc_lo, 0, v17
	v_and_b32_e32 v13, 0x80000000, v13
	v_fmaak_f32 v15, v14, v15, 0xbe2aaa9d
	v_fmaak_f32 v16, v14, v16, 0x3d2aabf7
	v_sub_f32_e32 v1, 1.0, v1
	v_mul_f32_e32 v15, v14, v15
	v_fmaak_f32 v16, v14, v16, 0xbf000004
	v_fmac_f32_e32 v12, v12, v15
	v_fma_f32 v14, v14, v16, 1.0
	v_cndmask_b32_e32 v12, v14, v12, vcc_lo
	v_cmp_class_f32_e64 vcc_lo, v10, 0x1f8
	v_xor3_b32 v11, v11, v13, v12
	v_cndmask_b32_e32 v10, 0x7fc00000, v11, vcc_lo
	v_mul_f32_e32 v10, v10, v10
	v_div_scale_f32 v11, null, v10, v10, 0xc11de9e7
	v_div_scale_f32 v14, vcc_lo, 0xc11de9e7, v10, 0xc11de9e7
	v_rcp_f32_e32 v12, v11
	v_fma_f32 v13, -v11, v12, 1.0
	v_fmac_f32_e32 v12, v13, v12
	v_mul_f32_e32 v13, v14, v12
	v_fma_f32 v15, -v11, v13, v14
	v_fmac_f32_e32 v13, v15, v12
	v_fma_f32 v11, -v11, v13, v14
	v_div_fmas_f32 v11, v11, v12, v13
	v_div_fixup_f32 v10, v11, v10, 0xc11de9e7
	v_add_f32_e32 v11, 0, v10
	v_mov_b32_e32 v10, -1.0
.LBB53_19:
	s_or_b32 exec_lo, exec_lo, s2
	v_mov_b32_e32 v13, 0
	v_mov_b32_e32 v12, 1.0
	s_mov_b32 s2, exec_lo
	v_cmpx_gt_f32_e32 0.5, v2
	s_cbranch_execz .LBB53_25
; %bb.20:
	v_mul_f32_e32 v12, 0x40490fdb, v2
                                        ; implicit-def: $vgpr15
                                        ; implicit-def: $vgpr14
	s_mov_b32 s1, exec_lo
	v_and_b32_e32 v13, 0x7fffffff, v12
	v_cmpx_ngt_f32_e64 0x48000000, |v12|
	s_xor_b32 s3, exec_lo, s1
	s_cbranch_execz .LBB53_22
; %bb.21:
	s_mov_b32 s0, 0x7fffff
	v_mov_b32_e32 v16, 0
	v_and_or_b32 v23, v13, s0, 0x800000
	v_lshrrev_b32_e32 v21, 23, v13
	v_mad_u64_u32 v[14:15], null, 0xfe5163ab, v23, 0
	v_add_nc_u32_e32 v22, 0xffffff88, v21
	v_cmp_lt_u32_e32 vcc_lo, 63, v22
	v_mad_u64_u32 v[17:18], null, 0x3c439041, v23, v[15:16]
	v_cndmask_b32_e64 v24, 0, 0xffffffc0, vcc_lo
	v_mov_b32_e32 v15, v18
	v_add_nc_u32_e32 v24, v24, v22
	v_mad_u64_u32 v[18:19], null, 0xdb629599, v23, v[15:16]
	v_cmp_lt_u32_e64 s0, 31, v24
	v_cndmask_b32_e64 v25, 0, 0xffffffe0, s0
	v_mov_b32_e32 v15, v19
	v_cndmask_b32_e32 v14, v18, v14, vcc_lo
	v_mad_u64_u32 v[19:20], null, 0xf534ddc0, v23, v[15:16]
	v_mov_b32_e32 v15, v20
	v_cndmask_b32_e32 v17, v19, v17, vcc_lo
	v_mad_u64_u32 v[20:21], null, 0xfc2757d1, v23, v[15:16]
	v_cndmask_b32_e64 v14, v17, v14, s0
	v_mov_b32_e32 v15, v21
	v_mad_u64_u32 v[21:22], null, 0x4e441529, v23, v[15:16]
	v_mov_b32_e32 v15, v22
	v_add_nc_u32_e32 v22, v25, v24
	v_cndmask_b32_e32 v24, v21, v19, vcc_lo
	v_mad_u64_u32 v[15:16], null, 0xa2f9836e, v23, v[15:16]
	v_cmp_lt_u32_e64 s1, 31, v22
	v_cndmask_b32_e64 v23, 0, 0xffffffe0, s1
	v_cndmask_b32_e32 v15, v15, v20, vcc_lo
	v_cndmask_b32_e32 v16, v16, v21, vcc_lo
	;; [unrolled: 1-line block ×3, first 2 shown]
	v_add_nc_u32_e32 v21, v23, v22
	v_cndmask_b32_e64 v19, v15, v24, s0
	v_cndmask_b32_e64 v15, v16, v15, s0
	;; [unrolled: 1-line block ×4, first 2 shown]
	v_sub_nc_u32_e32 v22, 32, v21
	v_cmp_eq_u32_e32 vcc_lo, 0, v21
	v_cndmask_b32_e64 v15, v15, v19, s1
	v_cndmask_b32_e64 v19, v19, v16, s1
	;; [unrolled: 1-line block ×4, first 2 shown]
	v_alignbit_b32 v23, v15, v19, v22
	v_alignbit_b32 v18, v19, v16, v22
	;; [unrolled: 1-line block ×3, first 2 shown]
	v_cndmask_b32_e32 v15, v23, v15, vcc_lo
	v_cndmask_b32_e32 v17, v18, v19, vcc_lo
	;; [unrolled: 1-line block ×3, first 2 shown]
	v_bfe_u32 v18, v15, 29, 1
	v_alignbit_b32 v19, v15, v17, 30
	v_alignbit_b32 v17, v17, v16, 30
	;; [unrolled: 1-line block ×3, first 2 shown]
	v_sub_nc_u32_e32 v20, 0, v18
	v_xor_b32_e32 v19, v19, v20
	v_xor_b32_e32 v16, v17, v20
	;; [unrolled: 1-line block ×3, first 2 shown]
	v_lshrrev_b32_e32 v20, 29, v15
	v_lshrrev_b32_e32 v15, 30, v15
	v_ffbh_u32_e32 v21, v19
	v_add_nc_u32_e32 v15, v18, v15
	v_min_u32_e32 v21, 32, v21
	v_sub_nc_u32_e32 v17, 31, v21
	v_lshlrev_b32_e32 v22, 23, v21
	v_alignbit_b32 v19, v19, v16, v17
	v_alignbit_b32 v14, v16, v14, v17
	v_lshlrev_b32_e32 v16, 31, v20
	v_alignbit_b32 v17, v19, v14, 9
	v_or_b32_e32 v20, 0.5, v16
	v_lshrrev_b32_e32 v19, 9, v19
	v_or_b32_e32 v16, 0x33000000, v16
	v_ffbh_u32_e32 v23, v17
	v_sub_nc_u32_e32 v20, v20, v22
	v_min_u32_e32 v22, 32, v23
	v_or_b32_e32 v19, v19, v20
	v_not_b32_e32 v20, v22
	v_mul_f32_e32 v23, 0x3fc90fda, v19
	v_add_lshl_u32 v21, v22, v21, 23
	v_alignbit_b32 v14, v17, v14, v20
	v_fma_f32 v17, 0x3fc90fda, v19, -v23
	v_sub_nc_u32_e32 v16, v16, v21
	v_lshrrev_b32_e32 v14, 9, v14
	v_fmamk_f32 v17, v19, 0x33a22168, v17
	v_or_b32_e32 v14, v16, v14
	v_fmac_f32_e32 v17, 0x3fc90fda, v14
	v_add_f32_e32 v14, v23, v17
.LBB53_22:
	s_andn2_saveexec_b32 s0, s3
; %bb.23:
	v_mul_f32_e64 v14, 0x3f22f983, |v12|
	v_rndne_f32_e32 v15, v14
	v_fma_f32 v14, 0xbfc90fda, v15, |v12|
	v_fmamk_f32 v14, v15, 0xb3a22168, v14
	v_fmamk_f32 v14, v15, 0xa7c234c4, v14
	v_cvt_i32_f32_e32 v15, v15
; %bb.24:
	s_or_b32 exec_lo, exec_lo, s0
	v_mul_f32_e32 v16, v14, v14
	s_mov_b32 s0, 0xb94c1982
	s_mov_b32 s1, 0x37d75334
	v_and_b32_e32 v19, 1, v15
	v_lshlrev_b32_e32 v15, 30, v15
	v_fmaak_f32 v17, s0, v16, 0x3c0881c4
	v_fmaak_f32 v18, s1, v16, 0xbab64f3b
	v_xor_b32_e32 v13, v13, v12
	v_cmp_eq_u32_e32 vcc_lo, 0, v19
	v_and_b32_e32 v15, 0x80000000, v15
	v_fmaak_f32 v17, v16, v17, 0xbe2aaa9d
	v_fmaak_f32 v18, v16, v18, 0x3d2aabf7
	v_sub_f32_e32 v2, 1.0, v2
	v_mul_f32_e32 v17, v16, v17
	v_fmaak_f32 v18, v16, v18, 0xbf000004
	v_fmac_f32_e32 v14, v14, v17
	v_fma_f32 v16, v16, v18, 1.0
	v_cndmask_b32_e32 v14, v16, v14, vcc_lo
	v_cmp_class_f32_e64 vcc_lo, v12, 0x1f8
	v_xor3_b32 v13, v13, v15, v14
	v_cndmask_b32_e32 v12, 0x7fc00000, v13, vcc_lo
	v_mul_f32_e32 v12, v12, v12
	v_div_scale_f32 v13, null, v12, v12, 0xc11de9e7
	v_div_scale_f32 v16, vcc_lo, 0xc11de9e7, v12, 0xc11de9e7
	v_rcp_f32_e32 v14, v13
	v_fma_f32 v15, -v13, v14, 1.0
	v_fmac_f32_e32 v14, v15, v14
	v_mul_f32_e32 v15, v16, v14
	v_fma_f32 v17, -v13, v15, v16
	v_fmac_f32_e32 v15, v17, v14
	v_fma_f32 v13, -v13, v15, v16
	v_div_fmas_f32 v13, v13, v14, v15
	v_div_fixup_f32 v12, v13, v12, 0xc11de9e7
	v_add_f32_e32 v13, 0, v12
	v_mov_b32_e32 v12, -1.0
.LBB53_25:
	s_or_b32 exec_lo, exec_lo, s2
	v_add_f32_e32 v15, 1.0, v3
	v_mul_f32_e32 v14, v3, v3
	s_mov_b32 s7, 0xbcc30c31
	v_add_f32_e32 v16, 1.0, v15
	v_mul_f32_e32 v3, v15, v15
	v_div_scale_f32 v19, null, v14, v14, 1.0
	v_div_scale_f32 v21, vcc_lo, 1.0, v14, 1.0
	v_mul_f32_e32 v15, v16, v16
	v_div_scale_f32 v20, null, v3, v3, 1.0
	v_rcp_f32_e32 v22, v19
	v_div_scale_f32 v25, s0, 1.0, v3, 1.0
	v_div_scale_f32 v24, null, v15, v15, 1.0
	v_rcp_f32_e32 v23, v20
	v_add_f32_e32 v17, 1.0, v16
	v_div_scale_f32 v26, s1, 1.0, v15, 1.0
	v_rcp_f32_e32 v27, v24
	v_fma_f32 v28, -v19, v22, 1.0
	v_add_f32_e32 v18, 1.0, v17
	v_mul_f32_e32 v16, v17, v17
	v_fma_f32 v29, -v20, v23, 1.0
	v_fmac_f32_e32 v22, v28, v22
	v_div_scale_f32 v30, null, v16, v16, 1.0
	v_fma_f32 v28, -v24, v27, 1.0
	v_fmac_f32_e32 v23, v29, v23
	v_mul_f32_e32 v32, v21, v22
	v_add_f32_e32 v29, 1.0, v18
	v_mul_f32_e32 v17, v18, v18
	v_fmac_f32_e32 v27, v28, v27
	v_mul_f32_e32 v33, v25, v23
	v_fma_f32 v34, -v19, v32, v21
	v_add_f32_e32 v18, 1.0, v29
	v_rcp_f32_e32 v31, v30
	v_mul_f32_e32 v36, v26, v27
	v_fma_f32 v35, -v20, v33, v25
	v_fmac_f32_e32 v32, v34, v22
	v_div_scale_f32 v28, null, v17, v17, 1.0
	v_fma_f32 v34, -v24, v36, v26
	v_fmac_f32_e32 v33, v35, v23
	v_fma_f32 v21, -v19, v32, v21
	v_mul_f32_e32 v19, v29, v29
	v_add_f32_e32 v29, v18, v18
	v_fmac_f32_e32 v36, v34, v27
	v_fma_f32 v20, -v20, v33, v25
	v_div_fmas_f32 v22, v21, v22, v32
	s_mov_b32 vcc_lo, s0
	v_rcp_f32_e32 v35, v28
	v_fma_f32 v24, -v24, v36, v26
	v_div_fmas_f32 v21, v20, v23, v33
	v_div_scale_f32 v23, null, v19, v19, 1.0
	v_mul_f32_e32 v32, v18, v18
	s_mov_b32 vcc_lo, s1
	v_fma_f32 v37, -v30, v31, 1.0
	v_div_fmas_f32 v20, v24, v27, v36
	v_div_scale_f32 v24, null, v29, v29, 1.0
	v_rcp_f32_e32 v27, v23
	v_div_scale_f32 v36, null, v32, v32, 1.0
	v_rcp_f32_e32 v33, v24
	v_fmac_f32_e32 v31, v37, v31
	v_div_scale_f32 v25, vcc_lo, 1.0, v16, 1.0
	v_fma_f32 v26, -v28, v35, 1.0
	v_rcp_f32_e32 v38, v36
	v_div_fixup_f32 v14, v22, v14, 1.0
	v_mul_f32_e32 v34, v25, v31
	v_fma_f32 v37, -v23, v27, 1.0
	v_fmac_f32_e32 v35, v26, v35
	v_div_scale_f32 v26, s0, 1.0, v17, 1.0
	v_fma_f32 v40, -v24, v33, 1.0
	v_fma_f32 v39, -v30, v34, v25
	v_fmac_f32_e32 v27, v37, v27
	v_mul_f32_e32 v41, v26, v35
	v_div_scale_f32 v37, s1, 1.0, v19, 1.0
	v_fma_f32 v42, -v36, v38, 1.0
	v_fmac_f32_e32 v33, v40, v33
	v_div_scale_f32 v40, s2, 1.0, v29, 1.0
	v_fmac_f32_e32 v34, v39, v31
	v_fma_f32 v39, -v28, v41, v26
	v_mul_f32_e32 v43, v37, v27
	v_fmac_f32_e32 v38, v42, v38
	v_div_scale_f32 v42, s3, 1.0, v32, 1.0
	v_mul_f32_e32 v44, v40, v33
	v_fma_f32 v25, -v30, v34, v25
	v_fmac_f32_e32 v41, v39, v35
	v_fma_f32 v30, -v23, v43, v37
	v_mul_f32_e32 v45, v42, v38
	v_fma_f32 v39, -v24, v44, v40
	v_div_fmas_f32 v25, v25, v31, v34
	v_fma_f32 v26, -v28, v41, v26
	v_fmac_f32_e32 v43, v30, v27
	v_fma_f32 v28, -v36, v45, v42
	v_fmac_f32_e32 v44, v39, v33
	s_mov_b32 vcc_lo, s0
	v_add_f32_e32 v7, v7, v14
	v_fma_f32 v23, -v23, v43, v37
	v_fmac_f32_e32 v45, v28, v38
	v_div_fmas_f32 v26, v26, v35, v41
	v_fma_f32 v28, -v24, v44, v40
	s_mov_b32 vcc_lo, s1
	v_div_fixup_f32 v3, v21, v3, 1.0
	v_div_fmas_f32 v24, v23, v27, v43
	v_fma_f32 v23, -v36, v45, v42
	s_mov_b32 vcc_lo, s2
	v_div_fmas_f32 v27, v28, v33, v44
	s_mov_b32 vcc_lo, s3
	v_add_f32_e32 v3, v7, v3
	v_div_fmas_f32 v23, v23, v38, v45
	v_div_fixup_f32 v7, v20, v15, 1.0
	v_div_fixup_f32 v28, v23, v32, 1.0
	;; [unrolled: 1-line block ×3, first 2 shown]
	v_add_f32_e32 v3, v3, v7
	v_div_fixup_f32 v7, v25, v16, 1.0
	v_fmaak_f32 v27, s7, v28, 0x3d088889
	v_add_f32_e32 v23, 1.0, v23
	v_add_f32_e32 v3, v3, v7
	v_div_fixup_f32 v7, v26, v17, 1.0
	v_fma_f32 v27, -v28, v27, 0x3e2aaaab
	v_add_f32_e32 v3, v3, v7
	v_fmac_f32_e32 v23, v28, v27
	v_mul_f32_e32 v27, v4, v4
	v_add_f32_e32 v28, 1.0, v4
	v_div_scale_f32 v29, null, v18, v18, v23
	v_div_scale_f32 v32, null, v27, v27, 1.0
	v_add_f32_e32 v34, 1.0, v28
	v_rcp_f32_e32 v31, v29
	v_mul_f32_e32 v4, v28, v28
	v_rcp_f32_e32 v33, v32
	v_mul_f32_e32 v28, v34, v34
	v_add_f32_e32 v34, 1.0, v34
	v_div_scale_f32 v35, null, v4, v4, 1.0
	v_div_scale_f32 v38, null, v28, v28, 1.0
	v_fma_f32 v30, -v29, v31, 1.0
	v_fma_f32 v37, -v32, v33, 1.0
	v_rcp_f32_e32 v36, v35
	v_rcp_f32_e32 v40, v38
	v_fmac_f32_e32 v31, v30, v31
	v_div_scale_f32 v30, vcc_lo, v23, v18, v23
	v_fmac_f32_e32 v33, v37, v33
	v_div_scale_f32 v37, s0, 1.0, v27, 1.0
	v_mul_f32_e32 v39, v30, v31
	v_fma_f32 v41, -v35, v36, 1.0
	v_fma_f32 v44, -v38, v40, 1.0
	v_mul_f32_e32 v43, v37, v33
	v_fma_f32 v42, -v29, v39, v30
	v_fmac_f32_e32 v36, v41, v36
	v_div_scale_f32 v41, s1, 1.0, v4, 1.0
	v_fmac_f32_e32 v40, v44, v40
	v_fmac_f32_e32 v39, v42, v31
	v_fma_f32 v42, -v32, v43, v37
	v_div_scale_f32 v44, s2, 1.0, v28, 1.0
	v_mul_f32_e32 v45, v41, v36
	v_fma_f32 v29, -v29, v39, v30
	v_fmac_f32_e32 v43, v42, v33
	v_mul_f32_e32 v30, v34, v34
	v_mul_f32_e32 v46, v44, v40
	v_add_f32_e32 v34, 1.0, v34
	v_div_fmas_f32 v29, v29, v31, v39
	v_fma_f32 v31, -v32, v43, v37
	s_mov_b32 vcc_lo, s0
	v_fma_f32 v42, -v35, v45, v41
	v_fma_f32 v32, -v38, v46, v44
	v_div_scale_f32 v47, null, v30, v30, 1.0
	v_div_fmas_f32 v33, v31, v33, v43
	v_mul_f32_e32 v31, v34, v34
	v_add_f32_e32 v34, 1.0, v34
	v_fmac_f32_e32 v45, v42, v36
	v_fmac_f32_e32 v46, v32, v40
	v_rcp_f32_e32 v37, v47
	s_mov_b32 vcc_lo, s1
	v_add_f32_e32 v32, 1.0, v34
	v_fma_f32 v35, -v35, v45, v41
	v_div_scale_f32 v41, null, v31, v31, 1.0
	v_mul_f32_e32 v34, v34, v34
	v_add_f32_e32 v43, v32, v32
	v_div_fmas_f32 v35, v35, v36, v45
	v_rcp_f32_e32 v42, v41
	v_mul_f32_e32 v51, v32, v32
	v_div_scale_f32 v45, null, v34, v34, 1.0
	v_div_scale_f32 v48, null, v43, v43, 1.0
	v_fma_f32 v39, -v47, v37, 1.0
	v_rcp_f32_e32 v49, v45
	v_div_scale_f32 v52, null, v51, v51, 1.0
	v_rcp_f32_e32 v50, v48
	v_fmac_f32_e32 v37, v39, v37
	v_div_scale_f32 v39, s0, 1.0, v30, 1.0
	v_fma_f32 v36, -v41, v42, 1.0
	v_rcp_f32_e32 v56, v52
	v_fma_f32 v38, -v38, v46, v44
	v_mul_f32_e32 v44, v39, v37
	v_div_scale_f32 v53, s1, 1.0, v31, 1.0
	v_fmac_f32_e32 v42, v36, v42
	v_fma_f32 v54, -v45, v49, 1.0
	v_fma_f32 v55, -v48, v50, 1.0
	s_mov_b32 vcc_lo, s2
	v_div_fixup_f32 v16, v33, v27, 1.0
	v_div_fmas_f32 v36, v38, v40, v46
	v_fma_f32 v38, -v47, v44, v39
	v_mul_f32_e32 v40, v53, v42
	v_fmac_f32_e32 v49, v54, v49
	v_fmac_f32_e32 v50, v55, v50
	v_div_scale_f32 v46, s2, 1.0, v34, 1.0
	v_fma_f32 v55, -v52, v56, 1.0
	v_div_scale_f32 v54, s3, 1.0, v43, 1.0
	v_fmac_f32_e32 v44, v38, v37
	v_fma_f32 v38, -v41, v40, v53
	v_mul_f32_e32 v57, v46, v49
	v_fmac_f32_e32 v56, v55, v56
	v_div_scale_f32 v55, s4, 1.0, v51, 1.0
	v_mul_f32_e32 v58, v54, v50
	v_fma_f32 v39, -v47, v44, v39
	v_fmac_f32_e32 v40, v38, v42
	v_fma_f32 v38, -v45, v57, v46
	v_mul_f32_e32 v59, v55, v56
	v_fma_f32 v47, -v48, v58, v54
	s_mov_b32 vcc_lo, s0
	v_add_f32_e32 v9, v9, v16
	v_div_fmas_f32 v39, v39, v37, v44
	v_fma_f32 v37, -v41, v40, v53
	v_fmac_f32_e32 v57, v38, v49
	v_fma_f32 v38, -v52, v59, v55
	v_fmac_f32_e32 v58, v47, v50
	s_mov_b32 vcc_lo, s1
	v_div_fixup_f32 v4, v35, v4, 1.0
	v_div_fmas_f32 v40, v37, v42, v40
	v_fma_f32 v37, -v45, v57, v46
	v_fmac_f32_e32 v59, v38, v56
	v_fma_f32 v41, -v48, v58, v54
	s_mov_b32 vcc_lo, s2
	v_add_f32_e32 v4, v9, v4
	v_div_fmas_f32 v38, v37, v49, v57
	v_fma_f32 v37, -v52, v59, v55
	s_mov_b32 vcc_lo, s3
	v_div_fixup_f32 v7, v36, v28, 1.0
	v_div_fmas_f32 v41, v41, v50, v58
	s_mov_b32 vcc_lo, s4
	v_div_fixup_f32 v16, v24, v19, 1.0
	v_div_fmas_f32 v37, v37, v56, v59
	v_add_f32_e32 v4, v4, v7
	v_div_fixup_f32 v7, v39, v30, 1.0
	v_div_fixup_f32 v17, v29, v18, v23
	v_add_f32_e32 v3, v3, v16
	v_div_fixup_f32 v42, v37, v51, 1.0
	v_div_fixup_f32 v37, v41, v43, 1.0
	v_add_f32_e32 v4, v4, v7
	v_div_fixup_f32 v7, v40, v31, 1.0
	v_add_f32_e32 v3, v3, v17
	v_fmaak_f32 v41, s7, v42, 0x3d088889
	v_add_f32_e32 v37, 1.0, v37
	v_add_f32_e32 v4, v4, v7
	v_fma_f32 v41, -v42, v41, 0x3e2aaaab
	v_fmac_f32_e32 v37, v42, v41
	v_mul_f32_e32 v41, v1, v1
	v_add_f32_e32 v42, 1.0, v1
	v_div_scale_f32 v43, null, v32, v32, v37
	v_div_scale_f32 v45, null, v41, v41, 1.0
	v_mul_f32_e32 v1, v42, v42
	v_rcp_f32_e32 v44, v43
	v_add_f32_e32 v48, 1.0, v42
	v_rcp_f32_e32 v47, v45
	v_div_scale_f32 v49, null, v1, v1, 1.0
	v_mul_f32_e32 v42, v48, v48
	v_add_f32_e32 v48, 1.0, v48
	v_rcp_f32_e32 v50, v49
	v_fma_f32 v46, -v43, v44, 1.0
	v_div_scale_f32 v52, null, v42, v42, 1.0
	v_fma_f32 v51, -v45, v47, 1.0
	v_fmac_f32_e32 v44, v46, v44
	v_div_scale_f32 v46, vcc_lo, v37, v32, v37
	v_rcp_f32_e32 v54, v52
	v_fmac_f32_e32 v47, v51, v47
	v_div_scale_f32 v51, s0, 1.0, v41, 1.0
	v_mul_f32_e32 v53, v46, v44
	v_fma_f32 v55, -v49, v50, 1.0
	v_mul_f32_e32 v57, v51, v47
	v_fma_f32 v56, -v43, v53, v46
	v_fmac_f32_e32 v50, v55, v50
	v_div_scale_f32 v55, s1, 1.0, v1, 1.0
	v_fma_f32 v58, -v52, v54, 1.0
	v_fmac_f32_e32 v53, v56, v44
	v_fma_f32 v56, -v45, v57, v51
	v_mul_f32_e32 v59, v55, v50
	v_fmac_f32_e32 v54, v58, v54
	v_div_scale_f32 v58, s2, 1.0, v42, 1.0
	v_fma_f32 v43, -v43, v53, v46
	v_mul_f32_e32 v46, v48, v48
	v_fmac_f32_e32 v57, v56, v47
	v_fma_f32 v56, -v49, v59, v55
	v_mul_f32_e32 v60, v58, v54
	v_div_fmas_f32 v43, v43, v44, v53
	v_div_scale_f32 v61, null, v46, v46, 1.0
	v_fma_f32 v44, -v45, v57, v51
	v_fmac_f32_e32 v59, v56, v50
	v_add_f32_e32 v48, 1.0, v48
	v_rcp_f32_e32 v45, v61
	v_fma_f32 v51, -v52, v60, v58
	s_mov_b32 vcc_lo, s0
	v_div_fmas_f32 v44, v44, v47, v57
	v_fma_f32 v47, -v49, v59, v55
	v_mul_f32_e32 v49, v48, v48
	v_add_f32_e32 v48, 1.0, v48
	v_fmac_f32_e32 v60, v51, v54
	s_mov_b32 vcc_lo, s1
	v_fma_f32 v51, -v61, v45, 1.0
	v_div_fmas_f32 v47, v47, v50, v59
	v_add_f32_e32 v50, 1.0, v48
	v_div_scale_f32 v53, null, v49, v49, 1.0
	v_fma_f32 v52, -v52, v60, v58
	v_mul_f32_e32 v48, v48, v48
	v_add_f32_e32 v55, v50, v50
	s_mov_b32 vcc_lo, s2
	v_mul_f32_e32 v59, v50, v50
	v_fmac_f32_e32 v45, v51, v45
	v_rcp_f32_e32 v51, v53
	v_div_fmas_f32 v52, v52, v54, v60
	v_div_scale_f32 v54, null, v48, v48, 1.0
	v_div_scale_f32 v56, null, v55, v55, 1.0
	;; [unrolled: 1-line block ×3, first 2 shown]
	v_rcp_f32_e32 v58, v54
	v_rcp_f32_e32 v62, v56
	v_div_scale_f32 v57, vcc_lo, 1.0, v46, 1.0
	v_rcp_f32_e32 v66, v64
	v_fma_f32 v60, -v53, v51, 1.0
	v_div_fixup_f32 v9, v44, v41, 1.0
	v_mul_f32_e32 v63, v57, v45
	v_div_fixup_f32 v1, v47, v1, 1.0
	v_fmac_f32_e32 v51, v60, v51
	v_div_scale_f32 v60, s0, 1.0, v49, 1.0
	v_fma_f32 v65, -v54, v58, 1.0
	v_fma_f32 v68, -v56, v62, 1.0
	v_fma_f32 v67, -v61, v63, v57
	v_fma_f32 v70, -v64, v66, 1.0
	v_mul_f32_e32 v69, v60, v51
	v_fmac_f32_e32 v58, v65, v58
	v_div_scale_f32 v65, s1, 1.0, v48, 1.0
	v_fmac_f32_e32 v62, v68, v62
	v_div_scale_f32 v68, s2, 1.0, v55, 1.0
	v_fmac_f32_e32 v63, v67, v45
	v_fmac_f32_e32 v66, v70, v66
	v_div_scale_f32 v70, s3, 1.0, v59, 1.0
	v_fma_f32 v67, -v53, v69, v60
	v_mul_f32_e32 v71, v65, v58
	v_mul_f32_e32 v72, v68, v62
	v_fma_f32 v57, -v61, v63, v57
	v_mul_f32_e32 v73, v70, v66
	v_fmac_f32_e32 v69, v67, v51
	v_fma_f32 v61, -v54, v71, v65
	v_fma_f32 v67, -v56, v72, v68
	v_div_fmas_f32 v45, v57, v45, v63
	v_fma_f32 v57, -v64, v73, v70
	v_fma_f32 v53, -v53, v69, v60
	v_fmac_f32_e32 v71, v61, v58
	v_fmac_f32_e32 v72, v67, v62
	s_mov_b32 vcc_lo, s0
	v_fmac_f32_e32 v73, v57, v66
	v_div_fmas_f32 v51, v53, v51, v69
	v_fma_f32 v53, -v54, v71, v65
	v_fma_f32 v54, -v56, v72, v68
	s_mov_b32 vcc_lo, s1
	v_fma_f32 v56, -v64, v73, v70
	v_add_f32_e32 v9, v11, v9
	v_div_fmas_f32 v53, v53, v58, v71
	s_mov_b32 vcc_lo, s2
	v_div_fmas_f32 v54, v54, v62, v72
	s_mov_b32 vcc_lo, s3
	v_add_f32_e32 v1, v9, v1
	v_div_fmas_f32 v56, v56, v66, v73
	v_div_fixup_f32 v9, v52, v42, 1.0
	v_div_fixup_f32 v54, v54, v55, 1.0
	;; [unrolled: 1-line block ×3, first 2 shown]
	v_add_f32_e32 v1, v1, v9
	v_add_f32_e32 v54, 1.0, v54
	v_fmaak_f32 v55, s7, v56, 0x3d088889
	v_fma_f32 v55, -v56, v55, 0x3e2aaaab
	v_fmac_f32_e32 v54, v56, v55
	v_mul_f32_e32 v56, v2, v2
	v_add_f32_e32 v2, 1.0, v2
	v_div_scale_f32 v55, null, v50, v50, v54
	v_div_scale_f32 v58, null, v56, v56, 1.0
	v_div_scale_f32 v61, vcc_lo, v54, v50, v54
	v_rcp_f32_e32 v57, v55
	v_rcp_f32_e32 v59, v58
	v_div_scale_f32 v65, s0, 1.0, v56, 1.0
	v_fma_f32 v60, -v55, v57, 1.0
	v_fma_f32 v62, -v58, v59, 1.0
	v_fmac_f32_e32 v57, v60, v57
	v_mul_f32_e32 v60, v2, v2
	v_add_f32_e32 v2, 1.0, v2
	v_fmac_f32_e32 v59, v62, v59
	v_mul_f32_e32 v64, v61, v57
	v_div_scale_f32 v63, null, v60, v60, 1.0
	v_mul_f32_e32 v66, v2, v2
	v_add_f32_e32 v2, 1.0, v2
	v_fma_f32 v67, -v55, v64, v61
	v_rcp_f32_e32 v62, v63
	v_mul_f32_e32 v68, v65, v59
	v_div_scale_f32 v69, null, v66, v66, 1.0
	v_mul_f32_e32 v72, v2, v2
	v_fmac_f32_e32 v64, v67, v57
	v_fma_f32 v67, -v58, v68, v65
	v_rcp_f32_e32 v71, v69
	v_add_f32_e32 v2, 1.0, v2
	v_div_scale_f32 v73, null, v72, v72, 1.0
	v_fma_f32 v70, -v63, v62, 1.0
	v_fma_f32 v55, -v55, v64, v61
	v_fmac_f32_e32 v68, v67, v59
	v_rcp_f32_e32 v74, v73
	v_fmac_f32_e32 v62, v70, v62
	v_div_scale_f32 v70, s1, 1.0, v60, 1.0
	v_fma_f32 v67, -v69, v71, 1.0
	v_div_fmas_f32 v55, v55, v57, v64
	v_fma_f32 v57, -v58, v68, v65
	v_mul_f32_e32 v61, v70, v62
	s_mov_b32 vcc_lo, s0
	v_fmac_f32_e32 v71, v67, v71
	v_div_scale_f32 v64, s2, 1.0, v66, 1.0
	v_fma_f32 v58, -v63, v61, v70
	v_fma_f32 v65, -v73, v74, 1.0
	v_div_fmas_f32 v57, v57, v59, v68
	v_mul_f32_e32 v59, v2, v2
	v_add_f32_e32 v2, 1.0, v2
	v_fmac_f32_e32 v61, v58, v62
	v_mul_f32_e32 v58, v64, v71
	v_fmac_f32_e32 v74, v65, v74
	v_div_scale_f32 v65, null, v59, v59, 1.0
	v_div_scale_f32 v67, s0, 1.0, v72, 1.0
	v_fma_f32 v63, -v63, v61, v70
	v_fma_f32 v68, -v69, v58, v64
	v_rcp_f32_e32 v70, v65
	v_mul_f32_e32 v76, v2, v2
	s_mov_b32 vcc_lo, s1
	v_mul_f32_e32 v75, v67, v74
	v_div_fmas_f32 v61, v63, v62, v61
	v_fmac_f32_e32 v58, v68, v71
	v_div_scale_f32 v62, null, v76, v76, 1.0
	v_fma_f32 v63, -v73, v75, v67
	v_add_f32_e32 v2, 1.0, v2
	v_fma_f32 v68, -v65, v70, 1.0
	v_fma_f32 v64, -v69, v58, v64
	v_rcp_f32_e32 v69, v62
	v_fmac_f32_e32 v75, v63, v74
	v_div_scale_f32 v63, s1, 1.0, v59, 1.0
	v_fmac_f32_e32 v70, v68, v70
	s_mov_b32 vcc_lo, s2
	v_div_fixup_f32 v16, v57, v56, 1.0
	v_div_fmas_f32 v58, v64, v71, v58
	v_fma_f32 v64, -v73, v75, v67
	v_mul_f32_e32 v67, v63, v70
	v_fma_f32 v68, -v62, v69, 1.0
	v_mul_f32_e32 v73, v2, v2
	s_mov_b32 vcc_lo, s0
	v_add_f32_e32 v7, v13, v16
	v_div_fmas_f32 v64, v64, v74, v75
	v_fma_f32 v71, -v65, v67, v63
	v_fmac_f32_e32 v69, v68, v69
	v_div_scale_f32 v68, s0, 1.0, v76, 1.0
	v_div_scale_f32 v74, null, v73, v73, 1.0
	v_fmac_f32_e32 v67, v71, v70
	v_mul_f32_e32 v71, v68, v69
	s_mov_b32 vcc_lo, s1
	v_rcp_f32_e32 v75, v74
	v_div_fixup_f32 v9, v61, v60, 1.0
	v_fma_f32 v63, -v65, v67, v63
	v_fma_f32 v65, -v62, v71, v68
	v_div_fixup_f32 v16, v45, v46, 1.0
	v_add_f32_e32 v7, v7, v9
	v_div_fmas_f32 v63, v63, v70, v67
	v_fmac_f32_e32 v71, v65, v69
	v_add_f32_e32 v67, v2, v2
	v_fma_f32 v65, -v74, v75, 1.0
	s_mov_b32 vcc_lo, s0
	v_div_fixup_f32 v9, v58, v66, 1.0
	v_fma_f32 v62, -v62, v71, v68
	v_div_scale_f32 v68, null, v67, v67, 1.0
	v_fmac_f32_e32 v75, v65, v75
	v_div_scale_f32 v65, s1, 1.0, v73, 1.0
	v_div_fmas_f32 v62, v62, v69, v71
	v_rcp_f32_e32 v70, v68
	s_mov_b32 vcc_lo, s1
	v_mul_f32_e32 v69, v65, v75
	v_add_f32_e32 v7, v7, v9
	v_div_fixup_f32 v9, v64, v72, 1.0
	v_add_f32_e32 v1, v1, v16
	v_div_fixup_f32 v16, v51, v49, 1.0
	v_fma_f32 v71, -v74, v69, v65
	v_add_f32_e32 v7, v7, v9
	v_div_fixup_f32 v9, v63, v59, 1.0
	v_add_f32_e32 v1, v1, v16
	v_fmac_f32_e32 v69, v71, v75
	v_fma_f32 v71, -v68, v70, 1.0
	v_div_fixup_f32 v16, v53, v48, 1.0
	v_add_f32_e32 v7, v7, v9
	v_div_fixup_f32 v9, v62, v76, 1.0
	v_fma_f32 v65, -v74, v69, v65
	v_fmac_f32_e32 v70, v71, v70
	v_div_scale_f32 v71, s0, 1.0, v67, 1.0
	v_add_f32_e32 v1, v1, v16
	v_div_fmas_f32 v22, v65, v75, v69
	s_mov_b32 vcc_lo, s0
	v_mul_f32_e32 v74, v71, v70
	v_div_fixup_f32 v16, v55, v50, v54
	v_add_f32_e32 v7, v7, v9
	v_div_fixup_f32 v21, v22, v73, 1.0
	s_add_u32 s0, s8, s12
	v_fma_f32 v77, -v68, v74, v71
	s_addc_u32 s1, s9, s13
	v_fmaak_f32 v15, s7, v21, 0x3d088889
	v_fmac_f32_e32 v74, v77, v70
	v_fma_f32 v15, -v21, v15, 0x3e2aaaab
	v_fma_f32 v65, -v68, v74, v71
	v_div_fmas_f32 v14, v65, v70, v74
	v_div_fixup_f32 v14, v14, v67, 1.0
	v_add_f32_e32 v14, 1.0, v14
	v_fmac_f32_e32 v14, v21, v15
	v_div_scale_f32 v15, null, v2, v2, v14
	v_div_scale_f32 v13, vcc_lo, v14, v2, v14
	v_rcp_f32_e32 v11, v15
	v_fma_f32 v18, -v15, v11, 1.0
	v_fmac_f32_e32 v11, v18, v11
	v_div_fixup_f32 v18, v38, v34, 1.0
	v_mul_f32_e32 v19, v13, v11
	v_add_f32_e32 v4, v4, v18
	v_div_fixup_f32 v18, v43, v32, v37
	v_fma_f32 v20, -v15, v19, v13
	v_add_f32_e32 v4, v4, v18
	v_fmac_f32_e32 v19, v20, v11
	v_fma_f32 v13, -v15, v19, v13
	v_div_fmas_f32 v11, v13, v11, v19
	v_add_f32_e32 v13, v1, v16
	v_mul_f32_e32 v1, v6, v3
	v_add_co_u32 v6, s2, s0, v5
	v_div_fixup_f32 v9, v11, v2, v14
	v_mul_f32_e32 v2, v8, v4
	v_mul_f32_e32 v3, v10, v13
	v_add_co_u32 v6, vcc_lo, 0x800, v6
	v_add_f32_e32 v4, v7, v9
	v_add_co_ci_u32_e64 v7, null, s1, 0, s2
	global_store_dwordx2 v5, v[1:2], s[0:1]
	s_mov_b32 s0, 0
	v_mul_f32_e32 v4, v12, v4
	v_add_co_ci_u32_e64 v7, null, 0, v7, vcc_lo
	global_store_dwordx2 v[6:7], v[3:4], off
.LBB53_26:
	s_and_b32 vcc_lo, exec_lo, s0
	s_cbranch_vccz .LBB53_65
; %bb.27:
	v_cmp_gt_i32_e64 s0, s5, v0
	v_mov_b32_e32 v9, 0
	v_or_b32_e32 v1, s6, v0
	v_or_b32_e32 v3, 0x100, v0
	v_mov_b32_e32 v10, 0
	v_mov_b32_e32 v4, v0
	s_and_saveexec_b32 s1, s0
	s_cbranch_execz .LBB53_29
; %bb.28:
	v_mov_b32_e32 v2, 0
	v_lshlrev_b64 v[4:5], 2, v[1:2]
	v_add_co_u32 v4, vcc_lo, s10, v4
	v_add_co_ci_u32_e64 v5, null, s11, v5, vcc_lo
	global_load_dword v10, v[4:5], off
	v_or_b32_e32 v4, 0x100, v0
.LBB53_29:
	s_or_b32 exec_lo, exec_lo, s1
	s_mov_b32 s1, exec_lo
	v_cmpx_gt_i32_e64 s5, v4
	s_cbranch_execz .LBB53_31
; %bb.30:
	v_add_nc_u32_e32 v5, s6, v4
	v_mov_b32_e32 v6, 0
	v_add_nc_u32_e32 v4, 0x100, v4
	v_lshlrev_b64 v[5:6], 2, v[5:6]
	v_add_co_u32 v5, vcc_lo, s10, v5
	v_add_co_ci_u32_e64 v6, null, s11, v6, vcc_lo
	global_load_dword v9, v[5:6], off
.LBB53_31:
	s_or_b32 exec_lo, exec_lo, s1
	v_mov_b32_e32 v2, 0
	v_mov_b32_e32 v5, 0
	s_mov_b32 s1, exec_lo
	v_cmpx_gt_i32_e64 s5, v4
	s_cbranch_execz .LBB53_33
; %bb.32:
	v_add_nc_u32_e32 v5, s6, v4
	v_mov_b32_e32 v6, 0
	v_add_nc_u32_e32 v4, 0x100, v4
	v_lshlrev_b64 v[5:6], 2, v[5:6]
	v_add_co_u32 v5, vcc_lo, s10, v5
	v_add_co_ci_u32_e64 v6, null, s11, v6, vcc_lo
	global_load_dword v5, v[5:6], off
.LBB53_33:
	s_or_b32 exec_lo, exec_lo, s1
	s_mov_b32 s1, exec_lo
	v_cmpx_gt_i32_e64 s5, v4
	s_cbranch_execz .LBB53_35
; %bb.34:
	v_add_nc_u32_e32 v6, s6, v4
	v_mov_b32_e32 v7, 0
	v_lshlrev_b64 v[6:7], 2, v[6:7]
	v_add_co_u32 v6, vcc_lo, s10, v6
	v_add_co_ci_u32_e64 v7, null, s11, v7, vcc_lo
	global_load_dword v2, v[6:7], off
.LBB53_35:
	s_or_b32 exec_lo, exec_lo, s1
	v_mov_b32_e32 v4, 0
	v_mov_b32_e32 v8, v4
	;; [unrolled: 1-line block ×4, first 2 shown]
	s_and_saveexec_b32 s7, s0
	s_cbranch_execz .LBB53_43
; %bb.36:
	v_mov_b32_e32 v6, 1.0
	s_mov_b32 s3, exec_lo
	s_waitcnt vmcnt(0)
	v_cmpx_gt_f32_e32 0.5, v10
	s_cbranch_execz .LBB53_42
; %bb.37:
	v_mul_f32_e32 v4, 0x40490fdb, v10
                                        ; implicit-def: $vgpr8
                                        ; implicit-def: $vgpr7
	s_mov_b32 s2, exec_lo
	v_and_b32_e32 v6, 0x7fffffff, v4
	v_cmpx_ngt_f32_e64 0x48000000, |v4|
	s_xor_b32 s4, exec_lo, s2
	s_cbranch_execz .LBB53_39
; %bb.38:
	s_mov_b32 s1, 0x7fffff
	v_mov_b32_e32 v12, 0
	v_and_or_b32 v19, v6, s1, 0x800000
	v_mad_u64_u32 v[7:8], null, 0xfe5163ab, v19, 0
	v_mov_b32_e32 v11, v8
	v_lshrrev_b32_e32 v8, 23, v6
	v_mad_u64_u32 v[13:14], null, 0x3c439041, v19, v[11:12]
	v_add_nc_u32_e32 v8, 0xffffff88, v8
	v_cmp_lt_u32_e32 vcc_lo, 63, v8
	v_mov_b32_e32 v11, v14
	v_cndmask_b32_e64 v18, 0, 0xffffffc0, vcc_lo
	v_mad_u64_u32 v[14:15], null, 0xdb629599, v19, v[11:12]
	v_add_nc_u32_e32 v8, v18, v8
	v_mov_b32_e32 v11, v15
	v_cmp_lt_u32_e64 s1, 31, v8
	v_cndmask_b32_e32 v7, v14, v7, vcc_lo
	v_mad_u64_u32 v[15:16], null, 0xf534ddc0, v19, v[11:12]
	v_cndmask_b32_e64 v20, 0, 0xffffffe0, s1
	v_add_nc_u32_e32 v8, v20, v8
	v_mov_b32_e32 v11, v16
	v_cndmask_b32_e32 v13, v15, v13, vcc_lo
	v_cmp_lt_u32_e64 s2, 31, v8
	v_mad_u64_u32 v[16:17], null, 0xfc2757d1, v19, v[11:12]
	v_cndmask_b32_e64 v7, v13, v7, s1
	v_mov_b32_e32 v11, v17
	v_mad_u64_u32 v[17:18], null, 0x4e441529, v19, v[11:12]
	v_mov_b32_e32 v11, v18
	v_cndmask_b32_e64 v18, 0, 0xffffffe0, s2
	v_mad_u64_u32 v[11:12], null, 0xa2f9836e, v19, v[11:12]
	v_cndmask_b32_e32 v19, v17, v15, vcc_lo
	v_add_nc_u32_e32 v8, v18, v8
	v_cndmask_b32_e32 v11, v11, v16, vcc_lo
	v_cndmask_b32_e32 v12, v12, v17, vcc_lo
	;; [unrolled: 1-line block ×3, first 2 shown]
	v_sub_nc_u32_e32 v17, 32, v8
	v_cmp_eq_u32_e32 vcc_lo, 0, v8
	v_cndmask_b32_e64 v15, v11, v19, s1
	v_cndmask_b32_e64 v11, v12, v11, s1
	;; [unrolled: 1-line block ×8, first 2 shown]
	v_alignbit_b32 v18, v11, v15, v17
	v_alignbit_b32 v14, v15, v12, v17
	;; [unrolled: 1-line block ×3, first 2 shown]
	v_cndmask_b32_e32 v8, v18, v11, vcc_lo
	v_cndmask_b32_e32 v11, v14, v15, vcc_lo
	;; [unrolled: 1-line block ×3, first 2 shown]
	v_bfe_u32 v13, v8, 29, 1
	v_alignbit_b32 v14, v8, v11, 30
	v_alignbit_b32 v11, v11, v12, 30
	v_alignbit_b32 v7, v12, v7, 30
	v_sub_nc_u32_e32 v15, 0, v13
	v_xor_b32_e32 v14, v14, v15
	v_xor_b32_e32 v11, v11, v15
	v_xor_b32_e32 v7, v7, v15
	v_lshrrev_b32_e32 v15, 29, v8
	v_lshrrev_b32_e32 v8, 30, v8
	v_ffbh_u32_e32 v16, v14
	v_add_nc_u32_e32 v8, v13, v8
	v_min_u32_e32 v16, 32, v16
	v_sub_nc_u32_e32 v12, 31, v16
	v_lshlrev_b32_e32 v17, 23, v16
	v_alignbit_b32 v14, v14, v11, v12
	v_alignbit_b32 v7, v11, v7, v12
	v_lshlrev_b32_e32 v11, 31, v15
	v_alignbit_b32 v12, v14, v7, 9
	v_or_b32_e32 v15, 0.5, v11
	v_lshrrev_b32_e32 v14, 9, v14
	v_or_b32_e32 v11, 0x33000000, v11
	v_ffbh_u32_e32 v18, v12
	v_sub_nc_u32_e32 v15, v15, v17
	v_min_u32_e32 v17, 32, v18
	v_or_b32_e32 v14, v14, v15
	v_not_b32_e32 v15, v17
	v_mul_f32_e32 v18, 0x3fc90fda, v14
	v_add_lshl_u32 v16, v17, v16, 23
	v_alignbit_b32 v7, v12, v7, v15
	v_fma_f32 v12, 0x3fc90fda, v14, -v18
	v_sub_nc_u32_e32 v11, v11, v16
	v_lshrrev_b32_e32 v7, 9, v7
	v_fmamk_f32 v12, v14, 0x33a22168, v12
	v_or_b32_e32 v7, v11, v7
	v_fmac_f32_e32 v12, 0x3fc90fda, v7
	v_add_f32_e32 v7, v18, v12
.LBB53_39:
	s_andn2_saveexec_b32 s1, s4
; %bb.40:
	v_mul_f32_e64 v7, 0x3f22f983, |v4|
	v_rndne_f32_e32 v8, v7
	v_fma_f32 v7, 0xbfc90fda, v8, |v4|
	v_fmamk_f32 v7, v8, 0xb3a22168, v7
	v_fmamk_f32 v7, v8, 0xa7c234c4, v7
	v_cvt_i32_f32_e32 v8, v8
; %bb.41:
	s_or_b32 exec_lo, exec_lo, s1
	v_mul_f32_e32 v11, v7, v7
	s_mov_b32 s1, 0xb94c1982
	s_mov_b32 s2, 0x37d75334
	v_and_b32_e32 v14, 1, v8
	v_lshlrev_b32_e32 v8, 30, v8
	v_fmaak_f32 v12, s1, v11, 0x3c0881c4
	v_fmaak_f32 v13, s2, v11, 0xbab64f3b
	v_xor_b32_e32 v6, v6, v4
	v_cmp_eq_u32_e32 vcc_lo, 0, v14
	v_and_b32_e32 v8, 0x80000000, v8
	v_fmaak_f32 v12, v11, v12, 0xbe2aaa9d
	v_fmaak_f32 v13, v11, v13, 0x3d2aabf7
	v_sub_f32_e32 v10, 1.0, v10
	v_mul_f32_e32 v12, v11, v12
	v_fmaak_f32 v13, v11, v13, 0xbf000004
	v_fmac_f32_e32 v7, v7, v12
	v_fma_f32 v11, v11, v13, 1.0
	v_cndmask_b32_e32 v7, v11, v7, vcc_lo
	v_cmp_class_f32_e64 vcc_lo, v4, 0x1f8
	v_xor3_b32 v6, v6, v8, v7
	v_cndmask_b32_e32 v4, 0x7fc00000, v6, vcc_lo
	v_mul_f32_e32 v4, v4, v4
	v_div_scale_f32 v6, null, v4, v4, 0xc11de9e7
	v_div_scale_f32 v11, vcc_lo, 0xc11de9e7, v4, 0xc11de9e7
	v_rcp_f32_e32 v7, v6
	v_fma_f32 v8, -v6, v7, 1.0
	v_fmac_f32_e32 v7, v8, v7
	v_mul_f32_e32 v8, v11, v7
	v_fma_f32 v12, -v6, v8, v11
	v_fmac_f32_e32 v8, v12, v7
	v_fma_f32 v6, -v6, v8, v11
	v_div_fmas_f32 v6, v6, v7, v8
	v_div_fixup_f32 v4, v6, v4, 0xc11de9e7
	v_mov_b32_e32 v6, -1.0
	v_add_f32_e32 v4, 0, v4
.LBB53_42:
	s_or_b32 exec_lo, exec_lo, s3
	v_add_f32_e32 v7, 1.0, v10
	v_mul_f32_e32 v8, v10, v10
	v_mul_f32_e32 v10, v7, v7
	v_add_f32_e32 v7, 1.0, v7
	v_div_scale_f32 v11, null, v8, v8, 1.0
	v_div_scale_f32 v13, vcc_lo, 1.0, v8, 1.0
	v_mul_f32_e32 v14, v7, v7
	v_div_scale_f32 v12, null, v10, v10, 1.0
	v_rcp_f32_e32 v15, v11
	v_div_scale_f32 v18, s1, 1.0, v10, 1.0
	v_div_scale_f32 v17, null, v14, v14, 1.0
	v_rcp_f32_e32 v16, v12
	v_add_f32_e32 v7, 1.0, v7
	v_div_scale_f32 v19, s2, 1.0, v14, 1.0
	v_rcp_f32_e32 v20, v17
	v_fma_f32 v22, -v11, v15, 1.0
	v_mul_f32_e32 v21, v7, v7
	v_add_f32_e32 v7, 1.0, v7
	v_fma_f32 v23, -v12, v16, 1.0
	v_fmac_f32_e32 v15, v22, v15
	v_mul_f32_e32 v25, v7, v7
	v_add_f32_e32 v7, 1.0, v7
	v_fma_f32 v22, -v17, v20, 1.0
	v_fmac_f32_e32 v16, v23, v16
	v_mul_f32_e32 v26, v13, v15
	v_div_scale_f32 v24, null, v21, v21, 1.0
	v_fmac_f32_e32 v20, v22, v20
	v_mul_f32_e32 v27, v18, v16
	v_fma_f32 v28, -v11, v26, v13
	v_add_f32_e32 v31, 1.0, v7
	v_rcp_f32_e32 v23, v24
	v_mul_f32_e32 v30, v19, v20
	v_fma_f32 v29, -v12, v27, v18
	v_fmac_f32_e32 v26, v28, v15
	v_mul_f32_e32 v7, v7, v7
	v_div_scale_f32 v22, null, v25, v25, 1.0
	v_fma_f32 v28, -v17, v30, v19
	v_fmac_f32_e32 v27, v29, v16
	v_fma_f32 v11, -v11, v26, v13
	v_mul_f32_e32 v13, v31, v31
	v_rcp_f32_e32 v29, v22
	v_fmac_f32_e32 v30, v28, v20
	v_fma_f32 v12, -v12, v27, v18
	v_div_fmas_f32 v11, v11, v15, v26
	s_mov_b32 vcc_lo, s1
	v_fma_f32 v32, -v24, v23, 1.0
	v_fma_f32 v15, -v17, v30, v19
	v_div_fmas_f32 v12, v12, v16, v27
	s_mov_b32 vcc_lo, s2
	v_div_scale_f32 v16, null, v7, v7, 1.0
	v_div_fmas_f32 v15, v15, v20, v30
	v_div_scale_f32 v17, null, v13, v13, 1.0
	v_add_f32_e32 v20, v31, v31
	v_rcp_f32_e32 v19, v16
	v_fmac_f32_e32 v23, v32, v23
	v_rcp_f32_e32 v27, v17
	v_div_scale_f32 v18, vcc_lo, 1.0, v21, 1.0
	v_div_scale_f32 v30, null, v20, v20, 1.0
	v_fma_f32 v26, -v22, v29, 1.0
	v_mul_f32_e32 v28, v18, v23
	v_div_fixup_f32 v8, v11, v8, 1.0
	v_rcp_f32_e32 v33, v30
	v_fma_f32 v32, -v16, v19, 1.0
	v_fmac_f32_e32 v29, v26, v29
	v_div_scale_f32 v26, s1, 1.0, v25, 1.0
	v_fma_f32 v35, -v17, v27, 1.0
	v_fma_f32 v34, -v24, v28, v18
	v_fmac_f32_e32 v19, v32, v19
	v_div_scale_f32 v32, s2, 1.0, v7, 1.0
	v_mul_f32_e32 v36, v26, v29
	v_fmac_f32_e32 v27, v35, v27
	v_div_scale_f32 v35, s3, 1.0, v13, 1.0
	v_fma_f32 v37, -v30, v33, 1.0
	v_fmac_f32_e32 v28, v34, v23
	v_mul_f32_e32 v38, v32, v19
	v_fma_f32 v34, -v22, v36, v26
	v_mul_f32_e32 v39, v35, v27
	v_fmac_f32_e32 v33, v37, v33
	v_div_scale_f32 v37, s4, 1.0, v20, 1.0
	v_fma_f32 v18, -v24, v28, v18
	v_fma_f32 v24, -v16, v38, v32
	v_fmac_f32_e32 v36, v34, v29
	v_fma_f32 v34, -v17, v39, v35
	v_mul_f32_e32 v40, v37, v33
	v_div_fmas_f32 v18, v18, v23, v28
	v_fmac_f32_e32 v38, v24, v19
	v_fma_f32 v22, -v22, v36, v26
	v_fmac_f32_e32 v39, v34, v27
	v_fma_f32 v23, -v30, v40, v37
	s_mov_b32 vcc_lo, s1
	v_fma_f32 v16, -v16, v38, v32
	v_div_fmas_f32 v22, v22, v29, v36
	v_fma_f32 v17, -v17, v39, v35
	v_fmac_f32_e32 v40, v23, v33
	s_mov_b32 vcc_lo, s2
	s_mov_b32 s1, 0xbcc30c31
	v_div_fmas_f32 v16, v16, v19, v38
	s_mov_b32 vcc_lo, s3
	v_fma_f32 v19, -v30, v40, v37
	v_div_fmas_f32 v17, v17, v27, v39
	s_mov_b32 vcc_lo, s4
	v_add_f32_e32 v4, v4, v8
	v_div_fixup_f32 v8, v12, v10, 1.0
	v_div_fmas_f32 v19, v19, v33, v40
	v_div_fixup_f32 v13, v17, v13, 1.0
	v_div_fixup_f32 v7, v16, v7, 1.0
	v_add_f32_e32 v4, v4, v8
	v_div_fixup_f32 v17, v19, v20, 1.0
	v_fmaak_f32 v19, s1, v13, 0x3d088889
	v_div_fixup_f32 v8, v15, v14, 1.0
	v_add_f32_e32 v17, 1.0, v17
	v_fma_f32 v19, -v13, v19, 0x3e2aaaab
	v_add_f32_e32 v4, v4, v8
	v_div_fixup_f32 v8, v18, v21, 1.0
	v_fmac_f32_e32 v17, v13, v19
	v_add_f32_e32 v4, v4, v8
	v_div_fixup_f32 v8, v22, v25, 1.0
	v_div_scale_f32 v13, null, v31, v31, v17
	v_div_scale_f32 v10, vcc_lo, v17, v31, v17
	v_add_f32_e32 v4, v4, v8
	v_rcp_f32_e32 v19, v13
	v_add_f32_e32 v4, v4, v7
	v_fma_f32 v11, -v13, v19, 1.0
	v_fmac_f32_e32 v19, v11, v19
	v_mul_f32_e32 v11, v10, v19
	v_fma_f32 v12, -v13, v11, v10
	v_fmac_f32_e32 v11, v12, v19
	v_fma_f32 v10, -v13, v11, v10
	v_div_fmas_f32 v8, v10, v19, v11
	v_div_fixup_f32 v7, v8, v31, v17
	v_mov_b32_e32 v8, 0
	v_add_f32_e32 v4, v4, v7
	v_mov_b32_e32 v7, v8
	v_mul_f32_e32 v4, v6, v4
	v_mov_b32_e32 v6, v8
.LBB53_43:
	s_or_b32 exec_lo, exec_lo, s7
	s_mov_b32 s7, exec_lo
	v_cmpx_gt_i32_e64 s5, v3
	s_cbranch_execz .LBB53_51
; %bb.44:
	s_waitcnt vmcnt(0)
	v_mov_b32_e32 v10, 0
	v_mov_b32_e32 v8, 1.0
	s_mov_b32 s3, exec_lo
	v_cmpx_gt_f32_e32 0.5, v9
	s_cbranch_execz .LBB53_50
; %bb.45:
	v_mul_f32_e32 v8, 0x40490fdb, v9
                                        ; implicit-def: $vgpr12
                                        ; implicit-def: $vgpr11
	s_mov_b32 s2, exec_lo
	v_and_b32_e32 v10, 0x7fffffff, v8
	v_cmpx_ngt_f32_e64 0x48000000, |v8|
	s_xor_b32 s4, exec_lo, s2
	s_cbranch_execz .LBB53_47
; %bb.46:
	s_mov_b32 s1, 0x7fffff
	v_mov_b32_e32 v13, 0
	v_and_or_b32 v20, v10, s1, 0x800000
	v_lshrrev_b32_e32 v18, 23, v10
	v_mad_u64_u32 v[11:12], null, 0xfe5163ab, v20, 0
	v_add_nc_u32_e32 v19, 0xffffff88, v18
	v_cmp_lt_u32_e32 vcc_lo, 63, v19
	v_mad_u64_u32 v[14:15], null, 0x3c439041, v20, v[12:13]
	v_cndmask_b32_e64 v21, 0, 0xffffffc0, vcc_lo
	v_mov_b32_e32 v12, v15
	v_add_nc_u32_e32 v21, v21, v19
	v_mad_u64_u32 v[15:16], null, 0xdb629599, v20, v[12:13]
	v_cmp_lt_u32_e64 s1, 31, v21
	v_cndmask_b32_e64 v22, 0, 0xffffffe0, s1
	v_mov_b32_e32 v12, v16
	v_cndmask_b32_e32 v11, v15, v11, vcc_lo
	v_mad_u64_u32 v[16:17], null, 0xf534ddc0, v20, v[12:13]
	v_mov_b32_e32 v12, v17
	v_cndmask_b32_e32 v14, v16, v14, vcc_lo
	v_mad_u64_u32 v[17:18], null, 0xfc2757d1, v20, v[12:13]
	v_cndmask_b32_e64 v11, v14, v11, s1
	v_mov_b32_e32 v12, v18
	v_mad_u64_u32 v[18:19], null, 0x4e441529, v20, v[12:13]
	v_mov_b32_e32 v12, v19
	v_add_nc_u32_e32 v19, v22, v21
	v_cndmask_b32_e32 v21, v18, v16, vcc_lo
	v_mad_u64_u32 v[12:13], null, 0xa2f9836e, v20, v[12:13]
	v_cmp_lt_u32_e64 s2, 31, v19
	v_cndmask_b32_e64 v20, 0, 0xffffffe0, s2
	v_cndmask_b32_e32 v12, v12, v17, vcc_lo
	v_cndmask_b32_e32 v13, v13, v18, vcc_lo
	v_cndmask_b32_e32 v17, v17, v15, vcc_lo
	v_add_nc_u32_e32 v18, v20, v19
	v_cndmask_b32_e64 v16, v12, v21, s1
	v_cndmask_b32_e64 v12, v13, v12, s1
	;; [unrolled: 1-line block ×4, first 2 shown]
	v_sub_nc_u32_e32 v19, 32, v18
	v_cmp_eq_u32_e32 vcc_lo, 0, v18
	v_cndmask_b32_e64 v12, v12, v16, s2
	v_cndmask_b32_e64 v16, v16, v13, s2
	;; [unrolled: 1-line block ×4, first 2 shown]
	v_alignbit_b32 v20, v12, v16, v19
	v_alignbit_b32 v15, v16, v13, v19
	;; [unrolled: 1-line block ×3, first 2 shown]
	v_cndmask_b32_e32 v12, v20, v12, vcc_lo
	v_cndmask_b32_e32 v14, v15, v16, vcc_lo
	;; [unrolled: 1-line block ×3, first 2 shown]
	v_bfe_u32 v15, v12, 29, 1
	v_alignbit_b32 v16, v12, v14, 30
	v_alignbit_b32 v14, v14, v13, 30
	;; [unrolled: 1-line block ×3, first 2 shown]
	v_sub_nc_u32_e32 v17, 0, v15
	v_xor_b32_e32 v16, v16, v17
	v_xor_b32_e32 v13, v14, v17
	;; [unrolled: 1-line block ×3, first 2 shown]
	v_lshrrev_b32_e32 v17, 29, v12
	v_lshrrev_b32_e32 v12, 30, v12
	v_ffbh_u32_e32 v18, v16
	v_add_nc_u32_e32 v12, v15, v12
	v_min_u32_e32 v18, 32, v18
	v_sub_nc_u32_e32 v14, 31, v18
	v_lshlrev_b32_e32 v19, 23, v18
	v_alignbit_b32 v16, v16, v13, v14
	v_alignbit_b32 v11, v13, v11, v14
	v_lshlrev_b32_e32 v13, 31, v17
	v_alignbit_b32 v14, v16, v11, 9
	v_or_b32_e32 v17, 0.5, v13
	v_lshrrev_b32_e32 v16, 9, v16
	v_or_b32_e32 v13, 0x33000000, v13
	v_ffbh_u32_e32 v20, v14
	v_sub_nc_u32_e32 v17, v17, v19
	v_min_u32_e32 v19, 32, v20
	v_or_b32_e32 v16, v16, v17
	v_not_b32_e32 v17, v19
	v_mul_f32_e32 v20, 0x3fc90fda, v16
	v_add_lshl_u32 v18, v19, v18, 23
	v_alignbit_b32 v11, v14, v11, v17
	v_fma_f32 v14, 0x3fc90fda, v16, -v20
	v_sub_nc_u32_e32 v13, v13, v18
	v_lshrrev_b32_e32 v11, 9, v11
	v_fmamk_f32 v14, v16, 0x33a22168, v14
	v_or_b32_e32 v11, v13, v11
	v_fmac_f32_e32 v14, 0x3fc90fda, v11
	v_add_f32_e32 v11, v20, v14
.LBB53_47:
	s_andn2_saveexec_b32 s1, s4
; %bb.48:
	v_mul_f32_e64 v11, 0x3f22f983, |v8|
	v_rndne_f32_e32 v12, v11
	v_fma_f32 v11, 0xbfc90fda, v12, |v8|
	v_fmamk_f32 v11, v12, 0xb3a22168, v11
	v_fmamk_f32 v11, v12, 0xa7c234c4, v11
	v_cvt_i32_f32_e32 v12, v12
; %bb.49:
	s_or_b32 exec_lo, exec_lo, s1
	v_mul_f32_e32 v13, v11, v11
	s_mov_b32 s1, 0xb94c1982
	s_mov_b32 s2, 0x37d75334
	v_and_b32_e32 v16, 1, v12
	v_lshlrev_b32_e32 v12, 30, v12
	v_fmaak_f32 v14, s1, v13, 0x3c0881c4
	v_fmaak_f32 v15, s2, v13, 0xbab64f3b
	v_xor_b32_e32 v10, v10, v8
	v_cmp_eq_u32_e32 vcc_lo, 0, v16
	v_and_b32_e32 v12, 0x80000000, v12
	v_fmaak_f32 v14, v13, v14, 0xbe2aaa9d
	v_fmaak_f32 v15, v13, v15, 0x3d2aabf7
	v_sub_f32_e32 v9, 1.0, v9
	v_mul_f32_e32 v14, v13, v14
	v_fmaak_f32 v15, v13, v15, 0xbf000004
	v_fmac_f32_e32 v11, v11, v14
	v_fma_f32 v13, v13, v15, 1.0
	v_cndmask_b32_e32 v11, v13, v11, vcc_lo
	v_cmp_class_f32_e64 vcc_lo, v8, 0x1f8
	v_xor3_b32 v10, v10, v12, v11
	v_cndmask_b32_e32 v8, 0x7fc00000, v10, vcc_lo
	v_mul_f32_e32 v8, v8, v8
	v_div_scale_f32 v10, null, v8, v8, 0xc11de9e7
	v_div_scale_f32 v13, vcc_lo, 0xc11de9e7, v8, 0xc11de9e7
	v_rcp_f32_e32 v11, v10
	v_fma_f32 v12, -v10, v11, 1.0
	v_fmac_f32_e32 v11, v12, v11
	v_mul_f32_e32 v12, v13, v11
	v_fma_f32 v14, -v10, v12, v13
	v_fmac_f32_e32 v12, v14, v11
	v_fma_f32 v10, -v10, v12, v13
	v_div_fmas_f32 v10, v10, v11, v12
	v_div_fixup_f32 v8, v10, v8, 0xc11de9e7
	v_add_f32_e32 v10, 0, v8
	v_mov_b32_e32 v8, -1.0
.LBB53_50:
	s_or_b32 exec_lo, exec_lo, s3
	v_add_f32_e32 v11, 1.0, v9
	v_mul_f32_e32 v9, v9, v9
	v_mul_f32_e32 v12, v11, v11
	v_add_f32_e32 v11, 1.0, v11
	v_div_scale_f32 v13, null, v9, v9, 1.0
	v_div_scale_f32 v15, vcc_lo, 1.0, v9, 1.0
	v_mul_f32_e32 v16, v11, v11
	v_div_scale_f32 v14, null, v12, v12, 1.0
	v_rcp_f32_e32 v17, v13
	v_div_scale_f32 v20, s1, 1.0, v12, 1.0
	v_div_scale_f32 v19, null, v16, v16, 1.0
	v_rcp_f32_e32 v18, v14
	v_add_f32_e32 v11, 1.0, v11
	v_div_scale_f32 v21, s2, 1.0, v16, 1.0
	v_rcp_f32_e32 v22, v19
	v_fma_f32 v24, -v13, v17, 1.0
	v_mul_f32_e32 v23, v11, v11
	v_add_f32_e32 v11, 1.0, v11
	v_fma_f32 v25, -v14, v18, 1.0
	v_fmac_f32_e32 v17, v24, v17
	v_mul_f32_e32 v27, v11, v11
	v_add_f32_e32 v11, 1.0, v11
	v_fma_f32 v24, -v19, v22, 1.0
	v_fmac_f32_e32 v18, v25, v18
	v_mul_f32_e32 v28, v15, v17
	v_div_scale_f32 v26, null, v23, v23, 1.0
	v_fmac_f32_e32 v22, v24, v22
	v_mul_f32_e32 v29, v20, v18
	v_fma_f32 v30, -v13, v28, v15
	v_add_f32_e32 v33, 1.0, v11
	v_rcp_f32_e32 v25, v26
	v_mul_f32_e32 v32, v21, v22
	v_fma_f32 v31, -v14, v29, v20
	v_fmac_f32_e32 v28, v30, v17
	v_mul_f32_e32 v11, v11, v11
	v_div_scale_f32 v24, null, v27, v27, 1.0
	v_fma_f32 v30, -v19, v32, v21
	v_fmac_f32_e32 v29, v31, v18
	v_fma_f32 v13, -v13, v28, v15
	v_mul_f32_e32 v15, v33, v33
	v_rcp_f32_e32 v31, v24
	v_fmac_f32_e32 v32, v30, v22
	v_fma_f32 v14, -v14, v29, v20
	v_div_fmas_f32 v13, v13, v17, v28
	s_mov_b32 vcc_lo, s1
	v_fma_f32 v34, -v26, v25, 1.0
	v_fma_f32 v17, -v19, v32, v21
	v_div_fmas_f32 v14, v14, v18, v29
	s_mov_b32 vcc_lo, s2
	v_div_scale_f32 v18, null, v11, v11, 1.0
	v_div_fmas_f32 v17, v17, v22, v32
	v_div_scale_f32 v19, null, v15, v15, 1.0
	v_add_f32_e32 v22, v33, v33
	v_rcp_f32_e32 v21, v18
	v_fmac_f32_e32 v25, v34, v25
	v_rcp_f32_e32 v29, v19
	v_div_scale_f32 v20, vcc_lo, 1.0, v23, 1.0
	v_div_scale_f32 v32, null, v22, v22, 1.0
	v_fma_f32 v28, -v24, v31, 1.0
	v_mul_f32_e32 v30, v20, v25
	v_div_fixup_f32 v9, v13, v9, 1.0
	v_rcp_f32_e32 v35, v32
	v_fma_f32 v34, -v18, v21, 1.0
	v_fmac_f32_e32 v31, v28, v31
	v_div_scale_f32 v28, s1, 1.0, v27, 1.0
	v_fma_f32 v37, -v19, v29, 1.0
	v_fma_f32 v36, -v26, v30, v20
	v_fmac_f32_e32 v21, v34, v21
	v_div_scale_f32 v34, s2, 1.0, v11, 1.0
	v_mul_f32_e32 v38, v28, v31
	v_fmac_f32_e32 v29, v37, v29
	v_div_scale_f32 v37, s3, 1.0, v15, 1.0
	v_fma_f32 v39, -v32, v35, 1.0
	v_fmac_f32_e32 v30, v36, v25
	v_mul_f32_e32 v40, v34, v21
	v_fma_f32 v36, -v24, v38, v28
	v_mul_f32_e32 v41, v37, v29
	v_fmac_f32_e32 v35, v39, v35
	v_div_scale_f32 v39, s4, 1.0, v22, 1.0
	v_fma_f32 v20, -v26, v30, v20
	v_fma_f32 v26, -v18, v40, v34
	v_fmac_f32_e32 v38, v36, v31
	v_fma_f32 v36, -v19, v41, v37
	v_mul_f32_e32 v42, v39, v35
	v_div_fmas_f32 v20, v20, v25, v30
	v_fmac_f32_e32 v40, v26, v21
	v_fma_f32 v24, -v24, v38, v28
	v_fmac_f32_e32 v41, v36, v29
	v_fma_f32 v25, -v32, v42, v39
	s_mov_b32 vcc_lo, s1
	v_fma_f32 v18, -v18, v40, v34
	v_div_fmas_f32 v24, v24, v31, v38
	v_fma_f32 v19, -v19, v41, v37
	v_fmac_f32_e32 v42, v25, v35
	s_mov_b32 vcc_lo, s2
	s_mov_b32 s1, 0xbcc30c31
	v_div_fmas_f32 v18, v18, v21, v40
	s_mov_b32 vcc_lo, s3
	v_fma_f32 v21, -v32, v42, v39
	v_div_fmas_f32 v19, v19, v29, v41
	s_mov_b32 vcc_lo, s4
	v_add_f32_e32 v9, v10, v9
	v_div_fixup_f32 v10, v14, v12, 1.0
	v_div_fmas_f32 v21, v21, v35, v42
	v_div_fixup_f32 v15, v19, v15, 1.0
	v_add_f32_e32 v9, v9, v10
	v_div_fixup_f32 v19, v21, v22, 1.0
	v_fmaak_f32 v21, s1, v15, 0x3d088889
	v_div_fixup_f32 v10, v17, v16, 1.0
	v_add_f32_e32 v19, 1.0, v19
	v_fma_f32 v21, -v15, v21, 0x3e2aaaab
	v_add_f32_e32 v9, v9, v10
	v_div_fixup_f32 v10, v20, v23, 1.0
	v_fmac_f32_e32 v19, v15, v21
	v_add_f32_e32 v9, v9, v10
	v_div_fixup_f32 v10, v24, v27, 1.0
	v_div_scale_f32 v15, null, v33, v33, v19
	v_div_scale_f32 v12, vcc_lo, v19, v33, v19
	v_add_f32_e32 v9, v9, v10
	v_rcp_f32_e32 v21, v15
	v_div_fixup_f32 v10, v18, v11, 1.0
	v_add_f32_e32 v9, v9, v10
	v_fma_f32 v13, -v15, v21, 1.0
	v_fmac_f32_e32 v21, v13, v21
	v_mul_f32_e32 v13, v12, v21
	v_fma_f32 v14, -v15, v13, v12
	v_fmac_f32_e32 v13, v14, v21
	v_fma_f32 v12, -v15, v13, v12
	v_div_fmas_f32 v11, v12, v21, v13
	v_div_fixup_f32 v10, v11, v33, v19
	v_add_f32_e32 v9, v9, v10
	v_mul_f32_e32 v8, v8, v9
.LBB53_51:
	s_or_b32 exec_lo, exec_lo, s7
	s_waitcnt vmcnt(0)
	v_or_b32_e32 v9, 0x200, v0
	s_mov_b32 s7, exec_lo
	v_cmpx_gt_i32_e64 s5, v9
	s_cbranch_execz .LBB53_59
; %bb.52:
	v_mov_b32_e32 v9, 0
	v_mov_b32_e32 v7, 1.0
	s_mov_b32 s3, exec_lo
	v_cmpx_gt_f32_e32 0.5, v5
	s_cbranch_execz .LBB53_58
; %bb.53:
	v_mul_f32_e32 v7, 0x40490fdb, v5
                                        ; implicit-def: $vgpr11
                                        ; implicit-def: $vgpr10
	s_mov_b32 s2, exec_lo
	v_and_b32_e32 v9, 0x7fffffff, v7
	v_cmpx_ngt_f32_e64 0x48000000, |v7|
	s_xor_b32 s4, exec_lo, s2
	s_cbranch_execz .LBB53_55
; %bb.54:
	s_mov_b32 s1, 0x7fffff
	v_mov_b32_e32 v12, 0
	v_and_or_b32 v19, v9, s1, 0x800000
	v_lshrrev_b32_e32 v17, 23, v9
	v_mad_u64_u32 v[10:11], null, 0xfe5163ab, v19, 0
	v_add_nc_u32_e32 v18, 0xffffff88, v17
	v_cmp_lt_u32_e32 vcc_lo, 63, v18
	v_mad_u64_u32 v[13:14], null, 0x3c439041, v19, v[11:12]
	v_cndmask_b32_e64 v20, 0, 0xffffffc0, vcc_lo
	v_mov_b32_e32 v11, v14
	v_add_nc_u32_e32 v20, v20, v18
	v_mad_u64_u32 v[14:15], null, 0xdb629599, v19, v[11:12]
	v_cmp_lt_u32_e64 s1, 31, v20
	v_cndmask_b32_e64 v21, 0, 0xffffffe0, s1
	v_mov_b32_e32 v11, v15
	v_cndmask_b32_e32 v10, v14, v10, vcc_lo
	v_mad_u64_u32 v[15:16], null, 0xf534ddc0, v19, v[11:12]
	v_mov_b32_e32 v11, v16
	v_cndmask_b32_e32 v13, v15, v13, vcc_lo
	v_mad_u64_u32 v[16:17], null, 0xfc2757d1, v19, v[11:12]
	v_cndmask_b32_e64 v10, v13, v10, s1
	v_mov_b32_e32 v11, v17
	v_mad_u64_u32 v[17:18], null, 0x4e441529, v19, v[11:12]
	v_mov_b32_e32 v11, v18
	v_add_nc_u32_e32 v18, v21, v20
	v_cndmask_b32_e32 v20, v17, v15, vcc_lo
	v_mad_u64_u32 v[11:12], null, 0xa2f9836e, v19, v[11:12]
	v_cmp_lt_u32_e64 s2, 31, v18
	v_cndmask_b32_e64 v19, 0, 0xffffffe0, s2
	v_cndmask_b32_e32 v11, v11, v16, vcc_lo
	v_cndmask_b32_e32 v12, v12, v17, vcc_lo
	;; [unrolled: 1-line block ×3, first 2 shown]
	v_add_nc_u32_e32 v17, v19, v18
	v_cndmask_b32_e64 v15, v11, v20, s1
	v_cndmask_b32_e64 v11, v12, v11, s1
	;; [unrolled: 1-line block ×4, first 2 shown]
	v_sub_nc_u32_e32 v18, 32, v17
	v_cmp_eq_u32_e32 vcc_lo, 0, v17
	v_cndmask_b32_e64 v11, v11, v15, s2
	v_cndmask_b32_e64 v15, v15, v12, s2
	;; [unrolled: 1-line block ×4, first 2 shown]
	v_alignbit_b32 v19, v11, v15, v18
	v_alignbit_b32 v14, v15, v12, v18
	;; [unrolled: 1-line block ×3, first 2 shown]
	v_cndmask_b32_e32 v11, v19, v11, vcc_lo
	v_cndmask_b32_e32 v13, v14, v15, vcc_lo
	;; [unrolled: 1-line block ×3, first 2 shown]
	v_bfe_u32 v14, v11, 29, 1
	v_alignbit_b32 v15, v11, v13, 30
	v_alignbit_b32 v13, v13, v12, 30
	;; [unrolled: 1-line block ×3, first 2 shown]
	v_sub_nc_u32_e32 v16, 0, v14
	v_xor_b32_e32 v15, v15, v16
	v_xor_b32_e32 v12, v13, v16
	v_xor_b32_e32 v10, v10, v16
	v_lshrrev_b32_e32 v16, 29, v11
	v_lshrrev_b32_e32 v11, 30, v11
	v_ffbh_u32_e32 v17, v15
	v_add_nc_u32_e32 v11, v14, v11
	v_min_u32_e32 v17, 32, v17
	v_sub_nc_u32_e32 v13, 31, v17
	v_lshlrev_b32_e32 v18, 23, v17
	v_alignbit_b32 v15, v15, v12, v13
	v_alignbit_b32 v10, v12, v10, v13
	v_lshlrev_b32_e32 v12, 31, v16
	v_alignbit_b32 v13, v15, v10, 9
	v_or_b32_e32 v16, 0.5, v12
	v_lshrrev_b32_e32 v15, 9, v15
	v_or_b32_e32 v12, 0x33000000, v12
	v_ffbh_u32_e32 v19, v13
	v_sub_nc_u32_e32 v16, v16, v18
	v_min_u32_e32 v18, 32, v19
	v_or_b32_e32 v15, v15, v16
	v_not_b32_e32 v16, v18
	v_mul_f32_e32 v19, 0x3fc90fda, v15
	v_add_lshl_u32 v17, v18, v17, 23
	v_alignbit_b32 v10, v13, v10, v16
	v_fma_f32 v13, 0x3fc90fda, v15, -v19
	v_sub_nc_u32_e32 v12, v12, v17
	v_lshrrev_b32_e32 v10, 9, v10
	v_fmamk_f32 v13, v15, 0x33a22168, v13
	v_or_b32_e32 v10, v12, v10
	v_fmac_f32_e32 v13, 0x3fc90fda, v10
	v_add_f32_e32 v10, v19, v13
.LBB53_55:
	s_andn2_saveexec_b32 s1, s4
; %bb.56:
	v_mul_f32_e64 v10, 0x3f22f983, |v7|
	v_rndne_f32_e32 v11, v10
	v_fma_f32 v10, 0xbfc90fda, v11, |v7|
	v_fmamk_f32 v10, v11, 0xb3a22168, v10
	v_fmamk_f32 v10, v11, 0xa7c234c4, v10
	v_cvt_i32_f32_e32 v11, v11
; %bb.57:
	s_or_b32 exec_lo, exec_lo, s1
	v_mul_f32_e32 v12, v10, v10
	s_mov_b32 s1, 0xb94c1982
	s_mov_b32 s2, 0x37d75334
	v_and_b32_e32 v15, 1, v11
	v_lshlrev_b32_e32 v11, 30, v11
	v_fmaak_f32 v13, s1, v12, 0x3c0881c4
	v_fmaak_f32 v14, s2, v12, 0xbab64f3b
	v_xor_b32_e32 v9, v9, v7
	v_cmp_eq_u32_e32 vcc_lo, 0, v15
	v_and_b32_e32 v11, 0x80000000, v11
	v_fmaak_f32 v13, v12, v13, 0xbe2aaa9d
	v_fmaak_f32 v14, v12, v14, 0x3d2aabf7
	v_sub_f32_e32 v5, 1.0, v5
	v_mul_f32_e32 v13, v12, v13
	v_fmaak_f32 v14, v12, v14, 0xbf000004
	v_fmac_f32_e32 v10, v10, v13
	v_fma_f32 v12, v12, v14, 1.0
	v_cndmask_b32_e32 v10, v12, v10, vcc_lo
	v_cmp_class_f32_e64 vcc_lo, v7, 0x1f8
	v_xor3_b32 v9, v9, v11, v10
	v_cndmask_b32_e32 v7, 0x7fc00000, v9, vcc_lo
	v_mul_f32_e32 v7, v7, v7
	v_div_scale_f32 v9, null, v7, v7, 0xc11de9e7
	v_div_scale_f32 v12, vcc_lo, 0xc11de9e7, v7, 0xc11de9e7
	v_rcp_f32_e32 v10, v9
	v_fma_f32 v11, -v9, v10, 1.0
	v_fmac_f32_e32 v10, v11, v10
	v_mul_f32_e32 v11, v12, v10
	v_fma_f32 v13, -v9, v11, v12
	v_fmac_f32_e32 v11, v13, v10
	v_fma_f32 v9, -v9, v11, v12
	v_div_fmas_f32 v9, v9, v10, v11
	v_div_fixup_f32 v7, v9, v7, 0xc11de9e7
	v_add_f32_e32 v9, 0, v7
	v_mov_b32_e32 v7, -1.0
.LBB53_58:
	s_or_b32 exec_lo, exec_lo, s3
	v_add_f32_e32 v10, 1.0, v5
	v_mul_f32_e32 v5, v5, v5
	v_mul_f32_e32 v11, v10, v10
	v_add_f32_e32 v10, 1.0, v10
	v_div_scale_f32 v12, null, v5, v5, 1.0
	v_div_scale_f32 v14, vcc_lo, 1.0, v5, 1.0
	v_mul_f32_e32 v15, v10, v10
	v_div_scale_f32 v13, null, v11, v11, 1.0
	v_rcp_f32_e32 v16, v12
	v_div_scale_f32 v19, s1, 1.0, v11, 1.0
	v_div_scale_f32 v18, null, v15, v15, 1.0
	v_rcp_f32_e32 v17, v13
	v_add_f32_e32 v10, 1.0, v10
	v_div_scale_f32 v20, s2, 1.0, v15, 1.0
	v_rcp_f32_e32 v21, v18
	v_fma_f32 v23, -v12, v16, 1.0
	v_mul_f32_e32 v22, v10, v10
	v_add_f32_e32 v10, 1.0, v10
	v_fma_f32 v24, -v13, v17, 1.0
	v_fmac_f32_e32 v16, v23, v16
	v_mul_f32_e32 v26, v10, v10
	v_add_f32_e32 v10, 1.0, v10
	v_fma_f32 v23, -v18, v21, 1.0
	v_fmac_f32_e32 v17, v24, v17
	v_mul_f32_e32 v27, v14, v16
	v_div_scale_f32 v25, null, v22, v22, 1.0
	v_fmac_f32_e32 v21, v23, v21
	v_mul_f32_e32 v28, v19, v17
	v_fma_f32 v29, -v12, v27, v14
	v_add_f32_e32 v32, 1.0, v10
	v_rcp_f32_e32 v24, v25
	v_mul_f32_e32 v31, v20, v21
	v_fma_f32 v30, -v13, v28, v19
	v_fmac_f32_e32 v27, v29, v16
	v_mul_f32_e32 v10, v10, v10
	v_div_scale_f32 v23, null, v26, v26, 1.0
	v_fma_f32 v29, -v18, v31, v20
	v_fmac_f32_e32 v28, v30, v17
	v_fma_f32 v12, -v12, v27, v14
	v_mul_f32_e32 v14, v32, v32
	v_rcp_f32_e32 v30, v23
	v_fmac_f32_e32 v31, v29, v21
	v_fma_f32 v13, -v13, v28, v19
	v_div_fmas_f32 v12, v12, v16, v27
	s_mov_b32 vcc_lo, s1
	v_fma_f32 v33, -v25, v24, 1.0
	v_fma_f32 v16, -v18, v31, v20
	v_div_fmas_f32 v13, v13, v17, v28
	s_mov_b32 vcc_lo, s2
	v_div_scale_f32 v17, null, v10, v10, 1.0
	v_div_fmas_f32 v16, v16, v21, v31
	v_div_scale_f32 v18, null, v14, v14, 1.0
	v_add_f32_e32 v21, v32, v32
	v_rcp_f32_e32 v20, v17
	v_fmac_f32_e32 v24, v33, v24
	v_rcp_f32_e32 v28, v18
	v_div_scale_f32 v19, vcc_lo, 1.0, v22, 1.0
	v_div_scale_f32 v31, null, v21, v21, 1.0
	v_fma_f32 v27, -v23, v30, 1.0
	v_mul_f32_e32 v29, v19, v24
	v_div_fixup_f32 v5, v12, v5, 1.0
	v_rcp_f32_e32 v34, v31
	v_fma_f32 v33, -v17, v20, 1.0
	v_fmac_f32_e32 v30, v27, v30
	v_div_scale_f32 v27, s1, 1.0, v26, 1.0
	v_fma_f32 v36, -v18, v28, 1.0
	v_fma_f32 v35, -v25, v29, v19
	v_fmac_f32_e32 v20, v33, v20
	v_div_scale_f32 v33, s2, 1.0, v10, 1.0
	v_mul_f32_e32 v37, v27, v30
	v_fmac_f32_e32 v28, v36, v28
	v_div_scale_f32 v36, s3, 1.0, v14, 1.0
	v_fma_f32 v38, -v31, v34, 1.0
	v_fmac_f32_e32 v29, v35, v24
	v_mul_f32_e32 v39, v33, v20
	v_fma_f32 v35, -v23, v37, v27
	v_mul_f32_e32 v40, v36, v28
	v_fmac_f32_e32 v34, v38, v34
	v_div_scale_f32 v38, s4, 1.0, v21, 1.0
	v_fma_f32 v19, -v25, v29, v19
	v_fma_f32 v25, -v17, v39, v33
	v_fmac_f32_e32 v37, v35, v30
	v_fma_f32 v35, -v18, v40, v36
	v_mul_f32_e32 v41, v38, v34
	v_div_fmas_f32 v19, v19, v24, v29
	v_fmac_f32_e32 v39, v25, v20
	v_fma_f32 v23, -v23, v37, v27
	v_fmac_f32_e32 v40, v35, v28
	v_fma_f32 v24, -v31, v41, v38
	s_mov_b32 vcc_lo, s1
	v_fma_f32 v17, -v17, v39, v33
	v_div_fmas_f32 v23, v23, v30, v37
	v_fma_f32 v18, -v18, v40, v36
	v_fmac_f32_e32 v41, v24, v34
	s_mov_b32 vcc_lo, s2
	s_mov_b32 s1, 0xbcc30c31
	v_div_fmas_f32 v17, v17, v20, v39
	s_mov_b32 vcc_lo, s3
	v_fma_f32 v20, -v31, v41, v38
	v_div_fmas_f32 v18, v18, v28, v40
	s_mov_b32 vcc_lo, s4
	v_add_f32_e32 v5, v9, v5
	v_div_fixup_f32 v9, v13, v11, 1.0
	v_div_fmas_f32 v20, v20, v34, v41
	v_div_fixup_f32 v14, v18, v14, 1.0
	v_add_f32_e32 v5, v5, v9
	v_div_fixup_f32 v18, v20, v21, 1.0
	v_fmaak_f32 v20, s1, v14, 0x3d088889
	v_div_fixup_f32 v9, v16, v15, 1.0
	v_add_f32_e32 v18, 1.0, v18
	v_fma_f32 v20, -v14, v20, 0x3e2aaaab
	v_add_f32_e32 v5, v5, v9
	v_div_fixup_f32 v9, v19, v22, 1.0
	v_fmac_f32_e32 v18, v14, v20
	v_add_f32_e32 v5, v5, v9
	v_div_fixup_f32 v9, v23, v26, 1.0
	v_div_scale_f32 v14, null, v32, v32, v18
	v_div_scale_f32 v11, vcc_lo, v18, v32, v18
	v_add_f32_e32 v5, v5, v9
	v_rcp_f32_e32 v20, v14
	v_div_fixup_f32 v9, v17, v10, 1.0
	v_add_f32_e32 v5, v5, v9
	v_fma_f32 v12, -v14, v20, 1.0
	v_fmac_f32_e32 v20, v12, v20
	v_mul_f32_e32 v12, v11, v20
	v_fma_f32 v13, -v14, v12, v11
	v_fmac_f32_e32 v12, v13, v20
	v_fma_f32 v11, -v14, v12, v11
	v_div_fmas_f32 v10, v11, v20, v12
	v_div_fixup_f32 v9, v10, v32, v18
	v_add_f32_e32 v5, v5, v9
	v_mul_f32_e32 v7, v7, v5
.LBB53_59:
	s_or_b32 exec_lo, exec_lo, s7
	v_or_b32_e32 v5, 0x300, v0
	s_mov_b32 s7, exec_lo
	v_cmpx_gt_i32_e64 s5, v5
	s_cbranch_execnz .LBB53_66
; %bb.60:
	s_or_b32 exec_lo, exec_lo, s7
	s_and_saveexec_b32 s1, s0
	s_xor_b32 s0, exec_lo, s1
	s_cbranch_execnz .LBB53_73
.LBB53_61:
	s_or_b32 exec_lo, exec_lo, s0
	s_mov_b32 s0, exec_lo
	v_cmpx_gt_i32_e64 s5, v0
	s_cbranch_execnz .LBB53_74
.LBB53_62:
	s_or_b32 exec_lo, exec_lo, s0
	s_mov_b32 s0, exec_lo
	v_cmpx_gt_i32_e64 s5, v0
	s_cbranch_execnz .LBB53_75
.LBB53_63:
	s_or_b32 exec_lo, exec_lo, s0
	s_mov_b32 s0, exec_lo
	v_cmpx_gt_i32_e64 s5, v0
	s_cbranch_execz .LBB53_65
.LBB53_64:
	v_add_nc_u32_e32 v0, s6, v0
	v_mov_b32_e32 v1, 0
	v_lshlrev_b64 v[0:1], 2, v[0:1]
	v_add_co_u32 v0, vcc_lo, s8, v0
	v_add_co_ci_u32_e64 v1, null, s9, v1, vcc_lo
	global_store_dword v[0:1], v6, off
.LBB53_65:
	s_endpgm
.LBB53_66:
	v_mov_b32_e32 v6, 0
	v_mov_b32_e32 v5, 1.0
	s_mov_b32 s3, exec_lo
	v_cmpx_gt_f32_e32 0.5, v2
	s_cbranch_execz .LBB53_72
; %bb.67:
	v_mul_f32_e32 v5, 0x40490fdb, v2
                                        ; implicit-def: $vgpr10
                                        ; implicit-def: $vgpr9
	s_mov_b32 s2, exec_lo
	v_and_b32_e32 v6, 0x7fffffff, v5
	v_cmpx_ngt_f32_e64 0x48000000, |v5|
	s_xor_b32 s4, exec_lo, s2
	s_cbranch_execz .LBB53_69
; %bb.68:
	s_mov_b32 s1, 0x7fffff
	v_mov_b32_e32 v11, 0
	v_and_or_b32 v18, v6, s1, 0x800000
	v_lshrrev_b32_e32 v16, 23, v6
	v_mad_u64_u32 v[9:10], null, 0xfe5163ab, v18, 0
	v_add_nc_u32_e32 v17, 0xffffff88, v16
	v_cmp_lt_u32_e32 vcc_lo, 63, v17
	v_mad_u64_u32 v[12:13], null, 0x3c439041, v18, v[10:11]
	v_cndmask_b32_e64 v19, 0, 0xffffffc0, vcc_lo
	v_mov_b32_e32 v10, v13
	v_add_nc_u32_e32 v19, v19, v17
	v_mad_u64_u32 v[13:14], null, 0xdb629599, v18, v[10:11]
	v_cmp_lt_u32_e64 s1, 31, v19
	v_cndmask_b32_e64 v20, 0, 0xffffffe0, s1
	v_mov_b32_e32 v10, v14
	v_cndmask_b32_e32 v9, v13, v9, vcc_lo
	v_mad_u64_u32 v[14:15], null, 0xf534ddc0, v18, v[10:11]
	v_mov_b32_e32 v10, v15
	v_cndmask_b32_e32 v12, v14, v12, vcc_lo
	v_mad_u64_u32 v[15:16], null, 0xfc2757d1, v18, v[10:11]
	v_cndmask_b32_e64 v9, v12, v9, s1
	v_mov_b32_e32 v10, v16
	v_mad_u64_u32 v[16:17], null, 0x4e441529, v18, v[10:11]
	v_mov_b32_e32 v10, v17
	v_add_nc_u32_e32 v17, v20, v19
	v_cndmask_b32_e32 v19, v16, v14, vcc_lo
	v_mad_u64_u32 v[10:11], null, 0xa2f9836e, v18, v[10:11]
	v_cmp_lt_u32_e64 s2, 31, v17
	v_cndmask_b32_e64 v18, 0, 0xffffffe0, s2
	v_cndmask_b32_e32 v10, v10, v15, vcc_lo
	v_cndmask_b32_e32 v11, v11, v16, vcc_lo
	;; [unrolled: 1-line block ×3, first 2 shown]
	v_add_nc_u32_e32 v16, v18, v17
	v_cndmask_b32_e64 v14, v10, v19, s1
	v_cndmask_b32_e64 v10, v11, v10, s1
	;; [unrolled: 1-line block ×4, first 2 shown]
	v_sub_nc_u32_e32 v17, 32, v16
	v_cmp_eq_u32_e32 vcc_lo, 0, v16
	v_cndmask_b32_e64 v10, v10, v14, s2
	v_cndmask_b32_e64 v14, v14, v11, s2
	;; [unrolled: 1-line block ×4, first 2 shown]
	v_alignbit_b32 v18, v10, v14, v17
	v_alignbit_b32 v13, v14, v11, v17
	;; [unrolled: 1-line block ×3, first 2 shown]
	v_cndmask_b32_e32 v10, v18, v10, vcc_lo
	v_cndmask_b32_e32 v12, v13, v14, vcc_lo
	;; [unrolled: 1-line block ×3, first 2 shown]
	v_bfe_u32 v13, v10, 29, 1
	v_alignbit_b32 v14, v10, v12, 30
	v_alignbit_b32 v12, v12, v11, 30
	;; [unrolled: 1-line block ×3, first 2 shown]
	v_sub_nc_u32_e32 v15, 0, v13
	v_xor_b32_e32 v14, v14, v15
	v_xor_b32_e32 v11, v12, v15
	;; [unrolled: 1-line block ×3, first 2 shown]
	v_lshrrev_b32_e32 v15, 29, v10
	v_lshrrev_b32_e32 v10, 30, v10
	v_ffbh_u32_e32 v16, v14
	v_add_nc_u32_e32 v10, v13, v10
	v_min_u32_e32 v16, 32, v16
	v_sub_nc_u32_e32 v12, 31, v16
	v_lshlrev_b32_e32 v17, 23, v16
	v_alignbit_b32 v14, v14, v11, v12
	v_alignbit_b32 v9, v11, v9, v12
	v_lshlrev_b32_e32 v11, 31, v15
	v_alignbit_b32 v12, v14, v9, 9
	v_or_b32_e32 v15, 0.5, v11
	v_lshrrev_b32_e32 v14, 9, v14
	v_or_b32_e32 v11, 0x33000000, v11
	v_ffbh_u32_e32 v18, v12
	v_sub_nc_u32_e32 v15, v15, v17
	v_min_u32_e32 v17, 32, v18
	v_or_b32_e32 v14, v14, v15
	v_not_b32_e32 v15, v17
	v_mul_f32_e32 v18, 0x3fc90fda, v14
	v_add_lshl_u32 v16, v17, v16, 23
	v_alignbit_b32 v9, v12, v9, v15
	v_fma_f32 v12, 0x3fc90fda, v14, -v18
	v_sub_nc_u32_e32 v11, v11, v16
	v_lshrrev_b32_e32 v9, 9, v9
	v_fmamk_f32 v12, v14, 0x33a22168, v12
	v_or_b32_e32 v9, v11, v9
	v_fmac_f32_e32 v12, 0x3fc90fda, v9
	v_add_f32_e32 v9, v18, v12
.LBB53_69:
	s_andn2_saveexec_b32 s1, s4
; %bb.70:
	v_mul_f32_e64 v9, 0x3f22f983, |v5|
	v_rndne_f32_e32 v10, v9
	v_fma_f32 v9, 0xbfc90fda, v10, |v5|
	v_fmamk_f32 v9, v10, 0xb3a22168, v9
	v_fmamk_f32 v9, v10, 0xa7c234c4, v9
	v_cvt_i32_f32_e32 v10, v10
; %bb.71:
	s_or_b32 exec_lo, exec_lo, s1
	v_mul_f32_e32 v11, v9, v9
	s_mov_b32 s1, 0xb94c1982
	s_mov_b32 s2, 0x37d75334
	v_and_b32_e32 v14, 1, v10
	v_lshlrev_b32_e32 v10, 30, v10
	v_fmaak_f32 v12, s1, v11, 0x3c0881c4
	v_fmaak_f32 v13, s2, v11, 0xbab64f3b
	v_xor_b32_e32 v6, v6, v5
	v_cmp_eq_u32_e32 vcc_lo, 0, v14
	v_and_b32_e32 v10, 0x80000000, v10
	v_fmaak_f32 v12, v11, v12, 0xbe2aaa9d
	v_fmaak_f32 v13, v11, v13, 0x3d2aabf7
	v_sub_f32_e32 v2, 1.0, v2
	v_mul_f32_e32 v12, v11, v12
	v_fmaak_f32 v13, v11, v13, 0xbf000004
	v_fmac_f32_e32 v9, v9, v12
	v_fma_f32 v11, v11, v13, 1.0
	v_cndmask_b32_e32 v9, v11, v9, vcc_lo
	v_cmp_class_f32_e64 vcc_lo, v5, 0x1f8
	v_xor3_b32 v6, v6, v10, v9
	v_cndmask_b32_e32 v5, 0x7fc00000, v6, vcc_lo
	v_mul_f32_e32 v5, v5, v5
	v_div_scale_f32 v6, null, v5, v5, 0xc11de9e7
	v_div_scale_f32 v11, vcc_lo, 0xc11de9e7, v5, 0xc11de9e7
	v_rcp_f32_e32 v9, v6
	v_fma_f32 v10, -v6, v9, 1.0
	v_fmac_f32_e32 v9, v10, v9
	v_mul_f32_e32 v10, v11, v9
	v_fma_f32 v12, -v6, v10, v11
	v_fmac_f32_e32 v10, v12, v9
	v_fma_f32 v6, -v6, v10, v11
	v_div_fmas_f32 v6, v6, v9, v10
	v_div_fixup_f32 v5, v6, v5, 0xc11de9e7
	v_add_f32_e32 v6, 0, v5
	v_mov_b32_e32 v5, -1.0
.LBB53_72:
	s_or_b32 exec_lo, exec_lo, s3
	v_add_f32_e32 v9, 1.0, v2
	v_mul_f32_e32 v2, v2, v2
	v_mul_f32_e32 v10, v9, v9
	v_add_f32_e32 v9, 1.0, v9
	v_div_scale_f32 v11, null, v2, v2, 1.0
	v_div_scale_f32 v13, vcc_lo, 1.0, v2, 1.0
	v_mul_f32_e32 v14, v9, v9
	v_div_scale_f32 v12, null, v10, v10, 1.0
	v_rcp_f32_e32 v15, v11
	v_div_scale_f32 v18, s1, 1.0, v10, 1.0
	v_div_scale_f32 v17, null, v14, v14, 1.0
	v_rcp_f32_e32 v16, v12
	v_add_f32_e32 v9, 1.0, v9
	v_div_scale_f32 v19, s2, 1.0, v14, 1.0
	v_rcp_f32_e32 v20, v17
	v_fma_f32 v22, -v11, v15, 1.0
	v_mul_f32_e32 v21, v9, v9
	v_add_f32_e32 v9, 1.0, v9
	v_fma_f32 v23, -v12, v16, 1.0
	v_fmac_f32_e32 v15, v22, v15
	v_mul_f32_e32 v25, v9, v9
	v_add_f32_e32 v9, 1.0, v9
	v_fma_f32 v22, -v17, v20, 1.0
	v_fmac_f32_e32 v16, v23, v16
	v_mul_f32_e32 v26, v13, v15
	v_div_scale_f32 v24, null, v21, v21, 1.0
	v_fmac_f32_e32 v20, v22, v20
	v_mul_f32_e32 v27, v18, v16
	v_fma_f32 v28, -v11, v26, v13
	v_add_f32_e32 v31, 1.0, v9
	v_rcp_f32_e32 v23, v24
	v_mul_f32_e32 v30, v19, v20
	v_fma_f32 v29, -v12, v27, v18
	v_fmac_f32_e32 v26, v28, v15
	v_mul_f32_e32 v9, v9, v9
	v_div_scale_f32 v22, null, v25, v25, 1.0
	v_fma_f32 v28, -v17, v30, v19
	v_fmac_f32_e32 v27, v29, v16
	v_fma_f32 v11, -v11, v26, v13
	v_mul_f32_e32 v13, v31, v31
	v_rcp_f32_e32 v29, v22
	v_fmac_f32_e32 v30, v28, v20
	v_fma_f32 v12, -v12, v27, v18
	v_div_fmas_f32 v11, v11, v15, v26
	s_mov_b32 vcc_lo, s1
	v_fma_f32 v32, -v24, v23, 1.0
	v_fma_f32 v15, -v17, v30, v19
	v_div_fmas_f32 v12, v12, v16, v27
	s_mov_b32 vcc_lo, s2
	v_div_scale_f32 v16, null, v9, v9, 1.0
	v_div_fmas_f32 v15, v15, v20, v30
	v_div_scale_f32 v17, null, v13, v13, 1.0
	v_add_f32_e32 v20, v31, v31
	v_rcp_f32_e32 v19, v16
	v_fmac_f32_e32 v23, v32, v23
	v_rcp_f32_e32 v27, v17
	v_div_scale_f32 v18, vcc_lo, 1.0, v21, 1.0
	v_div_scale_f32 v30, null, v20, v20, 1.0
	v_fma_f32 v26, -v22, v29, 1.0
	v_mul_f32_e32 v28, v18, v23
	v_div_fixup_f32 v2, v11, v2, 1.0
	v_rcp_f32_e32 v33, v30
	v_fma_f32 v32, -v16, v19, 1.0
	v_fmac_f32_e32 v29, v26, v29
	v_div_scale_f32 v26, s1, 1.0, v25, 1.0
	v_fma_f32 v35, -v17, v27, 1.0
	v_fma_f32 v34, -v24, v28, v18
	v_fmac_f32_e32 v19, v32, v19
	v_div_scale_f32 v32, s2, 1.0, v9, 1.0
	v_mul_f32_e32 v36, v26, v29
	v_fmac_f32_e32 v27, v35, v27
	v_div_scale_f32 v35, s3, 1.0, v13, 1.0
	v_fma_f32 v37, -v30, v33, 1.0
	v_fmac_f32_e32 v28, v34, v23
	v_mul_f32_e32 v38, v32, v19
	v_fma_f32 v34, -v22, v36, v26
	v_mul_f32_e32 v39, v35, v27
	v_fmac_f32_e32 v33, v37, v33
	v_div_scale_f32 v37, s4, 1.0, v20, 1.0
	v_fma_f32 v18, -v24, v28, v18
	v_fma_f32 v24, -v16, v38, v32
	v_fmac_f32_e32 v36, v34, v29
	v_fma_f32 v34, -v17, v39, v35
	v_mul_f32_e32 v40, v37, v33
	v_div_fmas_f32 v18, v18, v23, v28
	v_fmac_f32_e32 v38, v24, v19
	v_fma_f32 v22, -v22, v36, v26
	v_fmac_f32_e32 v39, v34, v27
	v_fma_f32 v23, -v30, v40, v37
	s_mov_b32 vcc_lo, s1
	v_fma_f32 v16, -v16, v38, v32
	v_div_fmas_f32 v22, v22, v29, v36
	v_fma_f32 v17, -v17, v39, v35
	v_fmac_f32_e32 v40, v23, v33
	s_mov_b32 vcc_lo, s2
	s_mov_b32 s1, 0xbcc30c31
	v_div_fmas_f32 v16, v16, v19, v38
	s_mov_b32 vcc_lo, s3
	v_fma_f32 v19, -v30, v40, v37
	v_div_fmas_f32 v17, v17, v27, v39
	s_mov_b32 vcc_lo, s4
	v_add_f32_e32 v2, v6, v2
	v_div_fixup_f32 v6, v12, v10, 1.0
	v_div_fmas_f32 v19, v19, v33, v40
	v_div_fixup_f32 v13, v17, v13, 1.0
	v_add_f32_e32 v2, v2, v6
	v_div_fixup_f32 v17, v19, v20, 1.0
	v_fmaak_f32 v19, s1, v13, 0x3d088889
	v_div_fixup_f32 v6, v15, v14, 1.0
	v_add_f32_e32 v17, 1.0, v17
	v_fma_f32 v19, -v13, v19, 0x3e2aaaab
	v_add_f32_e32 v2, v2, v6
	v_div_fixup_f32 v6, v18, v21, 1.0
	v_fmac_f32_e32 v17, v13, v19
	v_add_f32_e32 v2, v2, v6
	v_div_fixup_f32 v6, v22, v25, 1.0
	v_div_scale_f32 v13, null, v31, v31, v17
	v_div_scale_f32 v10, vcc_lo, v17, v31, v17
	v_add_f32_e32 v2, v2, v6
	v_rcp_f32_e32 v19, v13
	v_div_fixup_f32 v6, v16, v9, 1.0
	v_add_f32_e32 v2, v2, v6
	v_fma_f32 v11, -v13, v19, 1.0
	v_fmac_f32_e32 v19, v11, v19
	v_mul_f32_e32 v11, v10, v19
	v_fma_f32 v12, -v13, v11, v10
	v_fmac_f32_e32 v11, v12, v19
	v_fma_f32 v10, -v13, v11, v10
	v_div_fmas_f32 v9, v10, v19, v11
	v_div_fixup_f32 v6, v9, v31, v17
	v_add_f32_e32 v2, v2, v6
	v_mul_f32_e32 v6, v5, v2
	s_or_b32 exec_lo, exec_lo, s7
	s_and_saveexec_b32 s1, s0
	s_xor_b32 s0, exec_lo, s1
	s_cbranch_execz .LBB53_61
.LBB53_73:
	v_mov_b32_e32 v2, 0
	v_lshlrev_b64 v[0:1], 2, v[1:2]
	v_add_co_u32 v9, vcc_lo, s8, v0
	v_add_co_ci_u32_e64 v10, null, s9, v1, vcc_lo
	v_mov_b32_e32 v0, v3
	global_store_dword v[9:10], v4, off
	s_or_b32 exec_lo, exec_lo, s0
	s_mov_b32 s0, exec_lo
	v_cmpx_gt_i32_e64 s5, v0
	s_cbranch_execz .LBB53_62
.LBB53_74:
	v_add_nc_u32_e32 v1, s6, v0
	v_mov_b32_e32 v2, 0
	v_add_nc_u32_e32 v0, 0x100, v0
	v_lshlrev_b64 v[1:2], 2, v[1:2]
	v_add_co_u32 v1, vcc_lo, s8, v1
	v_add_co_ci_u32_e64 v2, null, s9, v2, vcc_lo
	global_store_dword v[1:2], v8, off
	s_or_b32 exec_lo, exec_lo, s0
	s_mov_b32 s0, exec_lo
	v_cmpx_gt_i32_e64 s5, v0
	s_cbranch_execz .LBB53_63
.LBB53_75:
	v_add_nc_u32_e32 v1, s6, v0
	v_mov_b32_e32 v2, 0
	v_add_nc_u32_e32 v0, 0x100, v0
	v_lshlrev_b64 v[1:2], 2, v[1:2]
	v_add_co_u32 v1, vcc_lo, s8, v1
	v_add_co_ci_u32_e64 v2, null, s9, v2, vcc_lo
	global_store_dword v[1:2], v7, off
	s_or_b32 exec_lo, exec_lo, s0
	s_mov_b32 s0, exec_lo
	v_cmpx_gt_i32_e64 s5, v0
	s_cbranch_execnz .LBB53_64
	s_branch .LBB53_65
	.section	.rodata,"a",@progbits
	.p2align	6, 0x0
	.amdhsa_kernel _ZN2at6native29vectorized_elementwise_kernelILi2EZZZNS0_20trigamma_kernel_cudaERNS_18TensorIteratorBaseEENKUlvE_clEvENKUlvE0_clEvEUlfE_St5arrayIPcLm2EEEEviT0_T1_
		.amdhsa_group_segment_fixed_size 0
		.amdhsa_private_segment_fixed_size 0
		.amdhsa_kernarg_size 24
		.amdhsa_user_sgpr_count 6
		.amdhsa_user_sgpr_private_segment_buffer 1
		.amdhsa_user_sgpr_dispatch_ptr 0
		.amdhsa_user_sgpr_queue_ptr 0
		.amdhsa_user_sgpr_kernarg_segment_ptr 1
		.amdhsa_user_sgpr_dispatch_id 0
		.amdhsa_user_sgpr_flat_scratch_init 0
		.amdhsa_user_sgpr_private_segment_size 0
		.amdhsa_wavefront_size32 1
		.amdhsa_uses_dynamic_stack 0
		.amdhsa_system_sgpr_private_segment_wavefront_offset 0
		.amdhsa_system_sgpr_workgroup_id_x 1
		.amdhsa_system_sgpr_workgroup_id_y 0
		.amdhsa_system_sgpr_workgroup_id_z 0
		.amdhsa_system_sgpr_workgroup_info 0
		.amdhsa_system_vgpr_workitem_id 0
		.amdhsa_next_free_vgpr 78
		.amdhsa_next_free_sgpr 14
		.amdhsa_reserve_vcc 1
		.amdhsa_reserve_flat_scratch 0
		.amdhsa_float_round_mode_32 0
		.amdhsa_float_round_mode_16_64 0
		.amdhsa_float_denorm_mode_32 3
		.amdhsa_float_denorm_mode_16_64 3
		.amdhsa_dx10_clamp 1
		.amdhsa_ieee_mode 1
		.amdhsa_fp16_overflow 0
		.amdhsa_workgroup_processor_mode 1
		.amdhsa_memory_ordered 1
		.amdhsa_forward_progress 1
		.amdhsa_shared_vgpr_count 0
		.amdhsa_exception_fp_ieee_invalid_op 0
		.amdhsa_exception_fp_denorm_src 0
		.amdhsa_exception_fp_ieee_div_zero 0
		.amdhsa_exception_fp_ieee_overflow 0
		.amdhsa_exception_fp_ieee_underflow 0
		.amdhsa_exception_fp_ieee_inexact 0
		.amdhsa_exception_int_div_zero 0
	.end_amdhsa_kernel
	.section	.text._ZN2at6native29vectorized_elementwise_kernelILi2EZZZNS0_20trigamma_kernel_cudaERNS_18TensorIteratorBaseEENKUlvE_clEvENKUlvE0_clEvEUlfE_St5arrayIPcLm2EEEEviT0_T1_,"axG",@progbits,_ZN2at6native29vectorized_elementwise_kernelILi2EZZZNS0_20trigamma_kernel_cudaERNS_18TensorIteratorBaseEENKUlvE_clEvENKUlvE0_clEvEUlfE_St5arrayIPcLm2EEEEviT0_T1_,comdat
.Lfunc_end53:
	.size	_ZN2at6native29vectorized_elementwise_kernelILi2EZZZNS0_20trigamma_kernel_cudaERNS_18TensorIteratorBaseEENKUlvE_clEvENKUlvE0_clEvEUlfE_St5arrayIPcLm2EEEEviT0_T1_, .Lfunc_end53-_ZN2at6native29vectorized_elementwise_kernelILi2EZZZNS0_20trigamma_kernel_cudaERNS_18TensorIteratorBaseEENKUlvE_clEvENKUlvE0_clEvEUlfE_St5arrayIPcLm2EEEEviT0_T1_
                                        ; -- End function
	.set _ZN2at6native29vectorized_elementwise_kernelILi2EZZZNS0_20trigamma_kernel_cudaERNS_18TensorIteratorBaseEENKUlvE_clEvENKUlvE0_clEvEUlfE_St5arrayIPcLm2EEEEviT0_T1_.num_vgpr, 78
	.set _ZN2at6native29vectorized_elementwise_kernelILi2EZZZNS0_20trigamma_kernel_cudaERNS_18TensorIteratorBaseEENKUlvE_clEvENKUlvE0_clEvEUlfE_St5arrayIPcLm2EEEEviT0_T1_.num_agpr, 0
	.set _ZN2at6native29vectorized_elementwise_kernelILi2EZZZNS0_20trigamma_kernel_cudaERNS_18TensorIteratorBaseEENKUlvE_clEvENKUlvE0_clEvEUlfE_St5arrayIPcLm2EEEEviT0_T1_.numbered_sgpr, 14
	.set _ZN2at6native29vectorized_elementwise_kernelILi2EZZZNS0_20trigamma_kernel_cudaERNS_18TensorIteratorBaseEENKUlvE_clEvENKUlvE0_clEvEUlfE_St5arrayIPcLm2EEEEviT0_T1_.num_named_barrier, 0
	.set _ZN2at6native29vectorized_elementwise_kernelILi2EZZZNS0_20trigamma_kernel_cudaERNS_18TensorIteratorBaseEENKUlvE_clEvENKUlvE0_clEvEUlfE_St5arrayIPcLm2EEEEviT0_T1_.private_seg_size, 0
	.set _ZN2at6native29vectorized_elementwise_kernelILi2EZZZNS0_20trigamma_kernel_cudaERNS_18TensorIteratorBaseEENKUlvE_clEvENKUlvE0_clEvEUlfE_St5arrayIPcLm2EEEEviT0_T1_.uses_vcc, 1
	.set _ZN2at6native29vectorized_elementwise_kernelILi2EZZZNS0_20trigamma_kernel_cudaERNS_18TensorIteratorBaseEENKUlvE_clEvENKUlvE0_clEvEUlfE_St5arrayIPcLm2EEEEviT0_T1_.uses_flat_scratch, 0
	.set _ZN2at6native29vectorized_elementwise_kernelILi2EZZZNS0_20trigamma_kernel_cudaERNS_18TensorIteratorBaseEENKUlvE_clEvENKUlvE0_clEvEUlfE_St5arrayIPcLm2EEEEviT0_T1_.has_dyn_sized_stack, 0
	.set _ZN2at6native29vectorized_elementwise_kernelILi2EZZZNS0_20trigamma_kernel_cudaERNS_18TensorIteratorBaseEENKUlvE_clEvENKUlvE0_clEvEUlfE_St5arrayIPcLm2EEEEviT0_T1_.has_recursion, 0
	.set _ZN2at6native29vectorized_elementwise_kernelILi2EZZZNS0_20trigamma_kernel_cudaERNS_18TensorIteratorBaseEENKUlvE_clEvENKUlvE0_clEvEUlfE_St5arrayIPcLm2EEEEviT0_T1_.has_indirect_call, 0
	.section	.AMDGPU.csdata,"",@progbits
; Kernel info:
; codeLenInByte = 14576
; TotalNumSgprs: 16
; NumVgprs: 78
; ScratchSize: 0
; MemoryBound: 0
; FloatMode: 240
; IeeeMode: 1
; LDSByteSize: 0 bytes/workgroup (compile time only)
; SGPRBlocks: 0
; VGPRBlocks: 9
; NumSGPRsForWavesPerEU: 16
; NumVGPRsForWavesPerEU: 78
; Occupancy: 12
; WaveLimiterHint : 1
; COMPUTE_PGM_RSRC2:SCRATCH_EN: 0
; COMPUTE_PGM_RSRC2:USER_SGPR: 6
; COMPUTE_PGM_RSRC2:TRAP_HANDLER: 0
; COMPUTE_PGM_RSRC2:TGID_X_EN: 1
; COMPUTE_PGM_RSRC2:TGID_Y_EN: 0
; COMPUTE_PGM_RSRC2:TGID_Z_EN: 0
; COMPUTE_PGM_RSRC2:TIDIG_COMP_CNT: 0
	.section	.text._ZN2at6native27unrolled_elementwise_kernelIZZZNS0_20trigamma_kernel_cudaERNS_18TensorIteratorBaseEENKUlvE_clEvENKUlvE0_clEvEUlfE_St5arrayIPcLm2EELi4E23TrivialOffsetCalculatorILi1EjESB_NS0_6memory15LoadWithoutCastENSC_16StoreWithoutCastEEEviT_T0_T2_T3_T4_T5_,"axG",@progbits,_ZN2at6native27unrolled_elementwise_kernelIZZZNS0_20trigamma_kernel_cudaERNS_18TensorIteratorBaseEENKUlvE_clEvENKUlvE0_clEvEUlfE_St5arrayIPcLm2EELi4E23TrivialOffsetCalculatorILi1EjESB_NS0_6memory15LoadWithoutCastENSC_16StoreWithoutCastEEEviT_T0_T2_T3_T4_T5_,comdat
	.globl	_ZN2at6native27unrolled_elementwise_kernelIZZZNS0_20trigamma_kernel_cudaERNS_18TensorIteratorBaseEENKUlvE_clEvENKUlvE0_clEvEUlfE_St5arrayIPcLm2EELi4E23TrivialOffsetCalculatorILi1EjESB_NS0_6memory15LoadWithoutCastENSC_16StoreWithoutCastEEEviT_T0_T2_T3_T4_T5_ ; -- Begin function _ZN2at6native27unrolled_elementwise_kernelIZZZNS0_20trigamma_kernel_cudaERNS_18TensorIteratorBaseEENKUlvE_clEvENKUlvE0_clEvEUlfE_St5arrayIPcLm2EELi4E23TrivialOffsetCalculatorILi1EjESB_NS0_6memory15LoadWithoutCastENSC_16StoreWithoutCastEEEviT_T0_T2_T3_T4_T5_
	.p2align	8
	.type	_ZN2at6native27unrolled_elementwise_kernelIZZZNS0_20trigamma_kernel_cudaERNS_18TensorIteratorBaseEENKUlvE_clEvENKUlvE0_clEvEUlfE_St5arrayIPcLm2EELi4E23TrivialOffsetCalculatorILi1EjESB_NS0_6memory15LoadWithoutCastENSC_16StoreWithoutCastEEEviT_T0_T2_T3_T4_T5_,@function
_ZN2at6native27unrolled_elementwise_kernelIZZZNS0_20trigamma_kernel_cudaERNS_18TensorIteratorBaseEENKUlvE_clEvENKUlvE0_clEvEUlfE_St5arrayIPcLm2EELi4E23TrivialOffsetCalculatorILi1EjESB_NS0_6memory15LoadWithoutCastENSC_16StoreWithoutCastEEEviT_T0_T2_T3_T4_T5_: ; @_ZN2at6native27unrolled_elementwise_kernelIZZZNS0_20trigamma_kernel_cudaERNS_18TensorIteratorBaseEENKUlvE_clEvENKUlvE0_clEvEUlfE_St5arrayIPcLm2EELi4E23TrivialOffsetCalculatorILi1EjESB_NS0_6memory15LoadWithoutCastENSC_16StoreWithoutCastEEEviT_T0_T2_T3_T4_T5_
; %bb.0:
	s_clause 0x1
	s_load_dword s0, s[4:5], 0x0
	s_load_dwordx4 s[8:11], s[4:5], 0x8
	s_lshl_b32 s5, s6, 10
	v_mov_b32_e32 v9, 0
	v_mov_b32_e32 v10, 0
	v_or_b32_e32 v1, s5, v0
	v_or_b32_e32 v3, 0x100, v0
	v_mov_b32_e32 v4, v0
	s_waitcnt lgkmcnt(0)
	s_sub_i32 s6, s0, s5
	v_cmp_gt_i32_e64 s0, s6, v0
	s_and_saveexec_b32 s1, s0
	s_cbranch_execz .LBB54_2
; %bb.1:
	v_mov_b32_e32 v2, 0
	v_lshlrev_b64 v[4:5], 2, v[1:2]
	v_add_co_u32 v4, vcc_lo, s10, v4
	v_add_co_ci_u32_e64 v5, null, s11, v5, vcc_lo
	global_load_dword v10, v[4:5], off
	v_or_b32_e32 v4, 0x100, v0
.LBB54_2:
	s_or_b32 exec_lo, exec_lo, s1
	s_mov_b32 s1, exec_lo
	v_cmpx_gt_i32_e64 s6, v4
	s_cbranch_execz .LBB54_4
; %bb.3:
	v_add_nc_u32_e32 v5, s5, v4
	v_mov_b32_e32 v6, 0
	v_add_nc_u32_e32 v4, 0x100, v4
	v_lshlrev_b64 v[5:6], 2, v[5:6]
	v_add_co_u32 v5, vcc_lo, s10, v5
	v_add_co_ci_u32_e64 v6, null, s11, v6, vcc_lo
	global_load_dword v9, v[5:6], off
.LBB54_4:
	s_or_b32 exec_lo, exec_lo, s1
	v_mov_b32_e32 v2, 0
	v_mov_b32_e32 v5, 0
	s_mov_b32 s1, exec_lo
	v_cmpx_gt_i32_e64 s6, v4
	s_cbranch_execz .LBB54_6
; %bb.5:
	v_add_nc_u32_e32 v5, s5, v4
	v_mov_b32_e32 v6, 0
	v_add_nc_u32_e32 v4, 0x100, v4
	v_lshlrev_b64 v[5:6], 2, v[5:6]
	v_add_co_u32 v5, vcc_lo, s10, v5
	v_add_co_ci_u32_e64 v6, null, s11, v6, vcc_lo
	global_load_dword v5, v[5:6], off
.LBB54_6:
	s_or_b32 exec_lo, exec_lo, s1
	s_mov_b32 s1, exec_lo
	v_cmpx_gt_i32_e64 s6, v4
	s_cbranch_execz .LBB54_8
; %bb.7:
	v_add_nc_u32_e32 v6, s5, v4
	v_mov_b32_e32 v7, 0
	v_lshlrev_b64 v[6:7], 2, v[6:7]
	v_add_co_u32 v6, vcc_lo, s10, v6
	v_add_co_ci_u32_e64 v7, null, s11, v7, vcc_lo
	global_load_dword v2, v[6:7], off
.LBB54_8:
	s_or_b32 exec_lo, exec_lo, s1
	v_mov_b32_e32 v4, 0
	v_mov_b32_e32 v8, v4
	;; [unrolled: 1-line block ×4, first 2 shown]
	s_and_saveexec_b32 s7, s0
	s_cbranch_execz .LBB54_16
; %bb.9:
	v_mov_b32_e32 v6, 1.0
	s_mov_b32 s3, exec_lo
	s_waitcnt vmcnt(0)
	v_cmpx_gt_f32_e32 0.5, v10
	s_cbranch_execz .LBB54_15
; %bb.10:
	v_mul_f32_e32 v4, 0x40490fdb, v10
                                        ; implicit-def: $vgpr8
                                        ; implicit-def: $vgpr7
	s_mov_b32 s2, exec_lo
	v_and_b32_e32 v6, 0x7fffffff, v4
	v_cmpx_ngt_f32_e64 0x48000000, |v4|
	s_xor_b32 s4, exec_lo, s2
	s_cbranch_execz .LBB54_12
; %bb.11:
	s_mov_b32 s1, 0x7fffff
	v_mov_b32_e32 v12, 0
	v_and_or_b32 v19, v6, s1, 0x800000
	v_mad_u64_u32 v[7:8], null, 0xfe5163ab, v19, 0
	v_mov_b32_e32 v11, v8
	v_lshrrev_b32_e32 v8, 23, v6
	v_mad_u64_u32 v[13:14], null, 0x3c439041, v19, v[11:12]
	v_add_nc_u32_e32 v8, 0xffffff88, v8
	v_cmp_lt_u32_e32 vcc_lo, 63, v8
	v_mov_b32_e32 v11, v14
	v_cndmask_b32_e64 v18, 0, 0xffffffc0, vcc_lo
	v_mad_u64_u32 v[14:15], null, 0xdb629599, v19, v[11:12]
	v_add_nc_u32_e32 v8, v18, v8
	v_mov_b32_e32 v11, v15
	v_cmp_lt_u32_e64 s1, 31, v8
	v_cndmask_b32_e32 v7, v14, v7, vcc_lo
	v_mad_u64_u32 v[15:16], null, 0xf534ddc0, v19, v[11:12]
	v_cndmask_b32_e64 v20, 0, 0xffffffe0, s1
	v_add_nc_u32_e32 v8, v20, v8
	v_mov_b32_e32 v11, v16
	v_cndmask_b32_e32 v13, v15, v13, vcc_lo
	v_cmp_lt_u32_e64 s2, 31, v8
	v_mad_u64_u32 v[16:17], null, 0xfc2757d1, v19, v[11:12]
	v_cndmask_b32_e64 v7, v13, v7, s1
	v_mov_b32_e32 v11, v17
	v_mad_u64_u32 v[17:18], null, 0x4e441529, v19, v[11:12]
	v_mov_b32_e32 v11, v18
	v_cndmask_b32_e64 v18, 0, 0xffffffe0, s2
	v_mad_u64_u32 v[11:12], null, 0xa2f9836e, v19, v[11:12]
	v_cndmask_b32_e32 v19, v17, v15, vcc_lo
	v_add_nc_u32_e32 v8, v18, v8
	v_cndmask_b32_e32 v11, v11, v16, vcc_lo
	v_cndmask_b32_e32 v12, v12, v17, vcc_lo
	v_cndmask_b32_e32 v16, v16, v14, vcc_lo
	v_sub_nc_u32_e32 v17, 32, v8
	v_cmp_eq_u32_e32 vcc_lo, 0, v8
	v_cndmask_b32_e64 v15, v11, v19, s1
	v_cndmask_b32_e64 v11, v12, v11, s1
	;; [unrolled: 1-line block ×8, first 2 shown]
	v_alignbit_b32 v18, v11, v15, v17
	v_alignbit_b32 v14, v15, v12, v17
	;; [unrolled: 1-line block ×3, first 2 shown]
	v_cndmask_b32_e32 v8, v18, v11, vcc_lo
	v_cndmask_b32_e32 v11, v14, v15, vcc_lo
	;; [unrolled: 1-line block ×3, first 2 shown]
	v_bfe_u32 v13, v8, 29, 1
	v_alignbit_b32 v14, v8, v11, 30
	v_alignbit_b32 v11, v11, v12, 30
	;; [unrolled: 1-line block ×3, first 2 shown]
	v_sub_nc_u32_e32 v15, 0, v13
	v_xor_b32_e32 v14, v14, v15
	v_xor_b32_e32 v11, v11, v15
	;; [unrolled: 1-line block ×3, first 2 shown]
	v_lshrrev_b32_e32 v15, 29, v8
	v_lshrrev_b32_e32 v8, 30, v8
	v_ffbh_u32_e32 v16, v14
	v_add_nc_u32_e32 v8, v13, v8
	v_min_u32_e32 v16, 32, v16
	v_sub_nc_u32_e32 v12, 31, v16
	v_lshlrev_b32_e32 v17, 23, v16
	v_alignbit_b32 v14, v14, v11, v12
	v_alignbit_b32 v7, v11, v7, v12
	v_lshlrev_b32_e32 v11, 31, v15
	v_alignbit_b32 v12, v14, v7, 9
	v_or_b32_e32 v15, 0.5, v11
	v_lshrrev_b32_e32 v14, 9, v14
	v_or_b32_e32 v11, 0x33000000, v11
	v_ffbh_u32_e32 v18, v12
	v_sub_nc_u32_e32 v15, v15, v17
	v_min_u32_e32 v17, 32, v18
	v_or_b32_e32 v14, v14, v15
	v_not_b32_e32 v15, v17
	v_mul_f32_e32 v18, 0x3fc90fda, v14
	v_add_lshl_u32 v16, v17, v16, 23
	v_alignbit_b32 v7, v12, v7, v15
	v_fma_f32 v12, 0x3fc90fda, v14, -v18
	v_sub_nc_u32_e32 v11, v11, v16
	v_lshrrev_b32_e32 v7, 9, v7
	v_fmamk_f32 v12, v14, 0x33a22168, v12
	v_or_b32_e32 v7, v11, v7
	v_fmac_f32_e32 v12, 0x3fc90fda, v7
	v_add_f32_e32 v7, v18, v12
.LBB54_12:
	s_andn2_saveexec_b32 s1, s4
; %bb.13:
	v_mul_f32_e64 v7, 0x3f22f983, |v4|
	v_rndne_f32_e32 v8, v7
	v_fma_f32 v7, 0xbfc90fda, v8, |v4|
	v_fmamk_f32 v7, v8, 0xb3a22168, v7
	v_fmamk_f32 v7, v8, 0xa7c234c4, v7
	v_cvt_i32_f32_e32 v8, v8
; %bb.14:
	s_or_b32 exec_lo, exec_lo, s1
	v_mul_f32_e32 v11, v7, v7
	s_mov_b32 s1, 0xb94c1982
	s_mov_b32 s2, 0x37d75334
	v_and_b32_e32 v14, 1, v8
	v_lshlrev_b32_e32 v8, 30, v8
	v_fmaak_f32 v12, s1, v11, 0x3c0881c4
	v_fmaak_f32 v13, s2, v11, 0xbab64f3b
	v_xor_b32_e32 v6, v6, v4
	v_cmp_eq_u32_e32 vcc_lo, 0, v14
	v_and_b32_e32 v8, 0x80000000, v8
	v_fmaak_f32 v12, v11, v12, 0xbe2aaa9d
	v_fmaak_f32 v13, v11, v13, 0x3d2aabf7
	v_sub_f32_e32 v10, 1.0, v10
	v_mul_f32_e32 v12, v11, v12
	v_fmaak_f32 v13, v11, v13, 0xbf000004
	v_fmac_f32_e32 v7, v7, v12
	v_fma_f32 v11, v11, v13, 1.0
	v_cndmask_b32_e32 v7, v11, v7, vcc_lo
	v_cmp_class_f32_e64 vcc_lo, v4, 0x1f8
	v_xor3_b32 v6, v6, v8, v7
	v_cndmask_b32_e32 v4, 0x7fc00000, v6, vcc_lo
	v_mul_f32_e32 v4, v4, v4
	v_div_scale_f32 v6, null, v4, v4, 0xc11de9e7
	v_div_scale_f32 v11, vcc_lo, 0xc11de9e7, v4, 0xc11de9e7
	v_rcp_f32_e32 v7, v6
	v_fma_f32 v8, -v6, v7, 1.0
	v_fmac_f32_e32 v7, v8, v7
	v_mul_f32_e32 v8, v11, v7
	v_fma_f32 v12, -v6, v8, v11
	v_fmac_f32_e32 v8, v12, v7
	v_fma_f32 v6, -v6, v8, v11
	v_div_fmas_f32 v6, v6, v7, v8
	v_div_fixup_f32 v4, v6, v4, 0xc11de9e7
	v_mov_b32_e32 v6, -1.0
	v_add_f32_e32 v4, 0, v4
.LBB54_15:
	s_or_b32 exec_lo, exec_lo, s3
	v_add_f32_e32 v7, 1.0, v10
	v_mul_f32_e32 v8, v10, v10
	v_mul_f32_e32 v10, v7, v7
	v_add_f32_e32 v7, 1.0, v7
	v_div_scale_f32 v11, null, v8, v8, 1.0
	v_div_scale_f32 v13, vcc_lo, 1.0, v8, 1.0
	v_mul_f32_e32 v14, v7, v7
	v_div_scale_f32 v12, null, v10, v10, 1.0
	v_rcp_f32_e32 v15, v11
	v_div_scale_f32 v18, s1, 1.0, v10, 1.0
	v_div_scale_f32 v17, null, v14, v14, 1.0
	v_rcp_f32_e32 v16, v12
	v_add_f32_e32 v7, 1.0, v7
	v_div_scale_f32 v19, s2, 1.0, v14, 1.0
	v_rcp_f32_e32 v20, v17
	v_fma_f32 v22, -v11, v15, 1.0
	v_mul_f32_e32 v21, v7, v7
	v_add_f32_e32 v7, 1.0, v7
	v_fma_f32 v23, -v12, v16, 1.0
	v_fmac_f32_e32 v15, v22, v15
	v_mul_f32_e32 v25, v7, v7
	v_add_f32_e32 v7, 1.0, v7
	v_fma_f32 v22, -v17, v20, 1.0
	v_fmac_f32_e32 v16, v23, v16
	v_mul_f32_e32 v26, v13, v15
	v_div_scale_f32 v24, null, v21, v21, 1.0
	v_fmac_f32_e32 v20, v22, v20
	v_mul_f32_e32 v27, v18, v16
	v_fma_f32 v28, -v11, v26, v13
	v_add_f32_e32 v31, 1.0, v7
	v_rcp_f32_e32 v23, v24
	v_mul_f32_e32 v30, v19, v20
	v_fma_f32 v29, -v12, v27, v18
	v_fmac_f32_e32 v26, v28, v15
	v_mul_f32_e32 v7, v7, v7
	v_div_scale_f32 v22, null, v25, v25, 1.0
	v_fma_f32 v28, -v17, v30, v19
	v_fmac_f32_e32 v27, v29, v16
	v_fma_f32 v11, -v11, v26, v13
	v_mul_f32_e32 v13, v31, v31
	v_rcp_f32_e32 v29, v22
	v_fmac_f32_e32 v30, v28, v20
	v_fma_f32 v12, -v12, v27, v18
	v_div_fmas_f32 v11, v11, v15, v26
	s_mov_b32 vcc_lo, s1
	v_fma_f32 v32, -v24, v23, 1.0
	v_fma_f32 v15, -v17, v30, v19
	v_div_fmas_f32 v12, v12, v16, v27
	s_mov_b32 vcc_lo, s2
	v_div_scale_f32 v16, null, v7, v7, 1.0
	v_div_fmas_f32 v15, v15, v20, v30
	v_div_scale_f32 v17, null, v13, v13, 1.0
	v_add_f32_e32 v20, v31, v31
	v_rcp_f32_e32 v19, v16
	v_fmac_f32_e32 v23, v32, v23
	v_rcp_f32_e32 v27, v17
	v_div_scale_f32 v18, vcc_lo, 1.0, v21, 1.0
	v_div_scale_f32 v30, null, v20, v20, 1.0
	v_fma_f32 v26, -v22, v29, 1.0
	v_mul_f32_e32 v28, v18, v23
	v_div_fixup_f32 v8, v11, v8, 1.0
	v_rcp_f32_e32 v33, v30
	v_fma_f32 v32, -v16, v19, 1.0
	v_fmac_f32_e32 v29, v26, v29
	v_div_scale_f32 v26, s1, 1.0, v25, 1.0
	v_fma_f32 v35, -v17, v27, 1.0
	v_fma_f32 v34, -v24, v28, v18
	v_fmac_f32_e32 v19, v32, v19
	v_div_scale_f32 v32, s2, 1.0, v7, 1.0
	v_mul_f32_e32 v36, v26, v29
	v_fmac_f32_e32 v27, v35, v27
	v_div_scale_f32 v35, s3, 1.0, v13, 1.0
	v_fma_f32 v37, -v30, v33, 1.0
	v_fmac_f32_e32 v28, v34, v23
	v_mul_f32_e32 v38, v32, v19
	v_fma_f32 v34, -v22, v36, v26
	v_mul_f32_e32 v39, v35, v27
	v_fmac_f32_e32 v33, v37, v33
	v_div_scale_f32 v37, s4, 1.0, v20, 1.0
	v_fma_f32 v18, -v24, v28, v18
	v_fma_f32 v24, -v16, v38, v32
	v_fmac_f32_e32 v36, v34, v29
	v_fma_f32 v34, -v17, v39, v35
	v_mul_f32_e32 v40, v37, v33
	v_div_fmas_f32 v18, v18, v23, v28
	v_fmac_f32_e32 v38, v24, v19
	v_fma_f32 v22, -v22, v36, v26
	v_fmac_f32_e32 v39, v34, v27
	v_fma_f32 v23, -v30, v40, v37
	s_mov_b32 vcc_lo, s1
	v_fma_f32 v16, -v16, v38, v32
	v_div_fmas_f32 v22, v22, v29, v36
	v_fma_f32 v17, -v17, v39, v35
	v_fmac_f32_e32 v40, v23, v33
	s_mov_b32 vcc_lo, s2
	s_mov_b32 s1, 0xbcc30c31
	v_div_fmas_f32 v16, v16, v19, v38
	s_mov_b32 vcc_lo, s3
	v_fma_f32 v19, -v30, v40, v37
	v_div_fmas_f32 v17, v17, v27, v39
	s_mov_b32 vcc_lo, s4
	v_add_f32_e32 v4, v4, v8
	v_div_fixup_f32 v8, v12, v10, 1.0
	v_div_fmas_f32 v19, v19, v33, v40
	v_div_fixup_f32 v13, v17, v13, 1.0
	v_div_fixup_f32 v7, v16, v7, 1.0
	v_add_f32_e32 v4, v4, v8
	v_div_fixup_f32 v17, v19, v20, 1.0
	v_fmaak_f32 v19, s1, v13, 0x3d088889
	v_div_fixup_f32 v8, v15, v14, 1.0
	v_add_f32_e32 v17, 1.0, v17
	v_fma_f32 v19, -v13, v19, 0x3e2aaaab
	v_add_f32_e32 v4, v4, v8
	v_div_fixup_f32 v8, v18, v21, 1.0
	v_fmac_f32_e32 v17, v13, v19
	v_add_f32_e32 v4, v4, v8
	v_div_fixup_f32 v8, v22, v25, 1.0
	v_div_scale_f32 v13, null, v31, v31, v17
	v_div_scale_f32 v10, vcc_lo, v17, v31, v17
	v_add_f32_e32 v4, v4, v8
	v_rcp_f32_e32 v19, v13
	v_add_f32_e32 v4, v4, v7
	v_fma_f32 v11, -v13, v19, 1.0
	v_fmac_f32_e32 v19, v11, v19
	v_mul_f32_e32 v11, v10, v19
	v_fma_f32 v12, -v13, v11, v10
	v_fmac_f32_e32 v11, v12, v19
	v_fma_f32 v10, -v13, v11, v10
	v_div_fmas_f32 v8, v10, v19, v11
	v_div_fixup_f32 v7, v8, v31, v17
	v_mov_b32_e32 v8, 0
	v_add_f32_e32 v4, v4, v7
	v_mov_b32_e32 v7, v8
	v_mul_f32_e32 v4, v6, v4
	v_mov_b32_e32 v6, v8
.LBB54_16:
	s_or_b32 exec_lo, exec_lo, s7
	s_mov_b32 s7, exec_lo
	v_cmpx_gt_i32_e64 s6, v3
	s_cbranch_execz .LBB54_24
; %bb.17:
	s_waitcnt vmcnt(0)
	v_mov_b32_e32 v10, 0
	v_mov_b32_e32 v8, 1.0
	s_mov_b32 s3, exec_lo
	v_cmpx_gt_f32_e32 0.5, v9
	s_cbranch_execz .LBB54_23
; %bb.18:
	v_mul_f32_e32 v8, 0x40490fdb, v9
                                        ; implicit-def: $vgpr12
                                        ; implicit-def: $vgpr11
	s_mov_b32 s2, exec_lo
	v_and_b32_e32 v10, 0x7fffffff, v8
	v_cmpx_ngt_f32_e64 0x48000000, |v8|
	s_xor_b32 s4, exec_lo, s2
	s_cbranch_execz .LBB54_20
; %bb.19:
	s_mov_b32 s1, 0x7fffff
	v_mov_b32_e32 v13, 0
	v_and_or_b32 v20, v10, s1, 0x800000
	v_lshrrev_b32_e32 v18, 23, v10
	v_mad_u64_u32 v[11:12], null, 0xfe5163ab, v20, 0
	v_add_nc_u32_e32 v19, 0xffffff88, v18
	v_cmp_lt_u32_e32 vcc_lo, 63, v19
	v_mad_u64_u32 v[14:15], null, 0x3c439041, v20, v[12:13]
	v_cndmask_b32_e64 v21, 0, 0xffffffc0, vcc_lo
	v_mov_b32_e32 v12, v15
	v_add_nc_u32_e32 v21, v21, v19
	v_mad_u64_u32 v[15:16], null, 0xdb629599, v20, v[12:13]
	v_cmp_lt_u32_e64 s1, 31, v21
	v_cndmask_b32_e64 v22, 0, 0xffffffe0, s1
	v_mov_b32_e32 v12, v16
	v_cndmask_b32_e32 v11, v15, v11, vcc_lo
	v_mad_u64_u32 v[16:17], null, 0xf534ddc0, v20, v[12:13]
	v_mov_b32_e32 v12, v17
	v_cndmask_b32_e32 v14, v16, v14, vcc_lo
	v_mad_u64_u32 v[17:18], null, 0xfc2757d1, v20, v[12:13]
	v_cndmask_b32_e64 v11, v14, v11, s1
	v_mov_b32_e32 v12, v18
	v_mad_u64_u32 v[18:19], null, 0x4e441529, v20, v[12:13]
	v_mov_b32_e32 v12, v19
	v_add_nc_u32_e32 v19, v22, v21
	v_cndmask_b32_e32 v21, v18, v16, vcc_lo
	v_mad_u64_u32 v[12:13], null, 0xa2f9836e, v20, v[12:13]
	v_cmp_lt_u32_e64 s2, 31, v19
	v_cndmask_b32_e64 v20, 0, 0xffffffe0, s2
	v_cndmask_b32_e32 v12, v12, v17, vcc_lo
	v_cndmask_b32_e32 v13, v13, v18, vcc_lo
	;; [unrolled: 1-line block ×3, first 2 shown]
	v_add_nc_u32_e32 v18, v20, v19
	v_cndmask_b32_e64 v16, v12, v21, s1
	v_cndmask_b32_e64 v12, v13, v12, s1
	;; [unrolled: 1-line block ×4, first 2 shown]
	v_sub_nc_u32_e32 v19, 32, v18
	v_cmp_eq_u32_e32 vcc_lo, 0, v18
	v_cndmask_b32_e64 v12, v12, v16, s2
	v_cndmask_b32_e64 v16, v16, v13, s2
	;; [unrolled: 1-line block ×4, first 2 shown]
	v_alignbit_b32 v20, v12, v16, v19
	v_alignbit_b32 v15, v16, v13, v19
	;; [unrolled: 1-line block ×3, first 2 shown]
	v_cndmask_b32_e32 v12, v20, v12, vcc_lo
	v_cndmask_b32_e32 v14, v15, v16, vcc_lo
	v_cndmask_b32_e32 v13, v18, v13, vcc_lo
	v_bfe_u32 v15, v12, 29, 1
	v_alignbit_b32 v16, v12, v14, 30
	v_alignbit_b32 v14, v14, v13, 30
	;; [unrolled: 1-line block ×3, first 2 shown]
	v_sub_nc_u32_e32 v17, 0, v15
	v_xor_b32_e32 v16, v16, v17
	v_xor_b32_e32 v13, v14, v17
	v_xor_b32_e32 v11, v11, v17
	v_lshrrev_b32_e32 v17, 29, v12
	v_lshrrev_b32_e32 v12, 30, v12
	v_ffbh_u32_e32 v18, v16
	v_add_nc_u32_e32 v12, v15, v12
	v_min_u32_e32 v18, 32, v18
	v_sub_nc_u32_e32 v14, 31, v18
	v_lshlrev_b32_e32 v19, 23, v18
	v_alignbit_b32 v16, v16, v13, v14
	v_alignbit_b32 v11, v13, v11, v14
	v_lshlrev_b32_e32 v13, 31, v17
	v_alignbit_b32 v14, v16, v11, 9
	v_or_b32_e32 v17, 0.5, v13
	v_lshrrev_b32_e32 v16, 9, v16
	v_or_b32_e32 v13, 0x33000000, v13
	v_ffbh_u32_e32 v20, v14
	v_sub_nc_u32_e32 v17, v17, v19
	v_min_u32_e32 v19, 32, v20
	v_or_b32_e32 v16, v16, v17
	v_not_b32_e32 v17, v19
	v_mul_f32_e32 v20, 0x3fc90fda, v16
	v_add_lshl_u32 v18, v19, v18, 23
	v_alignbit_b32 v11, v14, v11, v17
	v_fma_f32 v14, 0x3fc90fda, v16, -v20
	v_sub_nc_u32_e32 v13, v13, v18
	v_lshrrev_b32_e32 v11, 9, v11
	v_fmamk_f32 v14, v16, 0x33a22168, v14
	v_or_b32_e32 v11, v13, v11
	v_fmac_f32_e32 v14, 0x3fc90fda, v11
	v_add_f32_e32 v11, v20, v14
.LBB54_20:
	s_andn2_saveexec_b32 s1, s4
; %bb.21:
	v_mul_f32_e64 v11, 0x3f22f983, |v8|
	v_rndne_f32_e32 v12, v11
	v_fma_f32 v11, 0xbfc90fda, v12, |v8|
	v_fmamk_f32 v11, v12, 0xb3a22168, v11
	v_fmamk_f32 v11, v12, 0xa7c234c4, v11
	v_cvt_i32_f32_e32 v12, v12
; %bb.22:
	s_or_b32 exec_lo, exec_lo, s1
	v_mul_f32_e32 v13, v11, v11
	s_mov_b32 s1, 0xb94c1982
	s_mov_b32 s2, 0x37d75334
	v_and_b32_e32 v16, 1, v12
	v_lshlrev_b32_e32 v12, 30, v12
	v_fmaak_f32 v14, s1, v13, 0x3c0881c4
	v_fmaak_f32 v15, s2, v13, 0xbab64f3b
	v_xor_b32_e32 v10, v10, v8
	v_cmp_eq_u32_e32 vcc_lo, 0, v16
	v_and_b32_e32 v12, 0x80000000, v12
	v_fmaak_f32 v14, v13, v14, 0xbe2aaa9d
	v_fmaak_f32 v15, v13, v15, 0x3d2aabf7
	v_sub_f32_e32 v9, 1.0, v9
	v_mul_f32_e32 v14, v13, v14
	v_fmaak_f32 v15, v13, v15, 0xbf000004
	v_fmac_f32_e32 v11, v11, v14
	v_fma_f32 v13, v13, v15, 1.0
	v_cndmask_b32_e32 v11, v13, v11, vcc_lo
	v_cmp_class_f32_e64 vcc_lo, v8, 0x1f8
	v_xor3_b32 v10, v10, v12, v11
	v_cndmask_b32_e32 v8, 0x7fc00000, v10, vcc_lo
	v_mul_f32_e32 v8, v8, v8
	v_div_scale_f32 v10, null, v8, v8, 0xc11de9e7
	v_div_scale_f32 v13, vcc_lo, 0xc11de9e7, v8, 0xc11de9e7
	v_rcp_f32_e32 v11, v10
	v_fma_f32 v12, -v10, v11, 1.0
	v_fmac_f32_e32 v11, v12, v11
	v_mul_f32_e32 v12, v13, v11
	v_fma_f32 v14, -v10, v12, v13
	v_fmac_f32_e32 v12, v14, v11
	v_fma_f32 v10, -v10, v12, v13
	v_div_fmas_f32 v10, v10, v11, v12
	v_div_fixup_f32 v8, v10, v8, 0xc11de9e7
	v_add_f32_e32 v10, 0, v8
	v_mov_b32_e32 v8, -1.0
.LBB54_23:
	s_or_b32 exec_lo, exec_lo, s3
	v_add_f32_e32 v11, 1.0, v9
	v_mul_f32_e32 v9, v9, v9
	v_mul_f32_e32 v12, v11, v11
	v_add_f32_e32 v11, 1.0, v11
	v_div_scale_f32 v13, null, v9, v9, 1.0
	v_div_scale_f32 v15, vcc_lo, 1.0, v9, 1.0
	v_mul_f32_e32 v16, v11, v11
	v_div_scale_f32 v14, null, v12, v12, 1.0
	v_rcp_f32_e32 v17, v13
	v_div_scale_f32 v20, s1, 1.0, v12, 1.0
	v_div_scale_f32 v19, null, v16, v16, 1.0
	v_rcp_f32_e32 v18, v14
	v_add_f32_e32 v11, 1.0, v11
	v_div_scale_f32 v21, s2, 1.0, v16, 1.0
	v_rcp_f32_e32 v22, v19
	v_fma_f32 v24, -v13, v17, 1.0
	v_mul_f32_e32 v23, v11, v11
	v_add_f32_e32 v11, 1.0, v11
	v_fma_f32 v25, -v14, v18, 1.0
	v_fmac_f32_e32 v17, v24, v17
	v_mul_f32_e32 v27, v11, v11
	v_add_f32_e32 v11, 1.0, v11
	v_fma_f32 v24, -v19, v22, 1.0
	v_fmac_f32_e32 v18, v25, v18
	v_mul_f32_e32 v28, v15, v17
	v_div_scale_f32 v26, null, v23, v23, 1.0
	v_fmac_f32_e32 v22, v24, v22
	v_mul_f32_e32 v29, v20, v18
	v_fma_f32 v30, -v13, v28, v15
	v_add_f32_e32 v33, 1.0, v11
	v_rcp_f32_e32 v25, v26
	v_mul_f32_e32 v32, v21, v22
	v_fma_f32 v31, -v14, v29, v20
	v_fmac_f32_e32 v28, v30, v17
	v_mul_f32_e32 v11, v11, v11
	v_div_scale_f32 v24, null, v27, v27, 1.0
	v_fma_f32 v30, -v19, v32, v21
	v_fmac_f32_e32 v29, v31, v18
	v_fma_f32 v13, -v13, v28, v15
	v_mul_f32_e32 v15, v33, v33
	v_rcp_f32_e32 v31, v24
	v_fmac_f32_e32 v32, v30, v22
	v_fma_f32 v14, -v14, v29, v20
	v_div_fmas_f32 v13, v13, v17, v28
	s_mov_b32 vcc_lo, s1
	v_fma_f32 v34, -v26, v25, 1.0
	v_fma_f32 v17, -v19, v32, v21
	v_div_fmas_f32 v14, v14, v18, v29
	s_mov_b32 vcc_lo, s2
	v_div_scale_f32 v18, null, v11, v11, 1.0
	v_div_fmas_f32 v17, v17, v22, v32
	v_div_scale_f32 v19, null, v15, v15, 1.0
	v_add_f32_e32 v22, v33, v33
	v_rcp_f32_e32 v21, v18
	v_fmac_f32_e32 v25, v34, v25
	v_rcp_f32_e32 v29, v19
	v_div_scale_f32 v20, vcc_lo, 1.0, v23, 1.0
	v_div_scale_f32 v32, null, v22, v22, 1.0
	v_fma_f32 v28, -v24, v31, 1.0
	v_mul_f32_e32 v30, v20, v25
	v_div_fixup_f32 v9, v13, v9, 1.0
	v_rcp_f32_e32 v35, v32
	v_fma_f32 v34, -v18, v21, 1.0
	v_fmac_f32_e32 v31, v28, v31
	v_div_scale_f32 v28, s1, 1.0, v27, 1.0
	v_fma_f32 v37, -v19, v29, 1.0
	v_fma_f32 v36, -v26, v30, v20
	v_fmac_f32_e32 v21, v34, v21
	v_div_scale_f32 v34, s2, 1.0, v11, 1.0
	v_mul_f32_e32 v38, v28, v31
	v_fmac_f32_e32 v29, v37, v29
	v_div_scale_f32 v37, s3, 1.0, v15, 1.0
	v_fma_f32 v39, -v32, v35, 1.0
	v_fmac_f32_e32 v30, v36, v25
	v_mul_f32_e32 v40, v34, v21
	v_fma_f32 v36, -v24, v38, v28
	v_mul_f32_e32 v41, v37, v29
	v_fmac_f32_e32 v35, v39, v35
	v_div_scale_f32 v39, s4, 1.0, v22, 1.0
	v_fma_f32 v20, -v26, v30, v20
	v_fma_f32 v26, -v18, v40, v34
	v_fmac_f32_e32 v38, v36, v31
	v_fma_f32 v36, -v19, v41, v37
	v_mul_f32_e32 v42, v39, v35
	v_div_fmas_f32 v20, v20, v25, v30
	v_fmac_f32_e32 v40, v26, v21
	v_fma_f32 v24, -v24, v38, v28
	v_fmac_f32_e32 v41, v36, v29
	v_fma_f32 v25, -v32, v42, v39
	s_mov_b32 vcc_lo, s1
	v_fma_f32 v18, -v18, v40, v34
	v_div_fmas_f32 v24, v24, v31, v38
	v_fma_f32 v19, -v19, v41, v37
	v_fmac_f32_e32 v42, v25, v35
	s_mov_b32 vcc_lo, s2
	s_mov_b32 s1, 0xbcc30c31
	v_div_fmas_f32 v18, v18, v21, v40
	s_mov_b32 vcc_lo, s3
	v_fma_f32 v21, -v32, v42, v39
	v_div_fmas_f32 v19, v19, v29, v41
	s_mov_b32 vcc_lo, s4
	v_add_f32_e32 v9, v10, v9
	v_div_fixup_f32 v10, v14, v12, 1.0
	v_div_fmas_f32 v21, v21, v35, v42
	v_div_fixup_f32 v15, v19, v15, 1.0
	v_add_f32_e32 v9, v9, v10
	v_div_fixup_f32 v19, v21, v22, 1.0
	v_fmaak_f32 v21, s1, v15, 0x3d088889
	v_div_fixup_f32 v10, v17, v16, 1.0
	v_add_f32_e32 v19, 1.0, v19
	v_fma_f32 v21, -v15, v21, 0x3e2aaaab
	v_add_f32_e32 v9, v9, v10
	v_div_fixup_f32 v10, v20, v23, 1.0
	v_fmac_f32_e32 v19, v15, v21
	v_add_f32_e32 v9, v9, v10
	v_div_fixup_f32 v10, v24, v27, 1.0
	v_div_scale_f32 v15, null, v33, v33, v19
	v_div_scale_f32 v12, vcc_lo, v19, v33, v19
	v_add_f32_e32 v9, v9, v10
	v_rcp_f32_e32 v21, v15
	v_div_fixup_f32 v10, v18, v11, 1.0
	v_add_f32_e32 v9, v9, v10
	v_fma_f32 v13, -v15, v21, 1.0
	v_fmac_f32_e32 v21, v13, v21
	v_mul_f32_e32 v13, v12, v21
	v_fma_f32 v14, -v15, v13, v12
	v_fmac_f32_e32 v13, v14, v21
	v_fma_f32 v12, -v15, v13, v12
	v_div_fmas_f32 v11, v12, v21, v13
	v_div_fixup_f32 v10, v11, v33, v19
	v_add_f32_e32 v9, v9, v10
	v_mul_f32_e32 v8, v8, v9
.LBB54_24:
	s_or_b32 exec_lo, exec_lo, s7
	s_waitcnt vmcnt(0)
	v_or_b32_e32 v9, 0x200, v0
	s_mov_b32 s7, exec_lo
	v_cmpx_gt_i32_e64 s6, v9
	s_cbranch_execz .LBB54_32
; %bb.25:
	v_mov_b32_e32 v9, 0
	v_mov_b32_e32 v7, 1.0
	s_mov_b32 s3, exec_lo
	v_cmpx_gt_f32_e32 0.5, v5
	s_cbranch_execz .LBB54_31
; %bb.26:
	v_mul_f32_e32 v7, 0x40490fdb, v5
                                        ; implicit-def: $vgpr11
                                        ; implicit-def: $vgpr10
	s_mov_b32 s2, exec_lo
	v_and_b32_e32 v9, 0x7fffffff, v7
	v_cmpx_ngt_f32_e64 0x48000000, |v7|
	s_xor_b32 s4, exec_lo, s2
	s_cbranch_execz .LBB54_28
; %bb.27:
	s_mov_b32 s1, 0x7fffff
	v_mov_b32_e32 v12, 0
	v_and_or_b32 v19, v9, s1, 0x800000
	v_lshrrev_b32_e32 v17, 23, v9
	v_mad_u64_u32 v[10:11], null, 0xfe5163ab, v19, 0
	v_add_nc_u32_e32 v18, 0xffffff88, v17
	v_cmp_lt_u32_e32 vcc_lo, 63, v18
	v_mad_u64_u32 v[13:14], null, 0x3c439041, v19, v[11:12]
	v_cndmask_b32_e64 v20, 0, 0xffffffc0, vcc_lo
	v_mov_b32_e32 v11, v14
	v_add_nc_u32_e32 v20, v20, v18
	v_mad_u64_u32 v[14:15], null, 0xdb629599, v19, v[11:12]
	v_cmp_lt_u32_e64 s1, 31, v20
	v_cndmask_b32_e64 v21, 0, 0xffffffe0, s1
	v_mov_b32_e32 v11, v15
	v_cndmask_b32_e32 v10, v14, v10, vcc_lo
	v_mad_u64_u32 v[15:16], null, 0xf534ddc0, v19, v[11:12]
	v_mov_b32_e32 v11, v16
	v_cndmask_b32_e32 v13, v15, v13, vcc_lo
	v_mad_u64_u32 v[16:17], null, 0xfc2757d1, v19, v[11:12]
	v_cndmask_b32_e64 v10, v13, v10, s1
	v_mov_b32_e32 v11, v17
	v_mad_u64_u32 v[17:18], null, 0x4e441529, v19, v[11:12]
	v_mov_b32_e32 v11, v18
	v_add_nc_u32_e32 v18, v21, v20
	v_cndmask_b32_e32 v20, v17, v15, vcc_lo
	v_mad_u64_u32 v[11:12], null, 0xa2f9836e, v19, v[11:12]
	v_cmp_lt_u32_e64 s2, 31, v18
	v_cndmask_b32_e64 v19, 0, 0xffffffe0, s2
	v_cndmask_b32_e32 v11, v11, v16, vcc_lo
	v_cndmask_b32_e32 v12, v12, v17, vcc_lo
	;; [unrolled: 1-line block ×3, first 2 shown]
	v_add_nc_u32_e32 v17, v19, v18
	v_cndmask_b32_e64 v15, v11, v20, s1
	v_cndmask_b32_e64 v11, v12, v11, s1
	;; [unrolled: 1-line block ×4, first 2 shown]
	v_sub_nc_u32_e32 v18, 32, v17
	v_cmp_eq_u32_e32 vcc_lo, 0, v17
	v_cndmask_b32_e64 v11, v11, v15, s2
	v_cndmask_b32_e64 v15, v15, v12, s2
	;; [unrolled: 1-line block ×4, first 2 shown]
	v_alignbit_b32 v19, v11, v15, v18
	v_alignbit_b32 v14, v15, v12, v18
	;; [unrolled: 1-line block ×3, first 2 shown]
	v_cndmask_b32_e32 v11, v19, v11, vcc_lo
	v_cndmask_b32_e32 v13, v14, v15, vcc_lo
	;; [unrolled: 1-line block ×3, first 2 shown]
	v_bfe_u32 v14, v11, 29, 1
	v_alignbit_b32 v15, v11, v13, 30
	v_alignbit_b32 v13, v13, v12, 30
	;; [unrolled: 1-line block ×3, first 2 shown]
	v_sub_nc_u32_e32 v16, 0, v14
	v_xor_b32_e32 v15, v15, v16
	v_xor_b32_e32 v12, v13, v16
	;; [unrolled: 1-line block ×3, first 2 shown]
	v_lshrrev_b32_e32 v16, 29, v11
	v_lshrrev_b32_e32 v11, 30, v11
	v_ffbh_u32_e32 v17, v15
	v_add_nc_u32_e32 v11, v14, v11
	v_min_u32_e32 v17, 32, v17
	v_sub_nc_u32_e32 v13, 31, v17
	v_lshlrev_b32_e32 v18, 23, v17
	v_alignbit_b32 v15, v15, v12, v13
	v_alignbit_b32 v10, v12, v10, v13
	v_lshlrev_b32_e32 v12, 31, v16
	v_alignbit_b32 v13, v15, v10, 9
	v_or_b32_e32 v16, 0.5, v12
	v_lshrrev_b32_e32 v15, 9, v15
	v_or_b32_e32 v12, 0x33000000, v12
	v_ffbh_u32_e32 v19, v13
	v_sub_nc_u32_e32 v16, v16, v18
	v_min_u32_e32 v18, 32, v19
	v_or_b32_e32 v15, v15, v16
	v_not_b32_e32 v16, v18
	v_mul_f32_e32 v19, 0x3fc90fda, v15
	v_add_lshl_u32 v17, v18, v17, 23
	v_alignbit_b32 v10, v13, v10, v16
	v_fma_f32 v13, 0x3fc90fda, v15, -v19
	v_sub_nc_u32_e32 v12, v12, v17
	v_lshrrev_b32_e32 v10, 9, v10
	v_fmamk_f32 v13, v15, 0x33a22168, v13
	v_or_b32_e32 v10, v12, v10
	v_fmac_f32_e32 v13, 0x3fc90fda, v10
	v_add_f32_e32 v10, v19, v13
.LBB54_28:
	s_andn2_saveexec_b32 s1, s4
; %bb.29:
	v_mul_f32_e64 v10, 0x3f22f983, |v7|
	v_rndne_f32_e32 v11, v10
	v_fma_f32 v10, 0xbfc90fda, v11, |v7|
	v_fmamk_f32 v10, v11, 0xb3a22168, v10
	v_fmamk_f32 v10, v11, 0xa7c234c4, v10
	v_cvt_i32_f32_e32 v11, v11
; %bb.30:
	s_or_b32 exec_lo, exec_lo, s1
	v_mul_f32_e32 v12, v10, v10
	s_mov_b32 s1, 0xb94c1982
	s_mov_b32 s2, 0x37d75334
	v_and_b32_e32 v15, 1, v11
	v_lshlrev_b32_e32 v11, 30, v11
	v_fmaak_f32 v13, s1, v12, 0x3c0881c4
	v_fmaak_f32 v14, s2, v12, 0xbab64f3b
	v_xor_b32_e32 v9, v9, v7
	v_cmp_eq_u32_e32 vcc_lo, 0, v15
	v_and_b32_e32 v11, 0x80000000, v11
	v_fmaak_f32 v13, v12, v13, 0xbe2aaa9d
	v_fmaak_f32 v14, v12, v14, 0x3d2aabf7
	v_sub_f32_e32 v5, 1.0, v5
	v_mul_f32_e32 v13, v12, v13
	v_fmaak_f32 v14, v12, v14, 0xbf000004
	v_fmac_f32_e32 v10, v10, v13
	v_fma_f32 v12, v12, v14, 1.0
	v_cndmask_b32_e32 v10, v12, v10, vcc_lo
	v_cmp_class_f32_e64 vcc_lo, v7, 0x1f8
	v_xor3_b32 v9, v9, v11, v10
	v_cndmask_b32_e32 v7, 0x7fc00000, v9, vcc_lo
	v_mul_f32_e32 v7, v7, v7
	v_div_scale_f32 v9, null, v7, v7, 0xc11de9e7
	v_div_scale_f32 v12, vcc_lo, 0xc11de9e7, v7, 0xc11de9e7
	v_rcp_f32_e32 v10, v9
	v_fma_f32 v11, -v9, v10, 1.0
	v_fmac_f32_e32 v10, v11, v10
	v_mul_f32_e32 v11, v12, v10
	v_fma_f32 v13, -v9, v11, v12
	v_fmac_f32_e32 v11, v13, v10
	v_fma_f32 v9, -v9, v11, v12
	v_div_fmas_f32 v9, v9, v10, v11
	v_div_fixup_f32 v7, v9, v7, 0xc11de9e7
	v_add_f32_e32 v9, 0, v7
	v_mov_b32_e32 v7, -1.0
.LBB54_31:
	s_or_b32 exec_lo, exec_lo, s3
	v_add_f32_e32 v10, 1.0, v5
	v_mul_f32_e32 v5, v5, v5
	v_mul_f32_e32 v11, v10, v10
	v_add_f32_e32 v10, 1.0, v10
	v_div_scale_f32 v12, null, v5, v5, 1.0
	v_div_scale_f32 v14, vcc_lo, 1.0, v5, 1.0
	v_mul_f32_e32 v15, v10, v10
	v_div_scale_f32 v13, null, v11, v11, 1.0
	v_rcp_f32_e32 v16, v12
	v_div_scale_f32 v19, s1, 1.0, v11, 1.0
	v_div_scale_f32 v18, null, v15, v15, 1.0
	v_rcp_f32_e32 v17, v13
	v_add_f32_e32 v10, 1.0, v10
	v_div_scale_f32 v20, s2, 1.0, v15, 1.0
	v_rcp_f32_e32 v21, v18
	v_fma_f32 v23, -v12, v16, 1.0
	v_mul_f32_e32 v22, v10, v10
	v_add_f32_e32 v10, 1.0, v10
	v_fma_f32 v24, -v13, v17, 1.0
	v_fmac_f32_e32 v16, v23, v16
	v_mul_f32_e32 v26, v10, v10
	v_add_f32_e32 v10, 1.0, v10
	v_fma_f32 v23, -v18, v21, 1.0
	v_fmac_f32_e32 v17, v24, v17
	v_mul_f32_e32 v27, v14, v16
	v_div_scale_f32 v25, null, v22, v22, 1.0
	v_fmac_f32_e32 v21, v23, v21
	v_mul_f32_e32 v28, v19, v17
	v_fma_f32 v29, -v12, v27, v14
	v_add_f32_e32 v32, 1.0, v10
	v_rcp_f32_e32 v24, v25
	v_mul_f32_e32 v31, v20, v21
	v_fma_f32 v30, -v13, v28, v19
	v_fmac_f32_e32 v27, v29, v16
	v_mul_f32_e32 v10, v10, v10
	v_div_scale_f32 v23, null, v26, v26, 1.0
	v_fma_f32 v29, -v18, v31, v20
	v_fmac_f32_e32 v28, v30, v17
	v_fma_f32 v12, -v12, v27, v14
	v_mul_f32_e32 v14, v32, v32
	v_rcp_f32_e32 v30, v23
	v_fmac_f32_e32 v31, v29, v21
	v_fma_f32 v13, -v13, v28, v19
	v_div_fmas_f32 v12, v12, v16, v27
	s_mov_b32 vcc_lo, s1
	v_fma_f32 v33, -v25, v24, 1.0
	v_fma_f32 v16, -v18, v31, v20
	v_div_fmas_f32 v13, v13, v17, v28
	s_mov_b32 vcc_lo, s2
	v_div_scale_f32 v17, null, v10, v10, 1.0
	v_div_fmas_f32 v16, v16, v21, v31
	v_div_scale_f32 v18, null, v14, v14, 1.0
	v_add_f32_e32 v21, v32, v32
	v_rcp_f32_e32 v20, v17
	v_fmac_f32_e32 v24, v33, v24
	v_rcp_f32_e32 v28, v18
	v_div_scale_f32 v19, vcc_lo, 1.0, v22, 1.0
	v_div_scale_f32 v31, null, v21, v21, 1.0
	v_fma_f32 v27, -v23, v30, 1.0
	v_mul_f32_e32 v29, v19, v24
	v_div_fixup_f32 v5, v12, v5, 1.0
	v_rcp_f32_e32 v34, v31
	v_fma_f32 v33, -v17, v20, 1.0
	v_fmac_f32_e32 v30, v27, v30
	v_div_scale_f32 v27, s1, 1.0, v26, 1.0
	v_fma_f32 v36, -v18, v28, 1.0
	v_fma_f32 v35, -v25, v29, v19
	v_fmac_f32_e32 v20, v33, v20
	v_div_scale_f32 v33, s2, 1.0, v10, 1.0
	v_mul_f32_e32 v37, v27, v30
	v_fmac_f32_e32 v28, v36, v28
	v_div_scale_f32 v36, s3, 1.0, v14, 1.0
	v_fma_f32 v38, -v31, v34, 1.0
	v_fmac_f32_e32 v29, v35, v24
	v_mul_f32_e32 v39, v33, v20
	v_fma_f32 v35, -v23, v37, v27
	v_mul_f32_e32 v40, v36, v28
	v_fmac_f32_e32 v34, v38, v34
	v_div_scale_f32 v38, s4, 1.0, v21, 1.0
	v_fma_f32 v19, -v25, v29, v19
	v_fma_f32 v25, -v17, v39, v33
	v_fmac_f32_e32 v37, v35, v30
	v_fma_f32 v35, -v18, v40, v36
	v_mul_f32_e32 v41, v38, v34
	v_div_fmas_f32 v19, v19, v24, v29
	v_fmac_f32_e32 v39, v25, v20
	v_fma_f32 v23, -v23, v37, v27
	v_fmac_f32_e32 v40, v35, v28
	v_fma_f32 v24, -v31, v41, v38
	s_mov_b32 vcc_lo, s1
	v_fma_f32 v17, -v17, v39, v33
	v_div_fmas_f32 v23, v23, v30, v37
	v_fma_f32 v18, -v18, v40, v36
	v_fmac_f32_e32 v41, v24, v34
	s_mov_b32 vcc_lo, s2
	s_mov_b32 s1, 0xbcc30c31
	v_div_fmas_f32 v17, v17, v20, v39
	s_mov_b32 vcc_lo, s3
	v_fma_f32 v20, -v31, v41, v38
	v_div_fmas_f32 v18, v18, v28, v40
	s_mov_b32 vcc_lo, s4
	v_add_f32_e32 v5, v9, v5
	v_div_fixup_f32 v9, v13, v11, 1.0
	v_div_fmas_f32 v20, v20, v34, v41
	v_div_fixup_f32 v14, v18, v14, 1.0
	v_add_f32_e32 v5, v5, v9
	v_div_fixup_f32 v18, v20, v21, 1.0
	v_fmaak_f32 v20, s1, v14, 0x3d088889
	v_div_fixup_f32 v9, v16, v15, 1.0
	v_add_f32_e32 v18, 1.0, v18
	v_fma_f32 v20, -v14, v20, 0x3e2aaaab
	v_add_f32_e32 v5, v5, v9
	v_div_fixup_f32 v9, v19, v22, 1.0
	v_fmac_f32_e32 v18, v14, v20
	v_add_f32_e32 v5, v5, v9
	v_div_fixup_f32 v9, v23, v26, 1.0
	v_div_scale_f32 v14, null, v32, v32, v18
	v_div_scale_f32 v11, vcc_lo, v18, v32, v18
	v_add_f32_e32 v5, v5, v9
	v_rcp_f32_e32 v20, v14
	v_div_fixup_f32 v9, v17, v10, 1.0
	v_add_f32_e32 v5, v5, v9
	v_fma_f32 v12, -v14, v20, 1.0
	v_fmac_f32_e32 v20, v12, v20
	v_mul_f32_e32 v12, v11, v20
	v_fma_f32 v13, -v14, v12, v11
	v_fmac_f32_e32 v12, v13, v20
	v_fma_f32 v11, -v14, v12, v11
	v_div_fmas_f32 v10, v11, v20, v12
	v_div_fixup_f32 v9, v10, v32, v18
	v_add_f32_e32 v5, v5, v9
	v_mul_f32_e32 v7, v7, v5
.LBB54_32:
	s_or_b32 exec_lo, exec_lo, s7
	v_or_b32_e32 v5, 0x300, v0
	s_mov_b32 s7, exec_lo
	v_cmpx_gt_i32_e64 s6, v5
	s_cbranch_execnz .LBB54_38
; %bb.33:
	s_or_b32 exec_lo, exec_lo, s7
	s_and_saveexec_b32 s1, s0
	s_xor_b32 s0, exec_lo, s1
	s_cbranch_execnz .LBB54_45
.LBB54_34:
	s_or_b32 exec_lo, exec_lo, s0
	s_mov_b32 s0, exec_lo
	v_cmpx_gt_i32_e64 s6, v0
	s_cbranch_execnz .LBB54_46
.LBB54_35:
	s_or_b32 exec_lo, exec_lo, s0
	s_mov_b32 s0, exec_lo
	v_cmpx_gt_i32_e64 s6, v0
	s_cbranch_execnz .LBB54_47
.LBB54_36:
	s_or_b32 exec_lo, exec_lo, s0
	s_mov_b32 s0, exec_lo
	v_cmpx_gt_i32_e64 s6, v0
	s_cbranch_execnz .LBB54_48
.LBB54_37:
	s_endpgm
.LBB54_38:
	v_mov_b32_e32 v6, 0
	v_mov_b32_e32 v5, 1.0
	s_mov_b32 s3, exec_lo
	v_cmpx_gt_f32_e32 0.5, v2
	s_cbranch_execz .LBB54_44
; %bb.39:
	v_mul_f32_e32 v5, 0x40490fdb, v2
                                        ; implicit-def: $vgpr10
                                        ; implicit-def: $vgpr9
	s_mov_b32 s2, exec_lo
	v_and_b32_e32 v6, 0x7fffffff, v5
	v_cmpx_ngt_f32_e64 0x48000000, |v5|
	s_xor_b32 s4, exec_lo, s2
	s_cbranch_execz .LBB54_41
; %bb.40:
	s_mov_b32 s1, 0x7fffff
	v_mov_b32_e32 v11, 0
	v_and_or_b32 v18, v6, s1, 0x800000
	v_lshrrev_b32_e32 v16, 23, v6
	v_mad_u64_u32 v[9:10], null, 0xfe5163ab, v18, 0
	v_add_nc_u32_e32 v17, 0xffffff88, v16
	v_cmp_lt_u32_e32 vcc_lo, 63, v17
	v_mad_u64_u32 v[12:13], null, 0x3c439041, v18, v[10:11]
	v_cndmask_b32_e64 v19, 0, 0xffffffc0, vcc_lo
	v_mov_b32_e32 v10, v13
	v_add_nc_u32_e32 v19, v19, v17
	v_mad_u64_u32 v[13:14], null, 0xdb629599, v18, v[10:11]
	v_cmp_lt_u32_e64 s1, 31, v19
	v_cndmask_b32_e64 v20, 0, 0xffffffe0, s1
	v_mov_b32_e32 v10, v14
	v_cndmask_b32_e32 v9, v13, v9, vcc_lo
	v_mad_u64_u32 v[14:15], null, 0xf534ddc0, v18, v[10:11]
	v_mov_b32_e32 v10, v15
	v_cndmask_b32_e32 v12, v14, v12, vcc_lo
	v_mad_u64_u32 v[15:16], null, 0xfc2757d1, v18, v[10:11]
	v_cndmask_b32_e64 v9, v12, v9, s1
	v_mov_b32_e32 v10, v16
	v_mad_u64_u32 v[16:17], null, 0x4e441529, v18, v[10:11]
	v_mov_b32_e32 v10, v17
	v_add_nc_u32_e32 v17, v20, v19
	v_cndmask_b32_e32 v19, v16, v14, vcc_lo
	v_mad_u64_u32 v[10:11], null, 0xa2f9836e, v18, v[10:11]
	v_cmp_lt_u32_e64 s2, 31, v17
	v_cndmask_b32_e64 v18, 0, 0xffffffe0, s2
	v_cndmask_b32_e32 v10, v10, v15, vcc_lo
	v_cndmask_b32_e32 v11, v11, v16, vcc_lo
	;; [unrolled: 1-line block ×3, first 2 shown]
	v_add_nc_u32_e32 v16, v18, v17
	v_cndmask_b32_e64 v14, v10, v19, s1
	v_cndmask_b32_e64 v10, v11, v10, s1
	;; [unrolled: 1-line block ×4, first 2 shown]
	v_sub_nc_u32_e32 v17, 32, v16
	v_cmp_eq_u32_e32 vcc_lo, 0, v16
	v_cndmask_b32_e64 v10, v10, v14, s2
	v_cndmask_b32_e64 v14, v14, v11, s2
	;; [unrolled: 1-line block ×4, first 2 shown]
	v_alignbit_b32 v18, v10, v14, v17
	v_alignbit_b32 v13, v14, v11, v17
	;; [unrolled: 1-line block ×3, first 2 shown]
	v_cndmask_b32_e32 v10, v18, v10, vcc_lo
	v_cndmask_b32_e32 v12, v13, v14, vcc_lo
	;; [unrolled: 1-line block ×3, first 2 shown]
	v_bfe_u32 v13, v10, 29, 1
	v_alignbit_b32 v14, v10, v12, 30
	v_alignbit_b32 v12, v12, v11, 30
	;; [unrolled: 1-line block ×3, first 2 shown]
	v_sub_nc_u32_e32 v15, 0, v13
	v_xor_b32_e32 v14, v14, v15
	v_xor_b32_e32 v11, v12, v15
	;; [unrolled: 1-line block ×3, first 2 shown]
	v_lshrrev_b32_e32 v15, 29, v10
	v_lshrrev_b32_e32 v10, 30, v10
	v_ffbh_u32_e32 v16, v14
	v_add_nc_u32_e32 v10, v13, v10
	v_min_u32_e32 v16, 32, v16
	v_sub_nc_u32_e32 v12, 31, v16
	v_lshlrev_b32_e32 v17, 23, v16
	v_alignbit_b32 v14, v14, v11, v12
	v_alignbit_b32 v9, v11, v9, v12
	v_lshlrev_b32_e32 v11, 31, v15
	v_alignbit_b32 v12, v14, v9, 9
	v_or_b32_e32 v15, 0.5, v11
	v_lshrrev_b32_e32 v14, 9, v14
	v_or_b32_e32 v11, 0x33000000, v11
	v_ffbh_u32_e32 v18, v12
	v_sub_nc_u32_e32 v15, v15, v17
	v_min_u32_e32 v17, 32, v18
	v_or_b32_e32 v14, v14, v15
	v_not_b32_e32 v15, v17
	v_mul_f32_e32 v18, 0x3fc90fda, v14
	v_add_lshl_u32 v16, v17, v16, 23
	v_alignbit_b32 v9, v12, v9, v15
	v_fma_f32 v12, 0x3fc90fda, v14, -v18
	v_sub_nc_u32_e32 v11, v11, v16
	v_lshrrev_b32_e32 v9, 9, v9
	v_fmamk_f32 v12, v14, 0x33a22168, v12
	v_or_b32_e32 v9, v11, v9
	v_fmac_f32_e32 v12, 0x3fc90fda, v9
	v_add_f32_e32 v9, v18, v12
.LBB54_41:
	s_andn2_saveexec_b32 s1, s4
; %bb.42:
	v_mul_f32_e64 v9, 0x3f22f983, |v5|
	v_rndne_f32_e32 v10, v9
	v_fma_f32 v9, 0xbfc90fda, v10, |v5|
	v_fmamk_f32 v9, v10, 0xb3a22168, v9
	v_fmamk_f32 v9, v10, 0xa7c234c4, v9
	v_cvt_i32_f32_e32 v10, v10
; %bb.43:
	s_or_b32 exec_lo, exec_lo, s1
	v_mul_f32_e32 v11, v9, v9
	s_mov_b32 s1, 0xb94c1982
	s_mov_b32 s2, 0x37d75334
	v_and_b32_e32 v14, 1, v10
	v_lshlrev_b32_e32 v10, 30, v10
	v_fmaak_f32 v12, s1, v11, 0x3c0881c4
	v_fmaak_f32 v13, s2, v11, 0xbab64f3b
	v_xor_b32_e32 v6, v6, v5
	v_cmp_eq_u32_e32 vcc_lo, 0, v14
	v_and_b32_e32 v10, 0x80000000, v10
	v_fmaak_f32 v12, v11, v12, 0xbe2aaa9d
	v_fmaak_f32 v13, v11, v13, 0x3d2aabf7
	v_sub_f32_e32 v2, 1.0, v2
	v_mul_f32_e32 v12, v11, v12
	v_fmaak_f32 v13, v11, v13, 0xbf000004
	v_fmac_f32_e32 v9, v9, v12
	v_fma_f32 v11, v11, v13, 1.0
	v_cndmask_b32_e32 v9, v11, v9, vcc_lo
	v_cmp_class_f32_e64 vcc_lo, v5, 0x1f8
	v_xor3_b32 v6, v6, v10, v9
	v_cndmask_b32_e32 v5, 0x7fc00000, v6, vcc_lo
	v_mul_f32_e32 v5, v5, v5
	v_div_scale_f32 v6, null, v5, v5, 0xc11de9e7
	v_div_scale_f32 v11, vcc_lo, 0xc11de9e7, v5, 0xc11de9e7
	v_rcp_f32_e32 v9, v6
	v_fma_f32 v10, -v6, v9, 1.0
	v_fmac_f32_e32 v9, v10, v9
	v_mul_f32_e32 v10, v11, v9
	v_fma_f32 v12, -v6, v10, v11
	v_fmac_f32_e32 v10, v12, v9
	v_fma_f32 v6, -v6, v10, v11
	v_div_fmas_f32 v6, v6, v9, v10
	v_div_fixup_f32 v5, v6, v5, 0xc11de9e7
	v_add_f32_e32 v6, 0, v5
	v_mov_b32_e32 v5, -1.0
.LBB54_44:
	s_or_b32 exec_lo, exec_lo, s3
	v_add_f32_e32 v9, 1.0, v2
	v_mul_f32_e32 v2, v2, v2
	v_mul_f32_e32 v10, v9, v9
	v_add_f32_e32 v9, 1.0, v9
	v_div_scale_f32 v11, null, v2, v2, 1.0
	v_div_scale_f32 v13, vcc_lo, 1.0, v2, 1.0
	v_mul_f32_e32 v14, v9, v9
	v_div_scale_f32 v12, null, v10, v10, 1.0
	v_rcp_f32_e32 v15, v11
	v_div_scale_f32 v18, s1, 1.0, v10, 1.0
	v_div_scale_f32 v17, null, v14, v14, 1.0
	v_rcp_f32_e32 v16, v12
	v_add_f32_e32 v9, 1.0, v9
	v_div_scale_f32 v19, s2, 1.0, v14, 1.0
	v_rcp_f32_e32 v20, v17
	v_fma_f32 v22, -v11, v15, 1.0
	v_mul_f32_e32 v21, v9, v9
	v_add_f32_e32 v9, 1.0, v9
	v_fma_f32 v23, -v12, v16, 1.0
	v_fmac_f32_e32 v15, v22, v15
	v_mul_f32_e32 v25, v9, v9
	v_add_f32_e32 v9, 1.0, v9
	v_fma_f32 v22, -v17, v20, 1.0
	v_fmac_f32_e32 v16, v23, v16
	v_mul_f32_e32 v26, v13, v15
	v_div_scale_f32 v24, null, v21, v21, 1.0
	v_fmac_f32_e32 v20, v22, v20
	v_mul_f32_e32 v27, v18, v16
	v_fma_f32 v28, -v11, v26, v13
	v_add_f32_e32 v31, 1.0, v9
	v_rcp_f32_e32 v23, v24
	v_mul_f32_e32 v30, v19, v20
	v_fma_f32 v29, -v12, v27, v18
	v_fmac_f32_e32 v26, v28, v15
	v_mul_f32_e32 v9, v9, v9
	v_div_scale_f32 v22, null, v25, v25, 1.0
	v_fma_f32 v28, -v17, v30, v19
	v_fmac_f32_e32 v27, v29, v16
	v_fma_f32 v11, -v11, v26, v13
	v_mul_f32_e32 v13, v31, v31
	v_rcp_f32_e32 v29, v22
	v_fmac_f32_e32 v30, v28, v20
	v_fma_f32 v12, -v12, v27, v18
	v_div_fmas_f32 v11, v11, v15, v26
	s_mov_b32 vcc_lo, s1
	v_fma_f32 v32, -v24, v23, 1.0
	v_fma_f32 v15, -v17, v30, v19
	v_div_fmas_f32 v12, v12, v16, v27
	s_mov_b32 vcc_lo, s2
	v_div_scale_f32 v16, null, v9, v9, 1.0
	v_div_fmas_f32 v15, v15, v20, v30
	v_div_scale_f32 v17, null, v13, v13, 1.0
	v_add_f32_e32 v20, v31, v31
	v_rcp_f32_e32 v19, v16
	v_fmac_f32_e32 v23, v32, v23
	v_rcp_f32_e32 v27, v17
	v_div_scale_f32 v18, vcc_lo, 1.0, v21, 1.0
	v_div_scale_f32 v30, null, v20, v20, 1.0
	v_fma_f32 v26, -v22, v29, 1.0
	v_mul_f32_e32 v28, v18, v23
	v_div_fixup_f32 v2, v11, v2, 1.0
	v_rcp_f32_e32 v33, v30
	v_fma_f32 v32, -v16, v19, 1.0
	v_fmac_f32_e32 v29, v26, v29
	v_div_scale_f32 v26, s1, 1.0, v25, 1.0
	v_fma_f32 v35, -v17, v27, 1.0
	v_fma_f32 v34, -v24, v28, v18
	v_fmac_f32_e32 v19, v32, v19
	v_div_scale_f32 v32, s2, 1.0, v9, 1.0
	v_mul_f32_e32 v36, v26, v29
	v_fmac_f32_e32 v27, v35, v27
	v_div_scale_f32 v35, s3, 1.0, v13, 1.0
	v_fma_f32 v37, -v30, v33, 1.0
	v_fmac_f32_e32 v28, v34, v23
	v_mul_f32_e32 v38, v32, v19
	v_fma_f32 v34, -v22, v36, v26
	v_mul_f32_e32 v39, v35, v27
	v_fmac_f32_e32 v33, v37, v33
	v_div_scale_f32 v37, s4, 1.0, v20, 1.0
	v_fma_f32 v18, -v24, v28, v18
	v_fma_f32 v24, -v16, v38, v32
	v_fmac_f32_e32 v36, v34, v29
	v_fma_f32 v34, -v17, v39, v35
	v_mul_f32_e32 v40, v37, v33
	v_div_fmas_f32 v18, v18, v23, v28
	v_fmac_f32_e32 v38, v24, v19
	v_fma_f32 v22, -v22, v36, v26
	v_fmac_f32_e32 v39, v34, v27
	v_fma_f32 v23, -v30, v40, v37
	s_mov_b32 vcc_lo, s1
	v_fma_f32 v16, -v16, v38, v32
	v_div_fmas_f32 v22, v22, v29, v36
	v_fma_f32 v17, -v17, v39, v35
	v_fmac_f32_e32 v40, v23, v33
	s_mov_b32 vcc_lo, s2
	s_mov_b32 s1, 0xbcc30c31
	v_div_fmas_f32 v16, v16, v19, v38
	s_mov_b32 vcc_lo, s3
	v_fma_f32 v19, -v30, v40, v37
	v_div_fmas_f32 v17, v17, v27, v39
	s_mov_b32 vcc_lo, s4
	v_add_f32_e32 v2, v6, v2
	v_div_fixup_f32 v6, v12, v10, 1.0
	v_div_fmas_f32 v19, v19, v33, v40
	v_div_fixup_f32 v13, v17, v13, 1.0
	v_add_f32_e32 v2, v2, v6
	v_div_fixup_f32 v17, v19, v20, 1.0
	v_fmaak_f32 v19, s1, v13, 0x3d088889
	v_div_fixup_f32 v6, v15, v14, 1.0
	v_add_f32_e32 v17, 1.0, v17
	v_fma_f32 v19, -v13, v19, 0x3e2aaaab
	v_add_f32_e32 v2, v2, v6
	v_div_fixup_f32 v6, v18, v21, 1.0
	v_fmac_f32_e32 v17, v13, v19
	v_add_f32_e32 v2, v2, v6
	v_div_fixup_f32 v6, v22, v25, 1.0
	v_div_scale_f32 v13, null, v31, v31, v17
	v_div_scale_f32 v10, vcc_lo, v17, v31, v17
	v_add_f32_e32 v2, v2, v6
	v_rcp_f32_e32 v19, v13
	v_div_fixup_f32 v6, v16, v9, 1.0
	v_add_f32_e32 v2, v2, v6
	v_fma_f32 v11, -v13, v19, 1.0
	v_fmac_f32_e32 v19, v11, v19
	v_mul_f32_e32 v11, v10, v19
	v_fma_f32 v12, -v13, v11, v10
	v_fmac_f32_e32 v11, v12, v19
	v_fma_f32 v10, -v13, v11, v10
	v_div_fmas_f32 v9, v10, v19, v11
	v_div_fixup_f32 v6, v9, v31, v17
	v_add_f32_e32 v2, v2, v6
	v_mul_f32_e32 v6, v5, v2
	s_or_b32 exec_lo, exec_lo, s7
	s_and_saveexec_b32 s1, s0
	s_xor_b32 s0, exec_lo, s1
	s_cbranch_execz .LBB54_34
.LBB54_45:
	v_mov_b32_e32 v2, 0
	v_lshlrev_b64 v[0:1], 2, v[1:2]
	v_add_co_u32 v9, vcc_lo, s8, v0
	v_add_co_ci_u32_e64 v10, null, s9, v1, vcc_lo
	v_mov_b32_e32 v0, v3
	global_store_dword v[9:10], v4, off
	s_or_b32 exec_lo, exec_lo, s0
	s_mov_b32 s0, exec_lo
	v_cmpx_gt_i32_e64 s6, v0
	s_cbranch_execz .LBB54_35
.LBB54_46:
	v_add_nc_u32_e32 v1, s5, v0
	v_mov_b32_e32 v2, 0
	v_add_nc_u32_e32 v0, 0x100, v0
	v_lshlrev_b64 v[1:2], 2, v[1:2]
	v_add_co_u32 v1, vcc_lo, s8, v1
	v_add_co_ci_u32_e64 v2, null, s9, v2, vcc_lo
	global_store_dword v[1:2], v8, off
	s_or_b32 exec_lo, exec_lo, s0
	s_mov_b32 s0, exec_lo
	v_cmpx_gt_i32_e64 s6, v0
	s_cbranch_execz .LBB54_36
.LBB54_47:
	v_add_nc_u32_e32 v1, s5, v0
	v_mov_b32_e32 v2, 0
	v_add_nc_u32_e32 v0, 0x100, v0
	v_lshlrev_b64 v[1:2], 2, v[1:2]
	v_add_co_u32 v1, vcc_lo, s8, v1
	v_add_co_ci_u32_e64 v2, null, s9, v2, vcc_lo
	global_store_dword v[1:2], v7, off
	s_or_b32 exec_lo, exec_lo, s0
	s_mov_b32 s0, exec_lo
	v_cmpx_gt_i32_e64 s6, v0
	s_cbranch_execz .LBB54_37
.LBB54_48:
	v_add_nc_u32_e32 v0, s5, v0
	v_mov_b32_e32 v1, 0
	v_lshlrev_b64 v[0:1], 2, v[0:1]
	v_add_co_u32 v0, vcc_lo, s8, v0
	v_add_co_ci_u32_e64 v1, null, s9, v1, vcc_lo
	global_store_dword v[0:1], v6, off
	s_endpgm
	.section	.rodata,"a",@progbits
	.p2align	6, 0x0
	.amdhsa_kernel _ZN2at6native27unrolled_elementwise_kernelIZZZNS0_20trigamma_kernel_cudaERNS_18TensorIteratorBaseEENKUlvE_clEvENKUlvE0_clEvEUlfE_St5arrayIPcLm2EELi4E23TrivialOffsetCalculatorILi1EjESB_NS0_6memory15LoadWithoutCastENSC_16StoreWithoutCastEEEviT_T0_T2_T3_T4_T5_
		.amdhsa_group_segment_fixed_size 0
		.amdhsa_private_segment_fixed_size 0
		.amdhsa_kernarg_size 28
		.amdhsa_user_sgpr_count 6
		.amdhsa_user_sgpr_private_segment_buffer 1
		.amdhsa_user_sgpr_dispatch_ptr 0
		.amdhsa_user_sgpr_queue_ptr 0
		.amdhsa_user_sgpr_kernarg_segment_ptr 1
		.amdhsa_user_sgpr_dispatch_id 0
		.amdhsa_user_sgpr_flat_scratch_init 0
		.amdhsa_user_sgpr_private_segment_size 0
		.amdhsa_wavefront_size32 1
		.amdhsa_uses_dynamic_stack 0
		.amdhsa_system_sgpr_private_segment_wavefront_offset 0
		.amdhsa_system_sgpr_workgroup_id_x 1
		.amdhsa_system_sgpr_workgroup_id_y 0
		.amdhsa_system_sgpr_workgroup_id_z 0
		.amdhsa_system_sgpr_workgroup_info 0
		.amdhsa_system_vgpr_workitem_id 0
		.amdhsa_next_free_vgpr 43
		.amdhsa_next_free_sgpr 12
		.amdhsa_reserve_vcc 1
		.amdhsa_reserve_flat_scratch 0
		.amdhsa_float_round_mode_32 0
		.amdhsa_float_round_mode_16_64 0
		.amdhsa_float_denorm_mode_32 3
		.amdhsa_float_denorm_mode_16_64 3
		.amdhsa_dx10_clamp 1
		.amdhsa_ieee_mode 1
		.amdhsa_fp16_overflow 0
		.amdhsa_workgroup_processor_mode 1
		.amdhsa_memory_ordered 1
		.amdhsa_forward_progress 1
		.amdhsa_shared_vgpr_count 0
		.amdhsa_exception_fp_ieee_invalid_op 0
		.amdhsa_exception_fp_denorm_src 0
		.amdhsa_exception_fp_ieee_div_zero 0
		.amdhsa_exception_fp_ieee_overflow 0
		.amdhsa_exception_fp_ieee_underflow 0
		.amdhsa_exception_fp_ieee_inexact 0
		.amdhsa_exception_int_div_zero 0
	.end_amdhsa_kernel
	.section	.text._ZN2at6native27unrolled_elementwise_kernelIZZZNS0_20trigamma_kernel_cudaERNS_18TensorIteratorBaseEENKUlvE_clEvENKUlvE0_clEvEUlfE_St5arrayIPcLm2EELi4E23TrivialOffsetCalculatorILi1EjESB_NS0_6memory15LoadWithoutCastENSC_16StoreWithoutCastEEEviT_T0_T2_T3_T4_T5_,"axG",@progbits,_ZN2at6native27unrolled_elementwise_kernelIZZZNS0_20trigamma_kernel_cudaERNS_18TensorIteratorBaseEENKUlvE_clEvENKUlvE0_clEvEUlfE_St5arrayIPcLm2EELi4E23TrivialOffsetCalculatorILi1EjESB_NS0_6memory15LoadWithoutCastENSC_16StoreWithoutCastEEEviT_T0_T2_T3_T4_T5_,comdat
.Lfunc_end54:
	.size	_ZN2at6native27unrolled_elementwise_kernelIZZZNS0_20trigamma_kernel_cudaERNS_18TensorIteratorBaseEENKUlvE_clEvENKUlvE0_clEvEUlfE_St5arrayIPcLm2EELi4E23TrivialOffsetCalculatorILi1EjESB_NS0_6memory15LoadWithoutCastENSC_16StoreWithoutCastEEEviT_T0_T2_T3_T4_T5_, .Lfunc_end54-_ZN2at6native27unrolled_elementwise_kernelIZZZNS0_20trigamma_kernel_cudaERNS_18TensorIteratorBaseEENKUlvE_clEvENKUlvE0_clEvEUlfE_St5arrayIPcLm2EELi4E23TrivialOffsetCalculatorILi1EjESB_NS0_6memory15LoadWithoutCastENSC_16StoreWithoutCastEEEviT_T0_T2_T3_T4_T5_
                                        ; -- End function
	.set _ZN2at6native27unrolled_elementwise_kernelIZZZNS0_20trigamma_kernel_cudaERNS_18TensorIteratorBaseEENKUlvE_clEvENKUlvE0_clEvEUlfE_St5arrayIPcLm2EELi4E23TrivialOffsetCalculatorILi1EjESB_NS0_6memory15LoadWithoutCastENSC_16StoreWithoutCastEEEviT_T0_T2_T3_T4_T5_.num_vgpr, 43
	.set _ZN2at6native27unrolled_elementwise_kernelIZZZNS0_20trigamma_kernel_cudaERNS_18TensorIteratorBaseEENKUlvE_clEvENKUlvE0_clEvEUlfE_St5arrayIPcLm2EELi4E23TrivialOffsetCalculatorILi1EjESB_NS0_6memory15LoadWithoutCastENSC_16StoreWithoutCastEEEviT_T0_T2_T3_T4_T5_.num_agpr, 0
	.set _ZN2at6native27unrolled_elementwise_kernelIZZZNS0_20trigamma_kernel_cudaERNS_18TensorIteratorBaseEENKUlvE_clEvENKUlvE0_clEvEUlfE_St5arrayIPcLm2EELi4E23TrivialOffsetCalculatorILi1EjESB_NS0_6memory15LoadWithoutCastENSC_16StoreWithoutCastEEEviT_T0_T2_T3_T4_T5_.numbered_sgpr, 12
	.set _ZN2at6native27unrolled_elementwise_kernelIZZZNS0_20trigamma_kernel_cudaERNS_18TensorIteratorBaseEENKUlvE_clEvENKUlvE0_clEvEUlfE_St5arrayIPcLm2EELi4E23TrivialOffsetCalculatorILi1EjESB_NS0_6memory15LoadWithoutCastENSC_16StoreWithoutCastEEEviT_T0_T2_T3_T4_T5_.num_named_barrier, 0
	.set _ZN2at6native27unrolled_elementwise_kernelIZZZNS0_20trigamma_kernel_cudaERNS_18TensorIteratorBaseEENKUlvE_clEvENKUlvE0_clEvEUlfE_St5arrayIPcLm2EELi4E23TrivialOffsetCalculatorILi1EjESB_NS0_6memory15LoadWithoutCastENSC_16StoreWithoutCastEEEviT_T0_T2_T3_T4_T5_.private_seg_size, 0
	.set _ZN2at6native27unrolled_elementwise_kernelIZZZNS0_20trigamma_kernel_cudaERNS_18TensorIteratorBaseEENKUlvE_clEvENKUlvE0_clEvEUlfE_St5arrayIPcLm2EELi4E23TrivialOffsetCalculatorILi1EjESB_NS0_6memory15LoadWithoutCastENSC_16StoreWithoutCastEEEviT_T0_T2_T3_T4_T5_.uses_vcc, 1
	.set _ZN2at6native27unrolled_elementwise_kernelIZZZNS0_20trigamma_kernel_cudaERNS_18TensorIteratorBaseEENKUlvE_clEvENKUlvE0_clEvEUlfE_St5arrayIPcLm2EELi4E23TrivialOffsetCalculatorILi1EjESB_NS0_6memory15LoadWithoutCastENSC_16StoreWithoutCastEEEviT_T0_T2_T3_T4_T5_.uses_flat_scratch, 0
	.set _ZN2at6native27unrolled_elementwise_kernelIZZZNS0_20trigamma_kernel_cudaERNS_18TensorIteratorBaseEENKUlvE_clEvENKUlvE0_clEvEUlfE_St5arrayIPcLm2EELi4E23TrivialOffsetCalculatorILi1EjESB_NS0_6memory15LoadWithoutCastENSC_16StoreWithoutCastEEEviT_T0_T2_T3_T4_T5_.has_dyn_sized_stack, 0
	.set _ZN2at6native27unrolled_elementwise_kernelIZZZNS0_20trigamma_kernel_cudaERNS_18TensorIteratorBaseEENKUlvE_clEvENKUlvE0_clEvEUlfE_St5arrayIPcLm2EELi4E23TrivialOffsetCalculatorILi1EjESB_NS0_6memory15LoadWithoutCastENSC_16StoreWithoutCastEEEviT_T0_T2_T3_T4_T5_.has_recursion, 0
	.set _ZN2at6native27unrolled_elementwise_kernelIZZZNS0_20trigamma_kernel_cudaERNS_18TensorIteratorBaseEENKUlvE_clEvENKUlvE0_clEvEUlfE_St5arrayIPcLm2EELi4E23TrivialOffsetCalculatorILi1EjESB_NS0_6memory15LoadWithoutCastENSC_16StoreWithoutCastEEEviT_T0_T2_T3_T4_T5_.has_indirect_call, 0
	.section	.AMDGPU.csdata,"",@progbits
; Kernel info:
; codeLenInByte = 7600
; TotalNumSgprs: 14
; NumVgprs: 43
; ScratchSize: 0
; MemoryBound: 0
; FloatMode: 240
; IeeeMode: 1
; LDSByteSize: 0 bytes/workgroup (compile time only)
; SGPRBlocks: 0
; VGPRBlocks: 5
; NumSGPRsForWavesPerEU: 14
; NumVGPRsForWavesPerEU: 43
; Occupancy: 16
; WaveLimiterHint : 0
; COMPUTE_PGM_RSRC2:SCRATCH_EN: 0
; COMPUTE_PGM_RSRC2:USER_SGPR: 6
; COMPUTE_PGM_RSRC2:TRAP_HANDLER: 0
; COMPUTE_PGM_RSRC2:TGID_X_EN: 1
; COMPUTE_PGM_RSRC2:TGID_Y_EN: 0
; COMPUTE_PGM_RSRC2:TGID_Z_EN: 0
; COMPUTE_PGM_RSRC2:TIDIG_COMP_CNT: 0
	.section	.text._ZN2at6native32elementwise_kernel_manual_unrollILi128ELi4EZNS0_22gpu_kernel_impl_nocastIZZZNS0_20trigamma_kernel_cudaERNS_18TensorIteratorBaseEENKUlvE_clEvENKUlvE0_clEvEUlfE_EEvS4_RKT_EUlibE_EEviT1_,"axG",@progbits,_ZN2at6native32elementwise_kernel_manual_unrollILi128ELi4EZNS0_22gpu_kernel_impl_nocastIZZZNS0_20trigamma_kernel_cudaERNS_18TensorIteratorBaseEENKUlvE_clEvENKUlvE0_clEvEUlfE_EEvS4_RKT_EUlibE_EEviT1_,comdat
	.globl	_ZN2at6native32elementwise_kernel_manual_unrollILi128ELi4EZNS0_22gpu_kernel_impl_nocastIZZZNS0_20trigamma_kernel_cudaERNS_18TensorIteratorBaseEENKUlvE_clEvENKUlvE0_clEvEUlfE_EEvS4_RKT_EUlibE_EEviT1_ ; -- Begin function _ZN2at6native32elementwise_kernel_manual_unrollILi128ELi4EZNS0_22gpu_kernel_impl_nocastIZZZNS0_20trigamma_kernel_cudaERNS_18TensorIteratorBaseEENKUlvE_clEvENKUlvE0_clEvEUlfE_EEvS4_RKT_EUlibE_EEviT1_
	.p2align	8
	.type	_ZN2at6native32elementwise_kernel_manual_unrollILi128ELi4EZNS0_22gpu_kernel_impl_nocastIZZZNS0_20trigamma_kernel_cudaERNS_18TensorIteratorBaseEENKUlvE_clEvENKUlvE0_clEvEUlfE_EEvS4_RKT_EUlibE_EEviT1_,@function
_ZN2at6native32elementwise_kernel_manual_unrollILi128ELi4EZNS0_22gpu_kernel_impl_nocastIZZZNS0_20trigamma_kernel_cudaERNS_18TensorIteratorBaseEENKUlvE_clEvENKUlvE0_clEvEUlfE_EEvS4_RKT_EUlibE_EEviT1_: ; @_ZN2at6native32elementwise_kernel_manual_unrollILi128ELi4EZNS0_22gpu_kernel_impl_nocastIZZZNS0_20trigamma_kernel_cudaERNS_18TensorIteratorBaseEENKUlvE_clEvENKUlvE0_clEvEUlfE_EEvS4_RKT_EUlibE_EEviT1_
; %bb.0:
	s_clause 0x1
	s_load_dword s22, s[4:5], 0x8
	s_load_dword s27, s[4:5], 0x0
	v_lshl_or_b32 v4, s6, 9, v0
	s_add_u32 s16, s4, 8
	s_addc_u32 s17, s5, 0
	s_mov_b32 s0, exec_lo
	v_or_b32_e32 v10, 0x180, v4
	s_waitcnt lgkmcnt(0)
	s_add_i32 s23, s22, -1
	s_cmp_gt_u32 s23, 1
	s_cselect_b32 s24, -1, 0
	v_cmpx_le_i32_e64 s27, v10
	s_xor_b32 s25, exec_lo, s0
	s_cbranch_execz .LBB55_7
; %bb.1:
	s_clause 0x3
	s_load_dwordx4 s[12:15], s[16:17], 0x4
	s_load_dwordx2 s[18:19], s[16:17], 0x14
	s_load_dwordx4 s[8:11], s[16:17], 0xc4
	s_load_dwordx4 s[4:7], s[16:17], 0x148
	s_cmp_lg_u32 s22, 0
	s_mov_b32 s30, exec_lo
	s_cselect_b32 s29, -1, 0
	s_add_u32 s20, s16, 0xc4
	s_addc_u32 s21, s17, 0
	s_min_u32 s28, s23, 15
	s_cmp_gt_u32 s22, 1
	s_cselect_b32 s26, -1, 0
	v_cmpx_gt_i32_e64 s27, v4
	s_cbranch_execz .LBB55_14
; %bb.2:
	s_andn2_b32 vcc_lo, exec_lo, s24
	s_cbranch_vccnz .LBB55_21
; %bb.3:
	s_andn2_b32 vcc_lo, exec_lo, s29
	s_cbranch_vccnz .LBB55_97
; %bb.4:
	s_add_i32 s33, s28, 1
	s_cmp_eq_u32 s23, 2
	s_cbranch_scc1 .LBB55_99
; %bb.5:
	v_mov_b32_e32 v2, 0
	v_mov_b32_e32 v0, 0
	;; [unrolled: 1-line block ×3, first 2 shown]
	s_and_b32 s31, s33, 28
	s_mov_b32 s34, 0
	s_mov_b64 s[0:1], s[16:17]
	s_mov_b64 s[2:3], s[20:21]
.LBB55_6:                               ; =>This Inner Loop Header: Depth=1
	s_clause 0x1
	s_load_dwordx8 s[36:43], s[0:1], 0x4
	s_load_dwordx4 s[52:55], s[0:1], 0x24
	s_load_dwordx8 s[44:51], s[2:3], 0x0
	s_add_u32 s0, s0, 48
	s_addc_u32 s1, s1, 0
	s_add_i32 s34, s34, 4
	s_add_u32 s2, s2, 32
	s_addc_u32 s3, s3, 0
	s_cmp_lg_u32 s31, s34
	s_waitcnt lgkmcnt(0)
	v_mul_hi_u32 v3, s37, v1
	v_add_nc_u32_e32 v3, v1, v3
	v_lshrrev_b32_e32 v3, s38, v3
	v_mul_hi_u32 v5, s40, v3
	v_mul_lo_u32 v7, v3, s36
	v_add_nc_u32_e32 v5, v3, v5
	v_sub_nc_u32_e32 v1, v1, v7
	v_lshrrev_b32_e32 v5, s41, v5
	v_mul_lo_u32 v7, v1, s44
	v_mul_lo_u32 v9, v1, s45
	v_mul_hi_u32 v6, s43, v5
	v_add_nc_u32_e32 v6, v5, v6
	v_lshrrev_b32_e32 v6, s52, v6
	v_mul_hi_u32 v8, s54, v6
	v_mul_lo_u32 v10, v6, s42
	v_add_nc_u32_e32 v1, v6, v8
	v_mul_lo_u32 v8, v5, s39
	v_sub_nc_u32_e32 v5, v5, v10
	v_lshrrev_b32_e32 v1, s55, v1
	v_mul_lo_u32 v10, v5, s48
	v_mul_lo_u32 v5, v5, s49
	v_sub_nc_u32_e32 v3, v3, v8
	v_mul_lo_u32 v11, v1, s53
	v_mul_lo_u32 v8, v3, s46
	;; [unrolled: 1-line block ×3, first 2 shown]
	v_sub_nc_u32_e32 v6, v6, v11
	v_add3_u32 v0, v7, v0, v8
	v_mul_lo_u32 v11, v6, s50
	v_mul_lo_u32 v6, v6, s51
	v_add3_u32 v2, v9, v2, v3
	v_add3_u32 v0, v10, v0, v11
	;; [unrolled: 1-line block ×3, first 2 shown]
	s_cbranch_scc1 .LBB55_6
	s_branch .LBB55_100
.LBB55_7:
	s_andn2_saveexec_b32 s0, s25
	s_cbranch_execz .LBB55_137
.LBB55_8:
	v_cndmask_b32_e64 v9, 0, 1, s24
	s_andn2_b32 vcc_lo, exec_lo, s24
	s_cbranch_vccnz .LBB55_20
; %bb.9:
	s_cmp_lg_u32 s22, 0
	s_waitcnt lgkmcnt(0)
	s_mov_b32 s4, 0
	s_cbranch_scc0 .LBB55_23
; %bb.10:
	s_min_u32 s6, s23, 15
	s_add_i32 s6, s6, 1
	s_cmp_eq_u32 s23, 2
	s_cbranch_scc1 .LBB55_24
; %bb.11:
	v_mov_b32_e32 v5, 0
	v_mov_b32_e32 v0, 0
	;; [unrolled: 1-line block ×3, first 2 shown]
	s_and_b32 s5, s6, 28
	s_add_u32 s0, s16, 0xc4
	s_addc_u32 s1, s17, 0
	s_mov_b32 s7, 0
	s_mov_b64 s[2:3], s[16:17]
.LBB55_12:                              ; =>This Inner Loop Header: Depth=1
	s_clause 0x1
	s_load_dwordx8 s[8:15], s[2:3], 0x4
	s_load_dwordx4 s[36:39], s[2:3], 0x24
	s_load_dwordx8 s[24:31], s[0:1], 0x0
	s_add_u32 s2, s2, 48
	s_addc_u32 s3, s3, 0
	s_add_i32 s7, s7, 4
	s_add_u32 s0, s0, 32
	s_addc_u32 s1, s1, 0
	s_cmp_lg_u32 s5, s7
	s_waitcnt lgkmcnt(0)
	v_mul_hi_u32 v2, s9, v1
	v_add_nc_u32_e32 v2, v1, v2
	v_lshrrev_b32_e32 v2, s10, v2
	v_mul_hi_u32 v3, s12, v2
	v_mul_lo_u32 v7, v2, s8
	v_add_nc_u32_e32 v3, v2, v3
	v_sub_nc_u32_e32 v1, v1, v7
	v_lshrrev_b32_e32 v3, s13, v3
	v_mul_lo_u32 v7, v1, s24
	v_mul_lo_u32 v11, v1, s25
	v_mul_hi_u32 v6, s15, v3
	v_add_nc_u32_e32 v6, v3, v6
	v_lshrrev_b32_e32 v6, s36, v6
	v_mul_hi_u32 v8, s38, v6
	v_mul_lo_u32 v12, v6, s14
	v_add_nc_u32_e32 v1, v6, v8
	v_mul_lo_u32 v8, v3, s11
	v_sub_nc_u32_e32 v3, v3, v12
	v_lshrrev_b32_e32 v1, s39, v1
	v_mul_lo_u32 v12, v3, s28
	v_mul_lo_u32 v3, v3, s29
	v_sub_nc_u32_e32 v2, v2, v8
	v_mul_lo_u32 v13, v1, s37
	v_mul_lo_u32 v8, v2, s26
	v_mul_lo_u32 v2, v2, s27
	v_sub_nc_u32_e32 v6, v6, v13
	v_add3_u32 v0, v7, v0, v8
	v_mul_lo_u32 v13, v6, s30
	v_mul_lo_u32 v6, v6, s31
	v_add3_u32 v2, v11, v5, v2
	v_add3_u32 v0, v12, v0, v13
	v_add3_u32 v5, v3, v2, v6
	s_cbranch_scc1 .LBB55_12
; %bb.13:
	s_and_b32 s6, s6, 3
	s_cmp_eq_u32 s6, 0
	s_cbranch_scc0 .LBB55_25
	s_branch .LBB55_27
.LBB55_14:
	s_or_b32 exec_lo, exec_lo, s30
	s_mov_b32 s30, exec_lo
	v_cmpx_gt_i32_e64 s27, v4
	s_cbranch_execz .LBB55_113
.LBB55_15:
	s_andn2_b32 vcc_lo, exec_lo, s24
	s_cbranch_vccnz .LBB55_22
; %bb.16:
	s_andn2_b32 vcc_lo, exec_lo, s29
	s_cbranch_vccnz .LBB55_98
; %bb.17:
	s_add_i32 s33, s28, 1
	s_cmp_eq_u32 s23, 2
	s_cbranch_scc1 .LBB55_121
; %bb.18:
	v_mov_b32_e32 v2, 0
	v_mov_b32_e32 v0, 0
	;; [unrolled: 1-line block ×3, first 2 shown]
	s_and_b32 s31, s33, 28
	s_mov_b32 s34, 0
	s_mov_b64 s[0:1], s[16:17]
	s_mov_b64 s[2:3], s[20:21]
.LBB55_19:                              ; =>This Inner Loop Header: Depth=1
	s_clause 0x1
	s_load_dwordx8 s[36:43], s[0:1], 0x4
	s_load_dwordx4 s[52:55], s[0:1], 0x24
	s_load_dwordx8 s[44:51], s[2:3], 0x0
	s_add_u32 s0, s0, 48
	s_addc_u32 s1, s1, 0
	s_add_i32 s34, s34, 4
	s_add_u32 s2, s2, 32
	s_addc_u32 s3, s3, 0
	s_cmp_eq_u32 s31, s34
	s_waitcnt lgkmcnt(0)
	v_mul_hi_u32 v3, s37, v1
	v_add_nc_u32_e32 v3, v1, v3
	v_lshrrev_b32_e32 v3, s38, v3
	v_mul_hi_u32 v5, s40, v3
	v_mul_lo_u32 v7, v3, s36
	v_add_nc_u32_e32 v5, v3, v5
	v_sub_nc_u32_e32 v1, v1, v7
	v_lshrrev_b32_e32 v5, s41, v5
	v_mul_lo_u32 v7, v1, s44
	v_mul_lo_u32 v9, v1, s45
	v_mul_hi_u32 v6, s43, v5
	v_add_nc_u32_e32 v6, v5, v6
	v_lshrrev_b32_e32 v6, s52, v6
	v_mul_hi_u32 v8, s54, v6
	v_mul_lo_u32 v10, v6, s42
	v_add_nc_u32_e32 v1, v6, v8
	v_mul_lo_u32 v8, v5, s39
	v_sub_nc_u32_e32 v5, v5, v10
	v_lshrrev_b32_e32 v1, s55, v1
	v_mul_lo_u32 v10, v5, s48
	v_mul_lo_u32 v5, v5, s49
	v_sub_nc_u32_e32 v3, v3, v8
	v_mul_lo_u32 v11, v1, s53
	v_mul_lo_u32 v8, v3, s46
	;; [unrolled: 1-line block ×3, first 2 shown]
	v_sub_nc_u32_e32 v6, v6, v11
	v_add3_u32 v0, v7, v0, v8
	v_mul_lo_u32 v11, v6, s50
	v_mul_lo_u32 v6, v6, s51
	v_add3_u32 v2, v9, v2, v3
	v_add3_u32 v0, v10, v0, v11
	;; [unrolled: 1-line block ×3, first 2 shown]
	s_cbranch_scc0 .LBB55_19
	s_branch .LBB55_122
.LBB55_20:
	s_waitcnt lgkmcnt(0)
	s_mov_b32 s4, -1
                                        ; implicit-def: $vgpr0
                                        ; implicit-def: $vgpr5
	s_branch .LBB55_27
.LBB55_21:
                                        ; implicit-def: $vgpr0
                                        ; implicit-def: $vgpr2
	s_branch .LBB55_104
.LBB55_22:
                                        ; implicit-def: $vgpr0
                                        ; implicit-def: $vgpr2
	s_branch .LBB55_126
.LBB55_23:
	v_mov_b32_e32 v0, 0
	v_mov_b32_e32 v5, 0
	s_branch .LBB55_27
.LBB55_24:
	v_mov_b32_e32 v0, 0
	v_mov_b32_e32 v5, 0
	v_mov_b32_e32 v1, v4
	s_mov_b32 s5, 0
	s_and_b32 s6, s6, 3
	s_cmp_eq_u32 s6, 0
	s_cbranch_scc1 .LBB55_27
.LBB55_25:
	s_lshl_b32 s0, s5, 3
	s_mul_i32 s2, s5, 12
	s_add_u32 s0, s16, s0
	s_addc_u32 s1, s17, 0
	s_add_u32 s0, s0, 0xc4
	s_addc_u32 s1, s1, 0
	;; [unrolled: 2-line block ×3, first 2 shown]
	.p2align	6
.LBB55_26:                              ; =>This Inner Loop Header: Depth=1
	s_clause 0x1
	s_load_dwordx2 s[8:9], s[2:3], 0x4
	s_load_dword s5, s[2:3], 0xc
	s_load_dwordx2 s[10:11], s[0:1], 0x0
	s_add_u32 s2, s2, 12
	s_addc_u32 s3, s3, 0
	s_add_u32 s0, s0, 8
	s_addc_u32 s1, s1, 0
	s_add_i32 s6, s6, -1
	s_cmp_lg_u32 s6, 0
	s_waitcnt lgkmcnt(0)
	v_mul_hi_u32 v2, s9, v1
	v_add_nc_u32_e32 v2, v1, v2
	v_lshrrev_b32_e32 v2, s5, v2
	v_mul_lo_u32 v3, v2, s8
	v_sub_nc_u32_e32 v3, v1, v3
	v_mad_u64_u32 v[0:1], null, v3, s10, v[0:1]
	v_mad_u64_u32 v[5:6], null, v3, s11, v[5:6]
	v_mov_b32_e32 v1, v2
	s_cbranch_scc1 .LBB55_26
.LBB55_27:
	s_andn2_b32 vcc_lo, exec_lo, s4
	s_cbranch_vccnz .LBB55_30
; %bb.28:
	s_clause 0x1
	s_load_dwordx4 s[0:3], s[16:17], 0x4
	s_load_dwordx2 s[4:5], s[16:17], 0xc4
	s_cmp_lt_u32 s22, 2
	s_waitcnt lgkmcnt(0)
	v_mul_hi_u32 v0, s1, v4
	v_add_nc_u32_e32 v0, v4, v0
	v_lshrrev_b32_e32 v1, s2, v0
	v_mul_lo_u32 v0, v1, s0
	v_sub_nc_u32_e32 v2, v4, v0
	v_mul_lo_u32 v0, v2, s4
	v_mul_lo_u32 v5, v2, s5
	s_cbranch_scc1 .LBB55_30
; %bb.29:
	s_clause 0x1
	s_load_dwordx4 s[0:3], s[16:17], 0x10
	s_load_dwordx2 s[4:5], s[16:17], 0xcc
	s_waitcnt lgkmcnt(0)
	v_mul_hi_u32 v2, s1, v1
	v_add_nc_u32_e32 v2, v1, v2
	v_lshrrev_b32_e32 v2, s2, v2
	v_mul_lo_u32 v2, v2, s0
	v_sub_nc_u32_e32 v2, v1, v2
	v_mad_u64_u32 v[0:1], null, v2, s4, v[0:1]
	v_mad_u64_u32 v[5:6], null, v2, s5, v[5:6]
.LBB55_30:
	v_cmp_ne_u32_e32 vcc_lo, 1, v9
	v_add_nc_u32_e32 v3, 0x80, v4
	s_cbranch_vccnz .LBB55_36
; %bb.31:
	s_cmp_lg_u32 s22, 0
	s_mov_b32 s4, 0
	s_cbranch_scc0 .LBB55_37
; %bb.32:
	s_min_u32 s6, s23, 15
	s_add_i32 s6, s6, 1
	s_cmp_eq_u32 s23, 2
	s_cbranch_scc1 .LBB55_38
; %bb.33:
	v_mov_b32_e32 v6, 0
	v_mov_b32_e32 v1, 0
	;; [unrolled: 1-line block ×3, first 2 shown]
	s_and_b32 s5, s6, 28
	s_add_u32 s0, s16, 0xc4
	s_addc_u32 s1, s17, 0
	s_mov_b32 s7, 0
	s_mov_b64 s[2:3], s[16:17]
.LBB55_34:                              ; =>This Inner Loop Header: Depth=1
	s_clause 0x1
	s_load_dwordx8 s[8:15], s[2:3], 0x4
	s_load_dwordx4 s[36:39], s[2:3], 0x24
	s_load_dwordx8 s[24:31], s[0:1], 0x0
	s_add_u32 s2, s2, 48
	s_addc_u32 s3, s3, 0
	s_add_i32 s7, s7, 4
	s_add_u32 s0, s0, 32
	s_addc_u32 s1, s1, 0
	s_cmp_lg_u32 s5, s7
	s_waitcnt lgkmcnt(0)
	v_mul_hi_u32 v7, s9, v2
	v_add_nc_u32_e32 v7, v2, v7
	v_lshrrev_b32_e32 v7, s10, v7
	v_mul_hi_u32 v8, s12, v7
	v_mul_lo_u32 v12, v7, s8
	v_add_nc_u32_e32 v8, v7, v8
	v_sub_nc_u32_e32 v2, v2, v12
	v_lshrrev_b32_e32 v8, s13, v8
	v_mul_lo_u32 v12, v2, s24
	v_mul_lo_u32 v14, v2, s25
	v_mul_hi_u32 v11, s15, v8
	v_add_nc_u32_e32 v11, v8, v11
	v_lshrrev_b32_e32 v11, s36, v11
	v_mul_hi_u32 v13, s38, v11
	v_mul_lo_u32 v15, v11, s14
	v_add_nc_u32_e32 v2, v11, v13
	v_mul_lo_u32 v13, v8, s11
	v_sub_nc_u32_e32 v8, v8, v15
	v_lshrrev_b32_e32 v2, s39, v2
	v_mul_lo_u32 v15, v8, s28
	v_mul_lo_u32 v8, v8, s29
	v_sub_nc_u32_e32 v7, v7, v13
	v_mul_lo_u32 v16, v2, s37
	v_mul_lo_u32 v13, v7, s26
	;; [unrolled: 1-line block ×3, first 2 shown]
	v_sub_nc_u32_e32 v11, v11, v16
	v_add3_u32 v1, v12, v1, v13
	v_mul_lo_u32 v16, v11, s30
	v_mul_lo_u32 v11, v11, s31
	v_add3_u32 v6, v14, v6, v7
	v_add3_u32 v1, v15, v1, v16
	;; [unrolled: 1-line block ×3, first 2 shown]
	s_cbranch_scc1 .LBB55_34
; %bb.35:
	s_and_b32 s6, s6, 3
	s_cmp_eq_u32 s6, 0
	s_cbranch_scc0 .LBB55_39
	s_branch .LBB55_41
.LBB55_36:
	s_mov_b32 s4, -1
                                        ; implicit-def: $vgpr1
                                        ; implicit-def: $vgpr6
	s_branch .LBB55_41
.LBB55_37:
	v_mov_b32_e32 v1, 0
	v_mov_b32_e32 v6, 0
	s_branch .LBB55_41
.LBB55_38:
	v_mov_b32_e32 v1, 0
	v_mov_b32_e32 v6, 0
	;; [unrolled: 1-line block ×3, first 2 shown]
	s_mov_b32 s5, 0
	s_and_b32 s6, s6, 3
	s_cmp_eq_u32 s6, 0
	s_cbranch_scc1 .LBB55_41
.LBB55_39:
	s_lshl_b32 s0, s5, 3
	s_mul_i32 s2, s5, 12
	s_add_u32 s0, s16, s0
	s_addc_u32 s1, s17, 0
	s_add_u32 s0, s0, 0xc4
	s_addc_u32 s1, s1, 0
	;; [unrolled: 2-line block ×3, first 2 shown]
	.p2align	6
.LBB55_40:                              ; =>This Inner Loop Header: Depth=1
	s_clause 0x1
	s_load_dwordx2 s[8:9], s[2:3], 0x4
	s_load_dword s5, s[2:3], 0xc
	s_load_dwordx2 s[10:11], s[0:1], 0x0
	s_add_u32 s2, s2, 12
	s_addc_u32 s3, s3, 0
	s_add_u32 s0, s0, 8
	s_addc_u32 s1, s1, 0
	s_add_i32 s6, s6, -1
	s_cmp_lg_u32 s6, 0
	s_waitcnt lgkmcnt(0)
	v_mul_hi_u32 v7, s9, v2
	v_add_nc_u32_e32 v7, v2, v7
	v_lshrrev_b32_e32 v8, s5, v7
	v_mul_lo_u32 v7, v8, s8
	v_sub_nc_u32_e32 v7, v2, v7
	v_mad_u64_u32 v[1:2], null, v7, s10, v[1:2]
	v_mad_u64_u32 v[6:7], null, v7, s11, v[6:7]
	v_mov_b32_e32 v2, v8
	s_cbranch_scc1 .LBB55_40
.LBB55_41:
	s_andn2_b32 vcc_lo, exec_lo, s4
	s_cbranch_vccnz .LBB55_44
; %bb.42:
	s_clause 0x1
	s_load_dwordx4 s[0:3], s[16:17], 0x4
	s_load_dwordx2 s[4:5], s[16:17], 0xc4
	s_cmp_lt_u32 s22, 2
	s_waitcnt lgkmcnt(0)
	v_mul_hi_u32 v1, s1, v3
	v_add_nc_u32_e32 v1, v3, v1
	v_lshrrev_b32_e32 v2, s2, v1
	v_mul_lo_u32 v1, v2, s0
	v_sub_nc_u32_e32 v3, v3, v1
	v_mul_lo_u32 v1, v3, s4
	v_mul_lo_u32 v6, v3, s5
	s_cbranch_scc1 .LBB55_44
; %bb.43:
	s_clause 0x1
	s_load_dwordx4 s[0:3], s[16:17], 0x10
	s_load_dwordx2 s[4:5], s[16:17], 0xcc
	s_waitcnt lgkmcnt(0)
	v_mul_hi_u32 v3, s1, v2
	v_add_nc_u32_e32 v3, v2, v3
	v_lshrrev_b32_e32 v3, s2, v3
	v_mul_lo_u32 v3, v3, s0
	v_sub_nc_u32_e32 v3, v2, v3
	v_mad_u64_u32 v[1:2], null, v3, s4, v[1:2]
	v_mad_u64_u32 v[6:7], null, v3, s5, v[6:7]
.LBB55_44:
	v_cmp_ne_u32_e32 vcc_lo, 1, v9
	v_add_nc_u32_e32 v4, 0x100, v4
	s_cbranch_vccnz .LBB55_50
; %bb.45:
	s_cmp_lg_u32 s22, 0
	s_mov_b32 s4, 0
	s_cbranch_scc0 .LBB55_51
; %bb.46:
	s_min_u32 s6, s23, 15
	s_add_i32 s6, s6, 1
	s_cmp_eq_u32 s23, 2
	s_cbranch_scc1 .LBB55_52
; %bb.47:
	v_mov_b32_e32 v7, 0
	v_mov_b32_e32 v2, 0
	;; [unrolled: 1-line block ×3, first 2 shown]
	s_and_b32 s5, s6, 28
	s_add_u32 s0, s16, 0xc4
	s_addc_u32 s1, s17, 0
	s_mov_b32 s7, 0
	s_mov_b64 s[2:3], s[16:17]
.LBB55_48:                              ; =>This Inner Loop Header: Depth=1
	s_clause 0x1
	s_load_dwordx8 s[8:15], s[2:3], 0x4
	s_load_dwordx4 s[36:39], s[2:3], 0x24
	s_load_dwordx8 s[24:31], s[0:1], 0x0
	s_add_u32 s2, s2, 48
	s_addc_u32 s3, s3, 0
	s_add_i32 s7, s7, 4
	s_add_u32 s0, s0, 32
	s_addc_u32 s1, s1, 0
	s_cmp_lg_u32 s5, s7
	s_waitcnt lgkmcnt(0)
	v_mul_hi_u32 v8, s9, v3
	v_add_nc_u32_e32 v8, v3, v8
	v_lshrrev_b32_e32 v8, s10, v8
	v_mul_hi_u32 v11, s12, v8
	v_mul_lo_u32 v13, v8, s8
	v_add_nc_u32_e32 v11, v8, v11
	v_sub_nc_u32_e32 v3, v3, v13
	v_lshrrev_b32_e32 v11, s13, v11
	v_mul_lo_u32 v13, v3, s24
	v_mul_lo_u32 v15, v3, s25
	v_mul_hi_u32 v12, s15, v11
	v_add_nc_u32_e32 v12, v11, v12
	v_lshrrev_b32_e32 v12, s36, v12
	v_mul_hi_u32 v14, s38, v12
	v_mul_lo_u32 v16, v12, s14
	v_add_nc_u32_e32 v3, v12, v14
	v_mul_lo_u32 v14, v11, s11
	v_sub_nc_u32_e32 v11, v11, v16
	v_lshrrev_b32_e32 v3, s39, v3
	v_mul_lo_u32 v16, v11, s28
	v_mul_lo_u32 v11, v11, s29
	v_sub_nc_u32_e32 v8, v8, v14
	v_mul_lo_u32 v17, v3, s37
	v_mul_lo_u32 v14, v8, s26
	;; [unrolled: 1-line block ×3, first 2 shown]
	v_sub_nc_u32_e32 v12, v12, v17
	v_add3_u32 v2, v13, v2, v14
	v_mul_lo_u32 v17, v12, s30
	v_mul_lo_u32 v12, v12, s31
	v_add3_u32 v7, v15, v7, v8
	v_add3_u32 v2, v16, v2, v17
	;; [unrolled: 1-line block ×3, first 2 shown]
	s_cbranch_scc1 .LBB55_48
; %bb.49:
	s_and_b32 s6, s6, 3
	s_cmp_eq_u32 s6, 0
	s_cbranch_scc0 .LBB55_53
	s_branch .LBB55_55
.LBB55_50:
	s_mov_b32 s4, -1
                                        ; implicit-def: $vgpr2
                                        ; implicit-def: $vgpr7
	s_branch .LBB55_55
.LBB55_51:
	v_mov_b32_e32 v2, 0
	v_mov_b32_e32 v7, 0
	s_branch .LBB55_55
.LBB55_52:
	v_mov_b32_e32 v2, 0
	v_mov_b32_e32 v7, 0
	;; [unrolled: 1-line block ×3, first 2 shown]
	s_mov_b32 s5, 0
	s_and_b32 s6, s6, 3
	s_cmp_eq_u32 s6, 0
	s_cbranch_scc1 .LBB55_55
.LBB55_53:
	s_lshl_b32 s0, s5, 3
	s_mul_i32 s2, s5, 12
	s_add_u32 s0, s16, s0
	s_addc_u32 s1, s17, 0
	s_add_u32 s0, s0, 0xc4
	s_addc_u32 s1, s1, 0
	;; [unrolled: 2-line block ×3, first 2 shown]
	.p2align	6
.LBB55_54:                              ; =>This Inner Loop Header: Depth=1
	s_clause 0x1
	s_load_dwordx2 s[8:9], s[2:3], 0x4
	s_load_dword s5, s[2:3], 0xc
	s_load_dwordx2 s[10:11], s[0:1], 0x0
	s_add_u32 s2, s2, 12
	s_addc_u32 s3, s3, 0
	s_add_u32 s0, s0, 8
	s_addc_u32 s1, s1, 0
	s_add_i32 s6, s6, -1
	s_cmp_lg_u32 s6, 0
	s_waitcnt lgkmcnt(0)
	v_mul_hi_u32 v8, s9, v3
	v_add_nc_u32_e32 v8, v3, v8
	v_lshrrev_b32_e32 v11, s5, v8
	v_mul_lo_u32 v8, v11, s8
	v_sub_nc_u32_e32 v8, v3, v8
	v_mad_u64_u32 v[2:3], null, v8, s10, v[2:3]
	v_mad_u64_u32 v[7:8], null, v8, s11, v[7:8]
	v_mov_b32_e32 v3, v11
	s_cbranch_scc1 .LBB55_54
.LBB55_55:
	s_andn2_b32 vcc_lo, exec_lo, s4
	s_cbranch_vccnz .LBB55_58
; %bb.56:
	s_clause 0x1
	s_load_dwordx4 s[0:3], s[16:17], 0x4
	s_load_dwordx2 s[4:5], s[16:17], 0xc4
	s_cmp_lt_u32 s22, 2
	s_waitcnt lgkmcnt(0)
	v_mul_hi_u32 v2, s1, v4
	v_add_nc_u32_e32 v2, v4, v2
	v_lshrrev_b32_e32 v3, s2, v2
	v_mul_lo_u32 v2, v3, s0
	v_sub_nc_u32_e32 v4, v4, v2
	v_mul_lo_u32 v2, v4, s4
	v_mul_lo_u32 v7, v4, s5
	s_cbranch_scc1 .LBB55_58
; %bb.57:
	s_clause 0x1
	s_load_dwordx4 s[0:3], s[16:17], 0x10
	s_load_dwordx2 s[4:5], s[16:17], 0xcc
	s_waitcnt lgkmcnt(0)
	v_mul_hi_u32 v4, s1, v3
	v_add_nc_u32_e32 v4, v3, v4
	v_lshrrev_b32_e32 v4, s2, v4
	v_mul_lo_u32 v4, v4, s0
	v_sub_nc_u32_e32 v4, v3, v4
	v_mad_u64_u32 v[2:3], null, v4, s4, v[2:3]
	v_mad_u64_u32 v[7:8], null, v4, s5, v[7:8]
.LBB55_58:
	v_cmp_ne_u32_e32 vcc_lo, 1, v9
	s_cbranch_vccnz .LBB55_64
; %bb.59:
	s_cmp_lg_u32 s22, 0
	s_mov_b32 s4, 0
	s_cbranch_scc0 .LBB55_65
; %bb.60:
	s_min_u32 s6, s23, 15
	s_add_i32 s6, s6, 1
	s_cmp_eq_u32 s23, 2
	s_cbranch_scc1 .LBB55_66
; %bb.61:
	v_mov_b32_e32 v8, 0
	v_mov_b32_e32 v3, 0
	;; [unrolled: 1-line block ×3, first 2 shown]
	s_and_b32 s5, s6, 28
	s_add_u32 s0, s16, 0xc4
	s_addc_u32 s1, s17, 0
	s_mov_b32 s7, 0
	s_mov_b64 s[2:3], s[16:17]
.LBB55_62:                              ; =>This Inner Loop Header: Depth=1
	s_clause 0x1
	s_load_dwordx8 s[8:15], s[2:3], 0x4
	s_load_dwordx4 s[36:39], s[2:3], 0x24
	s_load_dwordx8 s[24:31], s[0:1], 0x0
	s_add_u32 s2, s2, 48
	s_addc_u32 s3, s3, 0
	s_add_i32 s7, s7, 4
	s_add_u32 s0, s0, 32
	s_addc_u32 s1, s1, 0
	s_cmp_lg_u32 s5, s7
	s_waitcnt lgkmcnt(0)
	v_mul_hi_u32 v9, s9, v4
	v_add_nc_u32_e32 v9, v4, v9
	v_lshrrev_b32_e32 v9, s10, v9
	v_mul_hi_u32 v11, s12, v9
	v_mul_lo_u32 v13, v9, s8
	v_add_nc_u32_e32 v11, v9, v11
	v_sub_nc_u32_e32 v4, v4, v13
	v_lshrrev_b32_e32 v11, s13, v11
	v_mul_lo_u32 v13, v4, s24
	v_mul_lo_u32 v15, v4, s25
	v_mul_hi_u32 v12, s15, v11
	v_add_nc_u32_e32 v12, v11, v12
	v_lshrrev_b32_e32 v12, s36, v12
	v_mul_hi_u32 v14, s38, v12
	v_mul_lo_u32 v16, v12, s14
	v_add_nc_u32_e32 v4, v12, v14
	v_mul_lo_u32 v14, v11, s11
	v_sub_nc_u32_e32 v11, v11, v16
	v_lshrrev_b32_e32 v4, s39, v4
	v_mul_lo_u32 v16, v11, s28
	v_mul_lo_u32 v11, v11, s29
	v_sub_nc_u32_e32 v9, v9, v14
	v_mul_lo_u32 v17, v4, s37
	v_mul_lo_u32 v14, v9, s26
	;; [unrolled: 1-line block ×3, first 2 shown]
	v_sub_nc_u32_e32 v12, v12, v17
	v_add3_u32 v3, v13, v3, v14
	v_mul_lo_u32 v17, v12, s30
	v_mul_lo_u32 v12, v12, s31
	v_add3_u32 v8, v15, v8, v9
	v_add3_u32 v3, v16, v3, v17
	;; [unrolled: 1-line block ×3, first 2 shown]
	s_cbranch_scc1 .LBB55_62
; %bb.63:
	s_and_b32 s6, s6, 3
	s_cmp_eq_u32 s6, 0
	s_cbranch_scc0 .LBB55_67
	s_branch .LBB55_69
.LBB55_64:
	s_mov_b32 s4, -1
                                        ; implicit-def: $vgpr3
                                        ; implicit-def: $vgpr8
	s_branch .LBB55_69
.LBB55_65:
	v_mov_b32_e32 v3, 0
	v_mov_b32_e32 v8, 0
	s_branch .LBB55_69
.LBB55_66:
	v_mov_b32_e32 v3, 0
	v_mov_b32_e32 v8, 0
	;; [unrolled: 1-line block ×3, first 2 shown]
	s_mov_b32 s5, 0
	s_and_b32 s6, s6, 3
	s_cmp_eq_u32 s6, 0
	s_cbranch_scc1 .LBB55_69
.LBB55_67:
	s_lshl_b32 s0, s5, 3
	s_mul_i32 s2, s5, 12
	s_add_u32 s0, s16, s0
	s_addc_u32 s1, s17, 0
	s_add_u32 s0, s0, 0xc4
	s_addc_u32 s1, s1, 0
	;; [unrolled: 2-line block ×3, first 2 shown]
	.p2align	6
.LBB55_68:                              ; =>This Inner Loop Header: Depth=1
	s_clause 0x1
	s_load_dwordx2 s[8:9], s[2:3], 0x4
	s_load_dword s5, s[2:3], 0xc
	s_load_dwordx2 s[10:11], s[0:1], 0x0
	s_add_u32 s2, s2, 12
	s_addc_u32 s3, s3, 0
	s_add_u32 s0, s0, 8
	s_addc_u32 s1, s1, 0
	s_add_i32 s6, s6, -1
	s_cmp_lg_u32 s6, 0
	s_waitcnt lgkmcnt(0)
	v_mul_hi_u32 v9, s9, v4
	v_add_nc_u32_e32 v9, v4, v9
	v_lshrrev_b32_e32 v11, s5, v9
	v_mul_lo_u32 v9, v11, s8
	v_sub_nc_u32_e32 v9, v4, v9
	v_mad_u64_u32 v[3:4], null, v9, s10, v[3:4]
	v_mad_u64_u32 v[8:9], null, v9, s11, v[8:9]
	v_mov_b32_e32 v4, v11
	s_cbranch_scc1 .LBB55_68
.LBB55_69:
	s_andn2_b32 vcc_lo, exec_lo, s4
	s_cbranch_vccnz .LBB55_72
; %bb.70:
	s_clause 0x1
	s_load_dwordx4 s[0:3], s[16:17], 0x4
	s_load_dwordx2 s[4:5], s[16:17], 0xc4
	s_cmp_lt_u32 s22, 2
	s_waitcnt lgkmcnt(0)
	v_mul_hi_u32 v3, s1, v10
	v_add_nc_u32_e32 v3, v10, v3
	v_lshrrev_b32_e32 v4, s2, v3
	v_mul_lo_u32 v3, v4, s0
	v_sub_nc_u32_e32 v8, v10, v3
	v_mul_lo_u32 v3, v8, s4
	v_mul_lo_u32 v8, v8, s5
	s_cbranch_scc1 .LBB55_72
; %bb.71:
	s_clause 0x1
	s_load_dwordx4 s[0:3], s[16:17], 0x10
	s_load_dwordx2 s[4:5], s[16:17], 0xcc
	s_waitcnt lgkmcnt(0)
	v_mul_hi_u32 v9, s1, v4
	v_add_nc_u32_e32 v9, v4, v9
	v_lshrrev_b32_e32 v9, s2, v9
	v_mul_lo_u32 v9, v9, s0
	v_sub_nc_u32_e32 v9, v4, v9
	v_mad_u64_u32 v[3:4], null, v9, s4, v[3:4]
	v_mad_u64_u32 v[8:9], null, v9, s5, v[8:9]
.LBB55_72:
	s_load_dwordx4 s[8:11], s[16:17], 0x148
	v_mov_b32_e32 v4, 1.0
	s_mov_b32 s2, exec_lo
	s_waitcnt lgkmcnt(0)
	global_load_dword v9, v5, s[10:11]
	v_mov_b32_e32 v5, 0
	s_waitcnt vmcnt(0)
	v_cmpx_gt_f32_e32 0.5, v9
	s_cbranch_execz .LBB55_78
; %bb.73:
	v_mul_f32_e32 v4, 0x40490fdb, v9
                                        ; implicit-def: $vgpr11
                                        ; implicit-def: $vgpr10
	s_mov_b32 s1, exec_lo
	v_and_b32_e32 v5, 0x7fffffff, v4
	v_cmpx_ngt_f32_e64 0x48000000, |v4|
	s_xor_b32 s3, exec_lo, s1
	s_cbranch_execz .LBB55_75
; %bb.74:
	s_mov_b32 s0, 0x7fffff
	v_mov_b32_e32 v12, 0
	v_and_or_b32 v19, v5, s0, 0x800000
	v_lshrrev_b32_e32 v17, 23, v5
	v_mad_u64_u32 v[10:11], null, 0xfe5163ab, v19, 0
	v_add_nc_u32_e32 v18, 0xffffff88, v17
	v_cmp_lt_u32_e32 vcc_lo, 63, v18
	v_mad_u64_u32 v[13:14], null, 0x3c439041, v19, v[11:12]
	v_cndmask_b32_e64 v20, 0, 0xffffffc0, vcc_lo
	v_mov_b32_e32 v11, v14
	v_add_nc_u32_e32 v20, v20, v18
	v_mad_u64_u32 v[14:15], null, 0xdb629599, v19, v[11:12]
	v_cmp_lt_u32_e64 s0, 31, v20
	v_cndmask_b32_e64 v21, 0, 0xffffffe0, s0
	v_mov_b32_e32 v11, v15
	v_cndmask_b32_e32 v10, v14, v10, vcc_lo
	v_mad_u64_u32 v[15:16], null, 0xf534ddc0, v19, v[11:12]
	v_mov_b32_e32 v11, v16
	v_cndmask_b32_e32 v13, v15, v13, vcc_lo
	v_mad_u64_u32 v[16:17], null, 0xfc2757d1, v19, v[11:12]
	v_cndmask_b32_e64 v10, v13, v10, s0
	v_mov_b32_e32 v11, v17
	v_mad_u64_u32 v[17:18], null, 0x4e441529, v19, v[11:12]
	v_mov_b32_e32 v11, v18
	v_add_nc_u32_e32 v18, v21, v20
	v_cndmask_b32_e32 v20, v17, v15, vcc_lo
	v_mad_u64_u32 v[11:12], null, 0xa2f9836e, v19, v[11:12]
	v_cmp_lt_u32_e64 s1, 31, v18
	v_cndmask_b32_e64 v19, 0, 0xffffffe0, s1
	v_cndmask_b32_e32 v11, v11, v16, vcc_lo
	v_cndmask_b32_e32 v12, v12, v17, vcc_lo
	;; [unrolled: 1-line block ×3, first 2 shown]
	v_add_nc_u32_e32 v17, v19, v18
	v_cndmask_b32_e64 v15, v11, v20, s0
	v_cndmask_b32_e64 v11, v12, v11, s0
	;; [unrolled: 1-line block ×4, first 2 shown]
	v_sub_nc_u32_e32 v18, 32, v17
	v_cmp_eq_u32_e32 vcc_lo, 0, v17
	v_cndmask_b32_e64 v11, v11, v15, s1
	v_cndmask_b32_e64 v15, v15, v12, s1
	;; [unrolled: 1-line block ×4, first 2 shown]
	v_alignbit_b32 v19, v11, v15, v18
	v_alignbit_b32 v14, v15, v12, v18
	v_alignbit_b32 v17, v12, v10, v18
	v_cndmask_b32_e32 v11, v19, v11, vcc_lo
	v_cndmask_b32_e32 v13, v14, v15, vcc_lo
	;; [unrolled: 1-line block ×3, first 2 shown]
	v_bfe_u32 v14, v11, 29, 1
	v_alignbit_b32 v15, v11, v13, 30
	v_alignbit_b32 v13, v13, v12, 30
	;; [unrolled: 1-line block ×3, first 2 shown]
	v_sub_nc_u32_e32 v16, 0, v14
	v_xor_b32_e32 v15, v15, v16
	v_xor_b32_e32 v12, v13, v16
	;; [unrolled: 1-line block ×3, first 2 shown]
	v_lshrrev_b32_e32 v16, 29, v11
	v_lshrrev_b32_e32 v11, 30, v11
	v_ffbh_u32_e32 v17, v15
	v_add_nc_u32_e32 v11, v14, v11
	v_min_u32_e32 v17, 32, v17
	v_sub_nc_u32_e32 v13, 31, v17
	v_lshlrev_b32_e32 v18, 23, v17
	v_alignbit_b32 v15, v15, v12, v13
	v_alignbit_b32 v10, v12, v10, v13
	v_lshlrev_b32_e32 v12, 31, v16
	v_alignbit_b32 v13, v15, v10, 9
	v_or_b32_e32 v16, 0.5, v12
	v_lshrrev_b32_e32 v15, 9, v15
	v_or_b32_e32 v12, 0x33000000, v12
	v_ffbh_u32_e32 v19, v13
	v_sub_nc_u32_e32 v16, v16, v18
	v_min_u32_e32 v18, 32, v19
	v_or_b32_e32 v15, v15, v16
	v_not_b32_e32 v16, v18
	v_mul_f32_e32 v19, 0x3fc90fda, v15
	v_add_lshl_u32 v17, v18, v17, 23
	v_alignbit_b32 v10, v13, v10, v16
	v_fma_f32 v13, 0x3fc90fda, v15, -v19
	v_sub_nc_u32_e32 v12, v12, v17
	v_lshrrev_b32_e32 v10, 9, v10
	v_fmamk_f32 v13, v15, 0x33a22168, v13
	v_or_b32_e32 v10, v12, v10
	v_fmac_f32_e32 v13, 0x3fc90fda, v10
	v_add_f32_e32 v10, v19, v13
.LBB55_75:
	s_andn2_saveexec_b32 s0, s3
; %bb.76:
	v_mul_f32_e64 v10, 0x3f22f983, |v4|
	v_rndne_f32_e32 v11, v10
	v_fma_f32 v10, 0xbfc90fda, v11, |v4|
	v_fmamk_f32 v10, v11, 0xb3a22168, v10
	v_fmamk_f32 v10, v11, 0xa7c234c4, v10
	v_cvt_i32_f32_e32 v11, v11
; %bb.77:
	s_or_b32 exec_lo, exec_lo, s0
	v_mul_f32_e32 v12, v10, v10
	s_mov_b32 s0, 0xb94c1982
	s_mov_b32 s1, 0x37d75334
	v_and_b32_e32 v15, 1, v11
	v_lshlrev_b32_e32 v11, 30, v11
	v_fmaak_f32 v13, s0, v12, 0x3c0881c4
	v_fmaak_f32 v14, s1, v12, 0xbab64f3b
	v_xor_b32_e32 v5, v5, v4
	v_cmp_eq_u32_e32 vcc_lo, 0, v15
	v_and_b32_e32 v11, 0x80000000, v11
	v_fmaak_f32 v13, v12, v13, 0xbe2aaa9d
	v_fmaak_f32 v14, v12, v14, 0x3d2aabf7
	v_sub_f32_e32 v9, 1.0, v9
	v_mul_f32_e32 v13, v12, v13
	v_fmaak_f32 v14, v12, v14, 0xbf000004
	v_fmac_f32_e32 v10, v10, v13
	v_fma_f32 v12, v12, v14, 1.0
	v_cndmask_b32_e32 v10, v12, v10, vcc_lo
	v_cmp_class_f32_e64 vcc_lo, v4, 0x1f8
	v_xor3_b32 v5, v5, v11, v10
	v_cndmask_b32_e32 v4, 0x7fc00000, v5, vcc_lo
	v_mul_f32_e32 v4, v4, v4
	v_div_scale_f32 v5, null, v4, v4, 0xc11de9e7
	v_div_scale_f32 v12, vcc_lo, 0xc11de9e7, v4, 0xc11de9e7
	v_rcp_f32_e32 v10, v5
	v_fma_f32 v11, -v5, v10, 1.0
	v_fmac_f32_e32 v10, v11, v10
	v_mul_f32_e32 v11, v12, v10
	v_fma_f32 v13, -v5, v11, v12
	v_fmac_f32_e32 v11, v13, v10
	v_fma_f32 v5, -v5, v11, v12
	v_div_fmas_f32 v5, v5, v10, v11
	v_div_fixup_f32 v4, v5, v4, 0xc11de9e7
	v_add_f32_e32 v5, 0, v4
	v_mov_b32_e32 v4, -1.0
.LBB55_78:
	s_or_b32 exec_lo, exec_lo, s2
	global_load_dword v17, v6, s[10:11]
	v_mov_b32_e32 v10, 0
	v_mov_b32_e32 v6, 1.0
	s_mov_b32 s2, exec_lo
	s_waitcnt vmcnt(0)
	v_cmpx_gt_f32_e32 0.5, v17
	s_cbranch_execz .LBB55_84
; %bb.79:
	v_mul_f32_e32 v6, 0x40490fdb, v17
                                        ; implicit-def: $vgpr12
                                        ; implicit-def: $vgpr11
	s_mov_b32 s1, exec_lo
	v_and_b32_e32 v10, 0x7fffffff, v6
	v_cmpx_ngt_f32_e64 0x48000000, |v6|
	s_xor_b32 s3, exec_lo, s1
	s_cbranch_execz .LBB55_81
; %bb.80:
	s_mov_b32 s0, 0x7fffff
	v_mov_b32_e32 v13, 0
	v_and_or_b32 v22, v10, s0, 0x800000
	v_mad_u64_u32 v[11:12], null, 0xfe5163ab, v22, 0
	v_mad_u64_u32 v[14:15], null, 0x3c439041, v22, v[12:13]
	v_mov_b32_e32 v12, v15
	v_mad_u64_u32 v[15:16], null, 0xdb629599, v22, v[12:13]
	v_mov_b32_e32 v12, v16
	v_lshrrev_b32_e32 v16, 23, v10
	v_mad_u64_u32 v[18:19], null, 0xf534ddc0, v22, v[12:13]
	v_add_nc_u32_e32 v16, 0xffffff88, v16
	v_cmp_lt_u32_e32 vcc_lo, 63, v16
	v_mov_b32_e32 v12, v19
	v_cndmask_b32_e64 v21, 0, 0xffffffc0, vcc_lo
	v_mad_u64_u32 v[19:20], null, 0xfc2757d1, v22, v[12:13]
	v_cndmask_b32_e32 v14, v18, v14, vcc_lo
	v_cndmask_b32_e32 v11, v15, v11, vcc_lo
	v_add_nc_u32_e32 v16, v21, v16
	v_mov_b32_e32 v12, v20
	v_cmp_lt_u32_e64 s0, 31, v16
	v_mad_u64_u32 v[20:21], null, 0x4e441529, v22, v[12:13]
	v_cndmask_b32_e64 v23, 0, 0xffffffe0, s0
	v_cndmask_b32_e64 v11, v14, v11, s0
	v_add_nc_u32_e32 v16, v23, v16
	v_mov_b32_e32 v12, v21
	v_cmp_lt_u32_e64 s1, 31, v16
	v_mad_u64_u32 v[12:13], null, 0xa2f9836e, v22, v[12:13]
	v_cndmask_b32_e32 v22, v20, v18, vcc_lo
	v_cndmask_b32_e64 v21, 0, 0xffffffe0, s1
	v_cndmask_b32_e32 v12, v12, v19, vcc_lo
	v_cndmask_b32_e32 v13, v13, v20, vcc_lo
	;; [unrolled: 1-line block ×3, first 2 shown]
	v_add_nc_u32_e32 v16, v21, v16
	v_cndmask_b32_e64 v18, v12, v22, s0
	v_cndmask_b32_e64 v12, v13, v12, s0
	v_cndmask_b32_e64 v13, v22, v19, s0
	v_sub_nc_u32_e32 v20, 32, v16
	v_cndmask_b32_e64 v19, v19, v14, s0
	v_cmp_eq_u32_e32 vcc_lo, 0, v16
	v_cndmask_b32_e64 v12, v12, v18, s1
	v_cndmask_b32_e64 v18, v18, v13, s1
	;; [unrolled: 1-line block ×4, first 2 shown]
	v_alignbit_b32 v21, v12, v18, v20
	v_alignbit_b32 v15, v18, v13, v20
	;; [unrolled: 1-line block ×3, first 2 shown]
	v_cndmask_b32_e32 v12, v21, v12, vcc_lo
	v_cndmask_b32_e32 v14, v15, v18, vcc_lo
	;; [unrolled: 1-line block ×3, first 2 shown]
	v_bfe_u32 v15, v12, 29, 1
	v_alignbit_b32 v16, v12, v14, 30
	v_alignbit_b32 v14, v14, v13, 30
	;; [unrolled: 1-line block ×3, first 2 shown]
	v_sub_nc_u32_e32 v18, 0, v15
	v_xor_b32_e32 v16, v16, v18
	v_xor_b32_e32 v13, v14, v18
	;; [unrolled: 1-line block ×3, first 2 shown]
	v_lshrrev_b32_e32 v18, 29, v12
	v_lshrrev_b32_e32 v12, 30, v12
	v_ffbh_u32_e32 v19, v16
	v_add_nc_u32_e32 v12, v15, v12
	v_min_u32_e32 v19, 32, v19
	v_sub_nc_u32_e32 v14, 31, v19
	v_lshlrev_b32_e32 v20, 23, v19
	v_alignbit_b32 v16, v16, v13, v14
	v_alignbit_b32 v11, v13, v11, v14
	v_lshlrev_b32_e32 v13, 31, v18
	v_alignbit_b32 v14, v16, v11, 9
	v_or_b32_e32 v18, 0.5, v13
	v_lshrrev_b32_e32 v16, 9, v16
	v_or_b32_e32 v13, 0x33000000, v13
	v_ffbh_u32_e32 v21, v14
	v_sub_nc_u32_e32 v18, v18, v20
	v_min_u32_e32 v20, 32, v21
	v_or_b32_e32 v16, v16, v18
	v_not_b32_e32 v18, v20
	v_mul_f32_e32 v21, 0x3fc90fda, v16
	v_add_lshl_u32 v19, v20, v19, 23
	v_alignbit_b32 v11, v14, v11, v18
	v_fma_f32 v14, 0x3fc90fda, v16, -v21
	v_sub_nc_u32_e32 v13, v13, v19
	v_lshrrev_b32_e32 v11, 9, v11
	v_fmamk_f32 v14, v16, 0x33a22168, v14
	v_or_b32_e32 v11, v13, v11
	v_fmac_f32_e32 v14, 0x3fc90fda, v11
	v_add_f32_e32 v11, v21, v14
.LBB55_81:
	s_andn2_saveexec_b32 s0, s3
; %bb.82:
	v_mul_f32_e64 v11, 0x3f22f983, |v6|
	v_rndne_f32_e32 v12, v11
	v_fma_f32 v11, 0xbfc90fda, v12, |v6|
	v_fmamk_f32 v11, v12, 0xb3a22168, v11
	v_fmamk_f32 v11, v12, 0xa7c234c4, v11
	v_cvt_i32_f32_e32 v12, v12
; %bb.83:
	s_or_b32 exec_lo, exec_lo, s0
	v_mul_f32_e32 v13, v11, v11
	s_mov_b32 s0, 0xb94c1982
	s_mov_b32 s1, 0x37d75334
	v_and_b32_e32 v16, 1, v12
	v_lshlrev_b32_e32 v12, 30, v12
	v_fmaak_f32 v14, s0, v13, 0x3c0881c4
	v_fmaak_f32 v15, s1, v13, 0xbab64f3b
	v_xor_b32_e32 v10, v10, v6
	v_cmp_eq_u32_e32 vcc_lo, 0, v16
	v_and_b32_e32 v12, 0x80000000, v12
	v_fmaak_f32 v14, v13, v14, 0xbe2aaa9d
	v_fmaak_f32 v15, v13, v15, 0x3d2aabf7
	v_sub_f32_e32 v17, 1.0, v17
	v_mul_f32_e32 v14, v13, v14
	v_fmaak_f32 v15, v13, v15, 0xbf000004
	v_fmac_f32_e32 v11, v11, v14
	v_fma_f32 v13, v13, v15, 1.0
	v_cndmask_b32_e32 v11, v13, v11, vcc_lo
	v_cmp_class_f32_e64 vcc_lo, v6, 0x1f8
	v_xor3_b32 v10, v10, v12, v11
	v_cndmask_b32_e32 v6, 0x7fc00000, v10, vcc_lo
	v_mul_f32_e32 v6, v6, v6
	v_div_scale_f32 v10, null, v6, v6, 0xc11de9e7
	v_div_scale_f32 v13, vcc_lo, 0xc11de9e7, v6, 0xc11de9e7
	v_rcp_f32_e32 v11, v10
	v_fma_f32 v12, -v10, v11, 1.0
	v_fmac_f32_e32 v11, v12, v11
	v_mul_f32_e32 v12, v13, v11
	v_fma_f32 v14, -v10, v12, v13
	v_fmac_f32_e32 v12, v14, v11
	v_fma_f32 v10, -v10, v12, v13
	v_div_fmas_f32 v10, v10, v11, v12
	v_div_fixup_f32 v6, v10, v6, 0xc11de9e7
	v_add_f32_e32 v10, 0, v6
	v_mov_b32_e32 v6, -1.0
.LBB55_84:
	s_or_b32 exec_lo, exec_lo, s2
	global_load_dword v14, v7, s[10:11]
	v_mov_b32_e32 v11, 0
	v_mov_b32_e32 v7, 1.0
	s_mov_b32 s2, exec_lo
	s_waitcnt vmcnt(0)
	v_cmpx_gt_f32_e32 0.5, v14
	s_cbranch_execz .LBB55_90
; %bb.85:
	v_mul_f32_e32 v7, 0x40490fdb, v14
                                        ; implicit-def: $vgpr13
                                        ; implicit-def: $vgpr12
	s_mov_b32 s1, exec_lo
	v_and_b32_e32 v11, 0x7fffffff, v7
	v_cmpx_ngt_f32_e64 0x48000000, |v7|
	s_xor_b32 s3, exec_lo, s1
	s_cbranch_execz .LBB55_87
; %bb.86:
	s_mov_b32 s0, 0x7fffff
	v_mov_b32_e32 v16, 0
	v_and_or_b32 v24, v11, s0, 0x800000
	v_mad_u64_u32 v[12:13], null, 0xfe5163ab, v24, 0
	v_mov_b32_e32 v15, v13
	v_lshrrev_b32_e32 v13, 23, v11
	v_mad_u64_u32 v[18:19], null, 0x3c439041, v24, v[15:16]
	v_add_nc_u32_e32 v13, 0xffffff88, v13
	v_cmp_lt_u32_e32 vcc_lo, 63, v13
	v_mov_b32_e32 v15, v19
	v_cndmask_b32_e64 v23, 0, 0xffffffc0, vcc_lo
	v_mad_u64_u32 v[19:20], null, 0xdb629599, v24, v[15:16]
	v_add_nc_u32_e32 v13, v23, v13
	v_mov_b32_e32 v15, v20
	v_cmp_lt_u32_e64 s0, 31, v13
	v_cndmask_b32_e32 v12, v19, v12, vcc_lo
	v_mad_u64_u32 v[20:21], null, 0xf534ddc0, v24, v[15:16]
	v_cndmask_b32_e64 v25, 0, 0xffffffe0, s0
	v_add_nc_u32_e32 v13, v25, v13
	v_mov_b32_e32 v15, v21
	v_cndmask_b32_e32 v18, v20, v18, vcc_lo
	v_cmp_lt_u32_e64 s1, 31, v13
	v_mad_u64_u32 v[21:22], null, 0xfc2757d1, v24, v[15:16]
	v_cndmask_b32_e64 v12, v18, v12, s0
	v_mov_b32_e32 v15, v22
	v_mad_u64_u32 v[22:23], null, 0x4e441529, v24, v[15:16]
	v_mov_b32_e32 v15, v23
	v_cndmask_b32_e64 v23, 0, 0xffffffe0, s1
	v_mad_u64_u32 v[15:16], null, 0xa2f9836e, v24, v[15:16]
	v_cndmask_b32_e32 v24, v22, v20, vcc_lo
	v_add_nc_u32_e32 v13, v23, v13
	v_cndmask_b32_e32 v15, v15, v21, vcc_lo
	v_cndmask_b32_e32 v16, v16, v22, vcc_lo
	;; [unrolled: 1-line block ×3, first 2 shown]
	v_sub_nc_u32_e32 v22, 32, v13
	v_cmp_eq_u32_e32 vcc_lo, 0, v13
	v_cndmask_b32_e64 v20, v15, v24, s0
	v_cndmask_b32_e64 v15, v16, v15, s0
	;; [unrolled: 1-line block ×8, first 2 shown]
	v_alignbit_b32 v23, v15, v20, v22
	v_alignbit_b32 v19, v20, v16, v22
	;; [unrolled: 1-line block ×3, first 2 shown]
	v_cndmask_b32_e32 v13, v23, v15, vcc_lo
	v_cndmask_b32_e32 v15, v19, v20, vcc_lo
	;; [unrolled: 1-line block ×3, first 2 shown]
	v_bfe_u32 v18, v13, 29, 1
	v_alignbit_b32 v19, v13, v15, 30
	v_alignbit_b32 v15, v15, v16, 30
	;; [unrolled: 1-line block ×3, first 2 shown]
	v_sub_nc_u32_e32 v20, 0, v18
	v_xor_b32_e32 v19, v19, v20
	v_xor_b32_e32 v15, v15, v20
	;; [unrolled: 1-line block ×3, first 2 shown]
	v_lshrrev_b32_e32 v20, 29, v13
	v_lshrrev_b32_e32 v13, 30, v13
	v_ffbh_u32_e32 v21, v19
	v_add_nc_u32_e32 v13, v18, v13
	v_min_u32_e32 v21, 32, v21
	v_sub_nc_u32_e32 v16, 31, v21
	v_lshlrev_b32_e32 v22, 23, v21
	v_alignbit_b32 v19, v19, v15, v16
	v_alignbit_b32 v12, v15, v12, v16
	v_lshlrev_b32_e32 v15, 31, v20
	v_alignbit_b32 v16, v19, v12, 9
	v_or_b32_e32 v20, 0.5, v15
	v_lshrrev_b32_e32 v19, 9, v19
	v_or_b32_e32 v15, 0x33000000, v15
	v_ffbh_u32_e32 v23, v16
	v_sub_nc_u32_e32 v20, v20, v22
	v_min_u32_e32 v22, 32, v23
	v_or_b32_e32 v19, v19, v20
	v_not_b32_e32 v20, v22
	v_mul_f32_e32 v23, 0x3fc90fda, v19
	v_add_lshl_u32 v21, v22, v21, 23
	v_alignbit_b32 v12, v16, v12, v20
	v_fma_f32 v16, 0x3fc90fda, v19, -v23
	v_sub_nc_u32_e32 v15, v15, v21
	v_lshrrev_b32_e32 v12, 9, v12
	v_fmamk_f32 v16, v19, 0x33a22168, v16
	v_or_b32_e32 v12, v15, v12
	v_fmac_f32_e32 v16, 0x3fc90fda, v12
	v_add_f32_e32 v12, v23, v16
.LBB55_87:
	s_andn2_saveexec_b32 s0, s3
; %bb.88:
	v_mul_f32_e64 v12, 0x3f22f983, |v7|
	v_rndne_f32_e32 v13, v12
	v_fma_f32 v12, 0xbfc90fda, v13, |v7|
	v_fmamk_f32 v12, v13, 0xb3a22168, v12
	v_fmamk_f32 v12, v13, 0xa7c234c4, v12
	v_cvt_i32_f32_e32 v13, v13
; %bb.89:
	s_or_b32 exec_lo, exec_lo, s0
	v_mul_f32_e32 v15, v12, v12
	s_mov_b32 s0, 0xb94c1982
	s_mov_b32 s1, 0x37d75334
	v_and_b32_e32 v19, 1, v13
	v_lshlrev_b32_e32 v13, 30, v13
	v_fmaak_f32 v16, s0, v15, 0x3c0881c4
	v_fmaak_f32 v18, s1, v15, 0xbab64f3b
	v_xor_b32_e32 v11, v11, v7
	v_cmp_eq_u32_e32 vcc_lo, 0, v19
	v_and_b32_e32 v13, 0x80000000, v13
	v_fmaak_f32 v16, v15, v16, 0xbe2aaa9d
	v_fmaak_f32 v18, v15, v18, 0x3d2aabf7
	v_sub_f32_e32 v14, 1.0, v14
	v_mul_f32_e32 v16, v15, v16
	v_fmaak_f32 v18, v15, v18, 0xbf000004
	v_fmac_f32_e32 v12, v12, v16
	v_fma_f32 v15, v15, v18, 1.0
	v_cndmask_b32_e32 v12, v15, v12, vcc_lo
	v_cmp_class_f32_e64 vcc_lo, v7, 0x1f8
	v_xor3_b32 v11, v11, v13, v12
	v_cndmask_b32_e32 v7, 0x7fc00000, v11, vcc_lo
	v_mul_f32_e32 v7, v7, v7
	v_div_scale_f32 v11, null, v7, v7, 0xc11de9e7
	v_div_scale_f32 v15, vcc_lo, 0xc11de9e7, v7, 0xc11de9e7
	v_rcp_f32_e32 v12, v11
	v_fma_f32 v13, -v11, v12, 1.0
	v_fmac_f32_e32 v12, v13, v12
	v_mul_f32_e32 v13, v15, v12
	v_fma_f32 v16, -v11, v13, v15
	v_fmac_f32_e32 v13, v16, v12
	v_fma_f32 v11, -v11, v13, v15
	v_div_fmas_f32 v11, v11, v12, v13
	v_div_fixup_f32 v7, v11, v7, 0xc11de9e7
	v_add_f32_e32 v11, 0, v7
	v_mov_b32_e32 v7, -1.0
.LBB55_90:
	s_or_b32 exec_lo, exec_lo, s2
	global_load_dword v12, v8, s[10:11]
	v_mov_b32_e32 v13, 0
	v_mov_b32_e32 v8, 1.0
	s_mov_b32 s2, exec_lo
	s_waitcnt vmcnt(0)
	v_cmpx_gt_f32_e32 0.5, v12
	s_cbranch_execz .LBB55_96
; %bb.91:
	v_mul_f32_e32 v8, 0x40490fdb, v12
                                        ; implicit-def: $vgpr16
                                        ; implicit-def: $vgpr15
	s_mov_b32 s1, exec_lo
	v_and_b32_e32 v13, 0x7fffffff, v8
	v_cmpx_ngt_f32_e64 0x48000000, |v8|
	s_xor_b32 s3, exec_lo, s1
	s_cbranch_execz .LBB55_93
; %bb.92:
	s_mov_b32 s0, 0x7fffff
	v_mov_b32_e32 v19, 0
	v_and_or_b32 v26, v13, s0, 0x800000
	v_mad_u64_u32 v[15:16], null, 0xfe5163ab, v26, 0
	v_mov_b32_e32 v18, v16
	v_lshrrev_b32_e32 v16, 23, v13
	v_mad_u64_u32 v[20:21], null, 0x3c439041, v26, v[18:19]
	v_add_nc_u32_e32 v16, 0xffffff88, v16
	v_cmp_lt_u32_e32 vcc_lo, 63, v16
	v_mov_b32_e32 v18, v21
	v_cndmask_b32_e64 v25, 0, 0xffffffc0, vcc_lo
	v_mad_u64_u32 v[21:22], null, 0xdb629599, v26, v[18:19]
	v_add_nc_u32_e32 v16, v25, v16
	v_mov_b32_e32 v18, v22
	v_cmp_lt_u32_e64 s0, 31, v16
	v_cndmask_b32_e32 v15, v21, v15, vcc_lo
	v_mad_u64_u32 v[22:23], null, 0xf534ddc0, v26, v[18:19]
	v_cndmask_b32_e64 v27, 0, 0xffffffe0, s0
	v_add_nc_u32_e32 v16, v27, v16
	v_mov_b32_e32 v18, v23
	v_cndmask_b32_e32 v20, v22, v20, vcc_lo
	v_cmp_lt_u32_e64 s1, 31, v16
	v_mad_u64_u32 v[23:24], null, 0xfc2757d1, v26, v[18:19]
	v_cndmask_b32_e64 v15, v20, v15, s0
	v_mov_b32_e32 v18, v24
	v_mad_u64_u32 v[24:25], null, 0x4e441529, v26, v[18:19]
	v_mov_b32_e32 v18, v25
	v_cndmask_b32_e64 v25, 0, 0xffffffe0, s1
	v_mad_u64_u32 v[18:19], null, 0xa2f9836e, v26, v[18:19]
	v_cndmask_b32_e32 v26, v24, v22, vcc_lo
	v_add_nc_u32_e32 v16, v25, v16
	v_cndmask_b32_e32 v18, v18, v23, vcc_lo
	v_cndmask_b32_e32 v19, v19, v24, vcc_lo
	;; [unrolled: 1-line block ×3, first 2 shown]
	v_sub_nc_u32_e32 v24, 32, v16
	v_cmp_eq_u32_e32 vcc_lo, 0, v16
	v_cndmask_b32_e64 v22, v18, v26, s0
	v_cndmask_b32_e64 v18, v19, v18, s0
	v_cndmask_b32_e64 v19, v26, v23, s0
	v_cndmask_b32_e64 v23, v23, v20, s0
	v_cndmask_b32_e64 v18, v18, v22, s1
	v_cndmask_b32_e64 v22, v22, v19, s1
	v_cndmask_b32_e64 v19, v19, v23, s1
	v_cndmask_b32_e64 v15, v23, v15, s1
	v_alignbit_b32 v25, v18, v22, v24
	v_alignbit_b32 v21, v22, v19, v24
	;; [unrolled: 1-line block ×3, first 2 shown]
	v_cndmask_b32_e32 v16, v25, v18, vcc_lo
	v_cndmask_b32_e32 v18, v21, v22, vcc_lo
	;; [unrolled: 1-line block ×3, first 2 shown]
	v_bfe_u32 v20, v16, 29, 1
	v_alignbit_b32 v21, v16, v18, 30
	v_alignbit_b32 v18, v18, v19, 30
	;; [unrolled: 1-line block ×3, first 2 shown]
	v_sub_nc_u32_e32 v22, 0, v20
	v_xor_b32_e32 v21, v21, v22
	v_xor_b32_e32 v18, v18, v22
	;; [unrolled: 1-line block ×3, first 2 shown]
	v_lshrrev_b32_e32 v22, 29, v16
	v_lshrrev_b32_e32 v16, 30, v16
	v_ffbh_u32_e32 v23, v21
	v_add_nc_u32_e32 v16, v20, v16
	v_min_u32_e32 v23, 32, v23
	v_sub_nc_u32_e32 v19, 31, v23
	v_lshlrev_b32_e32 v24, 23, v23
	v_alignbit_b32 v21, v21, v18, v19
	v_alignbit_b32 v15, v18, v15, v19
	v_lshlrev_b32_e32 v18, 31, v22
	v_alignbit_b32 v19, v21, v15, 9
	v_or_b32_e32 v22, 0.5, v18
	v_lshrrev_b32_e32 v21, 9, v21
	v_or_b32_e32 v18, 0x33000000, v18
	v_ffbh_u32_e32 v25, v19
	v_sub_nc_u32_e32 v22, v22, v24
	v_min_u32_e32 v24, 32, v25
	v_or_b32_e32 v21, v21, v22
	v_not_b32_e32 v22, v24
	v_mul_f32_e32 v25, 0x3fc90fda, v21
	v_add_lshl_u32 v23, v24, v23, 23
	v_alignbit_b32 v15, v19, v15, v22
	v_fma_f32 v19, 0x3fc90fda, v21, -v25
	v_sub_nc_u32_e32 v18, v18, v23
	v_lshrrev_b32_e32 v15, 9, v15
	v_fmamk_f32 v19, v21, 0x33a22168, v19
	v_or_b32_e32 v15, v18, v15
	v_fmac_f32_e32 v19, 0x3fc90fda, v15
	v_add_f32_e32 v15, v25, v19
.LBB55_93:
	s_andn2_saveexec_b32 s0, s3
; %bb.94:
	v_mul_f32_e64 v15, 0x3f22f983, |v8|
	v_rndne_f32_e32 v16, v15
	v_fma_f32 v15, 0xbfc90fda, v16, |v8|
	v_fmamk_f32 v15, v16, 0xb3a22168, v15
	v_fmamk_f32 v15, v16, 0xa7c234c4, v15
	v_cvt_i32_f32_e32 v16, v16
; %bb.95:
	s_or_b32 exec_lo, exec_lo, s0
	v_mul_f32_e32 v18, v15, v15
	s_mov_b32 s0, 0xb94c1982
	s_mov_b32 s1, 0x37d75334
	v_and_b32_e32 v21, 1, v16
	v_lshlrev_b32_e32 v16, 30, v16
	v_fmaak_f32 v19, s0, v18, 0x3c0881c4
	v_fmaak_f32 v20, s1, v18, 0xbab64f3b
	v_xor_b32_e32 v13, v13, v8
	v_cmp_eq_u32_e32 vcc_lo, 0, v21
	v_and_b32_e32 v16, 0x80000000, v16
	v_fmaak_f32 v19, v18, v19, 0xbe2aaa9d
	v_fmaak_f32 v20, v18, v20, 0x3d2aabf7
	v_sub_f32_e32 v12, 1.0, v12
	v_mul_f32_e32 v19, v18, v19
	v_fmaak_f32 v20, v18, v20, 0xbf000004
	v_fmac_f32_e32 v15, v15, v19
	v_fma_f32 v18, v18, v20, 1.0
	v_cndmask_b32_e32 v15, v18, v15, vcc_lo
	v_cmp_class_f32_e64 vcc_lo, v8, 0x1f8
	v_xor3_b32 v13, v13, v16, v15
	v_cndmask_b32_e32 v8, 0x7fc00000, v13, vcc_lo
	v_mul_f32_e32 v8, v8, v8
	v_div_scale_f32 v13, null, v8, v8, 0xc11de9e7
	v_div_scale_f32 v18, vcc_lo, 0xc11de9e7, v8, 0xc11de9e7
	v_rcp_f32_e32 v15, v13
	v_fma_f32 v16, -v13, v15, 1.0
	v_fmac_f32_e32 v15, v16, v15
	v_mul_f32_e32 v16, v18, v15
	v_fma_f32 v19, -v13, v16, v18
	v_fmac_f32_e32 v16, v19, v15
	v_fma_f32 v13, -v13, v16, v18
	v_div_fmas_f32 v13, v13, v15, v16
	v_div_fixup_f32 v8, v13, v8, 0xc11de9e7
	v_add_f32_e32 v13, 0, v8
	v_mov_b32_e32 v8, -1.0
.LBB55_96:
	s_or_b32 exec_lo, exec_lo, s2
	v_add_f32_e32 v16, 1.0, v14
	v_mul_f32_e32 v15, v14, v14
	s_mov_b32 s5, 0xbcc30c31
	v_add_f32_e32 v18, 1.0, v16
	v_mul_f32_e32 v14, v16, v16
	v_div_scale_f32 v21, null, v15, v15, 1.0
	v_div_scale_f32 v23, vcc_lo, 1.0, v15, 1.0
	v_mul_f32_e32 v16, v18, v18
	v_div_scale_f32 v22, null, v14, v14, 1.0
	v_rcp_f32_e32 v24, v21
	v_div_scale_f32 v27, s0, 1.0, v14, 1.0
	v_div_scale_f32 v26, null, v16, v16, 1.0
	v_rcp_f32_e32 v25, v22
	v_add_f32_e32 v19, 1.0, v18
	v_div_scale_f32 v28, s1, 1.0, v16, 1.0
	v_rcp_f32_e32 v29, v26
	v_fma_f32 v30, -v21, v24, 1.0
	v_add_f32_e32 v20, 1.0, v19
	v_mul_f32_e32 v18, v19, v19
	v_fma_f32 v31, -v22, v25, 1.0
	v_fmac_f32_e32 v24, v30, v24
	v_div_scale_f32 v32, null, v18, v18, 1.0
	v_fma_f32 v30, -v26, v29, 1.0
	v_fmac_f32_e32 v25, v31, v25
	v_mul_f32_e32 v34, v23, v24
	v_add_f32_e32 v31, 1.0, v20
	v_mul_f32_e32 v19, v20, v20
	v_fmac_f32_e32 v29, v30, v29
	v_mul_f32_e32 v35, v27, v25
	v_fma_f32 v36, -v21, v34, v23
	v_add_f32_e32 v20, 1.0, v31
	v_rcp_f32_e32 v33, v32
	v_mul_f32_e32 v38, v28, v29
	v_fma_f32 v37, -v22, v35, v27
	v_fmac_f32_e32 v34, v36, v24
	v_div_scale_f32 v30, null, v19, v19, 1.0
	v_fma_f32 v36, -v26, v38, v28
	v_fmac_f32_e32 v35, v37, v25
	v_fma_f32 v23, -v21, v34, v23
	v_mul_f32_e32 v21, v31, v31
	v_rcp_f32_e32 v37, v30
	v_fmac_f32_e32 v38, v36, v29
	v_fma_f32 v22, -v22, v35, v27
	v_mul_f32_e32 v27, v20, v20
	v_div_fmas_f32 v23, v23, v24, v34
	s_mov_b32 vcc_lo, s0
	v_fma_f32 v26, -v26, v38, v28
	v_div_fmas_f32 v24, v22, v25, v35
	s_mov_b32 vcc_lo, s1
	v_div_scale_f32 v25, null, v21, v21, 1.0
	v_div_fmas_f32 v22, v26, v29, v38
	v_div_scale_f32 v29, null, v27, v27, 1.0
	v_add_f32_e32 v34, v20, v20
	v_fma_f32 v39, -v32, v33, 1.0
	v_rcp_f32_e32 v31, v25
	v_rcp_f32_e32 v35, v29
	v_div_scale_f32 v26, vcc_lo, 1.0, v18, 1.0
	v_div_scale_f32 v38, null, v34, v34, 1.0
	v_fmac_f32_e32 v33, v39, v33
	v_fma_f32 v28, -v30, v37, 1.0
	v_div_fixup_f32 v15, v23, v15, 1.0
	v_rcp_f32_e32 v40, v38
	v_fma_f32 v39, -v25, v31, 1.0
	v_mul_f32_e32 v36, v26, v33
	v_fmac_f32_e32 v37, v28, v37
	v_div_scale_f32 v28, s0, 1.0, v19, 1.0
	v_fma_f32 v42, -v29, v35, 1.0
	v_fma_f32 v41, -v32, v36, v26
	v_fmac_f32_e32 v31, v39, v31
	v_div_scale_f32 v39, s1, 1.0, v21, 1.0
	v_mul_f32_e32 v43, v28, v37
	v_fmac_f32_e32 v35, v42, v35
	v_div_scale_f32 v42, s2, 1.0, v27, 1.0
	v_fma_f32 v44, -v38, v40, 1.0
	v_fmac_f32_e32 v36, v41, v33
	v_mul_f32_e32 v45, v39, v31
	v_fma_f32 v41, -v30, v43, v28
	v_mul_f32_e32 v46, v42, v35
	v_fmac_f32_e32 v40, v44, v40
	v_div_scale_f32 v44, s3, 1.0, v34, 1.0
	v_fma_f32 v26, -v32, v36, v26
	v_fma_f32 v32, -v25, v45, v39
	v_fmac_f32_e32 v43, v41, v37
	v_fma_f32 v41, -v29, v46, v42
	v_mul_f32_e32 v47, v44, v40
	v_div_fmas_f32 v26, v26, v33, v36
	v_fmac_f32_e32 v45, v32, v31
	v_fma_f32 v28, -v30, v43, v28
	v_fmac_f32_e32 v46, v41, v35
	v_fma_f32 v30, -v38, v47, v44
	s_mov_b32 vcc_lo, s0
	v_fma_f32 v25, -v25, v45, v39
	v_div_fmas_f32 v28, v28, v37, v43
	v_fma_f32 v29, -v29, v46, v42
	v_fmac_f32_e32 v47, v30, v40
	s_mov_b32 vcc_lo, s1
	v_add_f32_e32 v32, 1.0, v17
	v_div_fmas_f32 v25, v25, v31, v45
	s_mov_b32 vcc_lo, s2
	v_fma_f32 v30, -v38, v47, v44
	v_div_fmas_f32 v29, v29, v35, v46
	s_mov_b32 vcc_lo, s3
	v_add_f32_e32 v11, v11, v15
	v_div_fixup_f32 v14, v24, v14, 1.0
	v_div_fmas_f32 v30, v30, v40, v47
	v_div_fixup_f32 v29, v29, v27, 1.0
	v_add_f32_e32 v11, v11, v14
	v_div_fixup_f32 v27, v30, v34, 1.0
	v_fmaak_f32 v30, s5, v29, 0x3d088889
	v_div_fixup_f32 v14, v22, v16, 1.0
	v_add_f32_e32 v27, 1.0, v27
	v_fma_f32 v30, -v29, v30, 0x3e2aaaab
	v_add_f32_e32 v11, v11, v14
	v_div_fixup_f32 v14, v26, v18, 1.0
	v_fmac_f32_e32 v27, v29, v30
	v_mul_f32_e32 v29, v17, v17
	v_mul_f32_e32 v17, v32, v32
	v_add_f32_e32 v32, 1.0, v32
	v_add_f32_e32 v11, v11, v14
	v_div_scale_f32 v31, null, v20, v20, v27
	v_div_scale_f32 v34, null, v29, v29, 1.0
	v_div_scale_f32 v36, vcc_lo, v27, v20, v27
	v_rcp_f32_e32 v33, v31
	v_rcp_f32_e32 v35, v34
	v_div_scale_f32 v37, null, v17, v17, 1.0
	v_div_scale_f32 v41, s0, 1.0, v29, 1.0
	v_div_scale_f32 v44, s1, 1.0, v17, 1.0
	v_rcp_f32_e32 v39, v37
	v_div_fixup_f32 v14, v28, v19, 1.0
	v_fma_f32 v30, -v31, v33, 1.0
	v_add_f32_e32 v11, v11, v14
	v_fmac_f32_e32 v33, v30, v33
	v_fma_f32 v30, -v34, v35, 1.0
	v_fma_f32 v42, -v37, v39, 1.0
	v_mul_f32_e32 v38, v36, v33
	v_fmac_f32_e32 v35, v30, v35
	v_mul_f32_e32 v30, v32, v32
	v_add_f32_e32 v32, 1.0, v32
	v_fmac_f32_e32 v39, v42, v39
	v_fma_f32 v40, -v31, v38, v36
	v_div_scale_f32 v43, null, v30, v30, 1.0
	v_mul_f32_e32 v46, v44, v39
	v_fmac_f32_e32 v38, v40, v33
	v_mul_f32_e32 v40, v41, v35
	v_rcp_f32_e32 v42, v43
	v_add_f32_e32 v47, 1.0, v32
	v_fma_f32 v48, -v37, v46, v44
	v_fma_f32 v36, -v31, v38, v36
	v_mul_f32_e32 v31, v32, v32
	v_fma_f32 v45, -v34, v40, v41
	v_mul_f32_e32 v32, v47, v47
	v_fmac_f32_e32 v46, v48, v39
	v_div_fmas_f32 v33, v36, v33, v38
	v_div_scale_f32 v49, null, v31, v31, 1.0
	v_fmac_f32_e32 v40, v45, v35
	s_mov_b32 vcc_lo, s0
	v_add_f32_e32 v36, 1.0, v47
	v_rcp_f32_e32 v38, v49
	v_fma_f32 v45, -v43, v42, 1.0
	v_fma_f32 v34, -v34, v40, v41
	v_div_scale_f32 v41, null, v32, v32, 1.0
	v_fma_f32 v37, -v37, v46, v44
	v_fmac_f32_e32 v42, v45, v42
	v_div_fmas_f32 v34, v34, v35, v40
	v_div_scale_f32 v45, s2, 1.0, v30, 1.0
	v_fma_f32 v35, -v49, v38, 1.0
	s_mov_b32 vcc_lo, s1
	v_rcp_f32_e32 v50, v41
	v_div_fmas_f32 v37, v37, v39, v46
	v_mul_f32_e32 v48, v45, v42
	v_fmac_f32_e32 v38, v35, v38
	v_mul_f32_e32 v35, v36, v36
	v_add_f32_e32 v36, 1.0, v36
	v_div_scale_f32 v44, s0, 1.0, v31, 1.0
	v_fma_f32 v40, -v43, v48, v45
	v_div_scale_f32 v47, null, v35, v35, 1.0
	v_mul_f32_e32 v46, v36, v36
	v_add_f32_e32 v54, v36, v36
	v_fma_f32 v39, -v41, v50, 1.0
	v_rcp_f32_e32 v53, v47
	v_mul_f32_e32 v51, v44, v38
	v_div_scale_f32 v52, null, v46, v46, 1.0
	v_div_scale_f32 v56, null, v54, v54, 1.0
	v_fmac_f32_e32 v48, v40, v42
	v_rcp_f32_e32 v55, v52
	v_fmac_f32_e32 v50, v39, v50
	v_fma_f32 v39, -v49, v51, v44
	v_rcp_f32_e32 v57, v56
	v_fma_f32 v40, -v43, v48, v45
	v_div_scale_f32 v43, s1, 1.0, v32, 1.0
	v_fma_f32 v45, -v47, v53, 1.0
	v_fmac_f32_e32 v51, v39, v38
	s_mov_b32 vcc_lo, s2
	v_fma_f32 v39, -v52, v55, 1.0
	v_mul_f32_e32 v58, v43, v50
	v_fmac_f32_e32 v53, v45, v53
	v_div_scale_f32 v45, s3, 1.0, v35, 1.0
	v_fmac_f32_e32 v55, v39, v55
	v_div_scale_f32 v39, s4, 1.0, v46, 1.0
	v_fma_f32 v59, -v56, v57, 1.0
	v_div_fmas_f32 v40, v40, v42, v48
	v_fma_f32 v42, -v41, v58, v43
	v_mul_f32_e32 v48, v45, v53
	v_mul_f32_e32 v60, v39, v55
	v_fmac_f32_e32 v57, v59, v57
	v_div_scale_f32 v59, s2, 1.0, v54, 1.0
	v_fma_f32 v44, -v49, v51, v44
	v_fmac_f32_e32 v58, v42, v50
	v_fma_f32 v49, -v47, v48, v45
	v_fma_f32 v61, -v52, v60, v39
	v_mul_f32_e32 v62, v59, v57
	s_mov_b32 vcc_lo, s0
	v_div_fixup_f32 v18, v34, v29, 1.0
	v_div_fmas_f32 v42, v44, v38, v51
	v_fma_f32 v38, -v41, v58, v43
	v_fmac_f32_e32 v48, v49, v53
	v_fmac_f32_e32 v60, v61, v55
	v_fma_f32 v43, -v56, v62, v59
	s_mov_b32 vcc_lo, s1
	v_add_f32_e32 v10, v10, v18
	v_div_fmas_f32 v41, v38, v50, v58
	v_fma_f32 v38, -v47, v48, v45
	v_fmac_f32_e32 v62, v43, v57
	v_fma_f32 v43, -v52, v60, v39
	s_mov_b32 vcc_lo, s3
	v_div_fixup_f32 v14, v40, v30, 1.0
	v_div_fmas_f32 v39, v38, v53, v48
	s_mov_b32 vcc_lo, s4
	v_fma_f32 v38, -v56, v62, v59
	v_div_fmas_f32 v43, v43, v55, v60
	s_mov_b32 vcc_lo, s2
	v_div_fixup_f32 v20, v33, v20, v27
	v_div_fmas_f32 v38, v38, v57, v62
	v_div_fixup_f32 v43, v43, v46, 1.0
	v_div_fixup_f32 v38, v38, v54, 1.0
	v_fmaak_f32 v44, s5, v43, 0x3d088889
	v_add_f32_e32 v38, 1.0, v38
	v_fma_f32 v44, -v43, v44, 0x3e2aaaab
	v_fmac_f32_e32 v38, v43, v44
	v_mul_f32_e32 v43, v9, v9
	v_add_f32_e32 v9, 1.0, v9
	v_div_scale_f32 v44, null, v36, v36, v38
	v_div_scale_f32 v46, null, v43, v43, 1.0
	v_mul_f32_e32 v49, v9, v9
	v_rcp_f32_e32 v45, v44
	v_add_f32_e32 v9, 1.0, v9
	v_rcp_f32_e32 v48, v46
	v_div_scale_f32 v54, s0, 1.0, v43, 1.0
	v_div_scale_f32 v52, null, v49, v49, 1.0
	v_mul_f32_e32 v55, v9, v9
	v_add_f32_e32 v9, 1.0, v9
	v_fma_f32 v47, -v44, v45, 1.0
	v_fma_f32 v51, -v46, v48, 1.0
	v_div_scale_f32 v56, null, v55, v55, 1.0
	v_fmac_f32_e32 v45, v47, v45
	v_div_scale_f32 v47, vcc_lo, v38, v36, v38
	v_fmac_f32_e32 v48, v51, v48
	v_rcp_f32_e32 v51, v52
	v_rcp_f32_e32 v58, v56
	v_mul_f32_e32 v50, v47, v45
	v_fma_f32 v53, -v44, v50, v47
	v_fma_f32 v57, -v52, v51, 1.0
	v_fma_f32 v59, -v56, v58, 1.0
	v_fmac_f32_e32 v50, v53, v45
	v_mul_f32_e32 v53, v54, v48
	v_fmac_f32_e32 v51, v57, v51
	v_div_scale_f32 v57, s1, 1.0, v49, 1.0
	v_fma_f32 v44, -v44, v50, v47
	v_fma_f32 v47, -v46, v53, v54
	v_fmac_f32_e32 v58, v59, v58
	v_div_scale_f32 v59, s2, 1.0, v55, 1.0
	v_div_fmas_f32 v44, v44, v45, v50
	v_mul_f32_e32 v45, v9, v9
	v_fmac_f32_e32 v53, v47, v48
	v_mul_f32_e32 v50, v57, v51
	v_add_f32_e32 v9, 1.0, v9
	s_mov_b32 vcc_lo, s0
	v_div_scale_f32 v47, null, v45, v45, 1.0
	v_fma_f32 v60, -v52, v50, v57
	v_fma_f32 v46, -v46, v53, v54
	v_mul_f32_e32 v54, v59, v58
	v_rcp_f32_e32 v61, v47
	v_fmac_f32_e32 v50, v60, v51
	v_div_fmas_f32 v46, v46, v48, v53
	v_mul_f32_e32 v48, v9, v9
	v_add_f32_e32 v9, 1.0, v9
	s_mov_b32 vcc_lo, s1
	v_fma_f32 v52, -v52, v50, v57
	v_fma_f32 v57, -v56, v54, v59
	v_div_scale_f32 v60, null, v48, v48, 1.0
	v_fma_f32 v53, -v47, v61, 1.0
	v_mul_f32_e32 v63, v9, v9
	v_div_fmas_f32 v50, v52, v51, v50
	v_rcp_f32_e32 v62, v60
	v_fmac_f32_e32 v54, v57, v58
	v_fmac_f32_e32 v61, v53, v61
	v_div_scale_f32 v53, s0, 1.0, v45, 1.0
	v_add_f32_e32 v9, 1.0, v9
	v_div_scale_f32 v52, null, v63, v63, 1.0
	v_mul_f32_e32 v51, v53, v61
	v_fma_f32 v56, -v56, v54, v59
	v_mul_f32_e32 v65, v9, v9
	s_mov_b32 vcc_lo, s2
	v_fma_f32 v59, -v60, v62, 1.0
	v_fma_f32 v57, -v47, v51, v53
	v_rcp_f32_e32 v64, v52
	v_div_fmas_f32 v54, v56, v58, v54
	v_div_scale_f32 v56, null, v65, v65, 1.0
	v_fmac_f32_e32 v51, v57, v61
	v_add_f32_e32 v58, v9, v9
	v_fmac_f32_e32 v62, v59, v62
	v_rcp_f32_e32 v59, v56
	v_div_scale_f32 v57, s1, 1.0, v48, 1.0
	v_fma_f32 v47, -v47, v51, v53
	v_div_scale_f32 v53, null, v58, v58, 1.0
	v_fma_f32 v66, -v52, v64, 1.0
	v_mul_f32_e32 v67, v57, v62
	s_mov_b32 vcc_lo, s0
	v_rcp_f32_e32 v68, v53
	v_fma_f32 v69, -v56, v59, 1.0
	v_fmac_f32_e32 v64, v66, v64
	v_div_scale_f32 v66, s2, 1.0, v63, 1.0
	v_div_fmas_f32 v47, v47, v61, v51
	v_fma_f32 v51, -v60, v67, v57
	v_fmac_f32_e32 v59, v69, v59
	v_mul_f32_e32 v61, v66, v64
	v_div_scale_f32 v69, s0, 1.0, v65, 1.0
	v_fma_f32 v70, -v53, v68, 1.0
	v_fmac_f32_e32 v67, v51, v62
	v_fma_f32 v51, -v52, v61, v66
	v_mul_f32_e32 v71, v69, v59
	s_mov_b32 vcc_lo, s1
	v_fmac_f32_e32 v68, v70, v68
	v_div_scale_f32 v70, s3, 1.0, v58, 1.0
	v_fma_f32 v57, -v60, v67, v57
	v_fmac_f32_e32 v61, v51, v64
	v_fma_f32 v51, -v56, v71, v69
	v_mul_f32_e32 v60, v70, v68
	v_div_fixup_f32 v19, v46, v43, 1.0
	v_div_fmas_f32 v57, v57, v62, v67
	v_fma_f32 v52, -v52, v61, v66
	v_fmac_f32_e32 v71, v51, v59
	v_fma_f32 v51, -v53, v60, v70
	s_mov_b32 vcc_lo, s2
	v_add_f32_e32 v5, v5, v19
	v_div_fmas_f32 v52, v52, v64, v61
	s_mov_b32 vcc_lo, s0
	v_fmac_f32_e32 v60, v51, v68
	v_fma_f32 v51, -v56, v71, v69
	v_fma_f32 v53, -v53, v60, v70
	v_div_fmas_f32 v51, v51, v59, v71
	s_mov_b32 vcc_lo, s3
	v_div_fmas_f32 v53, v53, v68, v60
	v_div_fixup_f32 v51, v51, v65, 1.0
	v_div_fixup_f32 v53, v53, v58, 1.0
	v_fmaak_f32 v56, s5, v51, 0x3d088889
	v_add_f32_e32 v53, 1.0, v53
	v_fma_f32 v56, -v51, v56, 0x3e2aaaab
	v_fmac_f32_e32 v53, v51, v56
	v_mul_f32_e32 v56, v12, v12
	v_add_f32_e32 v12, 1.0, v12
	v_div_scale_f32 v51, null, v9, v9, v53
	v_div_scale_f32 v59, null, v56, v56, 1.0
	v_div_scale_f32 v62, vcc_lo, v53, v9, v53
	v_rcp_f32_e32 v58, v51
	v_rcp_f32_e32 v60, v59
	v_fma_f32 v61, -v51, v58, 1.0
	v_fma_f32 v64, -v59, v60, 1.0
	v_fmac_f32_e32 v58, v61, v58
	v_mul_f32_e32 v61, v12, v12
	v_fmac_f32_e32 v60, v64, v60
	v_div_scale_f32 v64, s0, 1.0, v56, 1.0
	v_mul_f32_e32 v66, v62, v58
	v_div_scale_f32 v65, null, v61, v61, 1.0
	v_add_f32_e32 v12, 1.0, v12
	v_mul_f32_e32 v69, v64, v60
	v_fma_f32 v68, -v51, v66, v62
	v_rcp_f32_e32 v67, v65
	v_fma_f32 v70, -v59, v69, v64
	v_fmac_f32_e32 v66, v68, v58
	v_mul_f32_e32 v68, v12, v12
	v_add_f32_e32 v12, 1.0, v12
	v_fmac_f32_e32 v69, v70, v60
	v_fma_f32 v51, -v51, v66, v62
	v_fma_f32 v71, -v65, v67, 1.0
	v_div_scale_f32 v62, null, v68, v68, 1.0
	v_div_scale_f32 v70, s1, 1.0, v61, 1.0
	v_fmac_f32_e32 v67, v71, v67
	v_rcp_f32_e32 v71, v62
	v_div_fmas_f32 v51, v51, v58, v66
	v_fma_f32 v58, -v59, v69, v64
	s_mov_b32 vcc_lo, s0
	v_mul_f32_e32 v59, v70, v67
	v_div_fixup_f32 v9, v51, v9, v53
	v_div_fmas_f32 v58, v58, v60, v69
	v_mul_f32_e32 v60, v12, v12
	v_fma_f32 v64, -v65, v59, v70
	v_fma_f32 v66, -v62, v71, 1.0
	s_mov_b32 vcc_lo, s1
	v_add_f32_e32 v12, 1.0, v12
	v_div_scale_f32 v69, null, v60, v60, 1.0
	v_fmac_f32_e32 v59, v64, v67
	v_fmac_f32_e32 v71, v66, v71
	v_div_scale_f32 v64, s0, 1.0, v68, 1.0
	v_rcp_f32_e32 v66, v69
	v_fma_f32 v65, -v65, v59, v70
	v_div_fixup_f32 v19, v58, v56, 1.0
	v_mul_f32_e32 v70, v64, v71
	v_div_fmas_f32 v59, v65, v67, v59
	s_mov_b32 vcc_lo, s0
	v_fma_f32 v65, -v62, v70, v64
	v_add_f32_e32 v13, v13, v19
	v_fma_f32 v67, -v69, v66, 1.0
	v_div_fixup_f32 v19, v54, v55, 1.0
	v_fmac_f32_e32 v70, v65, v71
	v_div_scale_f32 v65, s1, 1.0, v60, 1.0
	v_fmac_f32_e32 v66, v67, v66
	v_mul_f32_e32 v67, v12, v12
	v_fma_f32 v62, -v62, v70, v64
	v_add_f32_e32 v12, 1.0, v12
	v_mul_f32_e32 v64, v65, v66
	v_div_fmas_f32 v62, v62, v71, v70
	v_div_scale_f32 v71, null, v67, v67, 1.0
	v_fma_f32 v70, -v69, v64, v65
	s_mov_b32 vcc_lo, s1
	v_fmac_f32_e32 v64, v70, v66
	v_rcp_f32_e32 v70, v71
	v_fma_f32 v65, -v69, v64, v65
	v_div_fmas_f32 v64, v65, v66, v64
	v_fma_f32 v69, -v71, v70, 1.0
	v_fmac_f32_e32 v70, v69, v70
	v_div_scale_f32 v69, s0, 1.0, v67, 1.0
	s_mov_b32 vcc_lo, s0
	v_mul_f32_e32 v65, v69, v70
	v_fma_f32 v66, -v71, v65, v69
	v_fmac_f32_e32 v65, v66, v70
	v_mul_f32_e32 v66, v12, v12
	v_add_f32_e32 v12, 1.0, v12
	v_fma_f32 v69, -v71, v65, v69
	v_div_scale_f32 v71, null, v66, v66, 1.0
	v_div_fmas_f32 v65, v69, v70, v65
	v_rcp_f32_e32 v69, v71
	v_fma_f32 v70, -v71, v69, 1.0
	v_fmac_f32_e32 v69, v70, v69
	v_div_scale_f32 v70, vcc_lo, 1.0, v66, 1.0
	v_mul_f32_e32 v72, v70, v69
	v_fma_f32 v73, -v71, v72, v70
	v_fmac_f32_e32 v72, v73, v69
	v_fma_f32 v70, -v71, v72, v70
	v_div_fmas_f32 v69, v70, v69, v72
	v_mul_f32_e32 v70, v12, v12
	v_div_scale_f32 v71, null, v70, v70, 1.0
	v_rcp_f32_e32 v72, v71
	v_fma_f32 v73, -v71, v72, 1.0
	v_fmac_f32_e32 v72, v73, v72
	v_div_scale_f32 v73, vcc_lo, 1.0, v70, 1.0
	v_mul_f32_e32 v74, v73, v72
	v_fma_f32 v75, -v71, v74, v73
	v_fmac_f32_e32 v74, v75, v72
	v_fma_f32 v71, -v71, v74, v73
	v_div_fmas_f32 v71, v71, v72, v74
	v_add_f32_e32 v72, v12, v12
	v_div_fixup_f32 v23, v71, v70, 1.0
	v_div_scale_f32 v73, null, v72, v72, 1.0
	v_fmaak_f32 v24, s5, v23, 0x3d088889
	v_rcp_f32_e32 v74, v73
	v_fma_f32 v16, -v23, v24, 0x3e2aaaab
	v_fma_f32 v75, -v73, v74, 1.0
	v_fmac_f32_e32 v74, v75, v74
	v_div_scale_f32 v75, vcc_lo, 1.0, v72, 1.0
	v_mul_f32_e32 v76, v75, v74
	v_fma_f32 v77, -v73, v76, v75
	v_fmac_f32_e32 v76, v77, v74
	v_fma_f32 v73, -v73, v76, v75
	v_div_fmas_f32 v73, v73, v74, v76
	v_div_fixup_f32 v15, v73, v72, 1.0
	v_add_f32_e32 v15, 1.0, v15
	v_fmac_f32_e32 v15, v23, v16
	v_div_fixup_f32 v16, v37, v17, 1.0
	v_div_fixup_f32 v23, v39, v35, 1.0
	v_div_scale_f32 v17, null, v12, v12, v15
	v_add_f32_e32 v10, v10, v16
	v_div_fixup_f32 v16, v25, v21, 1.0
	v_div_fixup_f32 v21, v41, v32, 1.0
	v_rcp_f32_e32 v18, v17
	v_add_f32_e32 v10, v10, v14
	v_div_fixup_f32 v14, v42, v31, 1.0
	v_add_f32_e32 v11, v11, v16
	v_div_fixup_f32 v16, v50, v49, 1.0
	v_add_f32_e32 v10, v10, v14
	v_fma_f32 v14, -v17, v18, 1.0
	v_add_f32_e32 v5, v5, v16
	v_div_fixup_f32 v16, v59, v61, 1.0
	v_add_f32_e32 v10, v10, v21
	v_fmac_f32_e32 v18, v14, v18
	v_div_scale_f32 v14, vcc_lo, v15, v12, v15
	v_add_f32_e32 v13, v13, v16
	v_div_fixup_f32 v16, v62, v68, 1.0
	v_add_f32_e32 v5, v5, v19
	v_mul_f32_e32 v21, v14, v18
	v_div_fixup_f32 v19, v47, v45, 1.0
	v_add_f32_e32 v10, v10, v23
	v_add_f32_e32 v13, v13, v16
	v_div_fixup_f32 v16, v64, v60, 1.0
	v_fma_f32 v22, -v17, v21, v14
	v_add_f32_e32 v5, v5, v19
	v_div_fixup_f32 v19, v57, v48, 1.0
	v_add_f32_e32 v13, v13, v16
	v_fmac_f32_e32 v21, v22, v18
	v_div_fixup_f32 v16, v65, v67, 1.0
	v_add_f32_e32 v5, v5, v19
	v_div_fixup_f32 v19, v52, v63, 1.0
	v_fma_f32 v14, -v17, v21, v14
	v_add_f32_e32 v13, v13, v16
	v_div_fixup_f32 v16, v69, v66, 1.0
	v_add_f32_e32 v5, v5, v19
	v_div_fixup_f32 v17, v44, v36, v38
	v_div_fmas_f32 v14, v14, v18, v21
	v_add_f32_e32 v13, v13, v16
	v_add_f32_e32 v5, v5, v9
	;; [unrolled: 1-line block ×3, first 2 shown]
	v_div_fixup_f32 v12, v14, v12, v15
	v_add_f32_e32 v10, v11, v20
	v_mul_f32_e32 v4, v4, v5
	v_mul_f32_e32 v5, v6, v9
	v_add_f32_e32 v11, v13, v12
	v_mul_f32_e32 v6, v7, v10
	v_mul_f32_e32 v7, v8, v11
	global_store_dword v0, v4, s[8:9]
	global_store_dword v1, v5, s[8:9]
	;; [unrolled: 1-line block ×4, first 2 shown]
	s_endpgm
.LBB55_97:
	v_mov_b32_e32 v0, 0
	v_mov_b32_e32 v2, 0
	s_branch .LBB55_103
.LBB55_98:
	v_mov_b32_e32 v0, 0
	v_mov_b32_e32 v2, 0
	s_branch .LBB55_125
.LBB55_99:
	v_mov_b32_e32 v0, 0
	v_mov_b32_e32 v2, 0
	;; [unrolled: 1-line block ×3, first 2 shown]
	s_mov_b32 s31, 0
.LBB55_100:
	s_and_b32 s33, s33, 3
	s_cmp_eq_u32 s33, 0
	s_cbranch_scc1 .LBB55_103
; %bb.101:
	s_lshl_b32 s0, s31, 3
	s_mul_i32 s2, s31, 12
	s_add_u32 s0, s16, s0
	s_addc_u32 s1, s17, 0
	s_add_u32 s0, s0, 0xc4
	s_addc_u32 s1, s1, 0
	;; [unrolled: 2-line block ×3, first 2 shown]
	.p2align	6
.LBB55_102:                             ; =>This Inner Loop Header: Depth=1
	s_clause 0x1
	s_load_dwordx2 s[34:35], s[2:3], 0x4
	s_load_dword s31, s[2:3], 0xc
	s_load_dwordx2 s[36:37], s[0:1], 0x0
	s_add_u32 s2, s2, 12
	s_addc_u32 s3, s3, 0
	s_add_u32 s0, s0, 8
	s_addc_u32 s1, s1, 0
	s_add_i32 s33, s33, -1
	s_cmp_lg_u32 s33, 0
	s_waitcnt lgkmcnt(0)
	v_mul_hi_u32 v3, s35, v1
	v_add_nc_u32_e32 v3, v1, v3
	v_lshrrev_b32_e32 v5, s31, v3
	v_mul_lo_u32 v3, v5, s34
	v_sub_nc_u32_e32 v3, v1, v3
	v_mad_u64_u32 v[0:1], null, v3, s36, v[0:1]
	v_mad_u64_u32 v[2:3], null, v3, s37, v[2:3]
	v_mov_b32_e32 v1, v5
	s_cbranch_scc1 .LBB55_102
.LBB55_103:
	s_cbranch_execnz .LBB55_106
.LBB55_104:
	s_waitcnt lgkmcnt(0)
	v_mul_hi_u32 v0, s13, v4
	s_andn2_b32 vcc_lo, exec_lo, s26
	v_add_nc_u32_e32 v0, v4, v0
	v_lshrrev_b32_e32 v1, s14, v0
	v_mul_lo_u32 v0, v1, s12
	v_sub_nc_u32_e32 v2, v4, v0
	v_mul_lo_u32 v0, v2, s8
	v_mul_lo_u32 v2, v2, s9
	s_cbranch_vccnz .LBB55_106
; %bb.105:
	v_mul_hi_u32 v3, s18, v1
	v_add_nc_u32_e32 v3, v1, v3
	v_lshrrev_b32_e32 v3, s19, v3
	v_mul_lo_u32 v3, v3, s15
	v_sub_nc_u32_e32 v3, v1, v3
	v_mad_u64_u32 v[0:1], null, v3, s10, v[0:1]
	v_mad_u64_u32 v[2:3], null, v3, s11, v[2:3]
.LBB55_106:
	s_waitcnt lgkmcnt(0)
	global_load_dword v1, v2, s[6:7]
	v_mov_b32_e32 v3, 0
	v_mov_b32_e32 v2, 1.0
	s_mov_b32 s2, exec_lo
	s_waitcnt vmcnt(0)
	v_cmpx_gt_f32_e32 0.5, v1
	s_cbranch_execz .LBB55_112
; %bb.107:
	v_mul_f32_e32 v2, 0x40490fdb, v1
                                        ; implicit-def: $vgpr6
                                        ; implicit-def: $vgpr5
	s_mov_b32 s1, exec_lo
	v_and_b32_e32 v3, 0x7fffffff, v2
	v_cmpx_ngt_f32_e64 0x48000000, |v2|
	s_xor_b32 s3, exec_lo, s1
	s_cbranch_execz .LBB55_109
; %bb.108:
	s_mov_b32 s0, 0x7fffff
	v_mov_b32_e32 v7, 0
	v_and_or_b32 v14, v3, s0, 0x800000
	v_lshrrev_b32_e32 v12, 23, v3
	v_mad_u64_u32 v[5:6], null, 0xfe5163ab, v14, 0
	v_add_nc_u32_e32 v13, 0xffffff88, v12
	v_cmp_lt_u32_e32 vcc_lo, 63, v13
	v_mad_u64_u32 v[8:9], null, 0x3c439041, v14, v[6:7]
	v_cndmask_b32_e64 v15, 0, 0xffffffc0, vcc_lo
	v_mov_b32_e32 v6, v9
	v_add_nc_u32_e32 v15, v15, v13
	v_mad_u64_u32 v[9:10], null, 0xdb629599, v14, v[6:7]
	v_cmp_lt_u32_e64 s0, 31, v15
	v_cndmask_b32_e64 v16, 0, 0xffffffe0, s0
	v_mov_b32_e32 v6, v10
	v_cndmask_b32_e32 v5, v9, v5, vcc_lo
	v_mad_u64_u32 v[10:11], null, 0xf534ddc0, v14, v[6:7]
	v_mov_b32_e32 v6, v11
	v_cndmask_b32_e32 v8, v10, v8, vcc_lo
	v_mad_u64_u32 v[11:12], null, 0xfc2757d1, v14, v[6:7]
	v_cndmask_b32_e64 v5, v8, v5, s0
	v_mov_b32_e32 v6, v12
	v_mad_u64_u32 v[12:13], null, 0x4e441529, v14, v[6:7]
	v_mov_b32_e32 v6, v13
	v_add_nc_u32_e32 v13, v16, v15
	v_cndmask_b32_e32 v15, v12, v10, vcc_lo
	v_mad_u64_u32 v[6:7], null, 0xa2f9836e, v14, v[6:7]
	v_cmp_lt_u32_e64 s1, 31, v13
	v_cndmask_b32_e64 v14, 0, 0xffffffe0, s1
	v_cndmask_b32_e32 v6, v6, v11, vcc_lo
	v_cndmask_b32_e32 v7, v7, v12, vcc_lo
	;; [unrolled: 1-line block ×3, first 2 shown]
	v_add_nc_u32_e32 v12, v14, v13
	v_cndmask_b32_e64 v10, v6, v15, s0
	v_cndmask_b32_e64 v6, v7, v6, s0
	;; [unrolled: 1-line block ×4, first 2 shown]
	v_sub_nc_u32_e32 v13, 32, v12
	v_cmp_eq_u32_e32 vcc_lo, 0, v12
	v_cndmask_b32_e64 v6, v6, v10, s1
	v_cndmask_b32_e64 v10, v10, v7, s1
	;; [unrolled: 1-line block ×4, first 2 shown]
	v_alignbit_b32 v14, v6, v10, v13
	v_alignbit_b32 v9, v10, v7, v13
	;; [unrolled: 1-line block ×3, first 2 shown]
	v_cndmask_b32_e32 v6, v14, v6, vcc_lo
	v_cndmask_b32_e32 v8, v9, v10, vcc_lo
	;; [unrolled: 1-line block ×3, first 2 shown]
	v_bfe_u32 v9, v6, 29, 1
	v_alignbit_b32 v10, v6, v8, 30
	v_alignbit_b32 v8, v8, v7, 30
	;; [unrolled: 1-line block ×3, first 2 shown]
	v_sub_nc_u32_e32 v11, 0, v9
	v_xor_b32_e32 v10, v10, v11
	v_xor_b32_e32 v7, v8, v11
	;; [unrolled: 1-line block ×3, first 2 shown]
	v_lshrrev_b32_e32 v11, 29, v6
	v_lshrrev_b32_e32 v6, 30, v6
	v_ffbh_u32_e32 v12, v10
	v_add_nc_u32_e32 v6, v9, v6
	v_min_u32_e32 v12, 32, v12
	v_sub_nc_u32_e32 v8, 31, v12
	v_lshlrev_b32_e32 v13, 23, v12
	v_alignbit_b32 v10, v10, v7, v8
	v_alignbit_b32 v5, v7, v5, v8
	v_lshlrev_b32_e32 v7, 31, v11
	v_alignbit_b32 v8, v10, v5, 9
	v_or_b32_e32 v11, 0.5, v7
	v_lshrrev_b32_e32 v10, 9, v10
	v_or_b32_e32 v7, 0x33000000, v7
	v_ffbh_u32_e32 v14, v8
	v_sub_nc_u32_e32 v11, v11, v13
	v_min_u32_e32 v13, 32, v14
	v_or_b32_e32 v10, v10, v11
	v_not_b32_e32 v11, v13
	v_mul_f32_e32 v14, 0x3fc90fda, v10
	v_add_lshl_u32 v12, v13, v12, 23
	v_alignbit_b32 v5, v8, v5, v11
	v_fma_f32 v8, 0x3fc90fda, v10, -v14
	v_sub_nc_u32_e32 v7, v7, v12
	v_lshrrev_b32_e32 v5, 9, v5
	v_fmamk_f32 v8, v10, 0x33a22168, v8
	v_or_b32_e32 v5, v7, v5
	v_fmac_f32_e32 v8, 0x3fc90fda, v5
	v_add_f32_e32 v5, v14, v8
.LBB55_109:
	s_andn2_saveexec_b32 s0, s3
; %bb.110:
	v_mul_f32_e64 v5, 0x3f22f983, |v2|
	v_rndne_f32_e32 v6, v5
	v_fma_f32 v5, 0xbfc90fda, v6, |v2|
	v_fmamk_f32 v5, v6, 0xb3a22168, v5
	v_fmamk_f32 v5, v6, 0xa7c234c4, v5
	v_cvt_i32_f32_e32 v6, v6
; %bb.111:
	s_or_b32 exec_lo, exec_lo, s0
	v_mul_f32_e32 v7, v5, v5
	s_mov_b32 s0, 0xb94c1982
	s_mov_b32 s1, 0x37d75334
	v_and_b32_e32 v10, 1, v6
	v_lshlrev_b32_e32 v6, 30, v6
	v_fmaak_f32 v8, s0, v7, 0x3c0881c4
	v_fmaak_f32 v9, s1, v7, 0xbab64f3b
	v_xor_b32_e32 v3, v3, v2
	v_cmp_eq_u32_e32 vcc_lo, 0, v10
	v_and_b32_e32 v6, 0x80000000, v6
	v_fmaak_f32 v8, v7, v8, 0xbe2aaa9d
	v_fmaak_f32 v9, v7, v9, 0x3d2aabf7
	v_sub_f32_e32 v1, 1.0, v1
	v_mul_f32_e32 v8, v7, v8
	v_fmaak_f32 v9, v7, v9, 0xbf000004
	v_fmac_f32_e32 v5, v5, v8
	v_fma_f32 v7, v7, v9, 1.0
	v_cndmask_b32_e32 v5, v7, v5, vcc_lo
	v_cmp_class_f32_e64 vcc_lo, v2, 0x1f8
	v_xor3_b32 v3, v3, v6, v5
	v_cndmask_b32_e32 v2, 0x7fc00000, v3, vcc_lo
	v_mul_f32_e32 v2, v2, v2
	v_div_scale_f32 v3, null, v2, v2, 0xc11de9e7
	v_div_scale_f32 v7, vcc_lo, 0xc11de9e7, v2, 0xc11de9e7
	v_rcp_f32_e32 v5, v3
	v_fma_f32 v6, -v3, v5, 1.0
	v_fmac_f32_e32 v5, v6, v5
	v_mul_f32_e32 v6, v7, v5
	v_fma_f32 v8, -v3, v6, v7
	v_fmac_f32_e32 v6, v8, v5
	v_fma_f32 v3, -v3, v6, v7
	v_div_fmas_f32 v3, v3, v5, v6
	v_div_fixup_f32 v2, v3, v2, 0xc11de9e7
	v_add_f32_e32 v3, 0, v2
	v_mov_b32_e32 v2, -1.0
.LBB55_112:
	s_or_b32 exec_lo, exec_lo, s2
	v_add_f32_e32 v5, 1.0, v1
	v_mul_f32_e32 v1, v1, v1
	v_add_nc_u32_e32 v4, 0x80, v4
	v_mul_f32_e32 v6, v5, v5
	v_add_f32_e32 v5, 1.0, v5
	v_div_scale_f32 v7, null, v1, v1, 1.0
	v_div_scale_f32 v9, vcc_lo, 1.0, v1, 1.0
	v_mul_f32_e32 v10, v5, v5
	v_div_scale_f32 v8, null, v6, v6, 1.0
	v_rcp_f32_e32 v11, v7
	v_div_scale_f32 v14, s0, 1.0, v6, 1.0
	v_div_scale_f32 v13, null, v10, v10, 1.0
	v_rcp_f32_e32 v12, v8
	v_add_f32_e32 v5, 1.0, v5
	v_div_scale_f32 v15, s1, 1.0, v10, 1.0
	v_rcp_f32_e32 v16, v13
	v_fma_f32 v18, -v7, v11, 1.0
	v_mul_f32_e32 v17, v5, v5
	v_add_f32_e32 v5, 1.0, v5
	v_fma_f32 v19, -v8, v12, 1.0
	v_fmac_f32_e32 v11, v18, v11
	v_mul_f32_e32 v21, v5, v5
	v_add_f32_e32 v5, 1.0, v5
	v_fma_f32 v18, -v13, v16, 1.0
	v_fmac_f32_e32 v12, v19, v12
	v_mul_f32_e32 v22, v9, v11
	v_div_scale_f32 v20, null, v17, v17, 1.0
	v_fmac_f32_e32 v16, v18, v16
	v_mul_f32_e32 v23, v14, v12
	v_fma_f32 v24, -v7, v22, v9
	v_add_f32_e32 v27, 1.0, v5
	v_rcp_f32_e32 v19, v20
	v_mul_f32_e32 v26, v15, v16
	v_fma_f32 v25, -v8, v23, v14
	v_fmac_f32_e32 v22, v24, v11
	v_mul_f32_e32 v5, v5, v5
	v_div_scale_f32 v18, null, v21, v21, 1.0
	v_fma_f32 v24, -v13, v26, v15
	v_fmac_f32_e32 v23, v25, v12
	v_fma_f32 v7, -v7, v22, v9
	v_mul_f32_e32 v9, v27, v27
	v_rcp_f32_e32 v25, v18
	v_fmac_f32_e32 v26, v24, v16
	v_fma_f32 v8, -v8, v23, v14
	v_div_fmas_f32 v7, v7, v11, v22
	s_mov_b32 vcc_lo, s0
	v_fma_f32 v28, -v20, v19, 1.0
	v_fma_f32 v11, -v13, v26, v15
	v_div_fmas_f32 v8, v8, v12, v23
	s_mov_b32 vcc_lo, s1
	v_div_scale_f32 v12, null, v5, v5, 1.0
	v_div_fmas_f32 v11, v11, v16, v26
	v_div_scale_f32 v13, null, v9, v9, 1.0
	v_add_f32_e32 v16, v27, v27
	v_rcp_f32_e32 v15, v12
	v_fmac_f32_e32 v19, v28, v19
	v_rcp_f32_e32 v23, v13
	v_div_scale_f32 v14, vcc_lo, 1.0, v17, 1.0
	v_div_scale_f32 v26, null, v16, v16, 1.0
	v_fma_f32 v22, -v18, v25, 1.0
	v_mul_f32_e32 v24, v14, v19
	v_div_fixup_f32 v1, v7, v1, 1.0
	v_rcp_f32_e32 v29, v26
	v_fma_f32 v28, -v12, v15, 1.0
	v_fmac_f32_e32 v25, v22, v25
	v_div_scale_f32 v22, s0, 1.0, v21, 1.0
	v_fma_f32 v31, -v13, v23, 1.0
	v_fma_f32 v30, -v20, v24, v14
	v_fmac_f32_e32 v15, v28, v15
	v_div_scale_f32 v28, s1, 1.0, v5, 1.0
	v_mul_f32_e32 v32, v22, v25
	v_fmac_f32_e32 v23, v31, v23
	v_div_scale_f32 v31, s2, 1.0, v9, 1.0
	v_fma_f32 v33, -v26, v29, 1.0
	v_fmac_f32_e32 v24, v30, v19
	v_mul_f32_e32 v34, v28, v15
	v_fma_f32 v30, -v18, v32, v22
	v_mul_f32_e32 v35, v31, v23
	v_fmac_f32_e32 v29, v33, v29
	v_div_scale_f32 v33, s3, 1.0, v16, 1.0
	v_fma_f32 v14, -v20, v24, v14
	v_fma_f32 v20, -v12, v34, v28
	v_fmac_f32_e32 v32, v30, v25
	v_fma_f32 v30, -v13, v35, v31
	v_mul_f32_e32 v36, v33, v29
	v_div_fmas_f32 v14, v14, v19, v24
	v_fmac_f32_e32 v34, v20, v15
	v_fma_f32 v18, -v18, v32, v22
	v_fmac_f32_e32 v35, v30, v23
	v_fma_f32 v19, -v26, v36, v33
	s_mov_b32 vcc_lo, s0
	v_fma_f32 v12, -v12, v34, v28
	v_div_fmas_f32 v18, v18, v25, v32
	v_fma_f32 v13, -v13, v35, v31
	v_fmac_f32_e32 v36, v19, v29
	s_mov_b32 vcc_lo, s1
	s_mov_b32 s0, 0xbcc30c31
	v_div_fmas_f32 v12, v12, v15, v34
	s_mov_b32 vcc_lo, s2
	v_fma_f32 v15, -v26, v36, v33
	v_div_fmas_f32 v13, v13, v23, v35
	s_mov_b32 vcc_lo, s3
	v_add_f32_e32 v1, v3, v1
	v_div_fixup_f32 v3, v8, v6, 1.0
	v_div_fmas_f32 v15, v15, v29, v36
	v_div_fixup_f32 v9, v13, v9, 1.0
	v_add_f32_e32 v1, v1, v3
	v_div_fixup_f32 v13, v15, v16, 1.0
	v_fmaak_f32 v15, s0, v9, 0x3d088889
	v_div_fixup_f32 v3, v11, v10, 1.0
	v_add_f32_e32 v13, 1.0, v13
	v_fma_f32 v15, -v9, v15, 0x3e2aaaab
	v_add_f32_e32 v1, v1, v3
	v_div_fixup_f32 v3, v14, v17, 1.0
	v_fmac_f32_e32 v13, v9, v15
	v_add_f32_e32 v1, v1, v3
	v_div_fixup_f32 v3, v18, v21, 1.0
	v_div_scale_f32 v9, null, v27, v27, v13
	v_div_scale_f32 v6, vcc_lo, v13, v27, v13
	v_add_f32_e32 v1, v1, v3
	v_rcp_f32_e32 v15, v9
	v_div_fixup_f32 v3, v12, v5, 1.0
	v_add_f32_e32 v1, v1, v3
	v_fma_f32 v7, -v9, v15, 1.0
	v_fmac_f32_e32 v15, v7, v15
	v_mul_f32_e32 v7, v6, v15
	v_fma_f32 v8, -v9, v7, v6
	v_fmac_f32_e32 v7, v8, v15
	v_fma_f32 v6, -v9, v7, v6
	v_div_fmas_f32 v5, v6, v15, v7
	v_div_fixup_f32 v3, v5, v27, v13
	v_add_f32_e32 v1, v1, v3
	v_mul_f32_e32 v1, v2, v1
	global_store_dword v0, v1, s[4:5]
	s_or_b32 exec_lo, exec_lo, s30
	s_mov_b32 s30, exec_lo
	v_cmpx_gt_i32_e64 s27, v4
	s_cbranch_execnz .LBB55_15
.LBB55_113:
	s_or_b32 exec_lo, exec_lo, s30
	s_mov_b32 s30, exec_lo
	v_cmpx_gt_i32_e64 s27, v4
	s_cbranch_execz .LBB55_135
.LBB55_114:
	s_andn2_b32 vcc_lo, exec_lo, s24
	s_cbranch_vccnz .LBB55_119
; %bb.115:
	s_andn2_b32 vcc_lo, exec_lo, s29
	s_cbranch_vccnz .LBB55_120
; %bb.116:
	s_add_i32 s33, s28, 1
	s_cmp_eq_u32 s23, 2
	s_cbranch_scc1 .LBB55_138
; %bb.117:
	v_mov_b32_e32 v2, 0
	v_mov_b32_e32 v0, 0
	;; [unrolled: 1-line block ×3, first 2 shown]
	s_and_b32 s31, s33, 28
	s_mov_b32 s34, 0
	s_mov_b64 s[0:1], s[16:17]
	s_mov_b64 s[2:3], s[20:21]
.LBB55_118:                             ; =>This Inner Loop Header: Depth=1
	s_clause 0x1
	s_load_dwordx8 s[36:43], s[0:1], 0x4
	s_load_dwordx4 s[52:55], s[0:1], 0x24
	s_load_dwordx8 s[44:51], s[2:3], 0x0
	s_add_u32 s0, s0, 48
	s_addc_u32 s1, s1, 0
	s_add_i32 s34, s34, 4
	s_add_u32 s2, s2, 32
	s_addc_u32 s3, s3, 0
	s_cmp_eq_u32 s31, s34
	s_waitcnt lgkmcnt(0)
	v_mul_hi_u32 v3, s37, v1
	v_add_nc_u32_e32 v3, v1, v3
	v_lshrrev_b32_e32 v3, s38, v3
	v_mul_hi_u32 v5, s40, v3
	v_mul_lo_u32 v7, v3, s36
	v_add_nc_u32_e32 v5, v3, v5
	v_sub_nc_u32_e32 v1, v1, v7
	v_lshrrev_b32_e32 v5, s41, v5
	v_mul_lo_u32 v7, v1, s44
	v_mul_lo_u32 v9, v1, s45
	v_mul_hi_u32 v6, s43, v5
	v_add_nc_u32_e32 v6, v5, v6
	v_lshrrev_b32_e32 v6, s52, v6
	v_mul_hi_u32 v8, s54, v6
	v_mul_lo_u32 v10, v6, s42
	v_add_nc_u32_e32 v1, v6, v8
	v_mul_lo_u32 v8, v5, s39
	v_sub_nc_u32_e32 v5, v5, v10
	v_lshrrev_b32_e32 v1, s55, v1
	v_mul_lo_u32 v10, v5, s48
	v_mul_lo_u32 v5, v5, s49
	v_sub_nc_u32_e32 v3, v3, v8
	v_mul_lo_u32 v11, v1, s53
	v_mul_lo_u32 v8, v3, s46
	;; [unrolled: 1-line block ×3, first 2 shown]
	v_sub_nc_u32_e32 v6, v6, v11
	v_add3_u32 v0, v7, v0, v8
	v_mul_lo_u32 v11, v6, s50
	v_mul_lo_u32 v6, v6, s51
	v_add3_u32 v2, v9, v2, v3
	v_add3_u32 v0, v10, v0, v11
	;; [unrolled: 1-line block ×3, first 2 shown]
	s_cbranch_scc0 .LBB55_118
	s_branch .LBB55_139
.LBB55_119:
                                        ; implicit-def: $vgpr0
                                        ; implicit-def: $vgpr2
	s_branch .LBB55_143
.LBB55_120:
	v_mov_b32_e32 v0, 0
	v_mov_b32_e32 v2, 0
	s_branch .LBB55_142
.LBB55_121:
	v_mov_b32_e32 v0, 0
	v_mov_b32_e32 v2, 0
	;; [unrolled: 1-line block ×3, first 2 shown]
	s_mov_b32 s31, 0
.LBB55_122:
	s_and_b32 s33, s33, 3
	s_cmp_eq_u32 s33, 0
	s_cbranch_scc1 .LBB55_125
; %bb.123:
	s_lshl_b32 s0, s31, 3
	s_mul_i32 s2, s31, 12
	s_add_u32 s0, s16, s0
	s_addc_u32 s1, s17, 0
	s_add_u32 s0, s0, 0xc4
	s_addc_u32 s1, s1, 0
	;; [unrolled: 2-line block ×3, first 2 shown]
	.p2align	6
.LBB55_124:                             ; =>This Inner Loop Header: Depth=1
	s_clause 0x1
	s_load_dwordx2 s[34:35], s[2:3], 0x4
	s_load_dword s31, s[2:3], 0xc
	s_load_dwordx2 s[36:37], s[0:1], 0x0
	s_add_u32 s2, s2, 12
	s_addc_u32 s3, s3, 0
	s_add_u32 s0, s0, 8
	s_addc_u32 s1, s1, 0
	s_add_i32 s33, s33, -1
	s_cmp_lg_u32 s33, 0
	s_waitcnt lgkmcnt(0)
	v_mul_hi_u32 v3, s35, v1
	v_add_nc_u32_e32 v3, v1, v3
	v_lshrrev_b32_e32 v5, s31, v3
	v_mul_lo_u32 v3, v5, s34
	v_sub_nc_u32_e32 v3, v1, v3
	v_mad_u64_u32 v[0:1], null, v3, s36, v[0:1]
	v_mad_u64_u32 v[2:3], null, v3, s37, v[2:3]
	v_mov_b32_e32 v1, v5
	s_cbranch_scc1 .LBB55_124
.LBB55_125:
	s_cbranch_execnz .LBB55_128
.LBB55_126:
	s_waitcnt lgkmcnt(0)
	v_mul_hi_u32 v0, s13, v4
	s_andn2_b32 vcc_lo, exec_lo, s26
	v_add_nc_u32_e32 v0, v4, v0
	v_lshrrev_b32_e32 v1, s14, v0
	v_mul_lo_u32 v0, v1, s12
	v_sub_nc_u32_e32 v2, v4, v0
	v_mul_lo_u32 v0, v2, s8
	v_mul_lo_u32 v2, v2, s9
	s_cbranch_vccnz .LBB55_128
; %bb.127:
	v_mul_hi_u32 v3, s18, v1
	v_add_nc_u32_e32 v3, v1, v3
	v_lshrrev_b32_e32 v3, s19, v3
	v_mul_lo_u32 v3, v3, s15
	v_sub_nc_u32_e32 v3, v1, v3
	v_mad_u64_u32 v[0:1], null, v3, s10, v[0:1]
	v_mad_u64_u32 v[2:3], null, v3, s11, v[2:3]
.LBB55_128:
	s_waitcnt lgkmcnt(0)
	global_load_dword v1, v2, s[6:7]
	v_mov_b32_e32 v3, 0
	v_mov_b32_e32 v2, 1.0
	s_mov_b32 s2, exec_lo
	s_waitcnt vmcnt(0)
	v_cmpx_gt_f32_e32 0.5, v1
	s_cbranch_execz .LBB55_134
; %bb.129:
	v_mul_f32_e32 v2, 0x40490fdb, v1
                                        ; implicit-def: $vgpr6
                                        ; implicit-def: $vgpr5
	s_mov_b32 s1, exec_lo
	v_and_b32_e32 v3, 0x7fffffff, v2
	v_cmpx_ngt_f32_e64 0x48000000, |v2|
	s_xor_b32 s3, exec_lo, s1
	s_cbranch_execz .LBB55_131
; %bb.130:
	s_mov_b32 s0, 0x7fffff
	v_mov_b32_e32 v7, 0
	v_and_or_b32 v14, v3, s0, 0x800000
	v_lshrrev_b32_e32 v12, 23, v3
	v_mad_u64_u32 v[5:6], null, 0xfe5163ab, v14, 0
	v_add_nc_u32_e32 v13, 0xffffff88, v12
	v_cmp_lt_u32_e32 vcc_lo, 63, v13
	v_mad_u64_u32 v[8:9], null, 0x3c439041, v14, v[6:7]
	v_cndmask_b32_e64 v15, 0, 0xffffffc0, vcc_lo
	v_mov_b32_e32 v6, v9
	v_add_nc_u32_e32 v15, v15, v13
	v_mad_u64_u32 v[9:10], null, 0xdb629599, v14, v[6:7]
	v_cmp_lt_u32_e64 s0, 31, v15
	v_cndmask_b32_e64 v16, 0, 0xffffffe0, s0
	v_mov_b32_e32 v6, v10
	v_cndmask_b32_e32 v5, v9, v5, vcc_lo
	v_mad_u64_u32 v[10:11], null, 0xf534ddc0, v14, v[6:7]
	v_mov_b32_e32 v6, v11
	v_cndmask_b32_e32 v8, v10, v8, vcc_lo
	v_mad_u64_u32 v[11:12], null, 0xfc2757d1, v14, v[6:7]
	v_cndmask_b32_e64 v5, v8, v5, s0
	v_mov_b32_e32 v6, v12
	v_mad_u64_u32 v[12:13], null, 0x4e441529, v14, v[6:7]
	v_mov_b32_e32 v6, v13
	v_add_nc_u32_e32 v13, v16, v15
	v_cndmask_b32_e32 v15, v12, v10, vcc_lo
	v_mad_u64_u32 v[6:7], null, 0xa2f9836e, v14, v[6:7]
	v_cmp_lt_u32_e64 s1, 31, v13
	v_cndmask_b32_e64 v14, 0, 0xffffffe0, s1
	v_cndmask_b32_e32 v6, v6, v11, vcc_lo
	v_cndmask_b32_e32 v7, v7, v12, vcc_lo
	v_cndmask_b32_e32 v11, v11, v9, vcc_lo
	v_add_nc_u32_e32 v12, v14, v13
	v_cndmask_b32_e64 v10, v6, v15, s0
	v_cndmask_b32_e64 v6, v7, v6, s0
	;; [unrolled: 1-line block ×4, first 2 shown]
	v_sub_nc_u32_e32 v13, 32, v12
	v_cmp_eq_u32_e32 vcc_lo, 0, v12
	v_cndmask_b32_e64 v6, v6, v10, s1
	v_cndmask_b32_e64 v10, v10, v7, s1
	;; [unrolled: 1-line block ×4, first 2 shown]
	v_alignbit_b32 v14, v6, v10, v13
	v_alignbit_b32 v9, v10, v7, v13
	;; [unrolled: 1-line block ×3, first 2 shown]
	v_cndmask_b32_e32 v6, v14, v6, vcc_lo
	v_cndmask_b32_e32 v8, v9, v10, vcc_lo
	;; [unrolled: 1-line block ×3, first 2 shown]
	v_bfe_u32 v9, v6, 29, 1
	v_alignbit_b32 v10, v6, v8, 30
	v_alignbit_b32 v8, v8, v7, 30
	v_alignbit_b32 v5, v7, v5, 30
	v_sub_nc_u32_e32 v11, 0, v9
	v_xor_b32_e32 v10, v10, v11
	v_xor_b32_e32 v7, v8, v11
	;; [unrolled: 1-line block ×3, first 2 shown]
	v_lshrrev_b32_e32 v11, 29, v6
	v_lshrrev_b32_e32 v6, 30, v6
	v_ffbh_u32_e32 v12, v10
	v_add_nc_u32_e32 v6, v9, v6
	v_min_u32_e32 v12, 32, v12
	v_sub_nc_u32_e32 v8, 31, v12
	v_lshlrev_b32_e32 v13, 23, v12
	v_alignbit_b32 v10, v10, v7, v8
	v_alignbit_b32 v5, v7, v5, v8
	v_lshlrev_b32_e32 v7, 31, v11
	v_alignbit_b32 v8, v10, v5, 9
	v_or_b32_e32 v11, 0.5, v7
	v_lshrrev_b32_e32 v10, 9, v10
	v_or_b32_e32 v7, 0x33000000, v7
	v_ffbh_u32_e32 v14, v8
	v_sub_nc_u32_e32 v11, v11, v13
	v_min_u32_e32 v13, 32, v14
	v_or_b32_e32 v10, v10, v11
	v_not_b32_e32 v11, v13
	v_mul_f32_e32 v14, 0x3fc90fda, v10
	v_add_lshl_u32 v12, v13, v12, 23
	v_alignbit_b32 v5, v8, v5, v11
	v_fma_f32 v8, 0x3fc90fda, v10, -v14
	v_sub_nc_u32_e32 v7, v7, v12
	v_lshrrev_b32_e32 v5, 9, v5
	v_fmamk_f32 v8, v10, 0x33a22168, v8
	v_or_b32_e32 v5, v7, v5
	v_fmac_f32_e32 v8, 0x3fc90fda, v5
	v_add_f32_e32 v5, v14, v8
.LBB55_131:
	s_andn2_saveexec_b32 s0, s3
; %bb.132:
	v_mul_f32_e64 v5, 0x3f22f983, |v2|
	v_rndne_f32_e32 v6, v5
	v_fma_f32 v5, 0xbfc90fda, v6, |v2|
	v_fmamk_f32 v5, v6, 0xb3a22168, v5
	v_fmamk_f32 v5, v6, 0xa7c234c4, v5
	v_cvt_i32_f32_e32 v6, v6
; %bb.133:
	s_or_b32 exec_lo, exec_lo, s0
	v_mul_f32_e32 v7, v5, v5
	s_mov_b32 s0, 0xb94c1982
	s_mov_b32 s1, 0x37d75334
	v_and_b32_e32 v10, 1, v6
	v_lshlrev_b32_e32 v6, 30, v6
	v_fmaak_f32 v8, s0, v7, 0x3c0881c4
	v_fmaak_f32 v9, s1, v7, 0xbab64f3b
	v_xor_b32_e32 v3, v3, v2
	v_cmp_eq_u32_e32 vcc_lo, 0, v10
	v_and_b32_e32 v6, 0x80000000, v6
	v_fmaak_f32 v8, v7, v8, 0xbe2aaa9d
	v_fmaak_f32 v9, v7, v9, 0x3d2aabf7
	v_sub_f32_e32 v1, 1.0, v1
	v_mul_f32_e32 v8, v7, v8
	v_fmaak_f32 v9, v7, v9, 0xbf000004
	v_fmac_f32_e32 v5, v5, v8
	v_fma_f32 v7, v7, v9, 1.0
	v_cndmask_b32_e32 v5, v7, v5, vcc_lo
	v_cmp_class_f32_e64 vcc_lo, v2, 0x1f8
	v_xor3_b32 v3, v3, v6, v5
	v_cndmask_b32_e32 v2, 0x7fc00000, v3, vcc_lo
	v_mul_f32_e32 v2, v2, v2
	v_div_scale_f32 v3, null, v2, v2, 0xc11de9e7
	v_div_scale_f32 v7, vcc_lo, 0xc11de9e7, v2, 0xc11de9e7
	v_rcp_f32_e32 v5, v3
	v_fma_f32 v6, -v3, v5, 1.0
	v_fmac_f32_e32 v5, v6, v5
	v_mul_f32_e32 v6, v7, v5
	v_fma_f32 v8, -v3, v6, v7
	v_fmac_f32_e32 v6, v8, v5
	v_fma_f32 v3, -v3, v6, v7
	v_div_fmas_f32 v3, v3, v5, v6
	v_div_fixup_f32 v2, v3, v2, 0xc11de9e7
	v_add_f32_e32 v3, 0, v2
	v_mov_b32_e32 v2, -1.0
.LBB55_134:
	s_or_b32 exec_lo, exec_lo, s2
	v_add_f32_e32 v5, 1.0, v1
	v_mul_f32_e32 v1, v1, v1
	v_add_nc_u32_e32 v4, 0x80, v4
	v_mul_f32_e32 v6, v5, v5
	v_add_f32_e32 v5, 1.0, v5
	v_div_scale_f32 v7, null, v1, v1, 1.0
	v_div_scale_f32 v9, vcc_lo, 1.0, v1, 1.0
	v_mul_f32_e32 v10, v5, v5
	v_div_scale_f32 v8, null, v6, v6, 1.0
	v_rcp_f32_e32 v11, v7
	v_div_scale_f32 v14, s0, 1.0, v6, 1.0
	v_div_scale_f32 v13, null, v10, v10, 1.0
	v_rcp_f32_e32 v12, v8
	v_add_f32_e32 v5, 1.0, v5
	v_div_scale_f32 v15, s1, 1.0, v10, 1.0
	v_rcp_f32_e32 v16, v13
	v_fma_f32 v18, -v7, v11, 1.0
	v_mul_f32_e32 v17, v5, v5
	v_add_f32_e32 v5, 1.0, v5
	v_fma_f32 v19, -v8, v12, 1.0
	v_fmac_f32_e32 v11, v18, v11
	v_mul_f32_e32 v21, v5, v5
	v_add_f32_e32 v5, 1.0, v5
	v_fma_f32 v18, -v13, v16, 1.0
	v_fmac_f32_e32 v12, v19, v12
	v_mul_f32_e32 v22, v9, v11
	v_div_scale_f32 v20, null, v17, v17, 1.0
	v_fmac_f32_e32 v16, v18, v16
	v_mul_f32_e32 v23, v14, v12
	v_fma_f32 v24, -v7, v22, v9
	v_add_f32_e32 v27, 1.0, v5
	v_rcp_f32_e32 v19, v20
	v_mul_f32_e32 v26, v15, v16
	v_fma_f32 v25, -v8, v23, v14
	v_fmac_f32_e32 v22, v24, v11
	v_mul_f32_e32 v5, v5, v5
	v_div_scale_f32 v18, null, v21, v21, 1.0
	v_fma_f32 v24, -v13, v26, v15
	v_fmac_f32_e32 v23, v25, v12
	v_fma_f32 v7, -v7, v22, v9
	v_mul_f32_e32 v9, v27, v27
	v_rcp_f32_e32 v25, v18
	v_fmac_f32_e32 v26, v24, v16
	v_fma_f32 v8, -v8, v23, v14
	v_div_fmas_f32 v7, v7, v11, v22
	s_mov_b32 vcc_lo, s0
	v_fma_f32 v28, -v20, v19, 1.0
	v_fma_f32 v11, -v13, v26, v15
	v_div_fmas_f32 v8, v8, v12, v23
	s_mov_b32 vcc_lo, s1
	v_div_scale_f32 v12, null, v5, v5, 1.0
	v_div_fmas_f32 v11, v11, v16, v26
	v_div_scale_f32 v13, null, v9, v9, 1.0
	v_add_f32_e32 v16, v27, v27
	v_rcp_f32_e32 v15, v12
	v_fmac_f32_e32 v19, v28, v19
	v_rcp_f32_e32 v23, v13
	v_div_scale_f32 v14, vcc_lo, 1.0, v17, 1.0
	v_div_scale_f32 v26, null, v16, v16, 1.0
	v_fma_f32 v22, -v18, v25, 1.0
	v_mul_f32_e32 v24, v14, v19
	v_div_fixup_f32 v1, v7, v1, 1.0
	v_rcp_f32_e32 v29, v26
	v_fma_f32 v28, -v12, v15, 1.0
	v_fmac_f32_e32 v25, v22, v25
	v_div_scale_f32 v22, s0, 1.0, v21, 1.0
	v_fma_f32 v31, -v13, v23, 1.0
	v_fma_f32 v30, -v20, v24, v14
	v_fmac_f32_e32 v15, v28, v15
	v_div_scale_f32 v28, s1, 1.0, v5, 1.0
	v_mul_f32_e32 v32, v22, v25
	v_fmac_f32_e32 v23, v31, v23
	v_div_scale_f32 v31, s2, 1.0, v9, 1.0
	v_fma_f32 v33, -v26, v29, 1.0
	v_fmac_f32_e32 v24, v30, v19
	v_mul_f32_e32 v34, v28, v15
	v_fma_f32 v30, -v18, v32, v22
	v_mul_f32_e32 v35, v31, v23
	v_fmac_f32_e32 v29, v33, v29
	v_div_scale_f32 v33, s3, 1.0, v16, 1.0
	v_fma_f32 v14, -v20, v24, v14
	v_fma_f32 v20, -v12, v34, v28
	v_fmac_f32_e32 v32, v30, v25
	v_fma_f32 v30, -v13, v35, v31
	v_mul_f32_e32 v36, v33, v29
	v_div_fmas_f32 v14, v14, v19, v24
	v_fmac_f32_e32 v34, v20, v15
	v_fma_f32 v18, -v18, v32, v22
	v_fmac_f32_e32 v35, v30, v23
	v_fma_f32 v19, -v26, v36, v33
	s_mov_b32 vcc_lo, s0
	v_fma_f32 v12, -v12, v34, v28
	v_div_fmas_f32 v18, v18, v25, v32
	v_fma_f32 v13, -v13, v35, v31
	v_fmac_f32_e32 v36, v19, v29
	s_mov_b32 vcc_lo, s1
	s_mov_b32 s0, 0xbcc30c31
	v_div_fmas_f32 v12, v12, v15, v34
	s_mov_b32 vcc_lo, s2
	v_fma_f32 v15, -v26, v36, v33
	v_div_fmas_f32 v13, v13, v23, v35
	s_mov_b32 vcc_lo, s3
	v_add_f32_e32 v1, v3, v1
	v_div_fixup_f32 v3, v8, v6, 1.0
	v_div_fmas_f32 v15, v15, v29, v36
	v_div_fixup_f32 v9, v13, v9, 1.0
	v_add_f32_e32 v1, v1, v3
	v_div_fixup_f32 v13, v15, v16, 1.0
	v_fmaak_f32 v15, s0, v9, 0x3d088889
	v_div_fixup_f32 v3, v11, v10, 1.0
	v_add_f32_e32 v13, 1.0, v13
	v_fma_f32 v15, -v9, v15, 0x3e2aaaab
	v_add_f32_e32 v1, v1, v3
	v_div_fixup_f32 v3, v14, v17, 1.0
	v_fmac_f32_e32 v13, v9, v15
	v_add_f32_e32 v1, v1, v3
	v_div_fixup_f32 v3, v18, v21, 1.0
	v_div_scale_f32 v9, null, v27, v27, v13
	v_div_scale_f32 v6, vcc_lo, v13, v27, v13
	v_add_f32_e32 v1, v1, v3
	v_rcp_f32_e32 v15, v9
	v_div_fixup_f32 v3, v12, v5, 1.0
	v_add_f32_e32 v1, v1, v3
	v_fma_f32 v7, -v9, v15, 1.0
	v_fmac_f32_e32 v15, v7, v15
	v_mul_f32_e32 v7, v6, v15
	v_fma_f32 v8, -v9, v7, v6
	v_fmac_f32_e32 v7, v8, v15
	v_fma_f32 v6, -v9, v7, v6
	v_div_fmas_f32 v5, v6, v15, v7
	v_div_fixup_f32 v3, v5, v27, v13
	v_add_f32_e32 v1, v1, v3
	v_mul_f32_e32 v1, v2, v1
	global_store_dword v0, v1, s[4:5]
	s_or_b32 exec_lo, exec_lo, s30
	s_mov_b32 s30, exec_lo
	v_cmpx_gt_i32_e64 s27, v4
	s_cbranch_execnz .LBB55_114
.LBB55_135:
	s_or_b32 exec_lo, exec_lo, s30
	v_cmp_gt_i32_e32 vcc_lo, s27, v4
	s_and_saveexec_b32 s27, vcc_lo
	s_cbranch_execnz .LBB55_152
.LBB55_136:
	s_or_b32 exec_lo, exec_lo, s27
                                        ; implicit-def: $vgpr10
                                        ; implicit-def: $vgpr4
	s_andn2_saveexec_b32 s0, s25
	s_cbranch_execnz .LBB55_8
.LBB55_137:
	s_endpgm
.LBB55_138:
	v_mov_b32_e32 v0, 0
	v_mov_b32_e32 v2, 0
	;; [unrolled: 1-line block ×3, first 2 shown]
	s_mov_b32 s31, 0
.LBB55_139:
	s_and_b32 s33, s33, 3
	s_cmp_eq_u32 s33, 0
	s_cbranch_scc1 .LBB55_142
; %bb.140:
	s_lshl_b32 s0, s31, 3
	s_mul_i32 s2, s31, 12
	s_add_u32 s0, s16, s0
	s_addc_u32 s1, s17, 0
	s_add_u32 s0, s0, 0xc4
	s_addc_u32 s1, s1, 0
	;; [unrolled: 2-line block ×3, first 2 shown]
	.p2align	6
.LBB55_141:                             ; =>This Inner Loop Header: Depth=1
	s_clause 0x1
	s_load_dwordx2 s[34:35], s[2:3], 0x4
	s_load_dword s31, s[2:3], 0xc
	s_load_dwordx2 s[36:37], s[0:1], 0x0
	s_add_u32 s2, s2, 12
	s_addc_u32 s3, s3, 0
	s_add_u32 s0, s0, 8
	s_addc_u32 s1, s1, 0
	s_add_i32 s33, s33, -1
	s_cmp_lg_u32 s33, 0
	s_waitcnt lgkmcnt(0)
	v_mul_hi_u32 v3, s35, v1
	v_add_nc_u32_e32 v3, v1, v3
	v_lshrrev_b32_e32 v5, s31, v3
	v_mul_lo_u32 v3, v5, s34
	v_sub_nc_u32_e32 v3, v1, v3
	v_mad_u64_u32 v[0:1], null, v3, s36, v[0:1]
	v_mad_u64_u32 v[2:3], null, v3, s37, v[2:3]
	v_mov_b32_e32 v1, v5
	s_cbranch_scc1 .LBB55_141
.LBB55_142:
	s_cbranch_execnz .LBB55_145
.LBB55_143:
	s_waitcnt lgkmcnt(0)
	v_mul_hi_u32 v0, s13, v4
	s_andn2_b32 vcc_lo, exec_lo, s26
	v_add_nc_u32_e32 v0, v4, v0
	v_lshrrev_b32_e32 v1, s14, v0
	v_mul_lo_u32 v0, v1, s12
	v_sub_nc_u32_e32 v2, v4, v0
	v_mul_lo_u32 v0, v2, s8
	v_mul_lo_u32 v2, v2, s9
	s_cbranch_vccnz .LBB55_145
; %bb.144:
	v_mul_hi_u32 v3, s18, v1
	v_add_nc_u32_e32 v3, v1, v3
	v_lshrrev_b32_e32 v3, s19, v3
	v_mul_lo_u32 v3, v3, s15
	v_sub_nc_u32_e32 v3, v1, v3
	v_mad_u64_u32 v[0:1], null, v3, s10, v[0:1]
	v_mad_u64_u32 v[2:3], null, v3, s11, v[2:3]
.LBB55_145:
	s_waitcnt lgkmcnt(0)
	global_load_dword v1, v2, s[6:7]
	v_mov_b32_e32 v3, 0
	v_mov_b32_e32 v2, 1.0
	s_mov_b32 s2, exec_lo
	s_waitcnt vmcnt(0)
	v_cmpx_gt_f32_e32 0.5, v1
	s_cbranch_execz .LBB55_151
; %bb.146:
	v_mul_f32_e32 v2, 0x40490fdb, v1
                                        ; implicit-def: $vgpr6
                                        ; implicit-def: $vgpr5
	s_mov_b32 s1, exec_lo
	v_and_b32_e32 v3, 0x7fffffff, v2
	v_cmpx_ngt_f32_e64 0x48000000, |v2|
	s_xor_b32 s3, exec_lo, s1
	s_cbranch_execz .LBB55_148
; %bb.147:
	s_mov_b32 s0, 0x7fffff
	v_mov_b32_e32 v7, 0
	v_and_or_b32 v14, v3, s0, 0x800000
	v_lshrrev_b32_e32 v12, 23, v3
	v_mad_u64_u32 v[5:6], null, 0xfe5163ab, v14, 0
	v_add_nc_u32_e32 v13, 0xffffff88, v12
	v_cmp_lt_u32_e32 vcc_lo, 63, v13
	v_mad_u64_u32 v[8:9], null, 0x3c439041, v14, v[6:7]
	v_cndmask_b32_e64 v15, 0, 0xffffffc0, vcc_lo
	v_mov_b32_e32 v6, v9
	v_add_nc_u32_e32 v15, v15, v13
	v_mad_u64_u32 v[9:10], null, 0xdb629599, v14, v[6:7]
	v_cmp_lt_u32_e64 s0, 31, v15
	v_cndmask_b32_e64 v16, 0, 0xffffffe0, s0
	v_mov_b32_e32 v6, v10
	v_cndmask_b32_e32 v5, v9, v5, vcc_lo
	v_mad_u64_u32 v[10:11], null, 0xf534ddc0, v14, v[6:7]
	v_mov_b32_e32 v6, v11
	v_cndmask_b32_e32 v8, v10, v8, vcc_lo
	v_mad_u64_u32 v[11:12], null, 0xfc2757d1, v14, v[6:7]
	v_cndmask_b32_e64 v5, v8, v5, s0
	v_mov_b32_e32 v6, v12
	v_mad_u64_u32 v[12:13], null, 0x4e441529, v14, v[6:7]
	v_mov_b32_e32 v6, v13
	v_add_nc_u32_e32 v13, v16, v15
	v_cndmask_b32_e32 v15, v12, v10, vcc_lo
	v_mad_u64_u32 v[6:7], null, 0xa2f9836e, v14, v[6:7]
	v_cmp_lt_u32_e64 s1, 31, v13
	v_cndmask_b32_e64 v14, 0, 0xffffffe0, s1
	v_cndmask_b32_e32 v6, v6, v11, vcc_lo
	v_cndmask_b32_e32 v7, v7, v12, vcc_lo
	;; [unrolled: 1-line block ×3, first 2 shown]
	v_add_nc_u32_e32 v12, v14, v13
	v_cndmask_b32_e64 v10, v6, v15, s0
	v_cndmask_b32_e64 v6, v7, v6, s0
	;; [unrolled: 1-line block ×4, first 2 shown]
	v_sub_nc_u32_e32 v13, 32, v12
	v_cmp_eq_u32_e32 vcc_lo, 0, v12
	v_cndmask_b32_e64 v6, v6, v10, s1
	v_cndmask_b32_e64 v10, v10, v7, s1
	;; [unrolled: 1-line block ×4, first 2 shown]
	v_alignbit_b32 v14, v6, v10, v13
	v_alignbit_b32 v9, v10, v7, v13
	;; [unrolled: 1-line block ×3, first 2 shown]
	v_cndmask_b32_e32 v6, v14, v6, vcc_lo
	v_cndmask_b32_e32 v8, v9, v10, vcc_lo
	;; [unrolled: 1-line block ×3, first 2 shown]
	v_bfe_u32 v9, v6, 29, 1
	v_alignbit_b32 v10, v6, v8, 30
	v_alignbit_b32 v8, v8, v7, 30
	;; [unrolled: 1-line block ×3, first 2 shown]
	v_sub_nc_u32_e32 v11, 0, v9
	v_xor_b32_e32 v10, v10, v11
	v_xor_b32_e32 v7, v8, v11
	;; [unrolled: 1-line block ×3, first 2 shown]
	v_lshrrev_b32_e32 v11, 29, v6
	v_lshrrev_b32_e32 v6, 30, v6
	v_ffbh_u32_e32 v12, v10
	v_add_nc_u32_e32 v6, v9, v6
	v_min_u32_e32 v12, 32, v12
	v_sub_nc_u32_e32 v8, 31, v12
	v_lshlrev_b32_e32 v13, 23, v12
	v_alignbit_b32 v10, v10, v7, v8
	v_alignbit_b32 v5, v7, v5, v8
	v_lshlrev_b32_e32 v7, 31, v11
	v_alignbit_b32 v8, v10, v5, 9
	v_or_b32_e32 v11, 0.5, v7
	v_lshrrev_b32_e32 v10, 9, v10
	v_or_b32_e32 v7, 0x33000000, v7
	v_ffbh_u32_e32 v14, v8
	v_sub_nc_u32_e32 v11, v11, v13
	v_min_u32_e32 v13, 32, v14
	v_or_b32_e32 v10, v10, v11
	v_not_b32_e32 v11, v13
	v_mul_f32_e32 v14, 0x3fc90fda, v10
	v_add_lshl_u32 v12, v13, v12, 23
	v_alignbit_b32 v5, v8, v5, v11
	v_fma_f32 v8, 0x3fc90fda, v10, -v14
	v_sub_nc_u32_e32 v7, v7, v12
	v_lshrrev_b32_e32 v5, 9, v5
	v_fmamk_f32 v8, v10, 0x33a22168, v8
	v_or_b32_e32 v5, v7, v5
	v_fmac_f32_e32 v8, 0x3fc90fda, v5
	v_add_f32_e32 v5, v14, v8
.LBB55_148:
	s_andn2_saveexec_b32 s0, s3
; %bb.149:
	v_mul_f32_e64 v5, 0x3f22f983, |v2|
	v_rndne_f32_e32 v6, v5
	v_fma_f32 v5, 0xbfc90fda, v6, |v2|
	v_fmamk_f32 v5, v6, 0xb3a22168, v5
	v_fmamk_f32 v5, v6, 0xa7c234c4, v5
	v_cvt_i32_f32_e32 v6, v6
; %bb.150:
	s_or_b32 exec_lo, exec_lo, s0
	v_mul_f32_e32 v7, v5, v5
	s_mov_b32 s0, 0xb94c1982
	s_mov_b32 s1, 0x37d75334
	v_and_b32_e32 v10, 1, v6
	v_lshlrev_b32_e32 v6, 30, v6
	v_fmaak_f32 v8, s0, v7, 0x3c0881c4
	v_fmaak_f32 v9, s1, v7, 0xbab64f3b
	v_xor_b32_e32 v3, v3, v2
	v_cmp_eq_u32_e32 vcc_lo, 0, v10
	v_and_b32_e32 v6, 0x80000000, v6
	v_fmaak_f32 v8, v7, v8, 0xbe2aaa9d
	v_fmaak_f32 v9, v7, v9, 0x3d2aabf7
	v_sub_f32_e32 v1, 1.0, v1
	v_mul_f32_e32 v8, v7, v8
	v_fmaak_f32 v9, v7, v9, 0xbf000004
	v_fmac_f32_e32 v5, v5, v8
	v_fma_f32 v7, v7, v9, 1.0
	v_cndmask_b32_e32 v5, v7, v5, vcc_lo
	v_cmp_class_f32_e64 vcc_lo, v2, 0x1f8
	v_xor3_b32 v3, v3, v6, v5
	v_cndmask_b32_e32 v2, 0x7fc00000, v3, vcc_lo
	v_mul_f32_e32 v2, v2, v2
	v_div_scale_f32 v3, null, v2, v2, 0xc11de9e7
	v_div_scale_f32 v7, vcc_lo, 0xc11de9e7, v2, 0xc11de9e7
	v_rcp_f32_e32 v5, v3
	v_fma_f32 v6, -v3, v5, 1.0
	v_fmac_f32_e32 v5, v6, v5
	v_mul_f32_e32 v6, v7, v5
	v_fma_f32 v8, -v3, v6, v7
	v_fmac_f32_e32 v6, v8, v5
	v_fma_f32 v3, -v3, v6, v7
	v_div_fmas_f32 v3, v3, v5, v6
	v_div_fixup_f32 v2, v3, v2, 0xc11de9e7
	v_add_f32_e32 v3, 0, v2
	v_mov_b32_e32 v2, -1.0
.LBB55_151:
	s_or_b32 exec_lo, exec_lo, s2
	v_add_f32_e32 v5, 1.0, v1
	v_mul_f32_e32 v1, v1, v1
	v_add_nc_u32_e32 v4, 0x80, v4
	v_mul_f32_e32 v6, v5, v5
	v_add_f32_e32 v5, 1.0, v5
	v_div_scale_f32 v7, null, v1, v1, 1.0
	v_div_scale_f32 v9, vcc_lo, 1.0, v1, 1.0
	v_mul_f32_e32 v10, v5, v5
	v_div_scale_f32 v8, null, v6, v6, 1.0
	v_rcp_f32_e32 v11, v7
	v_div_scale_f32 v14, s0, 1.0, v6, 1.0
	v_div_scale_f32 v13, null, v10, v10, 1.0
	v_rcp_f32_e32 v12, v8
	v_add_f32_e32 v5, 1.0, v5
	v_div_scale_f32 v15, s1, 1.0, v10, 1.0
	v_rcp_f32_e32 v16, v13
	v_fma_f32 v18, -v7, v11, 1.0
	v_mul_f32_e32 v17, v5, v5
	v_add_f32_e32 v5, 1.0, v5
	v_fma_f32 v19, -v8, v12, 1.0
	v_fmac_f32_e32 v11, v18, v11
	v_mul_f32_e32 v21, v5, v5
	v_add_f32_e32 v5, 1.0, v5
	v_fma_f32 v18, -v13, v16, 1.0
	v_fmac_f32_e32 v12, v19, v12
	v_mul_f32_e32 v22, v9, v11
	v_div_scale_f32 v20, null, v17, v17, 1.0
	v_fmac_f32_e32 v16, v18, v16
	v_mul_f32_e32 v23, v14, v12
	v_fma_f32 v24, -v7, v22, v9
	v_add_f32_e32 v27, 1.0, v5
	v_rcp_f32_e32 v19, v20
	v_mul_f32_e32 v26, v15, v16
	v_fma_f32 v25, -v8, v23, v14
	v_fmac_f32_e32 v22, v24, v11
	v_mul_f32_e32 v5, v5, v5
	v_div_scale_f32 v18, null, v21, v21, 1.0
	v_fma_f32 v24, -v13, v26, v15
	v_fmac_f32_e32 v23, v25, v12
	v_fma_f32 v7, -v7, v22, v9
	v_mul_f32_e32 v9, v27, v27
	v_rcp_f32_e32 v25, v18
	v_fmac_f32_e32 v26, v24, v16
	v_fma_f32 v8, -v8, v23, v14
	v_div_fmas_f32 v7, v7, v11, v22
	s_mov_b32 vcc_lo, s0
	v_fma_f32 v28, -v20, v19, 1.0
	v_fma_f32 v11, -v13, v26, v15
	v_div_fmas_f32 v8, v8, v12, v23
	s_mov_b32 vcc_lo, s1
	v_div_scale_f32 v12, null, v5, v5, 1.0
	v_div_fmas_f32 v11, v11, v16, v26
	v_div_scale_f32 v13, null, v9, v9, 1.0
	v_add_f32_e32 v16, v27, v27
	v_rcp_f32_e32 v15, v12
	v_fmac_f32_e32 v19, v28, v19
	v_rcp_f32_e32 v23, v13
	v_div_scale_f32 v14, vcc_lo, 1.0, v17, 1.0
	v_div_scale_f32 v26, null, v16, v16, 1.0
	v_fma_f32 v22, -v18, v25, 1.0
	v_mul_f32_e32 v24, v14, v19
	v_div_fixup_f32 v1, v7, v1, 1.0
	v_rcp_f32_e32 v29, v26
	v_fma_f32 v28, -v12, v15, 1.0
	v_fmac_f32_e32 v25, v22, v25
	v_div_scale_f32 v22, s0, 1.0, v21, 1.0
	v_fma_f32 v31, -v13, v23, 1.0
	v_fma_f32 v30, -v20, v24, v14
	v_fmac_f32_e32 v15, v28, v15
	v_div_scale_f32 v28, s1, 1.0, v5, 1.0
	v_mul_f32_e32 v32, v22, v25
	v_fmac_f32_e32 v23, v31, v23
	v_div_scale_f32 v31, s2, 1.0, v9, 1.0
	v_fma_f32 v33, -v26, v29, 1.0
	v_fmac_f32_e32 v24, v30, v19
	v_mul_f32_e32 v34, v28, v15
	v_fma_f32 v30, -v18, v32, v22
	v_mul_f32_e32 v35, v31, v23
	v_fmac_f32_e32 v29, v33, v29
	v_div_scale_f32 v33, s3, 1.0, v16, 1.0
	v_fma_f32 v14, -v20, v24, v14
	v_fma_f32 v20, -v12, v34, v28
	v_fmac_f32_e32 v32, v30, v25
	v_fma_f32 v30, -v13, v35, v31
	v_mul_f32_e32 v36, v33, v29
	v_div_fmas_f32 v14, v14, v19, v24
	v_fmac_f32_e32 v34, v20, v15
	v_fma_f32 v18, -v18, v32, v22
	v_fmac_f32_e32 v35, v30, v23
	v_fma_f32 v19, -v26, v36, v33
	s_mov_b32 vcc_lo, s0
	v_fma_f32 v12, -v12, v34, v28
	v_div_fmas_f32 v18, v18, v25, v32
	v_fma_f32 v13, -v13, v35, v31
	v_fmac_f32_e32 v36, v19, v29
	s_mov_b32 vcc_lo, s1
	s_mov_b32 s0, 0xbcc30c31
	v_div_fmas_f32 v12, v12, v15, v34
	s_mov_b32 vcc_lo, s2
	v_fma_f32 v15, -v26, v36, v33
	v_div_fmas_f32 v13, v13, v23, v35
	s_mov_b32 vcc_lo, s3
	v_add_f32_e32 v1, v3, v1
	v_div_fixup_f32 v3, v8, v6, 1.0
	v_div_fmas_f32 v15, v15, v29, v36
	v_div_fixup_f32 v9, v13, v9, 1.0
	v_add_f32_e32 v1, v1, v3
	v_div_fixup_f32 v13, v15, v16, 1.0
	v_fmaak_f32 v15, s0, v9, 0x3d088889
	v_div_fixup_f32 v3, v11, v10, 1.0
	v_add_f32_e32 v13, 1.0, v13
	v_fma_f32 v15, -v9, v15, 0x3e2aaaab
	v_add_f32_e32 v1, v1, v3
	v_div_fixup_f32 v3, v14, v17, 1.0
	v_fmac_f32_e32 v13, v9, v15
	v_add_f32_e32 v1, v1, v3
	v_div_fixup_f32 v3, v18, v21, 1.0
	v_div_scale_f32 v9, null, v27, v27, v13
	v_div_scale_f32 v6, vcc_lo, v13, v27, v13
	v_add_f32_e32 v1, v1, v3
	v_rcp_f32_e32 v15, v9
	v_div_fixup_f32 v3, v12, v5, 1.0
	v_add_f32_e32 v1, v1, v3
	v_fma_f32 v7, -v9, v15, 1.0
	v_fmac_f32_e32 v15, v7, v15
	v_mul_f32_e32 v7, v6, v15
	v_fma_f32 v8, -v9, v7, v6
	v_fmac_f32_e32 v7, v8, v15
	v_fma_f32 v6, -v9, v7, v6
	v_div_fmas_f32 v5, v6, v15, v7
	v_div_fixup_f32 v3, v5, v27, v13
	v_add_f32_e32 v1, v1, v3
	v_mul_f32_e32 v1, v2, v1
	global_store_dword v0, v1, s[4:5]
	s_or_b32 exec_lo, exec_lo, s30
	v_cmp_gt_i32_e32 vcc_lo, s27, v4
	s_and_saveexec_b32 s27, vcc_lo
	s_cbranch_execz .LBB55_136
.LBB55_152:
	s_andn2_b32 vcc_lo, exec_lo, s24
	s_cbranch_vccnz .LBB55_157
; %bb.153:
	s_andn2_b32 vcc_lo, exec_lo, s29
	s_cbranch_vccnz .LBB55_158
; %bb.154:
	s_add_i32 s28, s28, 1
	s_cmp_eq_u32 s23, 2
	s_cbranch_scc1 .LBB55_159
; %bb.155:
	v_mov_b32_e32 v2, 0
	v_mov_b32_e32 v0, 0
	;; [unrolled: 1-line block ×3, first 2 shown]
	s_and_b32 s2, s28, 28
	s_mov_b32 s3, 0
	s_mov_b64 s[0:1], s[16:17]
.LBB55_156:                             ; =>This Inner Loop Header: Depth=1
	s_clause 0x1
	s_load_dwordx8 s[36:43], s[0:1], 0x4
	s_load_dwordx4 s[52:55], s[0:1], 0x24
	s_load_dwordx8 s[44:51], s[20:21], 0x0
	s_add_u32 s0, s0, 48
	s_addc_u32 s1, s1, 0
	s_add_i32 s3, s3, 4
	s_add_u32 s20, s20, 32
	s_addc_u32 s21, s21, 0
	s_cmp_eq_u32 s2, s3
	s_waitcnt lgkmcnt(0)
	v_mul_hi_u32 v3, s37, v1
	v_add_nc_u32_e32 v3, v1, v3
	v_lshrrev_b32_e32 v3, s38, v3
	v_mul_hi_u32 v5, s40, v3
	v_mul_lo_u32 v7, v3, s36
	v_add_nc_u32_e32 v5, v3, v5
	v_sub_nc_u32_e32 v1, v1, v7
	v_lshrrev_b32_e32 v5, s41, v5
	v_mul_lo_u32 v7, v1, s44
	v_mul_lo_u32 v9, v1, s45
	v_mul_hi_u32 v6, s43, v5
	v_add_nc_u32_e32 v6, v5, v6
	v_lshrrev_b32_e32 v6, s52, v6
	v_mul_hi_u32 v8, s54, v6
	v_mul_lo_u32 v10, v6, s42
	v_add_nc_u32_e32 v1, v6, v8
	v_mul_lo_u32 v8, v5, s39
	v_sub_nc_u32_e32 v5, v5, v10
	v_lshrrev_b32_e32 v1, s55, v1
	v_mul_lo_u32 v10, v5, s48
	v_mul_lo_u32 v5, v5, s49
	v_sub_nc_u32_e32 v3, v3, v8
	v_mul_lo_u32 v11, v1, s53
	v_mul_lo_u32 v8, v3, s46
	;; [unrolled: 1-line block ×3, first 2 shown]
	v_sub_nc_u32_e32 v6, v6, v11
	v_add3_u32 v0, v7, v0, v8
	v_mul_lo_u32 v11, v6, s50
	v_mul_lo_u32 v6, v6, s51
	v_add3_u32 v2, v9, v2, v3
	v_add3_u32 v0, v10, v0, v11
	;; [unrolled: 1-line block ×3, first 2 shown]
	s_cbranch_scc0 .LBB55_156
	s_branch .LBB55_160
.LBB55_157:
                                        ; implicit-def: $vgpr0
                                        ; implicit-def: $vgpr2
	s_branch .LBB55_164
.LBB55_158:
	v_mov_b32_e32 v0, 0
	v_mov_b32_e32 v2, 0
	s_branch .LBB55_163
.LBB55_159:
	v_mov_b32_e32 v0, 0
	v_mov_b32_e32 v2, 0
	;; [unrolled: 1-line block ×3, first 2 shown]
	s_mov_b32 s2, 0
.LBB55_160:
	s_and_b32 s20, s28, 3
	s_cmp_eq_u32 s20, 0
	s_cbranch_scc1 .LBB55_163
; %bb.161:
	s_lshl_b32 s0, s2, 3
	s_mul_i32 s2, s2, 12
	s_add_u32 s0, s16, s0
	s_addc_u32 s1, s17, 0
	s_add_u32 s0, s0, 0xc4
	s_addc_u32 s1, s1, 0
	;; [unrolled: 2-line block ×3, first 2 shown]
	.p2align	6
.LBB55_162:                             ; =>This Inner Loop Header: Depth=1
	s_clause 0x1
	s_load_dwordx2 s[28:29], s[2:3], 0x4
	s_load_dword s21, s[2:3], 0xc
	s_load_dwordx2 s[30:31], s[0:1], 0x0
	s_add_u32 s2, s2, 12
	s_addc_u32 s3, s3, 0
	s_add_u32 s0, s0, 8
	s_addc_u32 s1, s1, 0
	s_add_i32 s20, s20, -1
	s_cmp_lg_u32 s20, 0
	s_waitcnt lgkmcnt(0)
	v_mul_hi_u32 v3, s29, v1
	v_add_nc_u32_e32 v3, v1, v3
	v_lshrrev_b32_e32 v5, s21, v3
	v_mul_lo_u32 v3, v5, s28
	v_sub_nc_u32_e32 v3, v1, v3
	v_mad_u64_u32 v[0:1], null, v3, s30, v[0:1]
	v_mad_u64_u32 v[2:3], null, v3, s31, v[2:3]
	v_mov_b32_e32 v1, v5
	s_cbranch_scc1 .LBB55_162
.LBB55_163:
	s_cbranch_execnz .LBB55_166
.LBB55_164:
	s_waitcnt lgkmcnt(0)
	v_mul_hi_u32 v0, s13, v4
	s_andn2_b32 vcc_lo, exec_lo, s26
	v_add_nc_u32_e32 v0, v4, v0
	v_lshrrev_b32_e32 v1, s14, v0
	v_mul_lo_u32 v0, v1, s12
	v_sub_nc_u32_e32 v2, v4, v0
	v_mul_lo_u32 v0, v2, s8
	v_mul_lo_u32 v2, v2, s9
	s_cbranch_vccnz .LBB55_166
; %bb.165:
	v_mul_hi_u32 v3, s18, v1
	v_add_nc_u32_e32 v3, v1, v3
	v_lshrrev_b32_e32 v3, s19, v3
	v_mul_lo_u32 v3, v3, s15
	v_sub_nc_u32_e32 v3, v1, v3
	v_mad_u64_u32 v[0:1], null, v3, s10, v[0:1]
	v_mad_u64_u32 v[2:3], null, v3, s11, v[2:3]
.LBB55_166:
	s_waitcnt lgkmcnt(0)
	global_load_dword v1, v2, s[6:7]
	v_mov_b32_e32 v3, 0
	v_mov_b32_e32 v2, 1.0
	s_mov_b32 s2, exec_lo
	s_waitcnt vmcnt(0)
	v_cmpx_gt_f32_e32 0.5, v1
	s_cbranch_execz .LBB55_172
; %bb.167:
	v_mul_f32_e32 v2, 0x40490fdb, v1
                                        ; implicit-def: $vgpr5
                                        ; implicit-def: $vgpr4
	s_mov_b32 s1, exec_lo
	v_and_b32_e32 v3, 0x7fffffff, v2
	v_cmpx_ngt_f32_e64 0x48000000, |v2|
	s_xor_b32 s3, exec_lo, s1
	s_cbranch_execz .LBB55_169
; %bb.168:
	s_mov_b32 s0, 0x7fffff
	v_mov_b32_e32 v6, 0
	v_and_or_b32 v13, v3, s0, 0x800000
	v_lshrrev_b32_e32 v11, 23, v3
	v_mad_u64_u32 v[4:5], null, 0xfe5163ab, v13, 0
	v_add_nc_u32_e32 v12, 0xffffff88, v11
	v_cmp_lt_u32_e32 vcc_lo, 63, v12
	v_mad_u64_u32 v[7:8], null, 0x3c439041, v13, v[5:6]
	v_cndmask_b32_e64 v14, 0, 0xffffffc0, vcc_lo
	v_mov_b32_e32 v5, v8
	v_add_nc_u32_e32 v14, v14, v12
	v_mad_u64_u32 v[8:9], null, 0xdb629599, v13, v[5:6]
	v_cmp_lt_u32_e64 s0, 31, v14
	v_cndmask_b32_e64 v15, 0, 0xffffffe0, s0
	v_mov_b32_e32 v5, v9
	v_cndmask_b32_e32 v4, v8, v4, vcc_lo
	v_mad_u64_u32 v[9:10], null, 0xf534ddc0, v13, v[5:6]
	v_mov_b32_e32 v5, v10
	v_cndmask_b32_e32 v7, v9, v7, vcc_lo
	v_mad_u64_u32 v[10:11], null, 0xfc2757d1, v13, v[5:6]
	v_cndmask_b32_e64 v4, v7, v4, s0
	v_mov_b32_e32 v5, v11
	v_mad_u64_u32 v[11:12], null, 0x4e441529, v13, v[5:6]
	v_mov_b32_e32 v5, v12
	v_add_nc_u32_e32 v12, v15, v14
	v_cndmask_b32_e32 v14, v11, v9, vcc_lo
	v_mad_u64_u32 v[5:6], null, 0xa2f9836e, v13, v[5:6]
	v_cmp_lt_u32_e64 s1, 31, v12
	v_cndmask_b32_e64 v13, 0, 0xffffffe0, s1
	v_cndmask_b32_e32 v5, v5, v10, vcc_lo
	v_cndmask_b32_e32 v6, v6, v11, vcc_lo
	;; [unrolled: 1-line block ×3, first 2 shown]
	v_add_nc_u32_e32 v11, v13, v12
	v_cndmask_b32_e64 v9, v5, v14, s0
	v_cndmask_b32_e64 v5, v6, v5, s0
	;; [unrolled: 1-line block ×4, first 2 shown]
	v_sub_nc_u32_e32 v12, 32, v11
	v_cmp_eq_u32_e32 vcc_lo, 0, v11
	v_cndmask_b32_e64 v5, v5, v9, s1
	v_cndmask_b32_e64 v9, v9, v6, s1
	;; [unrolled: 1-line block ×4, first 2 shown]
	v_alignbit_b32 v13, v5, v9, v12
	v_alignbit_b32 v8, v9, v6, v12
	;; [unrolled: 1-line block ×3, first 2 shown]
	v_cndmask_b32_e32 v5, v13, v5, vcc_lo
	v_cndmask_b32_e32 v7, v8, v9, vcc_lo
	;; [unrolled: 1-line block ×3, first 2 shown]
	v_bfe_u32 v8, v5, 29, 1
	v_alignbit_b32 v9, v5, v7, 30
	v_alignbit_b32 v7, v7, v6, 30
	;; [unrolled: 1-line block ×3, first 2 shown]
	v_sub_nc_u32_e32 v10, 0, v8
	v_xor_b32_e32 v9, v9, v10
	v_xor_b32_e32 v6, v7, v10
	;; [unrolled: 1-line block ×3, first 2 shown]
	v_lshrrev_b32_e32 v10, 29, v5
	v_lshrrev_b32_e32 v5, 30, v5
	v_ffbh_u32_e32 v11, v9
	v_add_nc_u32_e32 v5, v8, v5
	v_min_u32_e32 v11, 32, v11
	v_sub_nc_u32_e32 v7, 31, v11
	v_lshlrev_b32_e32 v12, 23, v11
	v_alignbit_b32 v9, v9, v6, v7
	v_alignbit_b32 v4, v6, v4, v7
	v_lshlrev_b32_e32 v6, 31, v10
	v_alignbit_b32 v7, v9, v4, 9
	v_or_b32_e32 v10, 0.5, v6
	v_lshrrev_b32_e32 v9, 9, v9
	v_or_b32_e32 v6, 0x33000000, v6
	v_ffbh_u32_e32 v13, v7
	v_sub_nc_u32_e32 v10, v10, v12
	v_min_u32_e32 v12, 32, v13
	v_or_b32_e32 v9, v9, v10
	v_not_b32_e32 v10, v12
	v_mul_f32_e32 v13, 0x3fc90fda, v9
	v_add_lshl_u32 v11, v12, v11, 23
	v_alignbit_b32 v4, v7, v4, v10
	v_fma_f32 v7, 0x3fc90fda, v9, -v13
	v_sub_nc_u32_e32 v6, v6, v11
	v_lshrrev_b32_e32 v4, 9, v4
	v_fmamk_f32 v7, v9, 0x33a22168, v7
	v_or_b32_e32 v4, v6, v4
	v_fmac_f32_e32 v7, 0x3fc90fda, v4
	v_add_f32_e32 v4, v13, v7
.LBB55_169:
	s_andn2_saveexec_b32 s0, s3
; %bb.170:
	v_mul_f32_e64 v4, 0x3f22f983, |v2|
	v_rndne_f32_e32 v5, v4
	v_fma_f32 v4, 0xbfc90fda, v5, |v2|
	v_fmamk_f32 v4, v5, 0xb3a22168, v4
	v_fmamk_f32 v4, v5, 0xa7c234c4, v4
	v_cvt_i32_f32_e32 v5, v5
; %bb.171:
	s_or_b32 exec_lo, exec_lo, s0
	v_mul_f32_e32 v6, v4, v4
	s_mov_b32 s0, 0xb94c1982
	s_mov_b32 s1, 0x37d75334
	v_and_b32_e32 v9, 1, v5
	v_lshlrev_b32_e32 v5, 30, v5
	v_fmaak_f32 v7, s0, v6, 0x3c0881c4
	v_fmaak_f32 v8, s1, v6, 0xbab64f3b
	v_xor_b32_e32 v3, v3, v2
	v_cmp_eq_u32_e32 vcc_lo, 0, v9
	v_and_b32_e32 v5, 0x80000000, v5
	v_fmaak_f32 v7, v6, v7, 0xbe2aaa9d
	v_fmaak_f32 v8, v6, v8, 0x3d2aabf7
	v_sub_f32_e32 v1, 1.0, v1
	v_mul_f32_e32 v7, v6, v7
	v_fmaak_f32 v8, v6, v8, 0xbf000004
	v_fmac_f32_e32 v4, v4, v7
	v_fma_f32 v6, v6, v8, 1.0
	v_cndmask_b32_e32 v4, v6, v4, vcc_lo
	v_cmp_class_f32_e64 vcc_lo, v2, 0x1f8
	v_xor3_b32 v3, v3, v5, v4
	v_cndmask_b32_e32 v2, 0x7fc00000, v3, vcc_lo
	v_mul_f32_e32 v2, v2, v2
	v_div_scale_f32 v3, null, v2, v2, 0xc11de9e7
	v_div_scale_f32 v6, vcc_lo, 0xc11de9e7, v2, 0xc11de9e7
	v_rcp_f32_e32 v4, v3
	v_fma_f32 v5, -v3, v4, 1.0
	v_fmac_f32_e32 v4, v5, v4
	v_mul_f32_e32 v5, v6, v4
	v_fma_f32 v7, -v3, v5, v6
	v_fmac_f32_e32 v5, v7, v4
	v_fma_f32 v3, -v3, v5, v6
	v_div_fmas_f32 v3, v3, v4, v5
	v_div_fixup_f32 v2, v3, v2, 0xc11de9e7
	v_add_f32_e32 v3, 0, v2
	v_mov_b32_e32 v2, -1.0
.LBB55_172:
	s_or_b32 exec_lo, exec_lo, s2
	v_add_f32_e32 v4, 1.0, v1
	v_mul_f32_e32 v1, v1, v1
	v_mul_f32_e32 v5, v4, v4
	v_add_f32_e32 v4, 1.0, v4
	v_div_scale_f32 v6, null, v1, v1, 1.0
	v_div_scale_f32 v8, vcc_lo, 1.0, v1, 1.0
	v_mul_f32_e32 v9, v4, v4
	v_div_scale_f32 v7, null, v5, v5, 1.0
	v_rcp_f32_e32 v10, v6
	v_div_scale_f32 v13, s0, 1.0, v5, 1.0
	v_div_scale_f32 v12, null, v9, v9, 1.0
	v_rcp_f32_e32 v11, v7
	v_add_f32_e32 v4, 1.0, v4
	v_div_scale_f32 v14, s1, 1.0, v9, 1.0
	v_rcp_f32_e32 v15, v12
	v_fma_f32 v17, -v6, v10, 1.0
	v_mul_f32_e32 v16, v4, v4
	v_add_f32_e32 v4, 1.0, v4
	v_fma_f32 v18, -v7, v11, 1.0
	v_fmac_f32_e32 v10, v17, v10
	v_mul_f32_e32 v20, v4, v4
	v_add_f32_e32 v4, 1.0, v4
	v_fma_f32 v17, -v12, v15, 1.0
	v_fmac_f32_e32 v11, v18, v11
	v_mul_f32_e32 v21, v8, v10
	v_div_scale_f32 v19, null, v16, v16, 1.0
	v_fmac_f32_e32 v15, v17, v15
	v_mul_f32_e32 v22, v13, v11
	v_fma_f32 v23, -v6, v21, v8
	v_add_f32_e32 v26, 1.0, v4
	v_rcp_f32_e32 v18, v19
	v_mul_f32_e32 v25, v14, v15
	v_fma_f32 v24, -v7, v22, v13
	v_fmac_f32_e32 v21, v23, v10
	v_mul_f32_e32 v4, v4, v4
	v_div_scale_f32 v17, null, v20, v20, 1.0
	v_fma_f32 v23, -v12, v25, v14
	v_fmac_f32_e32 v22, v24, v11
	v_fma_f32 v6, -v6, v21, v8
	v_mul_f32_e32 v8, v26, v26
	v_rcp_f32_e32 v24, v17
	v_fmac_f32_e32 v25, v23, v15
	v_fma_f32 v7, -v7, v22, v13
	v_div_fmas_f32 v6, v6, v10, v21
	s_mov_b32 vcc_lo, s0
	v_fma_f32 v27, -v19, v18, 1.0
	v_fma_f32 v10, -v12, v25, v14
	v_div_fmas_f32 v7, v7, v11, v22
	s_mov_b32 vcc_lo, s1
	v_div_scale_f32 v11, null, v4, v4, 1.0
	v_div_fmas_f32 v10, v10, v15, v25
	v_div_scale_f32 v12, null, v8, v8, 1.0
	v_add_f32_e32 v15, v26, v26
	v_rcp_f32_e32 v14, v11
	v_fmac_f32_e32 v18, v27, v18
	v_rcp_f32_e32 v22, v12
	v_div_scale_f32 v13, vcc_lo, 1.0, v16, 1.0
	v_div_scale_f32 v25, null, v15, v15, 1.0
	v_fma_f32 v21, -v17, v24, 1.0
	v_mul_f32_e32 v23, v13, v18
	v_div_fixup_f32 v1, v6, v1, 1.0
	v_rcp_f32_e32 v28, v25
	v_fma_f32 v27, -v11, v14, 1.0
	v_fmac_f32_e32 v24, v21, v24
	v_div_scale_f32 v21, s0, 1.0, v20, 1.0
	v_fma_f32 v30, -v12, v22, 1.0
	v_fma_f32 v29, -v19, v23, v13
	v_fmac_f32_e32 v14, v27, v14
	v_div_scale_f32 v27, s1, 1.0, v4, 1.0
	v_mul_f32_e32 v31, v21, v24
	v_fmac_f32_e32 v22, v30, v22
	v_div_scale_f32 v30, s2, 1.0, v8, 1.0
	v_fma_f32 v32, -v25, v28, 1.0
	v_fmac_f32_e32 v23, v29, v18
	v_mul_f32_e32 v33, v27, v14
	v_fma_f32 v29, -v17, v31, v21
	v_mul_f32_e32 v34, v30, v22
	v_fmac_f32_e32 v28, v32, v28
	v_div_scale_f32 v32, s3, 1.0, v15, 1.0
	v_fma_f32 v13, -v19, v23, v13
	v_fma_f32 v19, -v11, v33, v27
	v_fmac_f32_e32 v31, v29, v24
	v_fma_f32 v29, -v12, v34, v30
	v_mul_f32_e32 v35, v32, v28
	v_div_fmas_f32 v13, v13, v18, v23
	v_fmac_f32_e32 v33, v19, v14
	v_fma_f32 v17, -v17, v31, v21
	v_fmac_f32_e32 v34, v29, v22
	v_fma_f32 v18, -v25, v35, v32
	s_mov_b32 vcc_lo, s0
	v_fma_f32 v11, -v11, v33, v27
	v_div_fmas_f32 v17, v17, v24, v31
	v_fma_f32 v12, -v12, v34, v30
	v_fmac_f32_e32 v35, v18, v28
	s_mov_b32 vcc_lo, s1
	s_mov_b32 s0, 0xbcc30c31
	v_div_fmas_f32 v11, v11, v14, v33
	s_mov_b32 vcc_lo, s2
	v_fma_f32 v14, -v25, v35, v32
	v_div_fmas_f32 v12, v12, v22, v34
	s_mov_b32 vcc_lo, s3
	v_add_f32_e32 v1, v3, v1
	v_div_fixup_f32 v3, v7, v5, 1.0
	v_div_fmas_f32 v14, v14, v28, v35
	v_div_fixup_f32 v8, v12, v8, 1.0
	v_add_f32_e32 v1, v1, v3
	v_div_fixup_f32 v12, v14, v15, 1.0
	v_fmaak_f32 v14, s0, v8, 0x3d088889
	v_div_fixup_f32 v3, v10, v9, 1.0
	v_add_f32_e32 v12, 1.0, v12
	v_fma_f32 v14, -v8, v14, 0x3e2aaaab
	v_add_f32_e32 v1, v1, v3
	v_div_fixup_f32 v3, v13, v16, 1.0
	v_fmac_f32_e32 v12, v8, v14
	v_add_f32_e32 v1, v1, v3
	v_div_fixup_f32 v3, v17, v20, 1.0
	v_div_scale_f32 v8, null, v26, v26, v12
	v_div_scale_f32 v5, vcc_lo, v12, v26, v12
	v_add_f32_e32 v1, v1, v3
	v_rcp_f32_e32 v14, v8
	v_div_fixup_f32 v3, v11, v4, 1.0
	v_add_f32_e32 v1, v1, v3
	v_fma_f32 v6, -v8, v14, 1.0
	v_fmac_f32_e32 v14, v6, v14
	v_mul_f32_e32 v6, v5, v14
	v_fma_f32 v7, -v8, v6, v5
	v_fmac_f32_e32 v6, v7, v14
	v_fma_f32 v5, -v8, v6, v5
	v_div_fmas_f32 v4, v5, v14, v6
	v_div_fixup_f32 v3, v4, v26, v12
	v_add_f32_e32 v1, v1, v3
	v_mul_f32_e32 v1, v2, v1
	global_store_dword v0, v1, s[4:5]
	s_or_b32 exec_lo, exec_lo, s27
                                        ; implicit-def: $vgpr10
                                        ; implicit-def: $vgpr4
	s_andn2_saveexec_b32 s0, s25
	s_cbranch_execz .LBB55_137
	s_branch .LBB55_8
	.section	.rodata,"a",@progbits
	.p2align	6, 0x0
	.amdhsa_kernel _ZN2at6native32elementwise_kernel_manual_unrollILi128ELi4EZNS0_22gpu_kernel_impl_nocastIZZZNS0_20trigamma_kernel_cudaERNS_18TensorIteratorBaseEENKUlvE_clEvENKUlvE0_clEvEUlfE_EEvS4_RKT_EUlibE_EEviT1_
		.amdhsa_group_segment_fixed_size 0
		.amdhsa_private_segment_fixed_size 0
		.amdhsa_kernarg_size 360
		.amdhsa_user_sgpr_count 6
		.amdhsa_user_sgpr_private_segment_buffer 1
		.amdhsa_user_sgpr_dispatch_ptr 0
		.amdhsa_user_sgpr_queue_ptr 0
		.amdhsa_user_sgpr_kernarg_segment_ptr 1
		.amdhsa_user_sgpr_dispatch_id 0
		.amdhsa_user_sgpr_flat_scratch_init 0
		.amdhsa_user_sgpr_private_segment_size 0
		.amdhsa_wavefront_size32 1
		.amdhsa_uses_dynamic_stack 0
		.amdhsa_system_sgpr_private_segment_wavefront_offset 0
		.amdhsa_system_sgpr_workgroup_id_x 1
		.amdhsa_system_sgpr_workgroup_id_y 0
		.amdhsa_system_sgpr_workgroup_id_z 0
		.amdhsa_system_sgpr_workgroup_info 0
		.amdhsa_system_vgpr_workitem_id 0
		.amdhsa_next_free_vgpr 78
		.amdhsa_next_free_sgpr 56
		.amdhsa_reserve_vcc 1
		.amdhsa_reserve_flat_scratch 0
		.amdhsa_float_round_mode_32 0
		.amdhsa_float_round_mode_16_64 0
		.amdhsa_float_denorm_mode_32 3
		.amdhsa_float_denorm_mode_16_64 3
		.amdhsa_dx10_clamp 1
		.amdhsa_ieee_mode 1
		.amdhsa_fp16_overflow 0
		.amdhsa_workgroup_processor_mode 1
		.amdhsa_memory_ordered 1
		.amdhsa_forward_progress 1
		.amdhsa_shared_vgpr_count 0
		.amdhsa_exception_fp_ieee_invalid_op 0
		.amdhsa_exception_fp_denorm_src 0
		.amdhsa_exception_fp_ieee_div_zero 0
		.amdhsa_exception_fp_ieee_overflow 0
		.amdhsa_exception_fp_ieee_underflow 0
		.amdhsa_exception_fp_ieee_inexact 0
		.amdhsa_exception_int_div_zero 0
	.end_amdhsa_kernel
	.section	.text._ZN2at6native32elementwise_kernel_manual_unrollILi128ELi4EZNS0_22gpu_kernel_impl_nocastIZZZNS0_20trigamma_kernel_cudaERNS_18TensorIteratorBaseEENKUlvE_clEvENKUlvE0_clEvEUlfE_EEvS4_RKT_EUlibE_EEviT1_,"axG",@progbits,_ZN2at6native32elementwise_kernel_manual_unrollILi128ELi4EZNS0_22gpu_kernel_impl_nocastIZZZNS0_20trigamma_kernel_cudaERNS_18TensorIteratorBaseEENKUlvE_clEvENKUlvE0_clEvEUlfE_EEvS4_RKT_EUlibE_EEviT1_,comdat
.Lfunc_end55:
	.size	_ZN2at6native32elementwise_kernel_manual_unrollILi128ELi4EZNS0_22gpu_kernel_impl_nocastIZZZNS0_20trigamma_kernel_cudaERNS_18TensorIteratorBaseEENKUlvE_clEvENKUlvE0_clEvEUlfE_EEvS4_RKT_EUlibE_EEviT1_, .Lfunc_end55-_ZN2at6native32elementwise_kernel_manual_unrollILi128ELi4EZNS0_22gpu_kernel_impl_nocastIZZZNS0_20trigamma_kernel_cudaERNS_18TensorIteratorBaseEENKUlvE_clEvENKUlvE0_clEvEUlfE_EEvS4_RKT_EUlibE_EEviT1_
                                        ; -- End function
	.set _ZN2at6native32elementwise_kernel_manual_unrollILi128ELi4EZNS0_22gpu_kernel_impl_nocastIZZZNS0_20trigamma_kernel_cudaERNS_18TensorIteratorBaseEENKUlvE_clEvENKUlvE0_clEvEUlfE_EEvS4_RKT_EUlibE_EEviT1_.num_vgpr, 78
	.set _ZN2at6native32elementwise_kernel_manual_unrollILi128ELi4EZNS0_22gpu_kernel_impl_nocastIZZZNS0_20trigamma_kernel_cudaERNS_18TensorIteratorBaseEENKUlvE_clEvENKUlvE0_clEvEUlfE_EEvS4_RKT_EUlibE_EEviT1_.num_agpr, 0
	.set _ZN2at6native32elementwise_kernel_manual_unrollILi128ELi4EZNS0_22gpu_kernel_impl_nocastIZZZNS0_20trigamma_kernel_cudaERNS_18TensorIteratorBaseEENKUlvE_clEvENKUlvE0_clEvEUlfE_EEvS4_RKT_EUlibE_EEviT1_.numbered_sgpr, 56
	.set _ZN2at6native32elementwise_kernel_manual_unrollILi128ELi4EZNS0_22gpu_kernel_impl_nocastIZZZNS0_20trigamma_kernel_cudaERNS_18TensorIteratorBaseEENKUlvE_clEvENKUlvE0_clEvEUlfE_EEvS4_RKT_EUlibE_EEviT1_.num_named_barrier, 0
	.set _ZN2at6native32elementwise_kernel_manual_unrollILi128ELi4EZNS0_22gpu_kernel_impl_nocastIZZZNS0_20trigamma_kernel_cudaERNS_18TensorIteratorBaseEENKUlvE_clEvENKUlvE0_clEvEUlfE_EEvS4_RKT_EUlibE_EEviT1_.private_seg_size, 0
	.set _ZN2at6native32elementwise_kernel_manual_unrollILi128ELi4EZNS0_22gpu_kernel_impl_nocastIZZZNS0_20trigamma_kernel_cudaERNS_18TensorIteratorBaseEENKUlvE_clEvENKUlvE0_clEvEUlfE_EEvS4_RKT_EUlibE_EEviT1_.uses_vcc, 1
	.set _ZN2at6native32elementwise_kernel_manual_unrollILi128ELi4EZNS0_22gpu_kernel_impl_nocastIZZZNS0_20trigamma_kernel_cudaERNS_18TensorIteratorBaseEENKUlvE_clEvENKUlvE0_clEvEUlfE_EEvS4_RKT_EUlibE_EEviT1_.uses_flat_scratch, 0
	.set _ZN2at6native32elementwise_kernel_manual_unrollILi128ELi4EZNS0_22gpu_kernel_impl_nocastIZZZNS0_20trigamma_kernel_cudaERNS_18TensorIteratorBaseEENKUlvE_clEvENKUlvE0_clEvEUlfE_EEvS4_RKT_EUlibE_EEviT1_.has_dyn_sized_stack, 0
	.set _ZN2at6native32elementwise_kernel_manual_unrollILi128ELi4EZNS0_22gpu_kernel_impl_nocastIZZZNS0_20trigamma_kernel_cudaERNS_18TensorIteratorBaseEENKUlvE_clEvENKUlvE0_clEvEUlfE_EEvS4_RKT_EUlibE_EEviT1_.has_recursion, 0
	.set _ZN2at6native32elementwise_kernel_manual_unrollILi128ELi4EZNS0_22gpu_kernel_impl_nocastIZZZNS0_20trigamma_kernel_cudaERNS_18TensorIteratorBaseEENKUlvE_clEvENKUlvE0_clEvEUlfE_EEvS4_RKT_EUlibE_EEviT1_.has_indirect_call, 0
	.section	.AMDGPU.csdata,"",@progbits
; Kernel info:
; codeLenInByte = 19748
; TotalNumSgprs: 58
; NumVgprs: 78
; ScratchSize: 0
; MemoryBound: 0
; FloatMode: 240
; IeeeMode: 1
; LDSByteSize: 0 bytes/workgroup (compile time only)
; SGPRBlocks: 0
; VGPRBlocks: 9
; NumSGPRsForWavesPerEU: 58
; NumVGPRsForWavesPerEU: 78
; Occupancy: 12
; WaveLimiterHint : 1
; COMPUTE_PGM_RSRC2:SCRATCH_EN: 0
; COMPUTE_PGM_RSRC2:USER_SGPR: 6
; COMPUTE_PGM_RSRC2:TRAP_HANDLER: 0
; COMPUTE_PGM_RSRC2:TGID_X_EN: 1
; COMPUTE_PGM_RSRC2:TGID_Y_EN: 0
; COMPUTE_PGM_RSRC2:TGID_Z_EN: 0
; COMPUTE_PGM_RSRC2:TIDIG_COMP_CNT: 0
	.section	.text._ZN2at6native32elementwise_kernel_manual_unrollILi128ELi4EZNS0_15gpu_kernel_implIZZZNS0_20trigamma_kernel_cudaERNS_18TensorIteratorBaseEENKUlvE_clEvENKUlvE0_clEvEUlfE_EEvS4_RKT_EUlibE_EEviT1_,"axG",@progbits,_ZN2at6native32elementwise_kernel_manual_unrollILi128ELi4EZNS0_15gpu_kernel_implIZZZNS0_20trigamma_kernel_cudaERNS_18TensorIteratorBaseEENKUlvE_clEvENKUlvE0_clEvEUlfE_EEvS4_RKT_EUlibE_EEviT1_,comdat
	.globl	_ZN2at6native32elementwise_kernel_manual_unrollILi128ELi4EZNS0_15gpu_kernel_implIZZZNS0_20trigamma_kernel_cudaERNS_18TensorIteratorBaseEENKUlvE_clEvENKUlvE0_clEvEUlfE_EEvS4_RKT_EUlibE_EEviT1_ ; -- Begin function _ZN2at6native32elementwise_kernel_manual_unrollILi128ELi4EZNS0_15gpu_kernel_implIZZZNS0_20trigamma_kernel_cudaERNS_18TensorIteratorBaseEENKUlvE_clEvENKUlvE0_clEvEUlfE_EEvS4_RKT_EUlibE_EEviT1_
	.p2align	8
	.type	_ZN2at6native32elementwise_kernel_manual_unrollILi128ELi4EZNS0_15gpu_kernel_implIZZZNS0_20trigamma_kernel_cudaERNS_18TensorIteratorBaseEENKUlvE_clEvENKUlvE0_clEvEUlfE_EEvS4_RKT_EUlibE_EEviT1_,@function
_ZN2at6native32elementwise_kernel_manual_unrollILi128ELi4EZNS0_15gpu_kernel_implIZZZNS0_20trigamma_kernel_cudaERNS_18TensorIteratorBaseEENKUlvE_clEvENKUlvE0_clEvEUlfE_EEvS4_RKT_EUlibE_EEviT1_: ; @_ZN2at6native32elementwise_kernel_manual_unrollILi128ELi4EZNS0_15gpu_kernel_implIZZZNS0_20trigamma_kernel_cudaERNS_18TensorIteratorBaseEENKUlvE_clEvENKUlvE0_clEvEUlfE_EEvS4_RKT_EUlibE_EEviT1_
; %bb.0:
	v_mov_b32_e32 v1, 0
	s_clause 0x2
	s_load_dword s15, s[4:5], 0x0
	s_load_dwordx2 s[12:13], s[4:5], 0x18
	s_load_dwordx4 s[8:11], s[4:5], 0x8
	v_lshl_or_b32 v4, s6, 9, v0
	s_mov_b32 s14, 0
	global_load_ushort v1, v1, s[4:5] offset:33
	s_mov_b32 s5, 0
	v_or_b32_e32 v0, 0x180, v4
	s_waitcnt vmcnt(0)
	v_readfirstlane_b32 s4, v1
	s_and_b32 s0, 0xffff, s4
	s_lshr_b32 s6, s0, 8
	s_mov_b32 s0, exec_lo
	s_waitcnt lgkmcnt(0)
	v_cmpx_le_i32_e64 s15, v0
	s_xor_b32 s7, exec_lo, s0
	s_cbranch_execz .LBB56_1055
; %bb.1:
	s_mov_b32 s1, -1
	s_mov_b32 s18, 0
	s_mov_b32 s16, 0
	s_mov_b32 s17, exec_lo
	v_cmpx_gt_i32_e64 s15, v4
	s_cbranch_execz .LBB56_258
; %bb.2:
	v_mul_lo_u32 v0, v4, s13
	s_and_b32 s0, 0xffff, s6
	s_cmp_lt_i32 s0, 11
	v_ashrrev_i32_e32 v1, 31, v0
	v_add_co_u32 v0, vcc_lo, s10, v0
	v_add_co_ci_u32_e64 v1, null, s11, v1, vcc_lo
	s_cbranch_scc1 .LBB56_9
; %bb.3:
	s_cmp_gt_i32 s0, 25
	s_cbranch_scc0 .LBB56_24
; %bb.4:
	s_cmp_gt_i32 s0, 28
	s_cbranch_scc0 .LBB56_27
	;; [unrolled: 3-line block ×4, first 2 shown]
; %bb.7:
	s_cmp_eq_u32 s0, 46
	s_mov_b32 s2, 0
	s_cbranch_scc0 .LBB56_33
; %bb.8:
	global_load_dword v2, v[0:1], off
	s_waitcnt vmcnt(0)
	v_lshlrev_b32_e32 v2, 16, v2
	s_branch .LBB56_35
.LBB56_9:
	s_mov_b32 s1, 0
                                        ; implicit-def: $vgpr2
	s_cbranch_execnz .LBB56_208
.LBB56_10:
	s_andn2_b32 vcc_lo, exec_lo, s1
	s_cbranch_vccnz .LBB56_255
.LBB56_11:
	v_mov_b32_e32 v0, 0
	v_mov_b32_e32 v3, 1.0
	s_mov_b32 s2, exec_lo
	s_waitcnt vmcnt(0)
	v_cmpx_gt_f32_e32 0.5, v2
	s_cbranch_execz .LBB56_17
; %bb.12:
	v_mul_f32_e32 v0, 0x40490fdb, v2
                                        ; implicit-def: $vgpr5
                                        ; implicit-def: $vgpr3
	s_mov_b32 s1, exec_lo
	v_and_b32_e32 v1, 0x7fffffff, v0
	v_cmpx_ngt_f32_e64 0x48000000, |v0|
	s_xor_b32 s3, exec_lo, s1
	s_cbranch_execz .LBB56_14
; %bb.13:
	s_mov_b32 s0, 0x7fffff
	v_mov_b32_e32 v7, 0
	v_and_or_b32 v3, v1, s0, 0x800000
	v_lshrrev_b32_e32 v12, 23, v1
	v_mad_u64_u32 v[5:6], null, 0xfe5163ab, v3, 0
	v_add_nc_u32_e32 v13, 0xffffff88, v12
	v_cmp_lt_u32_e32 vcc_lo, 63, v13
	v_mad_u64_u32 v[8:9], null, 0x3c439041, v3, v[6:7]
	v_cndmask_b32_e64 v14, 0, 0xffffffc0, vcc_lo
	v_mov_b32_e32 v6, v9
	v_add_nc_u32_e32 v14, v14, v13
	v_mad_u64_u32 v[9:10], null, 0xdb629599, v3, v[6:7]
	v_cmp_lt_u32_e64 s0, 31, v14
	v_cndmask_b32_e64 v15, 0, 0xffffffe0, s0
	v_mov_b32_e32 v6, v10
	v_cndmask_b32_e32 v5, v9, v5, vcc_lo
	v_mad_u64_u32 v[10:11], null, 0xf534ddc0, v3, v[6:7]
	v_mov_b32_e32 v6, v11
	v_cndmask_b32_e32 v8, v10, v8, vcc_lo
	v_mad_u64_u32 v[11:12], null, 0xfc2757d1, v3, v[6:7]
	v_cndmask_b32_e64 v5, v8, v5, s0
	v_mov_b32_e32 v6, v12
	v_mad_u64_u32 v[12:13], null, 0x4e441529, v3, v[6:7]
	v_mov_b32_e32 v6, v13
	v_add_nc_u32_e32 v13, v15, v14
	v_cndmask_b32_e32 v14, v12, v10, vcc_lo
	v_mad_u64_u32 v[6:7], null, 0xa2f9836e, v3, v[6:7]
	v_cmp_lt_u32_e64 s1, 31, v13
	v_cndmask_b32_e64 v3, 0, 0xffffffe0, s1
	v_cndmask_b32_e32 v6, v6, v11, vcc_lo
	v_cndmask_b32_e32 v7, v7, v12, vcc_lo
	;; [unrolled: 1-line block ×3, first 2 shown]
	v_add_nc_u32_e32 v3, v3, v13
	v_cndmask_b32_e64 v10, v6, v14, s0
	v_cndmask_b32_e64 v6, v7, v6, s0
	;; [unrolled: 1-line block ×4, first 2 shown]
	v_sub_nc_u32_e32 v12, 32, v3
	v_cmp_eq_u32_e32 vcc_lo, 0, v3
	v_cndmask_b32_e64 v6, v6, v10, s1
	v_cndmask_b32_e64 v10, v10, v7, s1
	;; [unrolled: 1-line block ×4, first 2 shown]
	v_alignbit_b32 v13, v6, v10, v12
	v_alignbit_b32 v9, v10, v7, v12
	v_alignbit_b32 v11, v7, v5, v12
	v_cndmask_b32_e32 v3, v13, v6, vcc_lo
	v_cndmask_b32_e32 v6, v9, v10, vcc_lo
	;; [unrolled: 1-line block ×3, first 2 shown]
	v_bfe_u32 v8, v3, 29, 1
	v_alignbit_b32 v9, v3, v6, 30
	v_alignbit_b32 v6, v6, v7, 30
	;; [unrolled: 1-line block ×3, first 2 shown]
	v_sub_nc_u32_e32 v10, 0, v8
	v_xor_b32_e32 v9, v9, v10
	v_xor_b32_e32 v6, v6, v10
	v_xor_b32_e32 v5, v5, v10
	v_lshrrev_b32_e32 v10, 29, v3
	v_ffbh_u32_e32 v11, v9
	v_min_u32_e32 v11, 32, v11
	v_sub_nc_u32_e32 v7, 31, v11
	v_lshlrev_b32_e32 v12, 23, v11
	v_alignbit_b32 v9, v9, v6, v7
	v_alignbit_b32 v5, v6, v5, v7
	v_lshlrev_b32_e32 v6, 31, v10
	v_alignbit_b32 v7, v9, v5, 9
	v_or_b32_e32 v10, 0.5, v6
	v_lshrrev_b32_e32 v9, 9, v9
	v_or_b32_e32 v6, 0x33000000, v6
	v_ffbh_u32_e32 v13, v7
	v_sub_nc_u32_e32 v10, v10, v12
	v_min_u32_e32 v12, 32, v13
	v_or_b32_e32 v9, v9, v10
	v_not_b32_e32 v10, v12
	v_mul_f32_e32 v13, 0x3fc90fda, v9
	v_add_lshl_u32 v11, v12, v11, 23
	v_alignbit_b32 v5, v7, v5, v10
	v_fma_f32 v7, 0x3fc90fda, v9, -v13
	v_sub_nc_u32_e32 v6, v6, v11
	v_lshrrev_b32_e32 v5, 9, v5
	v_fmamk_f32 v7, v9, 0x33a22168, v7
	v_or_b32_e32 v5, v6, v5
	v_fmac_f32_e32 v7, 0x3fc90fda, v5
	v_lshrrev_b32_e32 v5, 30, v3
	v_add_f32_e32 v3, v13, v7
	v_add_nc_u32_e32 v5, v8, v5
.LBB56_14:
	s_andn2_saveexec_b32 s0, s3
; %bb.15:
	v_mul_f32_e64 v3, 0x3f22f983, |v0|
	v_rndne_f32_e32 v5, v3
	v_fma_f32 v3, 0xbfc90fda, v5, |v0|
	v_fmamk_f32 v3, v5, 0xb3a22168, v3
	v_fmamk_f32 v3, v5, 0xa7c234c4, v3
	v_cvt_i32_f32_e32 v5, v5
; %bb.16:
	s_or_b32 exec_lo, exec_lo, s0
	v_mul_f32_e32 v6, v3, v3
	s_mov_b32 s0, 0xb94c1982
	s_mov_b32 s1, 0x37d75334
	v_and_b32_e32 v9, 1, v5
	v_lshlrev_b32_e32 v5, 30, v5
	v_fmaak_f32 v7, s0, v6, 0x3c0881c4
	v_fmaak_f32 v8, s1, v6, 0xbab64f3b
	v_xor_b32_e32 v1, v1, v0
	v_cmp_eq_u32_e32 vcc_lo, 0, v9
	v_and_b32_e32 v5, 0x80000000, v5
	v_fmaak_f32 v7, v6, v7, 0xbe2aaa9d
	v_fmaak_f32 v8, v6, v8, 0x3d2aabf7
	v_sub_f32_e32 v2, 1.0, v2
	v_mul_f32_e32 v7, v6, v7
	v_fmaak_f32 v8, v6, v8, 0xbf000004
	v_fmac_f32_e32 v3, v3, v7
	v_fma_f32 v6, v6, v8, 1.0
	v_cndmask_b32_e32 v3, v6, v3, vcc_lo
	v_cmp_class_f32_e64 vcc_lo, v0, 0x1f8
	v_xor3_b32 v1, v1, v5, v3
	v_cndmask_b32_e32 v0, 0x7fc00000, v1, vcc_lo
	v_mul_f32_e32 v0, v0, v0
	v_div_scale_f32 v1, null, v0, v0, 0xc11de9e7
	v_div_scale_f32 v6, vcc_lo, 0xc11de9e7, v0, 0xc11de9e7
	v_rcp_f32_e32 v3, v1
	v_fma_f32 v5, -v1, v3, 1.0
	v_fmac_f32_e32 v3, v5, v3
	v_mul_f32_e32 v5, v6, v3
	v_fma_f32 v7, -v1, v5, v6
	v_fmac_f32_e32 v5, v7, v3
	v_fma_f32 v1, -v1, v5, v6
	v_div_fmas_f32 v1, v1, v3, v5
	v_mov_b32_e32 v3, -1.0
	v_div_fixup_f32 v0, v1, v0, 0xc11de9e7
	v_add_f32_e32 v0, 0, v0
.LBB56_17:
	s_or_b32 exec_lo, exec_lo, s2
	v_add_f32_e32 v1, 1.0, v2
	v_mul_f32_e32 v2, v2, v2
	v_mul_f32_e32 v5, v1, v1
	v_add_f32_e32 v1, 1.0, v1
	v_div_scale_f32 v6, null, v2, v2, 1.0
	v_div_scale_f32 v8, vcc_lo, 1.0, v2, 1.0
	v_mul_f32_e32 v9, v1, v1
	v_div_scale_f32 v7, null, v5, v5, 1.0
	v_rcp_f32_e32 v10, v6
	v_div_scale_f32 v13, s0, 1.0, v5, 1.0
	v_div_scale_f32 v12, null, v9, v9, 1.0
	v_rcp_f32_e32 v11, v7
	v_add_f32_e32 v1, 1.0, v1
	v_div_scale_f32 v14, s1, 1.0, v9, 1.0
	v_rcp_f32_e32 v15, v12
	v_fma_f32 v17, -v6, v10, 1.0
	v_mul_f32_e32 v16, v1, v1
	v_add_f32_e32 v1, 1.0, v1
	v_fma_f32 v18, -v7, v11, 1.0
	v_fmac_f32_e32 v10, v17, v10
	v_mul_f32_e32 v20, v1, v1
	v_add_f32_e32 v1, 1.0, v1
	v_fma_f32 v17, -v12, v15, 1.0
	v_fmac_f32_e32 v11, v18, v11
	v_mul_f32_e32 v21, v8, v10
	v_div_scale_f32 v19, null, v16, v16, 1.0
	v_fmac_f32_e32 v15, v17, v15
	v_mul_f32_e32 v22, v13, v11
	v_fma_f32 v23, -v6, v21, v8
	v_add_f32_e32 v26, 1.0, v1
	v_rcp_f32_e32 v18, v19
	v_mul_f32_e32 v25, v14, v15
	v_fma_f32 v24, -v7, v22, v13
	v_fmac_f32_e32 v21, v23, v10
	v_mul_f32_e32 v1, v1, v1
	v_div_scale_f32 v17, null, v20, v20, 1.0
	v_fma_f32 v23, -v12, v25, v14
	v_fmac_f32_e32 v22, v24, v11
	v_fma_f32 v6, -v6, v21, v8
	v_mul_f32_e32 v8, v26, v26
	v_rcp_f32_e32 v24, v17
	v_fmac_f32_e32 v25, v23, v15
	v_fma_f32 v7, -v7, v22, v13
	v_div_fmas_f32 v6, v6, v10, v21
	s_mov_b32 vcc_lo, s0
	v_fma_f32 v27, -v19, v18, 1.0
	v_fma_f32 v10, -v12, v25, v14
	v_div_fmas_f32 v7, v7, v11, v22
	s_mov_b32 vcc_lo, s1
	v_div_scale_f32 v11, null, v1, v1, 1.0
	v_div_fmas_f32 v10, v10, v15, v25
	v_div_scale_f32 v12, null, v8, v8, 1.0
	v_add_f32_e32 v15, v26, v26
	v_rcp_f32_e32 v14, v11
	v_fmac_f32_e32 v18, v27, v18
	v_rcp_f32_e32 v22, v12
	v_div_scale_f32 v13, vcc_lo, 1.0, v16, 1.0
	v_div_scale_f32 v25, null, v15, v15, 1.0
	v_fma_f32 v21, -v17, v24, 1.0
	v_mul_f32_e32 v23, v13, v18
	v_div_fixup_f32 v2, v6, v2, 1.0
	v_rcp_f32_e32 v28, v25
	v_fma_f32 v27, -v11, v14, 1.0
	v_fmac_f32_e32 v24, v21, v24
	v_div_scale_f32 v21, s0, 1.0, v20, 1.0
	v_fma_f32 v30, -v12, v22, 1.0
	v_fma_f32 v29, -v19, v23, v13
	v_fmac_f32_e32 v14, v27, v14
	v_div_scale_f32 v27, s1, 1.0, v1, 1.0
	v_mul_f32_e32 v31, v21, v24
	v_fmac_f32_e32 v22, v30, v22
	v_div_scale_f32 v30, s2, 1.0, v8, 1.0
	v_fma_f32 v32, -v25, v28, 1.0
	v_fmac_f32_e32 v23, v29, v18
	v_mul_f32_e32 v33, v27, v14
	v_fma_f32 v29, -v17, v31, v21
	v_mul_f32_e32 v34, v30, v22
	v_fmac_f32_e32 v28, v32, v28
	v_div_scale_f32 v32, s3, 1.0, v15, 1.0
	v_fma_f32 v13, -v19, v23, v13
	v_fma_f32 v19, -v11, v33, v27
	v_fmac_f32_e32 v31, v29, v24
	v_fma_f32 v29, -v12, v34, v30
	v_mul_f32_e32 v35, v32, v28
	v_div_fmas_f32 v13, v13, v18, v23
	v_fmac_f32_e32 v33, v19, v14
	v_fma_f32 v17, -v17, v31, v21
	v_fmac_f32_e32 v34, v29, v22
	v_fma_f32 v18, -v25, v35, v32
	s_mov_b32 vcc_lo, s0
	v_fma_f32 v11, -v11, v33, v27
	v_div_fmas_f32 v17, v17, v24, v31
	v_fma_f32 v12, -v12, v34, v30
	v_fmac_f32_e32 v35, v18, v28
	s_mov_b32 vcc_lo, s1
	s_mov_b32 s0, 0xbcc30c31
	v_div_fmas_f32 v11, v11, v14, v33
	s_mov_b32 vcc_lo, s2
	v_fma_f32 v14, -v25, v35, v32
	v_div_fmas_f32 v12, v12, v22, v34
	s_mov_b32 vcc_lo, s3
	v_add_f32_e32 v0, v0, v2
	v_div_fixup_f32 v2, v7, v5, 1.0
	v_div_fmas_f32 v14, v14, v28, v35
	v_div_fixup_f32 v8, v12, v8, 1.0
	v_div_fixup_f32 v1, v11, v1, 1.0
	s_and_b32 s1, s4, 0xff
	v_add_f32_e32 v0, v0, v2
	v_div_fixup_f32 v12, v14, v15, 1.0
	v_fmaak_f32 v14, s0, v8, 0x3d088889
	v_div_fixup_f32 v2, v10, v9, 1.0
	s_cmp_lt_i32 s1, 11
	v_add_f32_e32 v12, 1.0, v12
	v_fma_f32 v14, -v8, v14, 0x3e2aaaab
	v_add_f32_e32 v0, v0, v2
	v_div_fixup_f32 v2, v13, v16, 1.0
	v_fmac_f32_e32 v12, v8, v14
	v_add_f32_e32 v0, v0, v2
	v_div_fixup_f32 v2, v17, v20, 1.0
	v_div_scale_f32 v8, null, v26, v26, v12
	v_div_scale_f32 v5, vcc_lo, v12, v26, v12
	v_add_f32_e32 v0, v0, v2
	v_rcp_f32_e32 v14, v8
	v_add_f32_e32 v0, v0, v1
	v_fma_f32 v6, -v8, v14, 1.0
	v_fmac_f32_e32 v14, v6, v14
	v_mul_f32_e32 v6, v5, v14
	v_fma_f32 v7, -v8, v6, v5
	v_fmac_f32_e32 v6, v7, v14
	v_fma_f32 v5, -v8, v6, v5
	v_div_fmas_f32 v2, v5, v14, v6
	v_mul_lo_u32 v5, v4, s12
	v_div_fixup_f32 v1, v2, v26, v12
	v_ashrrev_i32_e32 v2, 31, v5
	v_add_f32_e32 v6, v0, v1
	v_add_co_u32 v0, vcc_lo, s8, v5
	v_add_co_ci_u32_e64 v1, null, s9, v2, vcc_lo
	v_mul_f32_e32 v2, v3, v6
	s_cbranch_scc1 .LBB56_25
; %bb.18:
	s_and_b32 s2, 0xffff, s1
	s_cmp_gt_i32 s2, 25
	s_cbranch_scc0 .LBB56_28
; %bb.19:
	s_cmp_gt_i32 s2, 28
	s_cbranch_scc0 .LBB56_30
; %bb.20:
	;; [unrolled: 3-line block ×4, first 2 shown]
	s_mov_b32 s0, -1
	s_cmp_eq_u32 s2, 46
	s_mov_b32 s3, 0
	s_cbranch_scc0 .LBB56_39
; %bb.23:
	v_bfe_u32 v3, v2, 16, 1
	v_cmp_o_f32_e32 vcc_lo, v2, v2
	v_mov_b32_e32 v5, 0x7fc0
	s_mov_b32 s3, -1
	s_mov_b32 s0, 0
	v_add3_u32 v3, v2, v3, 0x7fff
	v_cndmask_b32_sdwa v3, v5, v3, vcc_lo dst_sel:DWORD dst_unused:UNUSED_PAD src0_sel:DWORD src1_sel:WORD_1
	global_store_dword v[0:1], v3, off
	s_branch .LBB56_39
.LBB56_24:
	s_mov_b32 s1, 0
                                        ; implicit-def: $vgpr2
	s_cbranch_execnz .LBB56_173
	s_branch .LBB56_207
.LBB56_25:
	s_mov_b32 s0, 0
	s_mov_b32 s3, 0
	s_cbranch_execnz .LBB56_108
.LBB56_26:
	s_andn2_b32 vcc_lo, exec_lo, s3
	s_cbranch_vccnz .LBB56_256
	s_branch .LBB56_146
.LBB56_27:
	s_mov_b32 s2, -1
	s_mov_b32 s1, 0
                                        ; implicit-def: $vgpr2
	s_branch .LBB56_154
.LBB56_28:
	s_mov_b32 s14, -1
	s_mov_b32 s0, 0
	s_mov_b32 s3, 0
	s_branch .LBB56_66
.LBB56_29:
	s_mov_b32 s2, -1
	s_mov_b32 s1, 0
                                        ; implicit-def: $vgpr2
	s_branch .LBB56_149
.LBB56_30:
	s_mov_b32 s14, -1
	s_mov_b32 s0, 0
	s_mov_b32 s3, 0
	s_branch .LBB56_49
.LBB56_31:
	s_mov_b32 s2, -1
	s_branch .LBB56_34
.LBB56_32:
	s_mov_b32 s14, -1
	s_mov_b32 s0, 0
	s_mov_b32 s3, 0
	s_branch .LBB56_45
.LBB56_33:
	s_mov_b32 s16, -1
.LBB56_34:
	s_mov_b32 s1, 0
                                        ; implicit-def: $vgpr2
.LBB56_35:
	s_and_b32 vcc_lo, exec_lo, s2
	s_cbranch_vccz .LBB56_148
; %bb.36:
	s_cmp_eq_u32 s0, 44
	s_cbranch_scc0 .LBB56_147
; %bb.37:
	global_load_ubyte v2, v[0:1], off
	s_mov_b32 s16, 0
	s_mov_b32 s1, -1
	s_waitcnt vmcnt(0)
	v_lshlrev_b32_e32 v3, 23, v2
	v_cmp_ne_u32_e32 vcc_lo, 0xff, v2
	v_cndmask_b32_e32 v3, 0x7f800001, v3, vcc_lo
	v_cmp_ne_u32_e32 vcc_lo, 0, v2
	v_cndmask_b32_e32 v2, 0x400000, v3, vcc_lo
	s_branch .LBB56_148
.LBB56_38:
	s_mov_b32 s14, -1
	s_mov_b32 s0, 0
	s_mov_b32 s3, 0
.LBB56_39:
	s_and_b32 vcc_lo, exec_lo, s14
	s_cbranch_vccz .LBB56_44
; %bb.40:
	s_cmp_eq_u32 s2, 44
	s_mov_b32 s0, -1
	s_cbranch_scc0 .LBB56_44
; %bb.41:
	v_bfe_u32 v5, v2, 23, 8
	v_mov_b32_e32 v3, 0xff
	s_mov_b32 s3, exec_lo
	v_cmpx_ne_u32_e32 0xff, v5
	s_cbranch_execz .LBB56_43
; %bb.42:
	v_and_b32_e32 v3, 0x400000, v2
	v_and_or_b32 v5, 0x3fffff, v2, v5
	v_cmp_ne_u32_e32 vcc_lo, 0, v3
	v_cmp_ne_u32_e64 s0, 0, v5
	v_lshrrev_b32_e32 v3, 23, v2
	s_and_b32 s0, vcc_lo, s0
	v_cndmask_b32_e64 v5, 0, 1, s0
	v_add_nc_u32_e32 v3, v3, v5
.LBB56_43:
	s_or_b32 exec_lo, exec_lo, s3
	s_mov_b32 s3, -1
	s_mov_b32 s0, 0
	global_store_byte v[0:1], v3, off
.LBB56_44:
	s_mov_b32 s14, 0
.LBB56_45:
	s_and_b32 vcc_lo, exec_lo, s14
	s_cbranch_vccz .LBB56_48
; %bb.46:
	s_cmp_eq_u32 s2, 29
	s_mov_b32 s0, -1
	s_cbranch_scc0 .LBB56_48
; %bb.47:
	v_trunc_f32_e32 v3, v2
	s_mov_b32 s3, -1
	s_mov_b32 s0, 0
	s_mov_b32 s14, 0
	v_mul_f32_e32 v5, 0x2f800000, v3
	v_floor_f32_e32 v5, v5
	v_fmamk_f32 v3, v5, 0xcf800000, v3
	v_cvt_u32_f32_e32 v6, v5
	v_cvt_u32_f32_e32 v5, v3
	global_store_dwordx2 v[0:1], v[5:6], off
	s_branch .LBB56_49
.LBB56_48:
	s_mov_b32 s14, 0
.LBB56_49:
	s_and_b32 vcc_lo, exec_lo, s14
	s_cbranch_vccz .LBB56_65
; %bb.50:
	s_cmp_lt_i32 s2, 27
	s_mov_b32 s3, -1
	s_cbranch_scc1 .LBB56_56
; %bb.51:
	v_cvt_u32_f32_e32 v3, v2
	s_cmp_gt_i32 s2, 27
	s_cbranch_scc0 .LBB56_53
; %bb.52:
	s_mov_b32 s3, 0
	global_store_dword v[0:1], v3, off
.LBB56_53:
	s_andn2_b32 vcc_lo, exec_lo, s3
	s_cbranch_vccnz .LBB56_55
; %bb.54:
	global_store_short v[0:1], v3, off
.LBB56_55:
	s_mov_b32 s3, 0
.LBB56_56:
	s_andn2_b32 vcc_lo, exec_lo, s3
	s_cbranch_vccnz .LBB56_64
; %bb.57:
	v_and_b32_e32 v3, 0x7fffffff, v2
	v_mov_b32_e32 v5, 0x80
	s_mov_b32 s3, exec_lo
	v_cmpx_gt_u32_e32 0x43800000, v3
	s_cbranch_execz .LBB56_63
; %bb.58:
	v_cmp_lt_u32_e32 vcc_lo, 0x3bffffff, v3
	s_mov_b32 s14, 0
                                        ; implicit-def: $vgpr3
	s_and_saveexec_b32 s19, vcc_lo
	s_xor_b32 s19, exec_lo, s19
	s_cbranch_execz .LBB56_291
; %bb.59:
	v_bfe_u32 v3, v2, 20, 1
	s_mov_b32 s14, exec_lo
	v_add3_u32 v3, v2, v3, 0x487ffff
	v_lshrrev_b32_e32 v3, 20, v3
	s_andn2_saveexec_b32 s19, s19
	s_cbranch_execnz .LBB56_292
.LBB56_60:
	s_or_b32 exec_lo, exec_lo, s19
	v_mov_b32_e32 v5, 0
	s_and_saveexec_b32 s19, s14
.LBB56_61:
	v_lshrrev_b32_e32 v5, 24, v2
	v_and_or_b32 v5, 0x80, v5, v3
.LBB56_62:
	s_or_b32 exec_lo, exec_lo, s19
.LBB56_63:
	s_or_b32 exec_lo, exec_lo, s3
	global_store_byte v[0:1], v5, off
.LBB56_64:
	s_mov_b32 s3, -1
.LBB56_65:
	s_mov_b32 s14, 0
.LBB56_66:
	s_and_b32 vcc_lo, exec_lo, s14
	s_cbranch_vccz .LBB56_107
; %bb.67:
	s_cmp_gt_i32 s2, 22
	s_mov_b32 s14, -1
	s_cbranch_scc0 .LBB56_99
; %bb.68:
	s_cmp_lt_i32 s2, 24
	s_mov_b32 s3, -1
	s_cbranch_scc1 .LBB56_88
; %bb.69:
	s_cmp_gt_i32 s2, 24
	s_cbranch_scc0 .LBB56_77
; %bb.70:
	v_and_b32_e32 v3, 0x7fffffff, v2
	v_mov_b32_e32 v5, 0x80
	s_mov_b32 s3, exec_lo
	v_cmpx_gt_u32_e32 0x47800000, v3
	s_cbranch_execz .LBB56_76
; %bb.71:
	v_cmp_lt_u32_e32 vcc_lo, 0x37ffffff, v3
	s_mov_b32 s14, 0
                                        ; implicit-def: $vgpr3
	s_and_saveexec_b32 s19, vcc_lo
	s_xor_b32 s19, exec_lo, s19
	s_cbranch_execz .LBB56_295
; %bb.72:
	v_bfe_u32 v3, v2, 21, 1
	s_mov_b32 s14, exec_lo
	v_add3_u32 v3, v2, v3, 0x88fffff
	v_lshrrev_b32_e32 v3, 21, v3
	s_andn2_saveexec_b32 s19, s19
	s_cbranch_execnz .LBB56_296
.LBB56_73:
	s_or_b32 exec_lo, exec_lo, s19
	v_mov_b32_e32 v5, 0
	s_and_saveexec_b32 s19, s14
.LBB56_74:
	v_lshrrev_b32_e32 v5, 24, v2
	v_and_or_b32 v5, 0x80, v5, v3
.LBB56_75:
	s_or_b32 exec_lo, exec_lo, s19
.LBB56_76:
	s_or_b32 exec_lo, exec_lo, s3
	s_mov_b32 s3, 0
	global_store_byte v[0:1], v5, off
.LBB56_77:
	s_and_b32 vcc_lo, exec_lo, s3
	s_cbranch_vccz .LBB56_87
; %bb.78:
	v_and_b32_e32 v5, 0x7fffffff, v2
	s_mov_b32 s3, exec_lo
                                        ; implicit-def: $vgpr3
	v_cmpx_gt_u32_e32 0x43f00000, v5
	s_xor_b32 s3, exec_lo, s3
	s_cbranch_execz .LBB56_84
; %bb.79:
	s_mov_b32 s14, exec_lo
                                        ; implicit-def: $vgpr3
	v_cmpx_lt_u32_e32 0x3c7fffff, v5
	s_xor_b32 s14, exec_lo, s14
; %bb.80:
	v_bfe_u32 v3, v2, 20, 1
	v_add3_u32 v3, v2, v3, 0x407ffff
	v_and_b32_e32 v5, 0xff00000, v3
	v_lshrrev_b32_e32 v3, 20, v3
	v_cmp_ne_u32_e32 vcc_lo, 0x7f00000, v5
	v_cndmask_b32_e32 v3, 0x7e, v3, vcc_lo
; %bb.81:
	s_andn2_saveexec_b32 s14, s14
; %bb.82:
	v_add_f32_e64 v3, 0x46800000, |v2|
; %bb.83:
	s_or_b32 exec_lo, exec_lo, s14
                                        ; implicit-def: $vgpr5
.LBB56_84:
	s_andn2_saveexec_b32 s3, s3
; %bb.85:
	v_mov_b32_e32 v3, 0x7f
	v_cmp_lt_u32_e32 vcc_lo, 0x7f800000, v5
	v_cndmask_b32_e32 v3, 0x7e, v3, vcc_lo
; %bb.86:
	s_or_b32 exec_lo, exec_lo, s3
	v_lshrrev_b32_e32 v5, 24, v2
	v_and_or_b32 v3, 0x80, v5, v3
	global_store_byte v[0:1], v3, off
.LBB56_87:
	s_mov_b32 s3, 0
.LBB56_88:
	s_andn2_b32 vcc_lo, exec_lo, s3
	s_cbranch_vccnz .LBB56_98
; %bb.89:
	v_and_b32_e32 v5, 0x7fffffff, v2
	s_mov_b32 s3, exec_lo
                                        ; implicit-def: $vgpr3
	v_cmpx_gt_u32_e32 0x47800000, v5
	s_xor_b32 s3, exec_lo, s3
	s_cbranch_execz .LBB56_95
; %bb.90:
	s_mov_b32 s14, exec_lo
                                        ; implicit-def: $vgpr3
	v_cmpx_lt_u32_e32 0x387fffff, v5
	s_xor_b32 s14, exec_lo, s14
; %bb.91:
	v_bfe_u32 v3, v2, 21, 1
	v_add3_u32 v3, v2, v3, 0x80fffff
	v_lshrrev_b32_e32 v3, 21, v3
; %bb.92:
	s_andn2_saveexec_b32 s14, s14
; %bb.93:
	v_add_f32_e64 v3, 0x43000000, |v2|
; %bb.94:
	s_or_b32 exec_lo, exec_lo, s14
                                        ; implicit-def: $vgpr5
.LBB56_95:
	s_andn2_saveexec_b32 s3, s3
; %bb.96:
	v_mov_b32_e32 v3, 0x7f
	v_cmp_lt_u32_e32 vcc_lo, 0x7f800000, v5
	v_cndmask_b32_e32 v3, 0x7c, v3, vcc_lo
; %bb.97:
	s_or_b32 exec_lo, exec_lo, s3
	v_lshrrev_b32_e32 v5, 24, v2
	v_and_or_b32 v3, 0x80, v5, v3
	global_store_byte v[0:1], v3, off
.LBB56_98:
	s_mov_b32 s14, 0
	s_mov_b32 s3, -1
.LBB56_99:
	s_andn2_b32 vcc_lo, exec_lo, s14
	s_cbranch_vccnz .LBB56_107
; %bb.100:
	s_cmp_gt_i32 s2, 14
	s_mov_b32 s14, -1
	s_cbranch_scc0 .LBB56_104
; %bb.101:
	s_cmp_eq_u32 s2, 15
	s_mov_b32 s0, -1
	s_cbranch_scc0 .LBB56_103
; %bb.102:
	v_bfe_u32 v3, v2, 16, 1
	v_cmp_o_f32_e32 vcc_lo, v2, v2
	v_mov_b32_e32 v5, 0x7fc0
	s_mov_b32 s3, -1
	s_mov_b32 s0, 0
	v_add3_u32 v3, v2, v3, 0x7fff
	v_cndmask_b32_sdwa v3, v5, v3, vcc_lo dst_sel:DWORD dst_unused:UNUSED_PAD src0_sel:DWORD src1_sel:WORD_1
	global_store_short v[0:1], v3, off
.LBB56_103:
	s_mov_b32 s14, 0
.LBB56_104:
	s_and_b32 vcc_lo, exec_lo, s14
	s_cbranch_vccz .LBB56_107
; %bb.105:
	s_cmp_eq_u32 s2, 11
	s_mov_b32 s0, -1
	s_cbranch_scc0 .LBB56_107
; %bb.106:
	v_cmp_neq_f32_e32 vcc_lo, 0, v2
	s_mov_b32 s0, 0
	s_mov_b32 s3, -1
	v_cndmask_b32_e64 v3, 0, 1, vcc_lo
	global_store_byte v[0:1], v3, off
.LBB56_107:
	s_branch .LBB56_26
.LBB56_108:
	s_and_b32 s1, 0xffff, s1
	s_mov_b32 s2, -1
	s_cmp_lt_i32 s1, 5
	s_cbranch_scc1 .LBB56_129
; %bb.109:
	s_cmp_lt_i32 s1, 8
	s_cbranch_scc1 .LBB56_119
; %bb.110:
	s_cmp_lt_i32 s1, 9
	s_cbranch_scc1 .LBB56_116
; %bb.111:
	s_cmp_gt_i32 s1, 9
	s_cbranch_scc0 .LBB56_113
; %bb.112:
	v_cvt_f64_f32_e32 v[5:6], v2
	v_mov_b32_e32 v7, 0
	s_mov_b32 s2, 0
	v_mov_b32_e32 v8, v7
	global_store_dwordx4 v[0:1], v[5:8], off
.LBB56_113:
	s_andn2_b32 vcc_lo, exec_lo, s2
	s_cbranch_vccnz .LBB56_115
; %bb.114:
	v_mov_b32_e32 v3, 0
	global_store_dwordx2 v[0:1], v[2:3], off
.LBB56_115:
	s_mov_b32 s2, 0
.LBB56_116:
	s_andn2_b32 vcc_lo, exec_lo, s2
	s_cbranch_vccnz .LBB56_118
; %bb.117:
	v_cvt_f16_f32_e32 v3, v2
	v_and_b32_e32 v3, 0xffff, v3
	global_store_dword v[0:1], v3, off
.LBB56_118:
	s_mov_b32 s2, 0
.LBB56_119:
	s_andn2_b32 vcc_lo, exec_lo, s2
	s_cbranch_vccnz .LBB56_128
; %bb.120:
	s_cmp_lt_i32 s1, 6
	s_mov_b32 s2, -1
	s_cbranch_scc1 .LBB56_126
; %bb.121:
	s_cmp_gt_i32 s1, 6
	s_cbranch_scc0 .LBB56_123
; %bb.122:
	v_cvt_f64_f32_e32 v[5:6], v2
	s_mov_b32 s2, 0
	global_store_dwordx2 v[0:1], v[5:6], off
.LBB56_123:
	s_andn2_b32 vcc_lo, exec_lo, s2
	s_cbranch_vccnz .LBB56_125
; %bb.124:
	global_store_dword v[0:1], v2, off
.LBB56_125:
	s_mov_b32 s2, 0
.LBB56_126:
	s_andn2_b32 vcc_lo, exec_lo, s2
	s_cbranch_vccnz .LBB56_128
; %bb.127:
	v_cvt_f16_f32_e32 v3, v2
	global_store_short v[0:1], v3, off
.LBB56_128:
	s_mov_b32 s2, 0
.LBB56_129:
	s_andn2_b32 vcc_lo, exec_lo, s2
	s_cbranch_vccnz .LBB56_145
; %bb.130:
	s_cmp_lt_i32 s1, 2
	s_mov_b32 s2, -1
	s_cbranch_scc1 .LBB56_140
; %bb.131:
	s_cmp_lt_i32 s1, 3
	s_cbranch_scc1 .LBB56_137
; %bb.132:
	s_cmp_gt_i32 s1, 3
	s_cbranch_scc0 .LBB56_134
; %bb.133:
	v_trunc_f32_e32 v3, v2
	s_mov_b32 s2, 0
	v_mul_f32_e64 v5, 0x2f800000, |v3|
	v_floor_f32_e32 v5, v5
	v_fma_f32 v6, 0xcf800000, v5, |v3|
	v_ashrrev_i32_e32 v3, 31, v3
	v_cvt_u32_f32_e32 v5, v5
	v_cvt_u32_f32_e32 v6, v6
	v_xor_b32_e32 v7, v5, v3
	v_xor_b32_e32 v6, v6, v3
	v_sub_co_u32 v5, vcc_lo, v6, v3
	v_sub_co_ci_u32_e64 v6, null, v7, v3, vcc_lo
	global_store_dwordx2 v[0:1], v[5:6], off
.LBB56_134:
	s_andn2_b32 vcc_lo, exec_lo, s2
	s_cbranch_vccnz .LBB56_136
; %bb.135:
	v_cvt_i32_f32_e32 v3, v2
	global_store_dword v[0:1], v3, off
.LBB56_136:
	s_mov_b32 s2, 0
.LBB56_137:
	s_andn2_b32 vcc_lo, exec_lo, s2
	s_cbranch_vccnz .LBB56_139
; %bb.138:
	v_cvt_i32_f32_e32 v3, v2
	global_store_short v[0:1], v3, off
.LBB56_139:
	s_mov_b32 s2, 0
.LBB56_140:
	s_andn2_b32 vcc_lo, exec_lo, s2
	s_cbranch_vccnz .LBB56_145
; %bb.141:
	s_cmp_gt_i32 s1, 0
	s_mov_b32 s1, -1
	s_cbranch_scc0 .LBB56_143
; %bb.142:
	v_cvt_i32_f32_e32 v3, v2
	s_mov_b32 s1, 0
	global_store_byte v[0:1], v3, off
.LBB56_143:
	s_andn2_b32 vcc_lo, exec_lo, s1
	s_cbranch_vccnz .LBB56_145
; %bb.144:
	v_trunc_f32_e32 v2, v2
	v_mul_f32_e64 v3, 0x2f800000, |v2|
	v_floor_f32_e32 v3, v3
	v_fma_f32 v3, 0xcf800000, v3, |v2|
	v_ashrrev_i32_e32 v2, 31, v2
	v_cvt_u32_f32_e32 v3, v3
	v_xor_b32_e32 v3, v3, v2
	v_sub_nc_u32_e32 v2, v3, v2
	global_store_byte v[0:1], v2, off
.LBB56_145:
.LBB56_146:
	v_add_nc_u32_e32 v4, 0x80, v4
	s_mov_b32 s1, -1
	s_branch .LBB56_257
.LBB56_147:
	s_mov_b32 s16, -1
                                        ; implicit-def: $vgpr2
.LBB56_148:
	s_mov_b32 s2, 0
.LBB56_149:
	s_and_b32 vcc_lo, exec_lo, s2
	s_cbranch_vccz .LBB56_153
; %bb.150:
	s_cmp_eq_u32 s0, 29
	s_cbranch_scc0 .LBB56_152
; %bb.151:
	global_load_dwordx2 v[2:3], v[0:1], off
	s_mov_b32 s1, -1
	s_mov_b32 s16, 0
	s_mov_b32 s2, 0
	s_waitcnt vmcnt(0)
	v_ffbh_u32_e32 v5, v3
	v_min_u32_e32 v5, 32, v5
	v_lshlrev_b64 v[2:3], v5, v[2:3]
	v_min_u32_e32 v2, 1, v2
	v_or_b32_e32 v2, v3, v2
	v_sub_nc_u32_e32 v3, 32, v5
	v_cvt_f32_u32_e32 v2, v2
	v_ldexp_f32 v2, v2, v3
	s_branch .LBB56_154
.LBB56_152:
	s_mov_b32 s16, -1
                                        ; implicit-def: $vgpr2
.LBB56_153:
	s_mov_b32 s2, 0
.LBB56_154:
	s_and_b32 vcc_lo, exec_lo, s2
	s_cbranch_vccz .LBB56_172
; %bb.155:
	s_cmp_lt_i32 s0, 27
	s_cbranch_scc1 .LBB56_158
; %bb.156:
	s_cmp_gt_i32 s0, 27
	s_cbranch_scc0 .LBB56_159
; %bb.157:
	global_load_dword v2, v[0:1], off
	s_mov_b32 s1, 0
	s_waitcnt vmcnt(0)
	v_cvt_f32_u32_e32 v2, v2
	s_branch .LBB56_160
.LBB56_158:
	s_mov_b32 s1, -1
                                        ; implicit-def: $vgpr2
	s_branch .LBB56_163
.LBB56_159:
	s_mov_b32 s1, -1
                                        ; implicit-def: $vgpr2
.LBB56_160:
	s_andn2_b32 vcc_lo, exec_lo, s1
	s_cbranch_vccnz .LBB56_162
; %bb.161:
	global_load_ushort v2, v[0:1], off
	s_waitcnt vmcnt(0)
	v_cvt_f32_u32_e32 v2, v2
.LBB56_162:
	s_mov_b32 s1, 0
.LBB56_163:
	s_andn2_b32 vcc_lo, exec_lo, s1
	s_cbranch_vccnz .LBB56_171
; %bb.164:
	global_load_ubyte v3, v[0:1], off
	s_mov_b32 s1, 0
	s_mov_b32 s2, exec_lo
	s_waitcnt vmcnt(0)
	v_cmpx_lt_i16_e32 0x7f, v3
	s_xor_b32 s2, exec_lo, s2
	s_cbranch_execz .LBB56_184
; %bb.165:
	s_mov_b32 s1, -1
	s_mov_b32 s3, exec_lo
	v_cmpx_eq_u16_e32 0x80, v3
; %bb.166:
	s_xor_b32 s1, exec_lo, -1
; %bb.167:
	s_or_b32 exec_lo, exec_lo, s3
	s_and_b32 s1, s1, exec_lo
	s_or_saveexec_b32 s2, s2
	v_mov_b32_e32 v2, 0x7f800001
	s_xor_b32 exec_lo, exec_lo, s2
	s_cbranch_execnz .LBB56_185
.LBB56_168:
	s_or_b32 exec_lo, exec_lo, s2
	s_and_saveexec_b32 s2, s1
	s_cbranch_execz .LBB56_170
.LBB56_169:
	v_and_b32_e32 v2, 0xffff, v3
	v_lshlrev_b32_e32 v3, 24, v3
	v_and_b32_e32 v5, 7, v2
	v_bfe_u32 v8, v2, 3, 4
	v_and_b32_e32 v3, 0x80000000, v3
	v_ffbh_u32_e32 v6, v5
	v_cmp_eq_u32_e32 vcc_lo, 0, v8
	v_min_u32_e32 v6, 32, v6
	v_subrev_nc_u32_e32 v7, 28, v6
	v_sub_nc_u32_e32 v6, 29, v6
	v_lshlrev_b32_e32 v2, v7, v2
	v_cndmask_b32_e32 v6, v8, v6, vcc_lo
	v_and_b32_e32 v2, 7, v2
	v_cndmask_b32_e32 v2, v5, v2, vcc_lo
	v_lshl_add_u32 v5, v6, 23, 0x3b800000
	v_lshlrev_b32_e32 v2, 20, v2
	v_or3_b32 v2, v3, v5, v2
.LBB56_170:
	s_or_b32 exec_lo, exec_lo, s2
.LBB56_171:
	s_mov_b32 s1, -1
.LBB56_172:
	s_branch .LBB56_207
.LBB56_173:
	s_cmp_gt_i32 s0, 22
	s_cbranch_scc0 .LBB56_183
; %bb.174:
	s_cmp_lt_i32 s0, 24
	s_cbranch_scc1 .LBB56_186
; %bb.175:
	s_cmp_gt_i32 s0, 24
	s_cbranch_scc0 .LBB56_187
; %bb.176:
	global_load_ubyte v3, v[0:1], off
	s_mov_b32 s1, 0
	s_mov_b32 s2, exec_lo
	s_waitcnt vmcnt(0)
	v_cmpx_lt_i16_e32 0x7f, v3
	s_xor_b32 s2, exec_lo, s2
	s_cbranch_execz .LBB56_199
; %bb.177:
	s_mov_b32 s1, -1
	s_mov_b32 s3, exec_lo
	v_cmpx_eq_u16_e32 0x80, v3
; %bb.178:
	s_xor_b32 s1, exec_lo, -1
; %bb.179:
	s_or_b32 exec_lo, exec_lo, s3
	s_and_b32 s1, s1, exec_lo
	s_or_saveexec_b32 s2, s2
	v_mov_b32_e32 v2, 0x7f800001
	s_xor_b32 exec_lo, exec_lo, s2
	s_cbranch_execnz .LBB56_200
.LBB56_180:
	s_or_b32 exec_lo, exec_lo, s2
	s_and_saveexec_b32 s2, s1
	s_cbranch_execz .LBB56_182
.LBB56_181:
	v_and_b32_e32 v2, 0xffff, v3
	v_lshlrev_b32_e32 v3, 24, v3
	v_and_b32_e32 v5, 3, v2
	v_bfe_u32 v8, v2, 2, 5
	v_and_b32_e32 v3, 0x80000000, v3
	v_ffbh_u32_e32 v6, v5
	v_cmp_eq_u32_e32 vcc_lo, 0, v8
	v_min_u32_e32 v6, 32, v6
	v_subrev_nc_u32_e32 v7, 29, v6
	v_sub_nc_u32_e32 v6, 30, v6
	v_lshlrev_b32_e32 v2, v7, v2
	v_cndmask_b32_e32 v6, v8, v6, vcc_lo
	v_and_b32_e32 v2, 3, v2
	v_cndmask_b32_e32 v2, v5, v2, vcc_lo
	v_lshl_add_u32 v5, v6, 23, 0x37800000
	v_lshlrev_b32_e32 v2, 21, v2
	v_or3_b32 v2, v3, v5, v2
.LBB56_182:
	s_or_b32 exec_lo, exec_lo, s2
	s_mov_b32 s1, 0
	s_branch .LBB56_188
.LBB56_183:
	s_mov_b32 s2, -1
                                        ; implicit-def: $vgpr2
	s_branch .LBB56_194
.LBB56_184:
	s_or_saveexec_b32 s2, s2
	v_mov_b32_e32 v2, 0x7f800001
	s_xor_b32 exec_lo, exec_lo, s2
	s_cbranch_execz .LBB56_168
.LBB56_185:
	v_cmp_ne_u16_e32 vcc_lo, 0, v3
	v_mov_b32_e32 v2, 0
	s_andn2_b32 s1, s1, exec_lo
	s_and_b32 s3, vcc_lo, exec_lo
	s_or_b32 s1, s1, s3
	s_or_b32 exec_lo, exec_lo, s2
	s_and_saveexec_b32 s2, s1
	s_cbranch_execnz .LBB56_169
	s_branch .LBB56_170
.LBB56_186:
	s_mov_b32 s1, -1
                                        ; implicit-def: $vgpr2
	s_branch .LBB56_191
.LBB56_187:
	s_mov_b32 s1, -1
                                        ; implicit-def: $vgpr2
.LBB56_188:
	s_and_b32 vcc_lo, exec_lo, s1
	s_cbranch_vccz .LBB56_190
; %bb.189:
	global_load_ubyte v2, v[0:1], off
	s_waitcnt vmcnt(0)
	v_lshlrev_b32_e32 v2, 24, v2
	v_and_b32_e32 v3, 0x7f000000, v2
	v_ffbh_u32_e32 v5, v3
	v_add_nc_u32_e32 v7, 0x1000000, v3
	v_cmp_ne_u32_e32 vcc_lo, 0, v3
	v_min_u32_e32 v5, 32, v5
	v_sub_nc_u32_e64 v5, v5, 4 clamp
	v_lshlrev_b32_e32 v6, v5, v3
	v_lshlrev_b32_e32 v5, 23, v5
	v_lshrrev_b32_e32 v6, 4, v6
	v_sub_nc_u32_e32 v5, v6, v5
	v_ashrrev_i32_e32 v6, 8, v7
	v_add_nc_u32_e32 v5, 0x3c000000, v5
	v_and_or_b32 v5, 0x7f800000, v6, v5
	v_cndmask_b32_e32 v3, 0, v5, vcc_lo
	v_and_or_b32 v2, 0x80000000, v2, v3
.LBB56_190:
	s_mov_b32 s1, 0
.LBB56_191:
	s_andn2_b32 vcc_lo, exec_lo, s1
	s_cbranch_vccnz .LBB56_193
; %bb.192:
	global_load_ubyte v2, v[0:1], off
	s_waitcnt vmcnt(0)
	v_lshlrev_b32_e32 v3, 25, v2
	v_lshlrev_b16 v2, 8, v2
	v_lshrrev_b32_e32 v5, 4, v3
	v_and_or_b32 v6, 0x7f00, v2, 0.5
	v_cmp_gt_u32_e32 vcc_lo, 0x8000000, v3
	v_bfe_i32 v2, v2, 0, 16
	v_or_b32_e32 v5, 0x70000000, v5
	v_add_f32_e32 v6, -0.5, v6
	v_mul_f32_e32 v5, 0x7800000, v5
	v_cndmask_b32_e32 v3, v5, v6, vcc_lo
	v_and_or_b32 v2, 0x80000000, v2, v3
.LBB56_193:
	s_mov_b32 s2, 0
	s_mov_b32 s1, -1
.LBB56_194:
	s_andn2_b32 vcc_lo, exec_lo, s2
	s_cbranch_vccnz .LBB56_207
; %bb.195:
	s_cmp_gt_i32 s0, 14
	s_cbranch_scc0 .LBB56_198
; %bb.196:
	s_cmp_eq_u32 s0, 15
	s_cbranch_scc0 .LBB56_201
; %bb.197:
	global_load_ushort v2, v[0:1], off
	s_mov_b32 s1, -1
	s_mov_b32 s16, 0
	s_waitcnt vmcnt(0)
	v_lshlrev_b32_e32 v2, 16, v2
	s_branch .LBB56_202
.LBB56_198:
	s_mov_b32 s2, -1
                                        ; implicit-def: $vgpr2
	s_branch .LBB56_203
.LBB56_199:
	s_or_saveexec_b32 s2, s2
	v_mov_b32_e32 v2, 0x7f800001
	s_xor_b32 exec_lo, exec_lo, s2
	s_cbranch_execz .LBB56_180
.LBB56_200:
	v_cmp_ne_u16_e32 vcc_lo, 0, v3
	v_mov_b32_e32 v2, 0
	s_andn2_b32 s1, s1, exec_lo
	s_and_b32 s3, vcc_lo, exec_lo
	s_or_b32 s1, s1, s3
	s_or_b32 exec_lo, exec_lo, s2
	s_and_saveexec_b32 s2, s1
	s_cbranch_execnz .LBB56_181
	s_branch .LBB56_182
.LBB56_201:
	s_mov_b32 s16, -1
                                        ; implicit-def: $vgpr2
.LBB56_202:
	s_mov_b32 s2, 0
.LBB56_203:
	s_and_b32 vcc_lo, exec_lo, s2
	s_cbranch_vccz .LBB56_207
; %bb.204:
	s_cmp_eq_u32 s0, 11
	s_cbranch_scc0 .LBB56_206
; %bb.205:
	global_load_ubyte v2, v[0:1], off
	s_mov_b32 s16, 0
	s_mov_b32 s1, -1
	s_waitcnt vmcnt(0)
	v_cmp_ne_u16_e32 vcc_lo, 0, v2
	v_cndmask_b32_e64 v2, 0, 1.0, vcc_lo
	s_branch .LBB56_207
.LBB56_206:
	s_mov_b32 s16, -1
                                        ; implicit-def: $vgpr2
.LBB56_207:
	s_branch .LBB56_10
.LBB56_208:
	s_cmp_lt_i32 s0, 5
	s_cbranch_scc1 .LBB56_213
; %bb.209:
	s_cmp_lt_i32 s0, 8
	s_cbranch_scc1 .LBB56_214
; %bb.210:
	;; [unrolled: 3-line block ×3, first 2 shown]
	s_cmp_gt_i32 s0, 9
	s_cbranch_scc0 .LBB56_216
; %bb.212:
	global_load_dwordx2 v[2:3], v[0:1], off
	s_mov_b32 s1, 0
	s_waitcnt vmcnt(0)
	v_cvt_f32_f64_e32 v2, v[2:3]
	s_branch .LBB56_217
.LBB56_213:
                                        ; implicit-def: $vgpr2
	s_branch .LBB56_235
.LBB56_214:
	s_mov_b32 s1, -1
                                        ; implicit-def: $vgpr2
	s_branch .LBB56_223
.LBB56_215:
	s_mov_b32 s1, -1
                                        ; implicit-def: $vgpr2
	s_branch .LBB56_220
.LBB56_216:
	s_mov_b32 s1, -1
                                        ; implicit-def: $vgpr2
.LBB56_217:
	s_andn2_b32 vcc_lo, exec_lo, s1
	s_cbranch_vccnz .LBB56_219
; %bb.218:
	global_load_dword v2, v[0:1], off
.LBB56_219:
	s_mov_b32 s1, 0
.LBB56_220:
	s_andn2_b32 vcc_lo, exec_lo, s1
	s_cbranch_vccnz .LBB56_222
; %bb.221:
	global_load_dword v2, v[0:1], off
	s_waitcnt vmcnt(0)
	v_cvt_f32_f16_e32 v2, v2
.LBB56_222:
	s_mov_b32 s1, 0
.LBB56_223:
	s_andn2_b32 vcc_lo, exec_lo, s1
	s_cbranch_vccnz .LBB56_234
; %bb.224:
	s_cmp_lt_i32 s0, 6
	s_cbranch_scc1 .LBB56_227
; %bb.225:
	s_cmp_gt_i32 s0, 6
	s_cbranch_scc0 .LBB56_228
; %bb.226:
	global_load_dwordx2 v[2:3], v[0:1], off
	s_mov_b32 s1, 0
	s_waitcnt vmcnt(0)
	v_cvt_f32_f64_e32 v2, v[2:3]
	s_branch .LBB56_229
.LBB56_227:
	s_mov_b32 s1, -1
                                        ; implicit-def: $vgpr2
	s_branch .LBB56_232
.LBB56_228:
	s_mov_b32 s1, -1
                                        ; implicit-def: $vgpr2
.LBB56_229:
	s_andn2_b32 vcc_lo, exec_lo, s1
	s_cbranch_vccnz .LBB56_231
; %bb.230:
	global_load_dword v2, v[0:1], off
.LBB56_231:
	s_mov_b32 s1, 0
.LBB56_232:
	s_andn2_b32 vcc_lo, exec_lo, s1
	s_cbranch_vccnz .LBB56_234
; %bb.233:
	global_load_ushort v2, v[0:1], off
	s_waitcnt vmcnt(0)
	v_cvt_f32_f16_e32 v2, v2
.LBB56_234:
	s_cbranch_execnz .LBB56_254
.LBB56_235:
	s_cmp_lt_i32 s0, 2
	s_cbranch_scc1 .LBB56_239
; %bb.236:
	s_cmp_lt_i32 s0, 3
	s_cbranch_scc1 .LBB56_240
; %bb.237:
	s_cmp_gt_i32 s0, 3
	s_cbranch_scc0 .LBB56_241
; %bb.238:
	global_load_dwordx2 v[2:3], v[0:1], off
	s_mov_b32 s1, 0
	s_waitcnt vmcnt(0)
	v_xor_b32_e32 v5, v2, v3
	v_ffbh_i32_e32 v6, v3
	v_ashrrev_i32_e32 v5, 31, v5
	v_add_nc_u32_e32 v6, -1, v6
	v_add_nc_u32_e32 v5, 32, v5
	v_min_u32_e32 v5, v6, v5
	v_lshlrev_b64 v[2:3], v5, v[2:3]
	v_min_u32_e32 v2, 1, v2
	v_or_b32_e32 v2, v3, v2
	v_sub_nc_u32_e32 v3, 32, v5
	v_cvt_f32_i32_e32 v2, v2
	v_ldexp_f32 v2, v2, v3
	s_branch .LBB56_242
.LBB56_239:
	s_mov_b32 s1, -1
                                        ; implicit-def: $vgpr2
	s_branch .LBB56_248
.LBB56_240:
	s_mov_b32 s1, -1
                                        ; implicit-def: $vgpr2
	s_branch .LBB56_245
.LBB56_241:
	s_mov_b32 s1, -1
                                        ; implicit-def: $vgpr2
.LBB56_242:
	s_andn2_b32 vcc_lo, exec_lo, s1
	s_cbranch_vccnz .LBB56_244
; %bb.243:
	global_load_dword v2, v[0:1], off
	s_waitcnt vmcnt(0)
	v_cvt_f32_i32_e32 v2, v2
.LBB56_244:
	s_mov_b32 s1, 0
.LBB56_245:
	s_andn2_b32 vcc_lo, exec_lo, s1
	s_cbranch_vccnz .LBB56_247
; %bb.246:
	global_load_sshort v2, v[0:1], off
	s_waitcnt vmcnt(0)
	v_cvt_f32_i32_e32 v2, v2
.LBB56_247:
	s_mov_b32 s1, 0
.LBB56_248:
	s_andn2_b32 vcc_lo, exec_lo, s1
	s_cbranch_vccnz .LBB56_254
; %bb.249:
	s_cmp_gt_i32 s0, 0
	s_mov_b32 s0, 0
	s_cbranch_scc0 .LBB56_251
; %bb.250:
	global_load_sbyte v2, v[0:1], off
	s_waitcnt vmcnt(0)
	v_cvt_f32_i32_e32 v2, v2
	s_branch .LBB56_252
.LBB56_251:
	s_mov_b32 s0, -1
                                        ; implicit-def: $vgpr2
.LBB56_252:
	s_andn2_b32 vcc_lo, exec_lo, s0
	s_cbranch_vccnz .LBB56_254
; %bb.253:
	global_load_ubyte v0, v[0:1], off
	s_waitcnt vmcnt(0)
	v_cvt_f32_ubyte0_e32 v2, v0
.LBB56_254:
	s_branch .LBB56_11
.LBB56_255:
	s_mov_b32 s0, 0
.LBB56_256:
	s_mov_b32 s1, 0
                                        ; implicit-def: $vgpr4
.LBB56_257:
	s_and_b32 s14, s0, exec_lo
	s_and_b32 s16, s16, exec_lo
	s_orn2_b32 s1, s1, exec_lo
.LBB56_258:
	s_or_b32 exec_lo, exec_lo, s17
	s_mov_b32 s2, 0
	s_mov_b32 s0, 0
                                        ; implicit-def: $vgpr0_vgpr1
                                        ; implicit-def: $vgpr3
	s_and_saveexec_b32 s17, s1
	s_cbranch_execz .LBB56_267
; %bb.259:
	s_mov_b32 s0, -1
	s_mov_b32 s18, s16
	s_mov_b32 s19, s14
	s_mov_b32 s20, exec_lo
	v_cmpx_gt_i32_e64 s15, v4
	s_cbranch_execz .LBB56_527
; %bb.260:
	v_mul_lo_u32 v0, v4, s13
	s_and_b32 s0, 0xffff, s6
	s_cmp_lt_i32 s0, 11
	v_ashrrev_i32_e32 v1, 31, v0
	v_add_co_u32 v0, vcc_lo, s10, v0
	v_add_co_ci_u32_e64 v1, null, s11, v1, vcc_lo
	s_cbranch_scc1 .LBB56_270
; %bb.261:
	s_cmp_gt_i32 s0, 25
	s_cbranch_scc0 .LBB56_285
; %bb.262:
	s_cmp_gt_i32 s0, 28
	s_cbranch_scc0 .LBB56_287
	;; [unrolled: 3-line block ×4, first 2 shown]
; %bb.265:
	s_cmp_eq_u32 s0, 46
	s_cbranch_scc0 .LBB56_297
; %bb.266:
	global_load_dword v2, v[0:1], off
	s_mov_b32 s1, -1
	s_mov_b32 s18, 0
	s_waitcnt vmcnt(0)
	v_lshlrev_b32_e32 v2, 16, v2
	s_branch .LBB56_299
.LBB56_267:
	s_or_b32 exec_lo, exec_lo, s17
	s_mov_b32 s15, 0
	s_and_saveexec_b32 s1, s16
	s_cbranch_execnz .LBB56_881
.LBB56_268:
	s_or_b32 exec_lo, exec_lo, s1
	s_and_saveexec_b32 s1, s18
	s_xor_b32 s1, exec_lo, s1
	s_cbranch_execz .LBB56_882
.LBB56_269:
	global_load_ubyte v2, v[0:1], off
	s_or_b32 s0, s0, exec_lo
	s_waitcnt vmcnt(0)
	v_cmp_ne_u16_e32 vcc_lo, 0, v2
	v_cndmask_b32_e64 v3, 0, 1.0, vcc_lo
	s_or_b32 exec_lo, exec_lo, s1
	s_and_saveexec_b32 s1, s2
	s_cbranch_execz .LBB56_928
	s_branch .LBB56_883
.LBB56_270:
	s_mov_b32 s1, 0
	s_mov_b32 s18, s16
                                        ; implicit-def: $vgpr2
	s_cbranch_execnz .LBB56_476
.LBB56_271:
	s_andn2_b32 vcc_lo, exec_lo, s1
	s_cbranch_vccnz .LBB56_524
.LBB56_272:
	v_mov_b32_e32 v0, 0
	v_mov_b32_e32 v3, 1.0
	s_mov_b32 s2, exec_lo
	s_waitcnt vmcnt(0)
	v_cmpx_gt_f32_e32 0.5, v2
	s_cbranch_execz .LBB56_278
; %bb.273:
	v_mul_f32_e32 v0, 0x40490fdb, v2
                                        ; implicit-def: $vgpr5
                                        ; implicit-def: $vgpr3
	s_mov_b32 s1, exec_lo
	v_and_b32_e32 v1, 0x7fffffff, v0
	v_cmpx_ngt_f32_e64 0x48000000, |v0|
	s_xor_b32 s3, exec_lo, s1
	s_cbranch_execz .LBB56_275
; %bb.274:
	s_mov_b32 s0, 0x7fffff
	v_mov_b32_e32 v7, 0
	v_and_or_b32 v3, v1, s0, 0x800000
	v_lshrrev_b32_e32 v12, 23, v1
	v_mad_u64_u32 v[5:6], null, 0xfe5163ab, v3, 0
	v_add_nc_u32_e32 v13, 0xffffff88, v12
	v_cmp_lt_u32_e32 vcc_lo, 63, v13
	v_mad_u64_u32 v[8:9], null, 0x3c439041, v3, v[6:7]
	v_cndmask_b32_e64 v14, 0, 0xffffffc0, vcc_lo
	v_mov_b32_e32 v6, v9
	v_add_nc_u32_e32 v14, v14, v13
	v_mad_u64_u32 v[9:10], null, 0xdb629599, v3, v[6:7]
	v_cmp_lt_u32_e64 s0, 31, v14
	v_cndmask_b32_e64 v15, 0, 0xffffffe0, s0
	v_mov_b32_e32 v6, v10
	v_cndmask_b32_e32 v5, v9, v5, vcc_lo
	v_mad_u64_u32 v[10:11], null, 0xf534ddc0, v3, v[6:7]
	v_mov_b32_e32 v6, v11
	v_cndmask_b32_e32 v8, v10, v8, vcc_lo
	v_mad_u64_u32 v[11:12], null, 0xfc2757d1, v3, v[6:7]
	v_cndmask_b32_e64 v5, v8, v5, s0
	v_mov_b32_e32 v6, v12
	v_mad_u64_u32 v[12:13], null, 0x4e441529, v3, v[6:7]
	v_mov_b32_e32 v6, v13
	v_add_nc_u32_e32 v13, v15, v14
	v_cndmask_b32_e32 v14, v12, v10, vcc_lo
	v_mad_u64_u32 v[6:7], null, 0xa2f9836e, v3, v[6:7]
	v_cmp_lt_u32_e64 s1, 31, v13
	v_cndmask_b32_e64 v3, 0, 0xffffffe0, s1
	v_cndmask_b32_e32 v6, v6, v11, vcc_lo
	v_cndmask_b32_e32 v7, v7, v12, vcc_lo
	;; [unrolled: 1-line block ×3, first 2 shown]
	v_add_nc_u32_e32 v3, v3, v13
	v_cndmask_b32_e64 v10, v6, v14, s0
	v_cndmask_b32_e64 v6, v7, v6, s0
	;; [unrolled: 1-line block ×4, first 2 shown]
	v_sub_nc_u32_e32 v12, 32, v3
	v_cmp_eq_u32_e32 vcc_lo, 0, v3
	v_cndmask_b32_e64 v6, v6, v10, s1
	v_cndmask_b32_e64 v10, v10, v7, s1
	;; [unrolled: 1-line block ×4, first 2 shown]
	v_alignbit_b32 v13, v6, v10, v12
	v_alignbit_b32 v9, v10, v7, v12
	;; [unrolled: 1-line block ×3, first 2 shown]
	v_cndmask_b32_e32 v3, v13, v6, vcc_lo
	v_cndmask_b32_e32 v6, v9, v10, vcc_lo
	;; [unrolled: 1-line block ×3, first 2 shown]
	v_bfe_u32 v8, v3, 29, 1
	v_alignbit_b32 v9, v3, v6, 30
	v_alignbit_b32 v6, v6, v7, 30
	;; [unrolled: 1-line block ×3, first 2 shown]
	v_sub_nc_u32_e32 v10, 0, v8
	v_xor_b32_e32 v9, v9, v10
	v_xor_b32_e32 v6, v6, v10
	;; [unrolled: 1-line block ×3, first 2 shown]
	v_lshrrev_b32_e32 v10, 29, v3
	v_ffbh_u32_e32 v11, v9
	v_min_u32_e32 v11, 32, v11
	v_sub_nc_u32_e32 v7, 31, v11
	v_lshlrev_b32_e32 v12, 23, v11
	v_alignbit_b32 v9, v9, v6, v7
	v_alignbit_b32 v5, v6, v5, v7
	v_lshlrev_b32_e32 v6, 31, v10
	v_alignbit_b32 v7, v9, v5, 9
	v_or_b32_e32 v10, 0.5, v6
	v_lshrrev_b32_e32 v9, 9, v9
	v_or_b32_e32 v6, 0x33000000, v6
	v_ffbh_u32_e32 v13, v7
	v_sub_nc_u32_e32 v10, v10, v12
	v_min_u32_e32 v12, 32, v13
	v_or_b32_e32 v9, v9, v10
	v_not_b32_e32 v10, v12
	v_mul_f32_e32 v13, 0x3fc90fda, v9
	v_add_lshl_u32 v11, v12, v11, 23
	v_alignbit_b32 v5, v7, v5, v10
	v_fma_f32 v7, 0x3fc90fda, v9, -v13
	v_sub_nc_u32_e32 v6, v6, v11
	v_lshrrev_b32_e32 v5, 9, v5
	v_fmamk_f32 v7, v9, 0x33a22168, v7
	v_or_b32_e32 v5, v6, v5
	v_fmac_f32_e32 v7, 0x3fc90fda, v5
	v_lshrrev_b32_e32 v5, 30, v3
	v_add_f32_e32 v3, v13, v7
	v_add_nc_u32_e32 v5, v8, v5
.LBB56_275:
	s_andn2_saveexec_b32 s0, s3
; %bb.276:
	v_mul_f32_e64 v3, 0x3f22f983, |v0|
	v_rndne_f32_e32 v5, v3
	v_fma_f32 v3, 0xbfc90fda, v5, |v0|
	v_fmamk_f32 v3, v5, 0xb3a22168, v3
	v_fmamk_f32 v3, v5, 0xa7c234c4, v3
	v_cvt_i32_f32_e32 v5, v5
; %bb.277:
	s_or_b32 exec_lo, exec_lo, s0
	v_mul_f32_e32 v6, v3, v3
	s_mov_b32 s0, 0xb94c1982
	s_mov_b32 s1, 0x37d75334
	v_and_b32_e32 v9, 1, v5
	v_lshlrev_b32_e32 v5, 30, v5
	v_fmaak_f32 v7, s0, v6, 0x3c0881c4
	v_fmaak_f32 v8, s1, v6, 0xbab64f3b
	v_xor_b32_e32 v1, v1, v0
	v_cmp_eq_u32_e32 vcc_lo, 0, v9
	v_and_b32_e32 v5, 0x80000000, v5
	v_fmaak_f32 v7, v6, v7, 0xbe2aaa9d
	v_fmaak_f32 v8, v6, v8, 0x3d2aabf7
	v_sub_f32_e32 v2, 1.0, v2
	v_mul_f32_e32 v7, v6, v7
	v_fmaak_f32 v8, v6, v8, 0xbf000004
	v_fmac_f32_e32 v3, v3, v7
	v_fma_f32 v6, v6, v8, 1.0
	v_cndmask_b32_e32 v3, v6, v3, vcc_lo
	v_cmp_class_f32_e64 vcc_lo, v0, 0x1f8
	v_xor3_b32 v1, v1, v5, v3
	v_cndmask_b32_e32 v0, 0x7fc00000, v1, vcc_lo
	v_mul_f32_e32 v0, v0, v0
	v_div_scale_f32 v1, null, v0, v0, 0xc11de9e7
	v_div_scale_f32 v6, vcc_lo, 0xc11de9e7, v0, 0xc11de9e7
	v_rcp_f32_e32 v3, v1
	v_fma_f32 v5, -v1, v3, 1.0
	v_fmac_f32_e32 v3, v5, v3
	v_mul_f32_e32 v5, v6, v3
	v_fma_f32 v7, -v1, v5, v6
	v_fmac_f32_e32 v5, v7, v3
	v_fma_f32 v1, -v1, v5, v6
	v_div_fmas_f32 v1, v1, v3, v5
	v_mov_b32_e32 v3, -1.0
	v_div_fixup_f32 v0, v1, v0, 0xc11de9e7
	v_add_f32_e32 v0, 0, v0
.LBB56_278:
	s_or_b32 exec_lo, exec_lo, s2
	v_add_f32_e32 v1, 1.0, v2
	v_mul_f32_e32 v2, v2, v2
	v_mul_f32_e32 v5, v1, v1
	v_add_f32_e32 v1, 1.0, v1
	v_div_scale_f32 v6, null, v2, v2, 1.0
	v_div_scale_f32 v8, vcc_lo, 1.0, v2, 1.0
	v_mul_f32_e32 v9, v1, v1
	v_div_scale_f32 v7, null, v5, v5, 1.0
	v_rcp_f32_e32 v10, v6
	v_div_scale_f32 v13, s0, 1.0, v5, 1.0
	v_div_scale_f32 v12, null, v9, v9, 1.0
	v_rcp_f32_e32 v11, v7
	v_add_f32_e32 v1, 1.0, v1
	v_div_scale_f32 v14, s1, 1.0, v9, 1.0
	v_rcp_f32_e32 v15, v12
	v_fma_f32 v17, -v6, v10, 1.0
	v_mul_f32_e32 v16, v1, v1
	v_add_f32_e32 v1, 1.0, v1
	v_fma_f32 v18, -v7, v11, 1.0
	v_fmac_f32_e32 v10, v17, v10
	v_mul_f32_e32 v20, v1, v1
	v_add_f32_e32 v1, 1.0, v1
	v_fma_f32 v17, -v12, v15, 1.0
	v_fmac_f32_e32 v11, v18, v11
	v_mul_f32_e32 v21, v8, v10
	v_div_scale_f32 v19, null, v16, v16, 1.0
	v_fmac_f32_e32 v15, v17, v15
	v_mul_f32_e32 v22, v13, v11
	v_fma_f32 v23, -v6, v21, v8
	v_add_f32_e32 v26, 1.0, v1
	v_rcp_f32_e32 v18, v19
	v_mul_f32_e32 v25, v14, v15
	v_fma_f32 v24, -v7, v22, v13
	v_fmac_f32_e32 v21, v23, v10
	v_mul_f32_e32 v1, v1, v1
	v_div_scale_f32 v17, null, v20, v20, 1.0
	v_fma_f32 v23, -v12, v25, v14
	v_fmac_f32_e32 v22, v24, v11
	v_fma_f32 v6, -v6, v21, v8
	v_mul_f32_e32 v8, v26, v26
	v_rcp_f32_e32 v24, v17
	v_fmac_f32_e32 v25, v23, v15
	v_fma_f32 v7, -v7, v22, v13
	v_div_fmas_f32 v6, v6, v10, v21
	s_mov_b32 vcc_lo, s0
	v_fma_f32 v27, -v19, v18, 1.0
	v_fma_f32 v10, -v12, v25, v14
	v_div_fmas_f32 v7, v7, v11, v22
	s_mov_b32 vcc_lo, s1
	v_div_scale_f32 v11, null, v1, v1, 1.0
	v_div_fmas_f32 v10, v10, v15, v25
	v_div_scale_f32 v12, null, v8, v8, 1.0
	v_add_f32_e32 v15, v26, v26
	v_rcp_f32_e32 v14, v11
	v_fmac_f32_e32 v18, v27, v18
	v_rcp_f32_e32 v22, v12
	v_div_scale_f32 v13, vcc_lo, 1.0, v16, 1.0
	v_div_scale_f32 v25, null, v15, v15, 1.0
	v_fma_f32 v21, -v17, v24, 1.0
	v_mul_f32_e32 v23, v13, v18
	v_div_fixup_f32 v2, v6, v2, 1.0
	v_rcp_f32_e32 v28, v25
	v_fma_f32 v27, -v11, v14, 1.0
	v_fmac_f32_e32 v24, v21, v24
	v_div_scale_f32 v21, s0, 1.0, v20, 1.0
	v_fma_f32 v30, -v12, v22, 1.0
	v_fma_f32 v29, -v19, v23, v13
	v_fmac_f32_e32 v14, v27, v14
	v_div_scale_f32 v27, s1, 1.0, v1, 1.0
	v_mul_f32_e32 v31, v21, v24
	v_fmac_f32_e32 v22, v30, v22
	v_div_scale_f32 v30, s2, 1.0, v8, 1.0
	v_fma_f32 v32, -v25, v28, 1.0
	v_fmac_f32_e32 v23, v29, v18
	v_mul_f32_e32 v33, v27, v14
	v_fma_f32 v29, -v17, v31, v21
	v_mul_f32_e32 v34, v30, v22
	v_fmac_f32_e32 v28, v32, v28
	v_div_scale_f32 v32, s3, 1.0, v15, 1.0
	v_fma_f32 v13, -v19, v23, v13
	v_fma_f32 v19, -v11, v33, v27
	v_fmac_f32_e32 v31, v29, v24
	v_fma_f32 v29, -v12, v34, v30
	v_mul_f32_e32 v35, v32, v28
	v_div_fmas_f32 v13, v13, v18, v23
	v_fmac_f32_e32 v33, v19, v14
	v_fma_f32 v17, -v17, v31, v21
	v_fmac_f32_e32 v34, v29, v22
	v_fma_f32 v18, -v25, v35, v32
	s_mov_b32 vcc_lo, s0
	v_fma_f32 v11, -v11, v33, v27
	v_div_fmas_f32 v17, v17, v24, v31
	v_fma_f32 v12, -v12, v34, v30
	v_fmac_f32_e32 v35, v18, v28
	s_mov_b32 vcc_lo, s1
	s_mov_b32 s0, 0xbcc30c31
	v_div_fmas_f32 v11, v11, v14, v33
	s_mov_b32 vcc_lo, s2
	v_fma_f32 v14, -v25, v35, v32
	v_div_fmas_f32 v12, v12, v22, v34
	s_mov_b32 vcc_lo, s3
	v_add_f32_e32 v0, v0, v2
	v_div_fixup_f32 v2, v7, v5, 1.0
	v_div_fmas_f32 v14, v14, v28, v35
	v_div_fixup_f32 v8, v12, v8, 1.0
	v_div_fixup_f32 v1, v11, v1, 1.0
	s_and_b32 s1, s4, 0xff
	v_add_f32_e32 v0, v0, v2
	v_div_fixup_f32 v12, v14, v15, 1.0
	v_fmaak_f32 v14, s0, v8, 0x3d088889
	v_div_fixup_f32 v2, v10, v9, 1.0
	s_cmp_lt_i32 s1, 11
	v_add_f32_e32 v12, 1.0, v12
	v_fma_f32 v14, -v8, v14, 0x3e2aaaab
	v_add_f32_e32 v0, v0, v2
	v_div_fixup_f32 v2, v13, v16, 1.0
	v_fmac_f32_e32 v12, v8, v14
	v_add_f32_e32 v0, v0, v2
	v_div_fixup_f32 v2, v17, v20, 1.0
	v_div_scale_f32 v8, null, v26, v26, v12
	v_div_scale_f32 v5, vcc_lo, v12, v26, v12
	v_add_f32_e32 v0, v0, v2
	v_rcp_f32_e32 v14, v8
	v_add_f32_e32 v0, v0, v1
	v_fma_f32 v6, -v8, v14, 1.0
	v_fmac_f32_e32 v14, v6, v14
	v_mul_f32_e32 v6, v5, v14
	v_fma_f32 v7, -v8, v6, v5
	v_fmac_f32_e32 v6, v7, v14
	v_fma_f32 v5, -v8, v6, v5
	v_div_fmas_f32 v2, v5, v14, v6
	v_mul_lo_u32 v5, v4, s12
	v_div_fixup_f32 v1, v2, v26, v12
	v_ashrrev_i32_e32 v2, 31, v5
	v_add_f32_e32 v6, v0, v1
	v_add_co_u32 v0, vcc_lo, s8, v5
	v_add_co_ci_u32_e64 v1, null, s9, v2, vcc_lo
	v_mul_f32_e32 v2, v3, v6
	s_cbranch_scc1 .LBB56_286
; %bb.279:
	s_and_b32 s2, 0xffff, s1
	s_cmp_gt_i32 s2, 25
	s_cbranch_scc0 .LBB56_288
; %bb.280:
	s_cmp_gt_i32 s2, 28
	s_cbranch_scc0 .LBB56_290
; %bb.281:
	;; [unrolled: 3-line block ×4, first 2 shown]
	s_mov_b32 s19, 0
	s_mov_b32 s0, -1
	s_cmp_eq_u32 s2, 46
	s_mov_b32 s3, 0
	s_cbranch_scc0 .LBB56_303
; %bb.284:
	v_bfe_u32 v3, v2, 16, 1
	v_cmp_o_f32_e32 vcc_lo, v2, v2
	v_mov_b32_e32 v5, 0x7fc0
	s_mov_b32 s3, -1
	s_mov_b32 s0, 0
	v_add3_u32 v3, v2, v3, 0x7fff
	v_cndmask_b32_sdwa v3, v5, v3, vcc_lo dst_sel:DWORD dst_unused:UNUSED_PAD src0_sel:DWORD src1_sel:WORD_1
	global_store_dword v[0:1], v3, off
	s_branch .LBB56_303
.LBB56_285:
	s_mov_b32 s2, -1
	s_mov_b32 s1, 0
	s_mov_b32 s18, s16
                                        ; implicit-def: $vgpr2
	s_branch .LBB56_440
.LBB56_286:
	s_mov_b32 s2, -1
	s_mov_b32 s3, 0
	s_mov_b32 s0, s14
	s_branch .LBB56_372
.LBB56_287:
	s_mov_b32 s2, -1
	s_mov_b32 s1, 0
	s_mov_b32 s18, s16
                                        ; implicit-def: $vgpr2
	s_branch .LBB56_421
.LBB56_288:
	s_mov_b32 s19, -1
	s_mov_b32 s3, 0
	s_mov_b32 s0, s14
	s_branch .LBB56_330
.LBB56_289:
	s_mov_b32 s2, -1
	s_mov_b32 s1, 0
	s_mov_b32 s18, s16
                                        ; implicit-def: $vgpr2
	s_branch .LBB56_416
.LBB56_290:
	s_mov_b32 s19, -1
	s_mov_b32 s3, 0
	s_mov_b32 s0, s14
	s_branch .LBB56_313
.LBB56_291:
	s_andn2_saveexec_b32 s19, s19
	s_cbranch_execz .LBB56_60
.LBB56_292:
	v_add_f32_e64 v3, 0x46000000, |v2|
	s_andn2_b32 s14, s14, exec_lo
	v_and_b32_e32 v3, 0xff, v3
	v_cmp_ne_u32_e32 vcc_lo, 0, v3
	s_and_b32 s20, vcc_lo, exec_lo
	s_or_b32 s14, s14, s20
	s_or_b32 exec_lo, exec_lo, s19
	v_mov_b32_e32 v5, 0
	s_and_saveexec_b32 s19, s14
	s_cbranch_execnz .LBB56_61
	s_branch .LBB56_62
.LBB56_293:
	s_mov_b32 s2, -1
	s_mov_b32 s1, 0
	s_mov_b32 s18, s16
	s_branch .LBB56_298
.LBB56_294:
	s_mov_b32 s19, -1
	s_mov_b32 s3, 0
	s_mov_b32 s0, s14
	s_branch .LBB56_309
.LBB56_295:
	s_andn2_saveexec_b32 s19, s19
	s_cbranch_execz .LBB56_73
.LBB56_296:
	v_add_f32_e64 v3, 0x42800000, |v2|
	s_andn2_b32 s14, s14, exec_lo
	v_and_b32_e32 v3, 0xff, v3
	v_cmp_ne_u32_e32 vcc_lo, 0, v3
	s_and_b32 s20, vcc_lo, exec_lo
	s_or_b32 s14, s14, s20
	s_or_b32 exec_lo, exec_lo, s19
	v_mov_b32_e32 v5, 0
	s_and_saveexec_b32 s19, s14
	s_cbranch_execnz .LBB56_74
	s_branch .LBB56_75
.LBB56_297:
	s_mov_b32 s18, -1
	s_mov_b32 s1, 0
.LBB56_298:
                                        ; implicit-def: $vgpr2
.LBB56_299:
	s_and_b32 vcc_lo, exec_lo, s2
	s_cbranch_vccz .LBB56_415
; %bb.300:
	s_cmp_eq_u32 s0, 44
	s_cbranch_scc0 .LBB56_414
; %bb.301:
	global_load_ubyte v2, v[0:1], off
	s_mov_b32 s18, 0
	s_mov_b32 s1, -1
	s_waitcnt vmcnt(0)
	v_lshlrev_b32_e32 v3, 23, v2
	v_cmp_ne_u32_e32 vcc_lo, 0xff, v2
	v_cndmask_b32_e32 v3, 0x7f800001, v3, vcc_lo
	v_cmp_ne_u32_e32 vcc_lo, 0, v2
	v_cndmask_b32_e32 v2, 0x400000, v3, vcc_lo
	s_branch .LBB56_415
.LBB56_302:
	s_mov_b32 s19, -1
	s_mov_b32 s3, 0
	s_mov_b32 s0, s14
.LBB56_303:
	s_and_b32 vcc_lo, exec_lo, s19
	s_cbranch_vccz .LBB56_308
; %bb.304:
	s_cmp_eq_u32 s2, 44
	s_mov_b32 s0, -1
	s_cbranch_scc0 .LBB56_308
; %bb.305:
	v_bfe_u32 v5, v2, 23, 8
	v_mov_b32_e32 v3, 0xff
	s_mov_b32 s3, exec_lo
	v_cmpx_ne_u32_e32 0xff, v5
	s_cbranch_execz .LBB56_307
; %bb.306:
	v_and_b32_e32 v3, 0x400000, v2
	v_and_or_b32 v5, 0x3fffff, v2, v5
	v_cmp_ne_u32_e32 vcc_lo, 0, v3
	v_cmp_ne_u32_e64 s0, 0, v5
	v_lshrrev_b32_e32 v3, 23, v2
	s_and_b32 s0, vcc_lo, s0
	v_cndmask_b32_e64 v5, 0, 1, s0
	v_add_nc_u32_e32 v3, v3, v5
.LBB56_307:
	s_or_b32 exec_lo, exec_lo, s3
	s_mov_b32 s3, -1
	s_mov_b32 s0, 0
	global_store_byte v[0:1], v3, off
.LBB56_308:
	s_mov_b32 s19, 0
.LBB56_309:
	s_and_b32 vcc_lo, exec_lo, s19
	s_cbranch_vccz .LBB56_312
; %bb.310:
	s_cmp_eq_u32 s2, 29
	s_mov_b32 s0, -1
	s_cbranch_scc0 .LBB56_312
; %bb.311:
	v_trunc_f32_e32 v3, v2
	s_mov_b32 s3, -1
	s_mov_b32 s0, 0
	s_mov_b32 s19, 0
	v_mul_f32_e32 v5, 0x2f800000, v3
	v_floor_f32_e32 v5, v5
	v_fmamk_f32 v3, v5, 0xcf800000, v3
	v_cvt_u32_f32_e32 v6, v5
	v_cvt_u32_f32_e32 v5, v3
	global_store_dwordx2 v[0:1], v[5:6], off
	s_branch .LBB56_313
.LBB56_312:
	s_mov_b32 s19, 0
.LBB56_313:
	s_and_b32 vcc_lo, exec_lo, s19
	s_cbranch_vccz .LBB56_329
; %bb.314:
	s_cmp_lt_i32 s2, 27
	s_mov_b32 s3, -1
	s_cbranch_scc1 .LBB56_320
; %bb.315:
	v_cvt_u32_f32_e32 v3, v2
	s_cmp_gt_i32 s2, 27
	s_cbranch_scc0 .LBB56_317
; %bb.316:
	s_mov_b32 s3, 0
	global_store_dword v[0:1], v3, off
.LBB56_317:
	s_andn2_b32 vcc_lo, exec_lo, s3
	s_cbranch_vccnz .LBB56_319
; %bb.318:
	global_store_short v[0:1], v3, off
.LBB56_319:
	s_mov_b32 s3, 0
.LBB56_320:
	s_andn2_b32 vcc_lo, exec_lo, s3
	s_cbranch_vccnz .LBB56_328
; %bb.321:
	v_and_b32_e32 v3, 0x7fffffff, v2
	v_mov_b32_e32 v5, 0x80
	s_mov_b32 s3, exec_lo
	v_cmpx_gt_u32_e32 0x43800000, v3
	s_cbranch_execz .LBB56_327
; %bb.322:
	v_cmp_lt_u32_e32 vcc_lo, 0x3bffffff, v3
	s_mov_b32 s19, 0
                                        ; implicit-def: $vgpr3
	s_and_saveexec_b32 s21, vcc_lo
	s_xor_b32 s21, exec_lo, s21
	s_cbranch_execz .LBB56_540
; %bb.323:
	v_bfe_u32 v3, v2, 20, 1
	s_mov_b32 s19, exec_lo
	v_add3_u32 v3, v2, v3, 0x487ffff
	v_lshrrev_b32_e32 v3, 20, v3
	s_andn2_saveexec_b32 s21, s21
	s_cbranch_execnz .LBB56_541
.LBB56_324:
	s_or_b32 exec_lo, exec_lo, s21
	v_mov_b32_e32 v5, 0
	s_and_saveexec_b32 s21, s19
.LBB56_325:
	v_lshrrev_b32_e32 v5, 24, v2
	v_and_or_b32 v5, 0x80, v5, v3
.LBB56_326:
	s_or_b32 exec_lo, exec_lo, s21
.LBB56_327:
	s_or_b32 exec_lo, exec_lo, s3
	global_store_byte v[0:1], v5, off
.LBB56_328:
	s_mov_b32 s3, -1
.LBB56_329:
	s_mov_b32 s19, 0
.LBB56_330:
	s_and_b32 vcc_lo, exec_lo, s19
	s_cbranch_vccz .LBB56_371
; %bb.331:
	s_cmp_gt_i32 s2, 22
	s_mov_b32 s19, -1
	s_cbranch_scc0 .LBB56_363
; %bb.332:
	s_cmp_lt_i32 s2, 24
	s_mov_b32 s3, -1
	s_cbranch_scc1 .LBB56_352
; %bb.333:
	s_cmp_gt_i32 s2, 24
	s_cbranch_scc0 .LBB56_341
; %bb.334:
	v_and_b32_e32 v3, 0x7fffffff, v2
	v_mov_b32_e32 v5, 0x80
	s_mov_b32 s3, exec_lo
	v_cmpx_gt_u32_e32 0x47800000, v3
	s_cbranch_execz .LBB56_340
; %bb.335:
	v_cmp_lt_u32_e32 vcc_lo, 0x37ffffff, v3
	s_mov_b32 s19, 0
                                        ; implicit-def: $vgpr3
	s_and_saveexec_b32 s21, vcc_lo
	s_xor_b32 s21, exec_lo, s21
	s_cbranch_execz .LBB56_543
; %bb.336:
	v_bfe_u32 v3, v2, 21, 1
	s_mov_b32 s19, exec_lo
	v_add3_u32 v3, v2, v3, 0x88fffff
	v_lshrrev_b32_e32 v3, 21, v3
	s_andn2_saveexec_b32 s21, s21
	s_cbranch_execnz .LBB56_544
.LBB56_337:
	s_or_b32 exec_lo, exec_lo, s21
	v_mov_b32_e32 v5, 0
	s_and_saveexec_b32 s21, s19
.LBB56_338:
	v_lshrrev_b32_e32 v5, 24, v2
	v_and_or_b32 v5, 0x80, v5, v3
.LBB56_339:
	s_or_b32 exec_lo, exec_lo, s21
.LBB56_340:
	s_or_b32 exec_lo, exec_lo, s3
	s_mov_b32 s3, 0
	global_store_byte v[0:1], v5, off
.LBB56_341:
	s_and_b32 vcc_lo, exec_lo, s3
	s_cbranch_vccz .LBB56_351
; %bb.342:
	v_and_b32_e32 v5, 0x7fffffff, v2
	s_mov_b32 s3, exec_lo
                                        ; implicit-def: $vgpr3
	v_cmpx_gt_u32_e32 0x43f00000, v5
	s_xor_b32 s3, exec_lo, s3
	s_cbranch_execz .LBB56_348
; %bb.343:
	s_mov_b32 s19, exec_lo
                                        ; implicit-def: $vgpr3
	v_cmpx_lt_u32_e32 0x3c7fffff, v5
	s_xor_b32 s19, exec_lo, s19
; %bb.344:
	v_bfe_u32 v3, v2, 20, 1
	v_add3_u32 v3, v2, v3, 0x407ffff
	v_and_b32_e32 v5, 0xff00000, v3
	v_lshrrev_b32_e32 v3, 20, v3
	v_cmp_ne_u32_e32 vcc_lo, 0x7f00000, v5
	v_cndmask_b32_e32 v3, 0x7e, v3, vcc_lo
; %bb.345:
	s_andn2_saveexec_b32 s19, s19
; %bb.346:
	v_add_f32_e64 v3, 0x46800000, |v2|
; %bb.347:
	s_or_b32 exec_lo, exec_lo, s19
                                        ; implicit-def: $vgpr5
.LBB56_348:
	s_andn2_saveexec_b32 s3, s3
; %bb.349:
	v_mov_b32_e32 v3, 0x7f
	v_cmp_lt_u32_e32 vcc_lo, 0x7f800000, v5
	v_cndmask_b32_e32 v3, 0x7e, v3, vcc_lo
; %bb.350:
	s_or_b32 exec_lo, exec_lo, s3
	v_lshrrev_b32_e32 v5, 24, v2
	v_and_or_b32 v3, 0x80, v5, v3
	global_store_byte v[0:1], v3, off
.LBB56_351:
	s_mov_b32 s3, 0
.LBB56_352:
	s_andn2_b32 vcc_lo, exec_lo, s3
	s_cbranch_vccnz .LBB56_362
; %bb.353:
	v_and_b32_e32 v5, 0x7fffffff, v2
	s_mov_b32 s3, exec_lo
                                        ; implicit-def: $vgpr3
	v_cmpx_gt_u32_e32 0x47800000, v5
	s_xor_b32 s3, exec_lo, s3
	s_cbranch_execz .LBB56_359
; %bb.354:
	s_mov_b32 s19, exec_lo
                                        ; implicit-def: $vgpr3
	v_cmpx_lt_u32_e32 0x387fffff, v5
	s_xor_b32 s19, exec_lo, s19
; %bb.355:
	v_bfe_u32 v3, v2, 21, 1
	v_add3_u32 v3, v2, v3, 0x80fffff
	v_lshrrev_b32_e32 v3, 21, v3
; %bb.356:
	s_andn2_saveexec_b32 s19, s19
; %bb.357:
	v_add_f32_e64 v3, 0x43000000, |v2|
; %bb.358:
	s_or_b32 exec_lo, exec_lo, s19
                                        ; implicit-def: $vgpr5
.LBB56_359:
	s_andn2_saveexec_b32 s3, s3
; %bb.360:
	v_mov_b32_e32 v3, 0x7f
	v_cmp_lt_u32_e32 vcc_lo, 0x7f800000, v5
	v_cndmask_b32_e32 v3, 0x7c, v3, vcc_lo
; %bb.361:
	s_or_b32 exec_lo, exec_lo, s3
	v_lshrrev_b32_e32 v5, 24, v2
	v_and_or_b32 v3, 0x80, v5, v3
	global_store_byte v[0:1], v3, off
.LBB56_362:
	s_mov_b32 s19, 0
	s_mov_b32 s3, -1
.LBB56_363:
	s_andn2_b32 vcc_lo, exec_lo, s19
	s_cbranch_vccnz .LBB56_371
; %bb.364:
	s_cmp_gt_i32 s2, 14
	s_mov_b32 s19, -1
	s_cbranch_scc0 .LBB56_368
; %bb.365:
	s_cmp_eq_u32 s2, 15
	s_mov_b32 s0, -1
	s_cbranch_scc0 .LBB56_367
; %bb.366:
	v_bfe_u32 v3, v2, 16, 1
	v_cmp_o_f32_e32 vcc_lo, v2, v2
	v_mov_b32_e32 v5, 0x7fc0
	s_mov_b32 s3, -1
	s_mov_b32 s0, 0
	v_add3_u32 v3, v2, v3, 0x7fff
	v_cndmask_b32_sdwa v3, v5, v3, vcc_lo dst_sel:DWORD dst_unused:UNUSED_PAD src0_sel:DWORD src1_sel:WORD_1
	global_store_short v[0:1], v3, off
.LBB56_367:
	s_mov_b32 s19, 0
.LBB56_368:
	s_and_b32 vcc_lo, exec_lo, s19
	s_cbranch_vccz .LBB56_371
; %bb.369:
	s_cmp_eq_u32 s2, 11
	s_mov_b32 s0, -1
	s_cbranch_scc0 .LBB56_371
; %bb.370:
	v_cmp_neq_f32_e32 vcc_lo, 0, v2
	s_mov_b32 s0, 0
	s_mov_b32 s3, -1
	v_cndmask_b32_e64 v3, 0, 1, vcc_lo
	global_store_byte v[0:1], v3, off
.LBB56_371:
	s_mov_b32 s2, 0
.LBB56_372:
	s_and_b32 vcc_lo, exec_lo, s2
	s_cbranch_vccz .LBB56_411
; %bb.373:
	s_and_b32 s1, 0xffff, s1
	s_mov_b32 s2, -1
	s_cmp_lt_i32 s1, 5
	s_cbranch_scc1 .LBB56_394
; %bb.374:
	s_cmp_lt_i32 s1, 8
	s_cbranch_scc1 .LBB56_384
; %bb.375:
	;; [unrolled: 3-line block ×3, first 2 shown]
	s_cmp_gt_i32 s1, 9
	s_cbranch_scc0 .LBB56_378
; %bb.377:
	v_cvt_f64_f32_e32 v[5:6], v2
	v_mov_b32_e32 v7, 0
	s_mov_b32 s2, 0
	v_mov_b32_e32 v8, v7
	global_store_dwordx4 v[0:1], v[5:8], off
.LBB56_378:
	s_andn2_b32 vcc_lo, exec_lo, s2
	s_cbranch_vccnz .LBB56_380
; %bb.379:
	v_mov_b32_e32 v3, 0
	global_store_dwordx2 v[0:1], v[2:3], off
.LBB56_380:
	s_mov_b32 s2, 0
.LBB56_381:
	s_andn2_b32 vcc_lo, exec_lo, s2
	s_cbranch_vccnz .LBB56_383
; %bb.382:
	v_cvt_f16_f32_e32 v3, v2
	v_and_b32_e32 v3, 0xffff, v3
	global_store_dword v[0:1], v3, off
.LBB56_383:
	s_mov_b32 s2, 0
.LBB56_384:
	s_andn2_b32 vcc_lo, exec_lo, s2
	s_cbranch_vccnz .LBB56_393
; %bb.385:
	s_cmp_lt_i32 s1, 6
	s_mov_b32 s2, -1
	s_cbranch_scc1 .LBB56_391
; %bb.386:
	s_cmp_gt_i32 s1, 6
	s_cbranch_scc0 .LBB56_388
; %bb.387:
	v_cvt_f64_f32_e32 v[5:6], v2
	s_mov_b32 s2, 0
	global_store_dwordx2 v[0:1], v[5:6], off
.LBB56_388:
	s_andn2_b32 vcc_lo, exec_lo, s2
	s_cbranch_vccnz .LBB56_390
; %bb.389:
	global_store_dword v[0:1], v2, off
.LBB56_390:
	s_mov_b32 s2, 0
.LBB56_391:
	s_andn2_b32 vcc_lo, exec_lo, s2
	s_cbranch_vccnz .LBB56_393
; %bb.392:
	v_cvt_f16_f32_e32 v3, v2
	global_store_short v[0:1], v3, off
.LBB56_393:
	s_mov_b32 s2, 0
.LBB56_394:
	s_andn2_b32 vcc_lo, exec_lo, s2
	s_cbranch_vccnz .LBB56_410
; %bb.395:
	s_cmp_lt_i32 s1, 2
	s_mov_b32 s2, -1
	s_cbranch_scc1 .LBB56_405
; %bb.396:
	s_cmp_lt_i32 s1, 3
	s_cbranch_scc1 .LBB56_402
; %bb.397:
	s_cmp_gt_i32 s1, 3
	s_cbranch_scc0 .LBB56_399
; %bb.398:
	v_trunc_f32_e32 v3, v2
	s_mov_b32 s2, 0
	v_mul_f32_e64 v5, 0x2f800000, |v3|
	v_floor_f32_e32 v5, v5
	v_fma_f32 v6, 0xcf800000, v5, |v3|
	v_ashrrev_i32_e32 v3, 31, v3
	v_cvt_u32_f32_e32 v5, v5
	v_cvt_u32_f32_e32 v6, v6
	v_xor_b32_e32 v7, v5, v3
	v_xor_b32_e32 v6, v6, v3
	v_sub_co_u32 v5, vcc_lo, v6, v3
	v_sub_co_ci_u32_e64 v6, null, v7, v3, vcc_lo
	global_store_dwordx2 v[0:1], v[5:6], off
.LBB56_399:
	s_andn2_b32 vcc_lo, exec_lo, s2
	s_cbranch_vccnz .LBB56_401
; %bb.400:
	v_cvt_i32_f32_e32 v3, v2
	global_store_dword v[0:1], v3, off
.LBB56_401:
	s_mov_b32 s2, 0
.LBB56_402:
	s_andn2_b32 vcc_lo, exec_lo, s2
	s_cbranch_vccnz .LBB56_404
; %bb.403:
	v_cvt_i32_f32_e32 v3, v2
	global_store_short v[0:1], v3, off
.LBB56_404:
	s_mov_b32 s2, 0
.LBB56_405:
	s_andn2_b32 vcc_lo, exec_lo, s2
	s_cbranch_vccnz .LBB56_410
; %bb.406:
	s_cmp_gt_i32 s1, 0
	s_mov_b32 s1, -1
	s_cbranch_scc0 .LBB56_408
; %bb.407:
	v_cvt_i32_f32_e32 v3, v2
	s_mov_b32 s1, 0
	global_store_byte v[0:1], v3, off
.LBB56_408:
	s_andn2_b32 vcc_lo, exec_lo, s1
	s_cbranch_vccnz .LBB56_410
; %bb.409:
	v_trunc_f32_e32 v2, v2
	v_mul_f32_e64 v3, 0x2f800000, |v2|
	v_floor_f32_e32 v3, v3
	v_fma_f32 v3, 0xcf800000, v3, |v2|
	v_ashrrev_i32_e32 v2, 31, v2
	v_cvt_u32_f32_e32 v3, v3
	v_xor_b32_e32 v3, v3, v2
	v_sub_nc_u32_e32 v2, v3, v2
	global_store_byte v[0:1], v2, off
.LBB56_410:
	s_mov_b32 s3, -1
.LBB56_411:
	s_andn2_b32 vcc_lo, exec_lo, s3
	s_cbranch_vccnz .LBB56_413
; %bb.412:
	v_add_nc_u32_e32 v4, 0x80, v4
	s_mov_b32 s1, -1
	s_branch .LBB56_526
.LBB56_413:
	s_mov_b32 s1, 0
	s_branch .LBB56_525
.LBB56_414:
	s_mov_b32 s18, -1
                                        ; implicit-def: $vgpr2
.LBB56_415:
	s_mov_b32 s2, 0
.LBB56_416:
	s_and_b32 vcc_lo, exec_lo, s2
	s_cbranch_vccz .LBB56_420
; %bb.417:
	s_cmp_eq_u32 s0, 29
	s_cbranch_scc0 .LBB56_419
; %bb.418:
	global_load_dwordx2 v[2:3], v[0:1], off
	s_mov_b32 s1, -1
	s_mov_b32 s18, 0
	s_mov_b32 s2, 0
	s_waitcnt vmcnt(0)
	v_ffbh_u32_e32 v5, v3
	v_min_u32_e32 v5, 32, v5
	v_lshlrev_b64 v[2:3], v5, v[2:3]
	v_min_u32_e32 v2, 1, v2
	v_or_b32_e32 v2, v3, v2
	v_sub_nc_u32_e32 v3, 32, v5
	v_cvt_f32_u32_e32 v2, v2
	v_ldexp_f32 v2, v2, v3
	s_branch .LBB56_421
.LBB56_419:
	s_mov_b32 s18, -1
                                        ; implicit-def: $vgpr2
.LBB56_420:
	s_mov_b32 s2, 0
.LBB56_421:
	s_and_b32 vcc_lo, exec_lo, s2
	s_cbranch_vccz .LBB56_439
; %bb.422:
	s_cmp_lt_i32 s0, 27
	s_cbranch_scc1 .LBB56_425
; %bb.423:
	s_cmp_gt_i32 s0, 27
	s_cbranch_scc0 .LBB56_426
; %bb.424:
	global_load_dword v2, v[0:1], off
	s_mov_b32 s1, 0
	s_waitcnt vmcnt(0)
	v_cvt_f32_u32_e32 v2, v2
	s_branch .LBB56_427
.LBB56_425:
	s_mov_b32 s1, -1
                                        ; implicit-def: $vgpr2
	s_branch .LBB56_430
.LBB56_426:
	s_mov_b32 s1, -1
                                        ; implicit-def: $vgpr2
.LBB56_427:
	s_andn2_b32 vcc_lo, exec_lo, s1
	s_cbranch_vccnz .LBB56_429
; %bb.428:
	global_load_ushort v2, v[0:1], off
	s_waitcnt vmcnt(0)
	v_cvt_f32_u32_e32 v2, v2
.LBB56_429:
	s_mov_b32 s1, 0
.LBB56_430:
	s_andn2_b32 vcc_lo, exec_lo, s1
	s_cbranch_vccnz .LBB56_438
; %bb.431:
	global_load_ubyte v3, v[0:1], off
	s_mov_b32 s1, 0
	s_mov_b32 s2, exec_lo
	s_waitcnt vmcnt(0)
	v_cmpx_lt_i16_e32 0x7f, v3
	s_xor_b32 s2, exec_lo, s2
	s_cbranch_execz .LBB56_452
; %bb.432:
	s_mov_b32 s1, -1
	s_mov_b32 s3, exec_lo
	v_cmpx_eq_u16_e32 0x80, v3
; %bb.433:
	s_xor_b32 s1, exec_lo, -1
; %bb.434:
	s_or_b32 exec_lo, exec_lo, s3
	s_and_b32 s1, s1, exec_lo
	s_or_saveexec_b32 s2, s2
	v_mov_b32_e32 v2, 0x7f800001
	s_xor_b32 exec_lo, exec_lo, s2
	s_cbranch_execnz .LBB56_453
.LBB56_435:
	s_or_b32 exec_lo, exec_lo, s2
	s_and_saveexec_b32 s2, s1
	s_cbranch_execz .LBB56_437
.LBB56_436:
	v_and_b32_e32 v2, 0xffff, v3
	v_lshlrev_b32_e32 v3, 24, v3
	v_and_b32_e32 v5, 7, v2
	v_bfe_u32 v8, v2, 3, 4
	v_and_b32_e32 v3, 0x80000000, v3
	v_ffbh_u32_e32 v6, v5
	v_cmp_eq_u32_e32 vcc_lo, 0, v8
	v_min_u32_e32 v6, 32, v6
	v_subrev_nc_u32_e32 v7, 28, v6
	v_sub_nc_u32_e32 v6, 29, v6
	v_lshlrev_b32_e32 v2, v7, v2
	v_cndmask_b32_e32 v6, v8, v6, vcc_lo
	v_and_b32_e32 v2, 7, v2
	v_cndmask_b32_e32 v2, v5, v2, vcc_lo
	v_lshl_add_u32 v5, v6, 23, 0x3b800000
	v_lshlrev_b32_e32 v2, 20, v2
	v_or3_b32 v2, v3, v5, v2
.LBB56_437:
	s_or_b32 exec_lo, exec_lo, s2
.LBB56_438:
	s_mov_b32 s1, -1
.LBB56_439:
	s_mov_b32 s2, 0
.LBB56_440:
	s_and_b32 vcc_lo, exec_lo, s2
	s_cbranch_vccz .LBB56_475
; %bb.441:
	s_cmp_gt_i32 s0, 22
	s_cbranch_scc0 .LBB56_451
; %bb.442:
	s_cmp_lt_i32 s0, 24
	s_cbranch_scc1 .LBB56_454
; %bb.443:
	s_cmp_gt_i32 s0, 24
	s_cbranch_scc0 .LBB56_455
; %bb.444:
	global_load_ubyte v3, v[0:1], off
	s_mov_b32 s1, 0
	s_mov_b32 s2, exec_lo
	s_waitcnt vmcnt(0)
	v_cmpx_lt_i16_e32 0x7f, v3
	s_xor_b32 s2, exec_lo, s2
	s_cbranch_execz .LBB56_467
; %bb.445:
	s_mov_b32 s1, -1
	s_mov_b32 s3, exec_lo
	v_cmpx_eq_u16_e32 0x80, v3
; %bb.446:
	s_xor_b32 s1, exec_lo, -1
; %bb.447:
	s_or_b32 exec_lo, exec_lo, s3
	s_and_b32 s1, s1, exec_lo
	s_or_saveexec_b32 s2, s2
	v_mov_b32_e32 v2, 0x7f800001
	s_xor_b32 exec_lo, exec_lo, s2
	s_cbranch_execnz .LBB56_468
.LBB56_448:
	s_or_b32 exec_lo, exec_lo, s2
	s_and_saveexec_b32 s2, s1
	s_cbranch_execz .LBB56_450
.LBB56_449:
	v_and_b32_e32 v2, 0xffff, v3
	v_lshlrev_b32_e32 v3, 24, v3
	v_and_b32_e32 v5, 3, v2
	v_bfe_u32 v8, v2, 2, 5
	v_and_b32_e32 v3, 0x80000000, v3
	v_ffbh_u32_e32 v6, v5
	v_cmp_eq_u32_e32 vcc_lo, 0, v8
	v_min_u32_e32 v6, 32, v6
	v_subrev_nc_u32_e32 v7, 29, v6
	v_sub_nc_u32_e32 v6, 30, v6
	v_lshlrev_b32_e32 v2, v7, v2
	v_cndmask_b32_e32 v6, v8, v6, vcc_lo
	v_and_b32_e32 v2, 3, v2
	v_cndmask_b32_e32 v2, v5, v2, vcc_lo
	v_lshl_add_u32 v5, v6, 23, 0x37800000
	v_lshlrev_b32_e32 v2, 21, v2
	v_or3_b32 v2, v3, v5, v2
.LBB56_450:
	s_or_b32 exec_lo, exec_lo, s2
	s_mov_b32 s1, 0
	s_branch .LBB56_456
.LBB56_451:
	s_mov_b32 s2, -1
                                        ; implicit-def: $vgpr2
	s_branch .LBB56_462
.LBB56_452:
	s_or_saveexec_b32 s2, s2
	v_mov_b32_e32 v2, 0x7f800001
	s_xor_b32 exec_lo, exec_lo, s2
	s_cbranch_execz .LBB56_435
.LBB56_453:
	v_cmp_ne_u16_e32 vcc_lo, 0, v3
	v_mov_b32_e32 v2, 0
	s_andn2_b32 s1, s1, exec_lo
	s_and_b32 s3, vcc_lo, exec_lo
	s_or_b32 s1, s1, s3
	s_or_b32 exec_lo, exec_lo, s2
	s_and_saveexec_b32 s2, s1
	s_cbranch_execnz .LBB56_436
	s_branch .LBB56_437
.LBB56_454:
	s_mov_b32 s1, -1
                                        ; implicit-def: $vgpr2
	s_branch .LBB56_459
.LBB56_455:
	s_mov_b32 s1, -1
                                        ; implicit-def: $vgpr2
.LBB56_456:
	s_and_b32 vcc_lo, exec_lo, s1
	s_cbranch_vccz .LBB56_458
; %bb.457:
	global_load_ubyte v2, v[0:1], off
	s_waitcnt vmcnt(0)
	v_lshlrev_b32_e32 v2, 24, v2
	v_and_b32_e32 v3, 0x7f000000, v2
	v_ffbh_u32_e32 v5, v3
	v_add_nc_u32_e32 v7, 0x1000000, v3
	v_cmp_ne_u32_e32 vcc_lo, 0, v3
	v_min_u32_e32 v5, 32, v5
	v_sub_nc_u32_e64 v5, v5, 4 clamp
	v_lshlrev_b32_e32 v6, v5, v3
	v_lshlrev_b32_e32 v5, 23, v5
	v_lshrrev_b32_e32 v6, 4, v6
	v_sub_nc_u32_e32 v5, v6, v5
	v_ashrrev_i32_e32 v6, 8, v7
	v_add_nc_u32_e32 v5, 0x3c000000, v5
	v_and_or_b32 v5, 0x7f800000, v6, v5
	v_cndmask_b32_e32 v3, 0, v5, vcc_lo
	v_and_or_b32 v2, 0x80000000, v2, v3
.LBB56_458:
	s_mov_b32 s1, 0
.LBB56_459:
	s_andn2_b32 vcc_lo, exec_lo, s1
	s_cbranch_vccnz .LBB56_461
; %bb.460:
	global_load_ubyte v2, v[0:1], off
	s_waitcnt vmcnt(0)
	v_lshlrev_b32_e32 v3, 25, v2
	v_lshlrev_b16 v2, 8, v2
	v_lshrrev_b32_e32 v5, 4, v3
	v_and_or_b32 v6, 0x7f00, v2, 0.5
	v_cmp_gt_u32_e32 vcc_lo, 0x8000000, v3
	v_bfe_i32 v2, v2, 0, 16
	v_or_b32_e32 v5, 0x70000000, v5
	v_add_f32_e32 v6, -0.5, v6
	v_mul_f32_e32 v5, 0x7800000, v5
	v_cndmask_b32_e32 v3, v5, v6, vcc_lo
	v_and_or_b32 v2, 0x80000000, v2, v3
.LBB56_461:
	s_mov_b32 s2, 0
	s_mov_b32 s1, -1
.LBB56_462:
	s_andn2_b32 vcc_lo, exec_lo, s2
	s_cbranch_vccnz .LBB56_475
; %bb.463:
	s_cmp_gt_i32 s0, 14
	s_cbranch_scc0 .LBB56_466
; %bb.464:
	s_cmp_eq_u32 s0, 15
	s_cbranch_scc0 .LBB56_469
; %bb.465:
	global_load_ushort v2, v[0:1], off
	s_mov_b32 s1, -1
	s_mov_b32 s18, 0
	s_waitcnt vmcnt(0)
	v_lshlrev_b32_e32 v2, 16, v2
	s_branch .LBB56_470
.LBB56_466:
	s_mov_b32 s2, -1
                                        ; implicit-def: $vgpr2
	s_branch .LBB56_471
.LBB56_467:
	s_or_saveexec_b32 s2, s2
	v_mov_b32_e32 v2, 0x7f800001
	s_xor_b32 exec_lo, exec_lo, s2
	s_cbranch_execz .LBB56_448
.LBB56_468:
	v_cmp_ne_u16_e32 vcc_lo, 0, v3
	v_mov_b32_e32 v2, 0
	s_andn2_b32 s1, s1, exec_lo
	s_and_b32 s3, vcc_lo, exec_lo
	s_or_b32 s1, s1, s3
	s_or_b32 exec_lo, exec_lo, s2
	s_and_saveexec_b32 s2, s1
	s_cbranch_execnz .LBB56_449
	s_branch .LBB56_450
.LBB56_469:
	s_mov_b32 s18, -1
                                        ; implicit-def: $vgpr2
.LBB56_470:
	s_mov_b32 s2, 0
.LBB56_471:
	s_and_b32 vcc_lo, exec_lo, s2
	s_cbranch_vccz .LBB56_475
; %bb.472:
	s_cmp_eq_u32 s0, 11
	s_cbranch_scc0 .LBB56_474
; %bb.473:
	global_load_ubyte v2, v[0:1], off
	s_mov_b32 s18, 0
	s_mov_b32 s1, -1
	s_waitcnt vmcnt(0)
	v_cmp_ne_u16_e32 vcc_lo, 0, v2
	v_cndmask_b32_e64 v2, 0, 1.0, vcc_lo
	s_branch .LBB56_475
.LBB56_474:
	s_mov_b32 s18, -1
                                        ; implicit-def: $vgpr2
.LBB56_475:
	s_branch .LBB56_271
.LBB56_476:
	s_cmp_lt_i32 s0, 5
	s_cbranch_scc1 .LBB56_481
; %bb.477:
	s_cmp_lt_i32 s0, 8
	s_cbranch_scc1 .LBB56_482
; %bb.478:
	;; [unrolled: 3-line block ×3, first 2 shown]
	s_cmp_gt_i32 s0, 9
	s_cbranch_scc0 .LBB56_484
; %bb.480:
	global_load_dwordx2 v[2:3], v[0:1], off
	s_mov_b32 s1, 0
	s_waitcnt vmcnt(0)
	v_cvt_f32_f64_e32 v2, v[2:3]
	s_branch .LBB56_485
.LBB56_481:
	s_mov_b32 s1, -1
                                        ; implicit-def: $vgpr2
	s_branch .LBB56_503
.LBB56_482:
	s_mov_b32 s1, -1
                                        ; implicit-def: $vgpr2
	s_branch .LBB56_491
.LBB56_483:
	s_mov_b32 s1, -1
                                        ; implicit-def: $vgpr2
	s_branch .LBB56_488
.LBB56_484:
	s_mov_b32 s1, -1
                                        ; implicit-def: $vgpr2
.LBB56_485:
	s_andn2_b32 vcc_lo, exec_lo, s1
	s_cbranch_vccnz .LBB56_487
; %bb.486:
	global_load_dword v2, v[0:1], off
.LBB56_487:
	s_mov_b32 s1, 0
.LBB56_488:
	s_andn2_b32 vcc_lo, exec_lo, s1
	s_cbranch_vccnz .LBB56_490
; %bb.489:
	global_load_dword v2, v[0:1], off
	s_waitcnt vmcnt(0)
	v_cvt_f32_f16_e32 v2, v2
.LBB56_490:
	s_mov_b32 s1, 0
.LBB56_491:
	s_andn2_b32 vcc_lo, exec_lo, s1
	s_cbranch_vccnz .LBB56_502
; %bb.492:
	s_cmp_lt_i32 s0, 6
	s_cbranch_scc1 .LBB56_495
; %bb.493:
	s_cmp_gt_i32 s0, 6
	s_cbranch_scc0 .LBB56_496
; %bb.494:
	global_load_dwordx2 v[2:3], v[0:1], off
	s_mov_b32 s1, 0
	s_waitcnt vmcnt(0)
	v_cvt_f32_f64_e32 v2, v[2:3]
	s_branch .LBB56_497
.LBB56_495:
	s_mov_b32 s1, -1
                                        ; implicit-def: $vgpr2
	s_branch .LBB56_500
.LBB56_496:
	s_mov_b32 s1, -1
                                        ; implicit-def: $vgpr2
.LBB56_497:
	s_andn2_b32 vcc_lo, exec_lo, s1
	s_cbranch_vccnz .LBB56_499
; %bb.498:
	global_load_dword v2, v[0:1], off
.LBB56_499:
	s_mov_b32 s1, 0
.LBB56_500:
	s_andn2_b32 vcc_lo, exec_lo, s1
	s_cbranch_vccnz .LBB56_502
; %bb.501:
	global_load_ushort v2, v[0:1], off
	s_waitcnt vmcnt(0)
	v_cvt_f32_f16_e32 v2, v2
.LBB56_502:
	s_mov_b32 s1, 0
.LBB56_503:
	s_andn2_b32 vcc_lo, exec_lo, s1
	s_cbranch_vccnz .LBB56_523
; %bb.504:
	s_cmp_lt_i32 s0, 2
	s_cbranch_scc1 .LBB56_508
; %bb.505:
	s_cmp_lt_i32 s0, 3
	s_cbranch_scc1 .LBB56_509
; %bb.506:
	s_cmp_gt_i32 s0, 3
	s_cbranch_scc0 .LBB56_510
; %bb.507:
	global_load_dwordx2 v[2:3], v[0:1], off
	s_mov_b32 s1, 0
	s_waitcnt vmcnt(0)
	v_xor_b32_e32 v5, v2, v3
	v_ffbh_i32_e32 v6, v3
	v_ashrrev_i32_e32 v5, 31, v5
	v_add_nc_u32_e32 v6, -1, v6
	v_add_nc_u32_e32 v5, 32, v5
	v_min_u32_e32 v5, v6, v5
	v_lshlrev_b64 v[2:3], v5, v[2:3]
	v_min_u32_e32 v2, 1, v2
	v_or_b32_e32 v2, v3, v2
	v_sub_nc_u32_e32 v3, 32, v5
	v_cvt_f32_i32_e32 v2, v2
	v_ldexp_f32 v2, v2, v3
	s_branch .LBB56_511
.LBB56_508:
	s_mov_b32 s1, -1
                                        ; implicit-def: $vgpr2
	s_branch .LBB56_517
.LBB56_509:
	s_mov_b32 s1, -1
                                        ; implicit-def: $vgpr2
	s_branch .LBB56_514
.LBB56_510:
	s_mov_b32 s1, -1
                                        ; implicit-def: $vgpr2
.LBB56_511:
	s_andn2_b32 vcc_lo, exec_lo, s1
	s_cbranch_vccnz .LBB56_513
; %bb.512:
	global_load_dword v2, v[0:1], off
	s_waitcnt vmcnt(0)
	v_cvt_f32_i32_e32 v2, v2
.LBB56_513:
	s_mov_b32 s1, 0
.LBB56_514:
	s_andn2_b32 vcc_lo, exec_lo, s1
	s_cbranch_vccnz .LBB56_516
; %bb.515:
	global_load_sshort v2, v[0:1], off
	s_waitcnt vmcnt(0)
	v_cvt_f32_i32_e32 v2, v2
.LBB56_516:
	s_mov_b32 s1, 0
.LBB56_517:
	s_andn2_b32 vcc_lo, exec_lo, s1
	s_cbranch_vccnz .LBB56_523
; %bb.518:
	s_cmp_gt_i32 s0, 0
	s_mov_b32 s0, 0
	s_cbranch_scc0 .LBB56_520
; %bb.519:
	global_load_sbyte v2, v[0:1], off
	s_waitcnt vmcnt(0)
	v_cvt_f32_i32_e32 v2, v2
	s_branch .LBB56_521
.LBB56_520:
	s_mov_b32 s0, -1
                                        ; implicit-def: $vgpr2
.LBB56_521:
	s_andn2_b32 vcc_lo, exec_lo, s0
	s_cbranch_vccnz .LBB56_523
; %bb.522:
	global_load_ubyte v0, v[0:1], off
	s_waitcnt vmcnt(0)
	v_cvt_f32_ubyte0_e32 v2, v0
.LBB56_523:
	s_branch .LBB56_272
.LBB56_524:
	s_mov_b32 s1, 0
	s_mov_b32 s0, s14
.LBB56_525:
                                        ; implicit-def: $vgpr4
.LBB56_526:
	s_andn2_b32 s2, s14, exec_lo
	s_and_b32 s0, s0, exec_lo
	s_andn2_b32 s3, s16, exec_lo
	s_and_b32 s18, s18, exec_lo
	s_or_b32 s19, s2, s0
	s_or_b32 s18, s3, s18
	s_orn2_b32 s0, s1, exec_lo
.LBB56_527:
	s_or_b32 exec_lo, exec_lo, s20
	s_mov_b32 s1, 0
	s_mov_b32 s2, 0
	;; [unrolled: 1-line block ×3, first 2 shown]
                                        ; implicit-def: $vgpr0_vgpr1
                                        ; implicit-def: $vgpr3
	s_and_saveexec_b32 s20, s0
	s_cbranch_execz .LBB56_880
; %bb.528:
	s_mov_b32 s23, -1
	s_mov_b32 s0, s18
	s_mov_b32 s1, s19
	s_mov_b32 s21, exec_lo
	v_cmpx_gt_i32_e64 s15, v4
	s_cbranch_execz .LBB56_794
; %bb.529:
	v_mul_lo_u32 v0, v4, s13
	s_and_b32 s0, 0xffff, s6
	s_cmp_lt_i32 s0, 11
	v_ashrrev_i32_e32 v1, 31, v0
	v_add_co_u32 v0, vcc_lo, s10, v0
	v_add_co_ci_u32_e64 v1, null, s11, v1, vcc_lo
	s_cbranch_scc1 .LBB56_536
; %bb.530:
	s_cmp_gt_i32 s0, 25
	s_cbranch_scc0 .LBB56_537
; %bb.531:
	s_cmp_gt_i32 s0, 28
	s_cbranch_scc0 .LBB56_538
	;; [unrolled: 3-line block ×4, first 2 shown]
; %bb.534:
	s_cmp_eq_u32 s0, 46
	s_cbranch_scc0 .LBB56_545
; %bb.535:
	global_load_dword v2, v[0:1], off
	s_mov_b32 s1, -1
	s_mov_b32 s22, 0
	s_waitcnt vmcnt(0)
	v_lshlrev_b32_e32 v2, 16, v2
	s_branch .LBB56_547
.LBB56_536:
	s_mov_b32 s2, -1
	s_mov_b32 s1, 0
	s_mov_b32 s22, s18
                                        ; implicit-def: $vgpr2
	s_branch .LBB56_612
.LBB56_537:
	s_mov_b32 s2, -1
	s_mov_b32 s1, 0
	s_mov_b32 s22, s18
                                        ; implicit-def: $vgpr2
	s_branch .LBB56_576
.LBB56_538:
	s_mov_b32 s2, -1
	s_mov_b32 s1, 0
	s_mov_b32 s22, s18
                                        ; implicit-def: $vgpr2
	s_branch .LBB56_557
.LBB56_539:
	s_mov_b32 s2, -1
	s_mov_b32 s1, 0
	s_mov_b32 s22, s18
                                        ; implicit-def: $vgpr2
	s_branch .LBB56_552
.LBB56_540:
	s_andn2_saveexec_b32 s21, s21
	s_cbranch_execz .LBB56_324
.LBB56_541:
	v_add_f32_e64 v3, 0x46000000, |v2|
	s_andn2_b32 s19, s19, exec_lo
	v_and_b32_e32 v3, 0xff, v3
	v_cmp_ne_u32_e32 vcc_lo, 0, v3
	s_and_b32 s22, vcc_lo, exec_lo
	s_or_b32 s19, s19, s22
	s_or_b32 exec_lo, exec_lo, s21
	v_mov_b32_e32 v5, 0
	s_and_saveexec_b32 s21, s19
	s_cbranch_execnz .LBB56_325
	s_branch .LBB56_326
.LBB56_542:
	s_mov_b32 s2, -1
	s_mov_b32 s1, 0
	s_mov_b32 s22, s18
	s_branch .LBB56_546
.LBB56_543:
	s_andn2_saveexec_b32 s21, s21
	s_cbranch_execz .LBB56_337
.LBB56_544:
	v_add_f32_e64 v3, 0x42800000, |v2|
	s_andn2_b32 s19, s19, exec_lo
	v_and_b32_e32 v3, 0xff, v3
	v_cmp_ne_u32_e32 vcc_lo, 0, v3
	s_and_b32 s22, vcc_lo, exec_lo
	s_or_b32 s19, s19, s22
	s_or_b32 exec_lo, exec_lo, s21
	v_mov_b32_e32 v5, 0
	s_and_saveexec_b32 s21, s19
	s_cbranch_execnz .LBB56_338
	s_branch .LBB56_339
.LBB56_545:
	s_mov_b32 s22, -1
	s_mov_b32 s1, 0
.LBB56_546:
                                        ; implicit-def: $vgpr2
.LBB56_547:
	s_and_b32 vcc_lo, exec_lo, s2
	s_cbranch_vccz .LBB56_551
; %bb.548:
	s_cmp_eq_u32 s0, 44
	s_cbranch_scc0 .LBB56_550
; %bb.549:
	global_load_ubyte v2, v[0:1], off
	s_mov_b32 s22, 0
	s_mov_b32 s1, -1
	s_waitcnt vmcnt(0)
	v_lshlrev_b32_e32 v3, 23, v2
	v_cmp_ne_u32_e32 vcc_lo, 0xff, v2
	v_cndmask_b32_e32 v3, 0x7f800001, v3, vcc_lo
	v_cmp_ne_u32_e32 vcc_lo, 0, v2
	v_cndmask_b32_e32 v2, 0x400000, v3, vcc_lo
	s_branch .LBB56_551
.LBB56_550:
	s_mov_b32 s22, -1
                                        ; implicit-def: $vgpr2
.LBB56_551:
	s_mov_b32 s2, 0
.LBB56_552:
	s_and_b32 vcc_lo, exec_lo, s2
	s_cbranch_vccz .LBB56_556
; %bb.553:
	s_cmp_eq_u32 s0, 29
	s_cbranch_scc0 .LBB56_555
; %bb.554:
	global_load_dwordx2 v[2:3], v[0:1], off
	s_mov_b32 s1, -1
	s_mov_b32 s22, 0
	s_mov_b32 s2, 0
	s_waitcnt vmcnt(0)
	v_ffbh_u32_e32 v5, v3
	v_min_u32_e32 v5, 32, v5
	v_lshlrev_b64 v[2:3], v5, v[2:3]
	v_min_u32_e32 v2, 1, v2
	v_or_b32_e32 v2, v3, v2
	v_sub_nc_u32_e32 v3, 32, v5
	v_cvt_f32_u32_e32 v2, v2
	v_ldexp_f32 v2, v2, v3
	s_branch .LBB56_557
.LBB56_555:
	s_mov_b32 s22, -1
                                        ; implicit-def: $vgpr2
.LBB56_556:
	s_mov_b32 s2, 0
.LBB56_557:
	s_and_b32 vcc_lo, exec_lo, s2
	s_cbranch_vccz .LBB56_575
; %bb.558:
	s_cmp_lt_i32 s0, 27
	s_cbranch_scc1 .LBB56_561
; %bb.559:
	s_cmp_gt_i32 s0, 27
	s_cbranch_scc0 .LBB56_562
; %bb.560:
	global_load_dword v2, v[0:1], off
	s_mov_b32 s1, 0
	s_waitcnt vmcnt(0)
	v_cvt_f32_u32_e32 v2, v2
	s_branch .LBB56_563
.LBB56_561:
	s_mov_b32 s1, -1
                                        ; implicit-def: $vgpr2
	s_branch .LBB56_566
.LBB56_562:
	s_mov_b32 s1, -1
                                        ; implicit-def: $vgpr2
.LBB56_563:
	s_andn2_b32 vcc_lo, exec_lo, s1
	s_cbranch_vccnz .LBB56_565
; %bb.564:
	global_load_ushort v2, v[0:1], off
	s_waitcnt vmcnt(0)
	v_cvt_f32_u32_e32 v2, v2
.LBB56_565:
	s_mov_b32 s1, 0
.LBB56_566:
	s_andn2_b32 vcc_lo, exec_lo, s1
	s_cbranch_vccnz .LBB56_574
; %bb.567:
	global_load_ubyte v3, v[0:1], off
	s_mov_b32 s1, 0
	s_mov_b32 s2, exec_lo
	s_waitcnt vmcnt(0)
	v_cmpx_lt_i16_e32 0x7f, v3
	s_xor_b32 s2, exec_lo, s2
	s_cbranch_execz .LBB56_588
; %bb.568:
	s_mov_b32 s1, -1
	s_mov_b32 s3, exec_lo
	v_cmpx_eq_u16_e32 0x80, v3
; %bb.569:
	s_xor_b32 s1, exec_lo, -1
; %bb.570:
	s_or_b32 exec_lo, exec_lo, s3
	s_and_b32 s1, s1, exec_lo
	s_or_saveexec_b32 s2, s2
	v_mov_b32_e32 v2, 0x7f800001
	s_xor_b32 exec_lo, exec_lo, s2
	s_cbranch_execnz .LBB56_589
.LBB56_571:
	s_or_b32 exec_lo, exec_lo, s2
	s_and_saveexec_b32 s2, s1
	s_cbranch_execz .LBB56_573
.LBB56_572:
	v_and_b32_e32 v2, 0xffff, v3
	v_lshlrev_b32_e32 v3, 24, v3
	v_and_b32_e32 v5, 7, v2
	v_bfe_u32 v8, v2, 3, 4
	v_and_b32_e32 v3, 0x80000000, v3
	v_ffbh_u32_e32 v6, v5
	v_cmp_eq_u32_e32 vcc_lo, 0, v8
	v_min_u32_e32 v6, 32, v6
	v_subrev_nc_u32_e32 v7, 28, v6
	v_sub_nc_u32_e32 v6, 29, v6
	v_lshlrev_b32_e32 v2, v7, v2
	v_cndmask_b32_e32 v6, v8, v6, vcc_lo
	v_and_b32_e32 v2, 7, v2
	v_cndmask_b32_e32 v2, v5, v2, vcc_lo
	v_lshl_add_u32 v5, v6, 23, 0x3b800000
	v_lshlrev_b32_e32 v2, 20, v2
	v_or3_b32 v2, v3, v5, v2
.LBB56_573:
	s_or_b32 exec_lo, exec_lo, s2
.LBB56_574:
	s_mov_b32 s1, -1
.LBB56_575:
	s_mov_b32 s2, 0
.LBB56_576:
	s_and_b32 vcc_lo, exec_lo, s2
	s_cbranch_vccz .LBB56_611
; %bb.577:
	s_cmp_gt_i32 s0, 22
	s_cbranch_scc0 .LBB56_587
; %bb.578:
	s_cmp_lt_i32 s0, 24
	s_cbranch_scc1 .LBB56_590
; %bb.579:
	s_cmp_gt_i32 s0, 24
	s_cbranch_scc0 .LBB56_591
; %bb.580:
	global_load_ubyte v3, v[0:1], off
	s_mov_b32 s1, 0
	s_mov_b32 s2, exec_lo
	s_waitcnt vmcnt(0)
	v_cmpx_lt_i16_e32 0x7f, v3
	s_xor_b32 s2, exec_lo, s2
	s_cbranch_execz .LBB56_603
; %bb.581:
	s_mov_b32 s1, -1
	s_mov_b32 s3, exec_lo
	v_cmpx_eq_u16_e32 0x80, v3
; %bb.582:
	s_xor_b32 s1, exec_lo, -1
; %bb.583:
	s_or_b32 exec_lo, exec_lo, s3
	s_and_b32 s1, s1, exec_lo
	s_or_saveexec_b32 s2, s2
	v_mov_b32_e32 v2, 0x7f800001
	s_xor_b32 exec_lo, exec_lo, s2
	s_cbranch_execnz .LBB56_604
.LBB56_584:
	s_or_b32 exec_lo, exec_lo, s2
	s_and_saveexec_b32 s2, s1
	s_cbranch_execz .LBB56_586
.LBB56_585:
	v_and_b32_e32 v2, 0xffff, v3
	v_lshlrev_b32_e32 v3, 24, v3
	v_and_b32_e32 v5, 3, v2
	v_bfe_u32 v8, v2, 2, 5
	v_and_b32_e32 v3, 0x80000000, v3
	v_ffbh_u32_e32 v6, v5
	v_cmp_eq_u32_e32 vcc_lo, 0, v8
	v_min_u32_e32 v6, 32, v6
	v_subrev_nc_u32_e32 v7, 29, v6
	v_sub_nc_u32_e32 v6, 30, v6
	v_lshlrev_b32_e32 v2, v7, v2
	v_cndmask_b32_e32 v6, v8, v6, vcc_lo
	v_and_b32_e32 v2, 3, v2
	v_cndmask_b32_e32 v2, v5, v2, vcc_lo
	v_lshl_add_u32 v5, v6, 23, 0x37800000
	v_lshlrev_b32_e32 v2, 21, v2
	v_or3_b32 v2, v3, v5, v2
.LBB56_586:
	s_or_b32 exec_lo, exec_lo, s2
	s_mov_b32 s1, 0
	s_branch .LBB56_592
.LBB56_587:
	s_mov_b32 s2, -1
                                        ; implicit-def: $vgpr2
	s_branch .LBB56_598
.LBB56_588:
	s_or_saveexec_b32 s2, s2
	v_mov_b32_e32 v2, 0x7f800001
	s_xor_b32 exec_lo, exec_lo, s2
	s_cbranch_execz .LBB56_571
.LBB56_589:
	v_cmp_ne_u16_e32 vcc_lo, 0, v3
	v_mov_b32_e32 v2, 0
	s_andn2_b32 s1, s1, exec_lo
	s_and_b32 s3, vcc_lo, exec_lo
	s_or_b32 s1, s1, s3
	s_or_b32 exec_lo, exec_lo, s2
	s_and_saveexec_b32 s2, s1
	s_cbranch_execnz .LBB56_572
	s_branch .LBB56_573
.LBB56_590:
	s_mov_b32 s1, -1
                                        ; implicit-def: $vgpr2
	s_branch .LBB56_595
.LBB56_591:
	s_mov_b32 s1, -1
                                        ; implicit-def: $vgpr2
.LBB56_592:
	s_and_b32 vcc_lo, exec_lo, s1
	s_cbranch_vccz .LBB56_594
; %bb.593:
	global_load_ubyte v2, v[0:1], off
	s_waitcnt vmcnt(0)
	v_lshlrev_b32_e32 v2, 24, v2
	v_and_b32_e32 v3, 0x7f000000, v2
	v_ffbh_u32_e32 v5, v3
	v_add_nc_u32_e32 v7, 0x1000000, v3
	v_cmp_ne_u32_e32 vcc_lo, 0, v3
	v_min_u32_e32 v5, 32, v5
	v_sub_nc_u32_e64 v5, v5, 4 clamp
	v_lshlrev_b32_e32 v6, v5, v3
	v_lshlrev_b32_e32 v5, 23, v5
	v_lshrrev_b32_e32 v6, 4, v6
	v_sub_nc_u32_e32 v5, v6, v5
	v_ashrrev_i32_e32 v6, 8, v7
	v_add_nc_u32_e32 v5, 0x3c000000, v5
	v_and_or_b32 v5, 0x7f800000, v6, v5
	v_cndmask_b32_e32 v3, 0, v5, vcc_lo
	v_and_or_b32 v2, 0x80000000, v2, v3
.LBB56_594:
	s_mov_b32 s1, 0
.LBB56_595:
	s_andn2_b32 vcc_lo, exec_lo, s1
	s_cbranch_vccnz .LBB56_597
; %bb.596:
	global_load_ubyte v2, v[0:1], off
	s_waitcnt vmcnt(0)
	v_lshlrev_b32_e32 v3, 25, v2
	v_lshlrev_b16 v2, 8, v2
	v_lshrrev_b32_e32 v5, 4, v3
	v_and_or_b32 v6, 0x7f00, v2, 0.5
	v_cmp_gt_u32_e32 vcc_lo, 0x8000000, v3
	v_bfe_i32 v2, v2, 0, 16
	v_or_b32_e32 v5, 0x70000000, v5
	v_add_f32_e32 v6, -0.5, v6
	v_mul_f32_e32 v5, 0x7800000, v5
	v_cndmask_b32_e32 v3, v5, v6, vcc_lo
	v_and_or_b32 v2, 0x80000000, v2, v3
.LBB56_597:
	s_mov_b32 s2, 0
	s_mov_b32 s1, -1
.LBB56_598:
	s_andn2_b32 vcc_lo, exec_lo, s2
	s_cbranch_vccnz .LBB56_611
; %bb.599:
	s_cmp_gt_i32 s0, 14
	s_cbranch_scc0 .LBB56_602
; %bb.600:
	s_cmp_eq_u32 s0, 15
	s_cbranch_scc0 .LBB56_605
; %bb.601:
	global_load_ushort v2, v[0:1], off
	s_mov_b32 s1, -1
	s_mov_b32 s22, 0
	s_waitcnt vmcnt(0)
	v_lshlrev_b32_e32 v2, 16, v2
	s_branch .LBB56_606
.LBB56_602:
	s_mov_b32 s2, -1
                                        ; implicit-def: $vgpr2
	s_branch .LBB56_607
.LBB56_603:
	s_or_saveexec_b32 s2, s2
	v_mov_b32_e32 v2, 0x7f800001
	s_xor_b32 exec_lo, exec_lo, s2
	s_cbranch_execz .LBB56_584
.LBB56_604:
	v_cmp_ne_u16_e32 vcc_lo, 0, v3
	v_mov_b32_e32 v2, 0
	s_andn2_b32 s1, s1, exec_lo
	s_and_b32 s3, vcc_lo, exec_lo
	s_or_b32 s1, s1, s3
	s_or_b32 exec_lo, exec_lo, s2
	s_and_saveexec_b32 s2, s1
	s_cbranch_execnz .LBB56_585
	s_branch .LBB56_586
.LBB56_605:
	s_mov_b32 s22, -1
                                        ; implicit-def: $vgpr2
.LBB56_606:
	s_mov_b32 s2, 0
.LBB56_607:
	s_and_b32 vcc_lo, exec_lo, s2
	s_cbranch_vccz .LBB56_611
; %bb.608:
	s_cmp_eq_u32 s0, 11
	s_cbranch_scc0 .LBB56_610
; %bb.609:
	global_load_ubyte v2, v[0:1], off
	s_mov_b32 s22, 0
	s_mov_b32 s1, -1
	s_waitcnt vmcnt(0)
	v_cmp_ne_u16_e32 vcc_lo, 0, v2
	v_cndmask_b32_e64 v2, 0, 1.0, vcc_lo
	s_branch .LBB56_611
.LBB56_610:
	s_mov_b32 s22, -1
                                        ; implicit-def: $vgpr2
.LBB56_611:
	s_mov_b32 s2, 0
.LBB56_612:
	s_and_b32 vcc_lo, exec_lo, s2
	s_cbranch_vccz .LBB56_661
; %bb.613:
	s_cmp_lt_i32 s0, 5
	s_cbranch_scc1 .LBB56_618
; %bb.614:
	s_cmp_lt_i32 s0, 8
	s_cbranch_scc1 .LBB56_619
	;; [unrolled: 3-line block ×3, first 2 shown]
; %bb.616:
	s_cmp_gt_i32 s0, 9
	s_cbranch_scc0 .LBB56_621
; %bb.617:
	global_load_dwordx2 v[2:3], v[0:1], off
	s_mov_b32 s1, 0
	s_waitcnt vmcnt(0)
	v_cvt_f32_f64_e32 v2, v[2:3]
	s_branch .LBB56_622
.LBB56_618:
	s_mov_b32 s1, -1
                                        ; implicit-def: $vgpr2
	s_branch .LBB56_640
.LBB56_619:
	s_mov_b32 s1, -1
                                        ; implicit-def: $vgpr2
	s_branch .LBB56_628
.LBB56_620:
	s_mov_b32 s1, -1
                                        ; implicit-def: $vgpr2
	s_branch .LBB56_625
.LBB56_621:
	s_mov_b32 s1, -1
                                        ; implicit-def: $vgpr2
.LBB56_622:
	s_andn2_b32 vcc_lo, exec_lo, s1
	s_cbranch_vccnz .LBB56_624
; %bb.623:
	global_load_dword v2, v[0:1], off
.LBB56_624:
	s_mov_b32 s1, 0
.LBB56_625:
	s_andn2_b32 vcc_lo, exec_lo, s1
	s_cbranch_vccnz .LBB56_627
; %bb.626:
	global_load_dword v2, v[0:1], off
	s_waitcnt vmcnt(0)
	v_cvt_f32_f16_e32 v2, v2
.LBB56_627:
	s_mov_b32 s1, 0
.LBB56_628:
	s_andn2_b32 vcc_lo, exec_lo, s1
	s_cbranch_vccnz .LBB56_639
; %bb.629:
	s_cmp_lt_i32 s0, 6
	s_cbranch_scc1 .LBB56_632
; %bb.630:
	s_cmp_gt_i32 s0, 6
	s_cbranch_scc0 .LBB56_633
; %bb.631:
	global_load_dwordx2 v[2:3], v[0:1], off
	s_mov_b32 s1, 0
	s_waitcnt vmcnt(0)
	v_cvt_f32_f64_e32 v2, v[2:3]
	s_branch .LBB56_634
.LBB56_632:
	s_mov_b32 s1, -1
                                        ; implicit-def: $vgpr2
	s_branch .LBB56_637
.LBB56_633:
	s_mov_b32 s1, -1
                                        ; implicit-def: $vgpr2
.LBB56_634:
	s_andn2_b32 vcc_lo, exec_lo, s1
	s_cbranch_vccnz .LBB56_636
; %bb.635:
	global_load_dword v2, v[0:1], off
.LBB56_636:
	s_mov_b32 s1, 0
.LBB56_637:
	s_andn2_b32 vcc_lo, exec_lo, s1
	s_cbranch_vccnz .LBB56_639
; %bb.638:
	global_load_ushort v2, v[0:1], off
	s_waitcnt vmcnt(0)
	v_cvt_f32_f16_e32 v2, v2
.LBB56_639:
	s_mov_b32 s1, 0
.LBB56_640:
	s_andn2_b32 vcc_lo, exec_lo, s1
	s_cbranch_vccnz .LBB56_660
; %bb.641:
	s_cmp_lt_i32 s0, 2
	s_cbranch_scc1 .LBB56_645
; %bb.642:
	s_cmp_lt_i32 s0, 3
	s_cbranch_scc1 .LBB56_646
; %bb.643:
	s_cmp_gt_i32 s0, 3
	s_cbranch_scc0 .LBB56_647
; %bb.644:
	global_load_dwordx2 v[2:3], v[0:1], off
	s_mov_b32 s1, 0
	s_waitcnt vmcnt(0)
	v_xor_b32_e32 v5, v2, v3
	v_ffbh_i32_e32 v6, v3
	v_ashrrev_i32_e32 v5, 31, v5
	v_add_nc_u32_e32 v6, -1, v6
	v_add_nc_u32_e32 v5, 32, v5
	v_min_u32_e32 v5, v6, v5
	v_lshlrev_b64 v[2:3], v5, v[2:3]
	v_min_u32_e32 v2, 1, v2
	v_or_b32_e32 v2, v3, v2
	v_sub_nc_u32_e32 v3, 32, v5
	v_cvt_f32_i32_e32 v2, v2
	v_ldexp_f32 v2, v2, v3
	s_branch .LBB56_648
.LBB56_645:
	s_mov_b32 s1, -1
                                        ; implicit-def: $vgpr2
	s_branch .LBB56_654
.LBB56_646:
	s_mov_b32 s1, -1
                                        ; implicit-def: $vgpr2
	s_branch .LBB56_651
.LBB56_647:
	s_mov_b32 s1, -1
                                        ; implicit-def: $vgpr2
.LBB56_648:
	s_andn2_b32 vcc_lo, exec_lo, s1
	s_cbranch_vccnz .LBB56_650
; %bb.649:
	global_load_dword v2, v[0:1], off
	s_waitcnt vmcnt(0)
	v_cvt_f32_i32_e32 v2, v2
.LBB56_650:
	s_mov_b32 s1, 0
.LBB56_651:
	s_andn2_b32 vcc_lo, exec_lo, s1
	s_cbranch_vccnz .LBB56_653
; %bb.652:
	global_load_sshort v2, v[0:1], off
	s_waitcnt vmcnt(0)
	v_cvt_f32_i32_e32 v2, v2
.LBB56_653:
	s_mov_b32 s1, 0
.LBB56_654:
	s_andn2_b32 vcc_lo, exec_lo, s1
	s_cbranch_vccnz .LBB56_660
; %bb.655:
	s_cmp_gt_i32 s0, 0
	s_mov_b32 s0, 0
	s_cbranch_scc0 .LBB56_657
; %bb.656:
	global_load_sbyte v2, v[0:1], off
	s_waitcnt vmcnt(0)
	v_cvt_f32_i32_e32 v2, v2
	s_branch .LBB56_658
.LBB56_657:
	s_mov_b32 s0, -1
                                        ; implicit-def: $vgpr2
.LBB56_658:
	s_andn2_b32 vcc_lo, exec_lo, s0
	s_cbranch_vccnz .LBB56_660
; %bb.659:
	global_load_ubyte v0, v[0:1], off
	s_waitcnt vmcnt(0)
	v_cvt_f32_ubyte0_e32 v2, v0
.LBB56_660:
	s_mov_b32 s1, -1
.LBB56_661:
	s_andn2_b32 vcc_lo, exec_lo, s1
	s_cbranch_vccnz .LBB56_675
; %bb.662:
	v_mov_b32_e32 v0, 0
	v_mov_b32_e32 v3, 1.0
	s_mov_b32 s2, exec_lo
	s_waitcnt vmcnt(0)
	v_cmpx_gt_f32_e32 0.5, v2
	s_cbranch_execz .LBB56_668
; %bb.663:
	v_mul_f32_e32 v0, 0x40490fdb, v2
                                        ; implicit-def: $vgpr5
                                        ; implicit-def: $vgpr3
	s_mov_b32 s1, exec_lo
	v_and_b32_e32 v1, 0x7fffffff, v0
	v_cmpx_ngt_f32_e64 0x48000000, |v0|
	s_xor_b32 s3, exec_lo, s1
	s_cbranch_execz .LBB56_665
; %bb.664:
	s_mov_b32 s0, 0x7fffff
	v_mov_b32_e32 v7, 0
	v_and_or_b32 v3, v1, s0, 0x800000
	v_lshrrev_b32_e32 v12, 23, v1
	v_mad_u64_u32 v[5:6], null, 0xfe5163ab, v3, 0
	v_add_nc_u32_e32 v13, 0xffffff88, v12
	v_cmp_lt_u32_e32 vcc_lo, 63, v13
	v_mad_u64_u32 v[8:9], null, 0x3c439041, v3, v[6:7]
	v_cndmask_b32_e64 v14, 0, 0xffffffc0, vcc_lo
	v_mov_b32_e32 v6, v9
	v_add_nc_u32_e32 v14, v14, v13
	v_mad_u64_u32 v[9:10], null, 0xdb629599, v3, v[6:7]
	v_cmp_lt_u32_e64 s0, 31, v14
	v_cndmask_b32_e64 v15, 0, 0xffffffe0, s0
	v_mov_b32_e32 v6, v10
	v_cndmask_b32_e32 v5, v9, v5, vcc_lo
	v_mad_u64_u32 v[10:11], null, 0xf534ddc0, v3, v[6:7]
	v_mov_b32_e32 v6, v11
	v_cndmask_b32_e32 v8, v10, v8, vcc_lo
	v_mad_u64_u32 v[11:12], null, 0xfc2757d1, v3, v[6:7]
	v_cndmask_b32_e64 v5, v8, v5, s0
	v_mov_b32_e32 v6, v12
	v_mad_u64_u32 v[12:13], null, 0x4e441529, v3, v[6:7]
	v_mov_b32_e32 v6, v13
	v_add_nc_u32_e32 v13, v15, v14
	v_cndmask_b32_e32 v14, v12, v10, vcc_lo
	v_mad_u64_u32 v[6:7], null, 0xa2f9836e, v3, v[6:7]
	v_cmp_lt_u32_e64 s1, 31, v13
	v_cndmask_b32_e64 v3, 0, 0xffffffe0, s1
	v_cndmask_b32_e32 v6, v6, v11, vcc_lo
	v_cndmask_b32_e32 v7, v7, v12, vcc_lo
	;; [unrolled: 1-line block ×3, first 2 shown]
	v_add_nc_u32_e32 v3, v3, v13
	v_cndmask_b32_e64 v10, v6, v14, s0
	v_cndmask_b32_e64 v6, v7, v6, s0
	;; [unrolled: 1-line block ×4, first 2 shown]
	v_sub_nc_u32_e32 v12, 32, v3
	v_cmp_eq_u32_e32 vcc_lo, 0, v3
	v_cndmask_b32_e64 v6, v6, v10, s1
	v_cndmask_b32_e64 v10, v10, v7, s1
	;; [unrolled: 1-line block ×4, first 2 shown]
	v_alignbit_b32 v13, v6, v10, v12
	v_alignbit_b32 v9, v10, v7, v12
	;; [unrolled: 1-line block ×3, first 2 shown]
	v_cndmask_b32_e32 v3, v13, v6, vcc_lo
	v_cndmask_b32_e32 v6, v9, v10, vcc_lo
	;; [unrolled: 1-line block ×3, first 2 shown]
	v_bfe_u32 v8, v3, 29, 1
	v_alignbit_b32 v9, v3, v6, 30
	v_alignbit_b32 v6, v6, v7, 30
	;; [unrolled: 1-line block ×3, first 2 shown]
	v_sub_nc_u32_e32 v10, 0, v8
	v_xor_b32_e32 v9, v9, v10
	v_xor_b32_e32 v6, v6, v10
	;; [unrolled: 1-line block ×3, first 2 shown]
	v_lshrrev_b32_e32 v10, 29, v3
	v_ffbh_u32_e32 v11, v9
	v_min_u32_e32 v11, 32, v11
	v_sub_nc_u32_e32 v7, 31, v11
	v_lshlrev_b32_e32 v12, 23, v11
	v_alignbit_b32 v9, v9, v6, v7
	v_alignbit_b32 v5, v6, v5, v7
	v_lshlrev_b32_e32 v6, 31, v10
	v_alignbit_b32 v7, v9, v5, 9
	v_or_b32_e32 v10, 0.5, v6
	v_lshrrev_b32_e32 v9, 9, v9
	v_or_b32_e32 v6, 0x33000000, v6
	v_ffbh_u32_e32 v13, v7
	v_sub_nc_u32_e32 v10, v10, v12
	v_min_u32_e32 v12, 32, v13
	v_or_b32_e32 v9, v9, v10
	v_not_b32_e32 v10, v12
	v_mul_f32_e32 v13, 0x3fc90fda, v9
	v_add_lshl_u32 v11, v12, v11, 23
	v_alignbit_b32 v5, v7, v5, v10
	v_fma_f32 v7, 0x3fc90fda, v9, -v13
	v_sub_nc_u32_e32 v6, v6, v11
	v_lshrrev_b32_e32 v5, 9, v5
	v_fmamk_f32 v7, v9, 0x33a22168, v7
	v_or_b32_e32 v5, v6, v5
	v_fmac_f32_e32 v7, 0x3fc90fda, v5
	v_lshrrev_b32_e32 v5, 30, v3
	v_add_f32_e32 v3, v13, v7
	v_add_nc_u32_e32 v5, v8, v5
.LBB56_665:
	s_andn2_saveexec_b32 s0, s3
; %bb.666:
	v_mul_f32_e64 v3, 0x3f22f983, |v0|
	v_rndne_f32_e32 v5, v3
	v_fma_f32 v3, 0xbfc90fda, v5, |v0|
	v_fmamk_f32 v3, v5, 0xb3a22168, v3
	v_fmamk_f32 v3, v5, 0xa7c234c4, v3
	v_cvt_i32_f32_e32 v5, v5
; %bb.667:
	s_or_b32 exec_lo, exec_lo, s0
	v_mul_f32_e32 v6, v3, v3
	s_mov_b32 s0, 0xb94c1982
	s_mov_b32 s1, 0x37d75334
	v_and_b32_e32 v9, 1, v5
	v_lshlrev_b32_e32 v5, 30, v5
	v_fmaak_f32 v7, s0, v6, 0x3c0881c4
	v_fmaak_f32 v8, s1, v6, 0xbab64f3b
	v_xor_b32_e32 v1, v1, v0
	v_cmp_eq_u32_e32 vcc_lo, 0, v9
	v_and_b32_e32 v5, 0x80000000, v5
	v_fmaak_f32 v7, v6, v7, 0xbe2aaa9d
	v_fmaak_f32 v8, v6, v8, 0x3d2aabf7
	v_sub_f32_e32 v2, 1.0, v2
	v_mul_f32_e32 v7, v6, v7
	v_fmaak_f32 v8, v6, v8, 0xbf000004
	v_fmac_f32_e32 v3, v3, v7
	v_fma_f32 v6, v6, v8, 1.0
	v_cndmask_b32_e32 v3, v6, v3, vcc_lo
	v_cmp_class_f32_e64 vcc_lo, v0, 0x1f8
	v_xor3_b32 v1, v1, v5, v3
	v_cndmask_b32_e32 v0, 0x7fc00000, v1, vcc_lo
	v_mul_f32_e32 v0, v0, v0
	v_div_scale_f32 v1, null, v0, v0, 0xc11de9e7
	v_div_scale_f32 v6, vcc_lo, 0xc11de9e7, v0, 0xc11de9e7
	v_rcp_f32_e32 v3, v1
	v_fma_f32 v5, -v1, v3, 1.0
	v_fmac_f32_e32 v3, v5, v3
	v_mul_f32_e32 v5, v6, v3
	v_fma_f32 v7, -v1, v5, v6
	v_fmac_f32_e32 v5, v7, v3
	v_fma_f32 v1, -v1, v5, v6
	v_div_fmas_f32 v1, v1, v3, v5
	v_mov_b32_e32 v3, -1.0
	v_div_fixup_f32 v0, v1, v0, 0xc11de9e7
	v_add_f32_e32 v0, 0, v0
.LBB56_668:
	s_or_b32 exec_lo, exec_lo, s2
	v_add_f32_e32 v1, 1.0, v2
	v_mul_f32_e32 v2, v2, v2
	v_mul_f32_e32 v5, v1, v1
	v_add_f32_e32 v1, 1.0, v1
	v_div_scale_f32 v6, null, v2, v2, 1.0
	v_div_scale_f32 v8, vcc_lo, 1.0, v2, 1.0
	v_mul_f32_e32 v9, v1, v1
	v_div_scale_f32 v7, null, v5, v5, 1.0
	v_rcp_f32_e32 v10, v6
	v_div_scale_f32 v13, s0, 1.0, v5, 1.0
	v_div_scale_f32 v12, null, v9, v9, 1.0
	v_rcp_f32_e32 v11, v7
	v_add_f32_e32 v1, 1.0, v1
	v_div_scale_f32 v14, s1, 1.0, v9, 1.0
	v_rcp_f32_e32 v15, v12
	v_fma_f32 v17, -v6, v10, 1.0
	v_mul_f32_e32 v16, v1, v1
	v_add_f32_e32 v1, 1.0, v1
	v_fma_f32 v18, -v7, v11, 1.0
	v_fmac_f32_e32 v10, v17, v10
	v_mul_f32_e32 v20, v1, v1
	v_add_f32_e32 v1, 1.0, v1
	v_fma_f32 v17, -v12, v15, 1.0
	v_fmac_f32_e32 v11, v18, v11
	v_mul_f32_e32 v21, v8, v10
	v_div_scale_f32 v19, null, v16, v16, 1.0
	v_fmac_f32_e32 v15, v17, v15
	v_mul_f32_e32 v22, v13, v11
	v_fma_f32 v23, -v6, v21, v8
	v_add_f32_e32 v26, 1.0, v1
	v_rcp_f32_e32 v18, v19
	v_mul_f32_e32 v25, v14, v15
	v_fma_f32 v24, -v7, v22, v13
	v_fmac_f32_e32 v21, v23, v10
	v_mul_f32_e32 v1, v1, v1
	v_div_scale_f32 v17, null, v20, v20, 1.0
	v_fma_f32 v23, -v12, v25, v14
	v_fmac_f32_e32 v22, v24, v11
	v_fma_f32 v6, -v6, v21, v8
	v_mul_f32_e32 v8, v26, v26
	v_rcp_f32_e32 v24, v17
	v_fmac_f32_e32 v25, v23, v15
	v_fma_f32 v7, -v7, v22, v13
	v_div_fmas_f32 v6, v6, v10, v21
	s_mov_b32 vcc_lo, s0
	v_fma_f32 v27, -v19, v18, 1.0
	v_fma_f32 v10, -v12, v25, v14
	v_div_fmas_f32 v7, v7, v11, v22
	s_mov_b32 vcc_lo, s1
	v_div_scale_f32 v11, null, v1, v1, 1.0
	v_div_fmas_f32 v10, v10, v15, v25
	v_div_scale_f32 v12, null, v8, v8, 1.0
	v_add_f32_e32 v15, v26, v26
	v_rcp_f32_e32 v14, v11
	v_fmac_f32_e32 v18, v27, v18
	v_rcp_f32_e32 v22, v12
	v_div_scale_f32 v13, vcc_lo, 1.0, v16, 1.0
	v_div_scale_f32 v25, null, v15, v15, 1.0
	v_fma_f32 v21, -v17, v24, 1.0
	v_mul_f32_e32 v23, v13, v18
	v_div_fixup_f32 v2, v6, v2, 1.0
	v_rcp_f32_e32 v28, v25
	v_fma_f32 v27, -v11, v14, 1.0
	v_fmac_f32_e32 v24, v21, v24
	v_div_scale_f32 v21, s0, 1.0, v20, 1.0
	v_fma_f32 v30, -v12, v22, 1.0
	v_fma_f32 v29, -v19, v23, v13
	v_fmac_f32_e32 v14, v27, v14
	v_div_scale_f32 v27, s1, 1.0, v1, 1.0
	v_mul_f32_e32 v31, v21, v24
	v_fmac_f32_e32 v22, v30, v22
	v_div_scale_f32 v30, s2, 1.0, v8, 1.0
	v_fma_f32 v32, -v25, v28, 1.0
	v_fmac_f32_e32 v23, v29, v18
	v_mul_f32_e32 v33, v27, v14
	v_fma_f32 v29, -v17, v31, v21
	v_mul_f32_e32 v34, v30, v22
	v_fmac_f32_e32 v28, v32, v28
	v_div_scale_f32 v32, s3, 1.0, v15, 1.0
	v_fma_f32 v13, -v19, v23, v13
	v_fma_f32 v19, -v11, v33, v27
	v_fmac_f32_e32 v31, v29, v24
	v_fma_f32 v29, -v12, v34, v30
	v_mul_f32_e32 v35, v32, v28
	v_div_fmas_f32 v13, v13, v18, v23
	v_fmac_f32_e32 v33, v19, v14
	v_fma_f32 v17, -v17, v31, v21
	v_fmac_f32_e32 v34, v29, v22
	v_fma_f32 v18, -v25, v35, v32
	s_mov_b32 vcc_lo, s0
	v_fma_f32 v11, -v11, v33, v27
	v_div_fmas_f32 v17, v17, v24, v31
	v_fma_f32 v12, -v12, v34, v30
	v_fmac_f32_e32 v35, v18, v28
	s_mov_b32 vcc_lo, s1
	s_mov_b32 s0, 0xbcc30c31
	v_div_fmas_f32 v11, v11, v14, v33
	s_mov_b32 vcc_lo, s2
	v_fma_f32 v14, -v25, v35, v32
	v_div_fmas_f32 v12, v12, v22, v34
	s_mov_b32 vcc_lo, s3
	v_add_f32_e32 v0, v0, v2
	v_div_fixup_f32 v2, v7, v5, 1.0
	v_div_fmas_f32 v14, v14, v28, v35
	v_div_fixup_f32 v8, v12, v8, 1.0
	v_div_fixup_f32 v1, v11, v1, 1.0
	s_and_b32 s1, s4, 0xff
	v_add_f32_e32 v0, v0, v2
	v_div_fixup_f32 v12, v14, v15, 1.0
	v_fmaak_f32 v14, s0, v8, 0x3d088889
	v_div_fixup_f32 v2, v10, v9, 1.0
	s_cmp_lt_i32 s1, 11
	v_add_f32_e32 v12, 1.0, v12
	v_fma_f32 v14, -v8, v14, 0x3e2aaaab
	v_add_f32_e32 v0, v0, v2
	v_div_fixup_f32 v2, v13, v16, 1.0
	v_fmac_f32_e32 v12, v8, v14
	v_add_f32_e32 v0, v0, v2
	v_div_fixup_f32 v2, v17, v20, 1.0
	v_div_scale_f32 v8, null, v26, v26, v12
	v_div_scale_f32 v5, vcc_lo, v12, v26, v12
	v_add_f32_e32 v0, v0, v2
	v_rcp_f32_e32 v14, v8
	v_add_f32_e32 v0, v0, v1
	v_fma_f32 v6, -v8, v14, 1.0
	v_fmac_f32_e32 v14, v6, v14
	v_mul_f32_e32 v6, v5, v14
	v_fma_f32 v7, -v8, v6, v5
	v_fmac_f32_e32 v6, v7, v14
	v_fma_f32 v5, -v8, v6, v5
	v_div_fmas_f32 v2, v5, v14, v6
	v_mul_lo_u32 v5, v4, s12
	v_div_fixup_f32 v1, v2, v26, v12
	v_ashrrev_i32_e32 v2, 31, v5
	v_add_f32_e32 v6, v0, v1
	v_add_co_u32 v0, vcc_lo, s8, v5
	v_add_co_ci_u32_e64 v1, null, s9, v2, vcc_lo
	v_mul_f32_e32 v2, v3, v6
	s_cbranch_scc1 .LBB56_676
; %bb.669:
	s_and_b32 s2, 0xffff, s1
	s_cmp_gt_i32 s2, 25
	s_cbranch_scc0 .LBB56_677
; %bb.670:
	s_cmp_gt_i32 s2, 28
	s_cbranch_scc0 .LBB56_678
; %bb.671:
	;; [unrolled: 3-line block ×4, first 2 shown]
	s_mov_b32 s23, 0
	s_mov_b32 s0, -1
	s_cmp_eq_u32 s2, 46
	s_mov_b32 s3, 0
	s_cbranch_scc0 .LBB56_681
; %bb.674:
	v_bfe_u32 v3, v2, 16, 1
	v_cmp_o_f32_e32 vcc_lo, v2, v2
	v_mov_b32_e32 v5, 0x7fc0
	s_mov_b32 s3, -1
	s_mov_b32 s0, 0
	v_add3_u32 v3, v2, v3, 0x7fff
	v_cndmask_b32_sdwa v3, v5, v3, vcc_lo dst_sel:DWORD dst_unused:UNUSED_PAD src0_sel:DWORD src1_sel:WORD_1
	global_store_dword v[0:1], v3, off
	s_branch .LBB56_681
.LBB56_675:
	s_mov_b32 s2, 0
	s_mov_b32 s0, s19
	s_branch .LBB56_792
.LBB56_676:
	s_mov_b32 s2, -1
	s_mov_b32 s3, 0
	s_mov_b32 s0, s19
	s_branch .LBB56_750
.LBB56_677:
	s_mov_b32 s3, 0
	s_mov_b32 s0, s19
	s_branch .LBB56_708
.LBB56_678:
	s_mov_b32 s3, 0
	s_mov_b32 s0, s19
	s_branch .LBB56_691
.LBB56_679:
	s_mov_b32 s3, 0
	s_mov_b32 s0, s19
	s_branch .LBB56_687
.LBB56_680:
	s_mov_b32 s3, 0
	s_mov_b32 s0, s19
.LBB56_681:
	s_and_b32 vcc_lo, exec_lo, s23
	s_cbranch_vccz .LBB56_686
; %bb.682:
	s_cmp_eq_u32 s2, 44
	s_mov_b32 s0, -1
	s_cbranch_scc0 .LBB56_686
; %bb.683:
	v_bfe_u32 v5, v2, 23, 8
	v_mov_b32_e32 v3, 0xff
	s_mov_b32 s3, exec_lo
	v_cmpx_ne_u32_e32 0xff, v5
	s_cbranch_execz .LBB56_685
; %bb.684:
	v_and_b32_e32 v3, 0x400000, v2
	v_and_or_b32 v5, 0x3fffff, v2, v5
	v_cmp_ne_u32_e32 vcc_lo, 0, v3
	v_cmp_ne_u32_e64 s0, 0, v5
	v_lshrrev_b32_e32 v3, 23, v2
	s_and_b32 s0, vcc_lo, s0
	v_cndmask_b32_e64 v5, 0, 1, s0
	v_add_nc_u32_e32 v3, v3, v5
.LBB56_685:
	s_or_b32 exec_lo, exec_lo, s3
	s_mov_b32 s3, -1
	s_mov_b32 s0, 0
	global_store_byte v[0:1], v3, off
.LBB56_686:
	s_mov_b32 s23, 0
.LBB56_687:
	s_and_b32 vcc_lo, exec_lo, s23
	s_cbranch_vccz .LBB56_690
; %bb.688:
	s_cmp_eq_u32 s2, 29
	s_mov_b32 s0, -1
	s_cbranch_scc0 .LBB56_690
; %bb.689:
	v_trunc_f32_e32 v3, v2
	s_mov_b32 s3, -1
	s_mov_b32 s0, 0
	s_mov_b32 s23, 0
	v_mul_f32_e32 v5, 0x2f800000, v3
	v_floor_f32_e32 v5, v5
	v_fmamk_f32 v3, v5, 0xcf800000, v3
	v_cvt_u32_f32_e32 v6, v5
	v_cvt_u32_f32_e32 v5, v3
	global_store_dwordx2 v[0:1], v[5:6], off
	s_branch .LBB56_691
.LBB56_690:
	s_mov_b32 s23, 0
.LBB56_691:
	s_and_b32 vcc_lo, exec_lo, s23
	s_cbranch_vccz .LBB56_707
; %bb.692:
	s_cmp_lt_i32 s2, 27
	s_mov_b32 s3, -1
	s_cbranch_scc1 .LBB56_698
; %bb.693:
	v_cvt_u32_f32_e32 v3, v2
	s_cmp_gt_i32 s2, 27
	s_cbranch_scc0 .LBB56_695
; %bb.694:
	s_mov_b32 s3, 0
	global_store_dword v[0:1], v3, off
.LBB56_695:
	s_andn2_b32 vcc_lo, exec_lo, s3
	s_cbranch_vccnz .LBB56_697
; %bb.696:
	global_store_short v[0:1], v3, off
.LBB56_697:
	s_mov_b32 s3, 0
.LBB56_698:
	s_andn2_b32 vcc_lo, exec_lo, s3
	s_cbranch_vccnz .LBB56_706
; %bb.699:
	v_and_b32_e32 v3, 0x7fffffff, v2
	v_mov_b32_e32 v5, 0x80
	s_mov_b32 s3, exec_lo
	v_cmpx_gt_u32_e32 0x43800000, v3
	s_cbranch_execz .LBB56_705
; %bb.700:
	v_cmp_lt_u32_e32 vcc_lo, 0x3bffffff, v3
	s_mov_b32 s23, 0
                                        ; implicit-def: $vgpr3
	s_and_saveexec_b32 s24, vcc_lo
	s_xor_b32 s24, exec_lo, s24
	s_cbranch_execz .LBB56_807
; %bb.701:
	v_bfe_u32 v3, v2, 20, 1
	s_mov_b32 s23, exec_lo
	v_add3_u32 v3, v2, v3, 0x487ffff
	v_lshrrev_b32_e32 v3, 20, v3
	s_andn2_saveexec_b32 s24, s24
	s_cbranch_execnz .LBB56_808
.LBB56_702:
	s_or_b32 exec_lo, exec_lo, s24
	v_mov_b32_e32 v5, 0
	s_and_saveexec_b32 s24, s23
.LBB56_703:
	v_lshrrev_b32_e32 v5, 24, v2
	v_and_or_b32 v5, 0x80, v5, v3
.LBB56_704:
	s_or_b32 exec_lo, exec_lo, s24
.LBB56_705:
	s_or_b32 exec_lo, exec_lo, s3
	global_store_byte v[0:1], v5, off
.LBB56_706:
	s_mov_b32 s3, -1
.LBB56_707:
	s_mov_b32 s23, 0
.LBB56_708:
	s_and_b32 vcc_lo, exec_lo, s23
	s_cbranch_vccz .LBB56_749
; %bb.709:
	s_cmp_gt_i32 s2, 22
	s_mov_b32 s23, -1
	s_cbranch_scc0 .LBB56_741
; %bb.710:
	s_cmp_lt_i32 s2, 24
	s_mov_b32 s3, -1
	s_cbranch_scc1 .LBB56_730
; %bb.711:
	s_cmp_gt_i32 s2, 24
	s_cbranch_scc0 .LBB56_719
; %bb.712:
	v_and_b32_e32 v3, 0x7fffffff, v2
	v_mov_b32_e32 v5, 0x80
	s_mov_b32 s3, exec_lo
	v_cmpx_gt_u32_e32 0x47800000, v3
	s_cbranch_execz .LBB56_718
; %bb.713:
	v_cmp_lt_u32_e32 vcc_lo, 0x37ffffff, v3
	s_mov_b32 s23, 0
                                        ; implicit-def: $vgpr3
	s_and_saveexec_b32 s24, vcc_lo
	s_xor_b32 s24, exec_lo, s24
	s_cbranch_execz .LBB56_810
; %bb.714:
	v_bfe_u32 v3, v2, 21, 1
	s_mov_b32 s23, exec_lo
	v_add3_u32 v3, v2, v3, 0x88fffff
	v_lshrrev_b32_e32 v3, 21, v3
	s_andn2_saveexec_b32 s24, s24
	s_cbranch_execnz .LBB56_811
.LBB56_715:
	s_or_b32 exec_lo, exec_lo, s24
	v_mov_b32_e32 v5, 0
	s_and_saveexec_b32 s24, s23
.LBB56_716:
	v_lshrrev_b32_e32 v5, 24, v2
	v_and_or_b32 v5, 0x80, v5, v3
.LBB56_717:
	s_or_b32 exec_lo, exec_lo, s24
.LBB56_718:
	s_or_b32 exec_lo, exec_lo, s3
	s_mov_b32 s3, 0
	global_store_byte v[0:1], v5, off
.LBB56_719:
	s_and_b32 vcc_lo, exec_lo, s3
	s_cbranch_vccz .LBB56_729
; %bb.720:
	v_and_b32_e32 v5, 0x7fffffff, v2
	s_mov_b32 s3, exec_lo
                                        ; implicit-def: $vgpr3
	v_cmpx_gt_u32_e32 0x43f00000, v5
	s_xor_b32 s3, exec_lo, s3
	s_cbranch_execz .LBB56_726
; %bb.721:
	s_mov_b32 s23, exec_lo
                                        ; implicit-def: $vgpr3
	v_cmpx_lt_u32_e32 0x3c7fffff, v5
	s_xor_b32 s23, exec_lo, s23
; %bb.722:
	v_bfe_u32 v3, v2, 20, 1
	v_add3_u32 v3, v2, v3, 0x407ffff
	v_and_b32_e32 v5, 0xff00000, v3
	v_lshrrev_b32_e32 v3, 20, v3
	v_cmp_ne_u32_e32 vcc_lo, 0x7f00000, v5
	v_cndmask_b32_e32 v3, 0x7e, v3, vcc_lo
; %bb.723:
	s_andn2_saveexec_b32 s23, s23
; %bb.724:
	v_add_f32_e64 v3, 0x46800000, |v2|
; %bb.725:
	s_or_b32 exec_lo, exec_lo, s23
                                        ; implicit-def: $vgpr5
.LBB56_726:
	s_andn2_saveexec_b32 s3, s3
; %bb.727:
	v_mov_b32_e32 v3, 0x7f
	v_cmp_lt_u32_e32 vcc_lo, 0x7f800000, v5
	v_cndmask_b32_e32 v3, 0x7e, v3, vcc_lo
; %bb.728:
	s_or_b32 exec_lo, exec_lo, s3
	v_lshrrev_b32_e32 v5, 24, v2
	v_and_or_b32 v3, 0x80, v5, v3
	global_store_byte v[0:1], v3, off
.LBB56_729:
	s_mov_b32 s3, 0
.LBB56_730:
	s_andn2_b32 vcc_lo, exec_lo, s3
	s_cbranch_vccnz .LBB56_740
; %bb.731:
	v_and_b32_e32 v5, 0x7fffffff, v2
	s_mov_b32 s3, exec_lo
                                        ; implicit-def: $vgpr3
	v_cmpx_gt_u32_e32 0x47800000, v5
	s_xor_b32 s3, exec_lo, s3
	s_cbranch_execz .LBB56_737
; %bb.732:
	s_mov_b32 s23, exec_lo
                                        ; implicit-def: $vgpr3
	v_cmpx_lt_u32_e32 0x387fffff, v5
	s_xor_b32 s23, exec_lo, s23
; %bb.733:
	v_bfe_u32 v3, v2, 21, 1
	v_add3_u32 v3, v2, v3, 0x80fffff
	v_lshrrev_b32_e32 v3, 21, v3
; %bb.734:
	s_andn2_saveexec_b32 s23, s23
; %bb.735:
	v_add_f32_e64 v3, 0x43000000, |v2|
; %bb.736:
	s_or_b32 exec_lo, exec_lo, s23
                                        ; implicit-def: $vgpr5
.LBB56_737:
	s_andn2_saveexec_b32 s3, s3
; %bb.738:
	v_mov_b32_e32 v3, 0x7f
	v_cmp_lt_u32_e32 vcc_lo, 0x7f800000, v5
	v_cndmask_b32_e32 v3, 0x7c, v3, vcc_lo
; %bb.739:
	s_or_b32 exec_lo, exec_lo, s3
	v_lshrrev_b32_e32 v5, 24, v2
	v_and_or_b32 v3, 0x80, v5, v3
	global_store_byte v[0:1], v3, off
.LBB56_740:
	s_mov_b32 s23, 0
	s_mov_b32 s3, -1
.LBB56_741:
	s_andn2_b32 vcc_lo, exec_lo, s23
	s_cbranch_vccnz .LBB56_749
; %bb.742:
	s_cmp_gt_i32 s2, 14
	s_mov_b32 s23, -1
	s_cbranch_scc0 .LBB56_746
; %bb.743:
	s_cmp_eq_u32 s2, 15
	s_mov_b32 s0, -1
	s_cbranch_scc0 .LBB56_745
; %bb.744:
	v_bfe_u32 v3, v2, 16, 1
	v_cmp_o_f32_e32 vcc_lo, v2, v2
	v_mov_b32_e32 v5, 0x7fc0
	s_mov_b32 s3, -1
	s_mov_b32 s0, 0
	v_add3_u32 v3, v2, v3, 0x7fff
	v_cndmask_b32_sdwa v3, v5, v3, vcc_lo dst_sel:DWORD dst_unused:UNUSED_PAD src0_sel:DWORD src1_sel:WORD_1
	global_store_short v[0:1], v3, off
.LBB56_745:
	s_mov_b32 s23, 0
.LBB56_746:
	s_and_b32 vcc_lo, exec_lo, s23
	s_cbranch_vccz .LBB56_749
; %bb.747:
	s_cmp_eq_u32 s2, 11
	s_mov_b32 s0, -1
	s_cbranch_scc0 .LBB56_749
; %bb.748:
	v_cmp_neq_f32_e32 vcc_lo, 0, v2
	s_mov_b32 s0, 0
	s_mov_b32 s3, -1
	v_cndmask_b32_e64 v3, 0, 1, vcc_lo
	global_store_byte v[0:1], v3, off
.LBB56_749:
	s_mov_b32 s2, 0
.LBB56_750:
	s_and_b32 vcc_lo, exec_lo, s2
	s_cbranch_vccz .LBB56_789
; %bb.751:
	s_and_b32 s1, 0xffff, s1
	s_mov_b32 s2, -1
	s_cmp_lt_i32 s1, 5
	s_cbranch_scc1 .LBB56_772
; %bb.752:
	s_cmp_lt_i32 s1, 8
	s_cbranch_scc1 .LBB56_762
; %bb.753:
	;; [unrolled: 3-line block ×3, first 2 shown]
	s_cmp_gt_i32 s1, 9
	s_cbranch_scc0 .LBB56_756
; %bb.755:
	v_cvt_f64_f32_e32 v[5:6], v2
	v_mov_b32_e32 v7, 0
	s_mov_b32 s2, 0
	v_mov_b32_e32 v8, v7
	global_store_dwordx4 v[0:1], v[5:8], off
.LBB56_756:
	s_andn2_b32 vcc_lo, exec_lo, s2
	s_cbranch_vccnz .LBB56_758
; %bb.757:
	v_mov_b32_e32 v3, 0
	global_store_dwordx2 v[0:1], v[2:3], off
.LBB56_758:
	s_mov_b32 s2, 0
.LBB56_759:
	s_andn2_b32 vcc_lo, exec_lo, s2
	s_cbranch_vccnz .LBB56_761
; %bb.760:
	v_cvt_f16_f32_e32 v3, v2
	v_and_b32_e32 v3, 0xffff, v3
	global_store_dword v[0:1], v3, off
.LBB56_761:
	s_mov_b32 s2, 0
.LBB56_762:
	s_andn2_b32 vcc_lo, exec_lo, s2
	s_cbranch_vccnz .LBB56_771
; %bb.763:
	s_cmp_lt_i32 s1, 6
	s_mov_b32 s2, -1
	s_cbranch_scc1 .LBB56_769
; %bb.764:
	s_cmp_gt_i32 s1, 6
	s_cbranch_scc0 .LBB56_766
; %bb.765:
	v_cvt_f64_f32_e32 v[5:6], v2
	s_mov_b32 s2, 0
	global_store_dwordx2 v[0:1], v[5:6], off
.LBB56_766:
	s_andn2_b32 vcc_lo, exec_lo, s2
	s_cbranch_vccnz .LBB56_768
; %bb.767:
	global_store_dword v[0:1], v2, off
.LBB56_768:
	s_mov_b32 s2, 0
.LBB56_769:
	s_andn2_b32 vcc_lo, exec_lo, s2
	s_cbranch_vccnz .LBB56_771
; %bb.770:
	v_cvt_f16_f32_e32 v3, v2
	global_store_short v[0:1], v3, off
.LBB56_771:
	s_mov_b32 s2, 0
.LBB56_772:
	s_andn2_b32 vcc_lo, exec_lo, s2
	s_cbranch_vccnz .LBB56_788
; %bb.773:
	s_cmp_lt_i32 s1, 2
	s_mov_b32 s2, -1
	s_cbranch_scc1 .LBB56_783
; %bb.774:
	s_cmp_lt_i32 s1, 3
	s_cbranch_scc1 .LBB56_780
; %bb.775:
	s_cmp_gt_i32 s1, 3
	s_cbranch_scc0 .LBB56_777
; %bb.776:
	v_trunc_f32_e32 v3, v2
	s_mov_b32 s2, 0
	v_mul_f32_e64 v5, 0x2f800000, |v3|
	v_floor_f32_e32 v5, v5
	v_fma_f32 v6, 0xcf800000, v5, |v3|
	v_ashrrev_i32_e32 v3, 31, v3
	v_cvt_u32_f32_e32 v5, v5
	v_cvt_u32_f32_e32 v6, v6
	v_xor_b32_e32 v7, v5, v3
	v_xor_b32_e32 v6, v6, v3
	v_sub_co_u32 v5, vcc_lo, v6, v3
	v_sub_co_ci_u32_e64 v6, null, v7, v3, vcc_lo
	global_store_dwordx2 v[0:1], v[5:6], off
.LBB56_777:
	s_andn2_b32 vcc_lo, exec_lo, s2
	s_cbranch_vccnz .LBB56_779
; %bb.778:
	v_cvt_i32_f32_e32 v3, v2
	global_store_dword v[0:1], v3, off
.LBB56_779:
	s_mov_b32 s2, 0
.LBB56_780:
	s_andn2_b32 vcc_lo, exec_lo, s2
	s_cbranch_vccnz .LBB56_782
; %bb.781:
	v_cvt_i32_f32_e32 v3, v2
	global_store_short v[0:1], v3, off
.LBB56_782:
	s_mov_b32 s2, 0
.LBB56_783:
	s_andn2_b32 vcc_lo, exec_lo, s2
	s_cbranch_vccnz .LBB56_788
; %bb.784:
	s_cmp_gt_i32 s1, 0
	s_mov_b32 s1, -1
	s_cbranch_scc0 .LBB56_786
; %bb.785:
	v_cvt_i32_f32_e32 v3, v2
	s_mov_b32 s1, 0
	global_store_byte v[0:1], v3, off
.LBB56_786:
	s_andn2_b32 vcc_lo, exec_lo, s1
	s_cbranch_vccnz .LBB56_788
; %bb.787:
	v_trunc_f32_e32 v2, v2
	v_mul_f32_e64 v3, 0x2f800000, |v2|
	v_floor_f32_e32 v3, v3
	v_fma_f32 v3, 0xcf800000, v3, |v2|
	v_ashrrev_i32_e32 v2, 31, v2
	v_cvt_u32_f32_e32 v3, v3
	v_xor_b32_e32 v3, v3, v2
	v_sub_nc_u32_e32 v2, v3, v2
	global_store_byte v[0:1], v2, off
.LBB56_788:
	s_mov_b32 s3, -1
.LBB56_789:
	s_andn2_b32 vcc_lo, exec_lo, s3
	s_cbranch_vccnz .LBB56_791
; %bb.790:
	v_add_nc_u32_e32 v4, 0x80, v4
	s_mov_b32 s2, -1
	s_branch .LBB56_793
.LBB56_791:
	s_mov_b32 s2, 0
.LBB56_792:
                                        ; implicit-def: $vgpr4
.LBB56_793:
	s_andn2_b32 s1, s19, exec_lo
	s_and_b32 s0, s0, exec_lo
	s_andn2_b32 s3, s18, exec_lo
	s_and_b32 s22, s22, exec_lo
	s_or_b32 s1, s1, s0
	s_or_b32 s0, s3, s22
	s_orn2_b32 s23, s2, exec_lo
.LBB56_794:
	s_or_b32 exec_lo, exec_lo, s21
	s_mov_b32 s21, 0
	s_mov_b32 s22, 0
	;; [unrolled: 1-line block ×3, first 2 shown]
                                        ; implicit-def: $vgpr0_vgpr1
                                        ; implicit-def: $vgpr3
	s_and_saveexec_b32 s2, s23
	s_cbranch_execz .LBB56_879
; %bb.795:
	v_cmp_gt_i32_e32 vcc_lo, s15, v4
	s_mov_b32 s15, 0
	s_mov_b32 s21, s0
	;; [unrolled: 1-line block ×4, first 2 shown]
                                        ; implicit-def: $vgpr0_vgpr1
                                        ; implicit-def: $vgpr3
	s_and_saveexec_b32 s3, vcc_lo
	s_cbranch_execz .LBB56_878
; %bb.796:
	v_mul_lo_u32 v0, v4, s13
	s_and_b32 s15, 0xffff, s6
	s_cmp_lt_i32 s15, 11
	v_ashrrev_i32_e32 v1, 31, v0
	v_add_co_u32 v0, vcc_lo, s10, v0
	v_add_co_ci_u32_e64 v1, null, s11, v1, vcc_lo
	s_cbranch_scc1 .LBB56_803
; %bb.797:
	s_cmp_gt_i32 s15, 25
	s_cbranch_scc0 .LBB56_804
; %bb.798:
	s_cmp_gt_i32 s15, 28
	s_cbranch_scc0 .LBB56_805
	;; [unrolled: 3-line block ×4, first 2 shown]
; %bb.801:
	s_cmp_eq_u32 s15, 46
	s_cbranch_scc0 .LBB56_812
; %bb.802:
	global_load_dword v2, v[0:1], off
	s_mov_b32 s21, 0
	s_mov_b32 s23, -1
	s_waitcnt vmcnt(0)
	v_lshlrev_b32_e32 v3, 16, v2
	s_branch .LBB56_814
.LBB56_803:
	s_mov_b32 s15, -1
	s_mov_b32 s21, s0
                                        ; implicit-def: $vgpr3
	s_branch .LBB56_877
.LBB56_804:
	s_mov_b32 s24, -1
	s_mov_b32 s21, s0
                                        ; implicit-def: $vgpr3
	s_branch .LBB56_843
.LBB56_805:
	s_mov_b32 s24, -1
	s_mov_b32 s21, s0
                                        ; implicit-def: $vgpr3
	s_branch .LBB56_824
.LBB56_806:
	s_mov_b32 s24, -1
	s_mov_b32 s21, s0
                                        ; implicit-def: $vgpr3
	s_branch .LBB56_819
.LBB56_807:
	s_andn2_saveexec_b32 s24, s24
	s_cbranch_execz .LBB56_702
.LBB56_808:
	v_add_f32_e64 v3, 0x46000000, |v2|
	s_andn2_b32 s23, s23, exec_lo
	v_and_b32_e32 v3, 0xff, v3
	v_cmp_ne_u32_e32 vcc_lo, 0, v3
	s_and_b32 s25, vcc_lo, exec_lo
	s_or_b32 s23, s23, s25
	s_or_b32 exec_lo, exec_lo, s24
	v_mov_b32_e32 v5, 0
	s_and_saveexec_b32 s24, s23
	s_cbranch_execnz .LBB56_703
	s_branch .LBB56_704
.LBB56_809:
	s_mov_b32 s24, -1
	s_mov_b32 s21, s0
	s_branch .LBB56_813
.LBB56_810:
	s_andn2_saveexec_b32 s24, s24
	s_cbranch_execz .LBB56_715
.LBB56_811:
	v_add_f32_e64 v3, 0x42800000, |v2|
	s_andn2_b32 s23, s23, exec_lo
	v_and_b32_e32 v3, 0xff, v3
	v_cmp_ne_u32_e32 vcc_lo, 0, v3
	s_and_b32 s25, vcc_lo, exec_lo
	s_or_b32 s23, s23, s25
	s_or_b32 exec_lo, exec_lo, s24
	v_mov_b32_e32 v5, 0
	s_and_saveexec_b32 s24, s23
	s_cbranch_execnz .LBB56_716
	s_branch .LBB56_717
.LBB56_812:
	s_mov_b32 s21, -1
.LBB56_813:
                                        ; implicit-def: $vgpr3
.LBB56_814:
	s_and_b32 vcc_lo, exec_lo, s24
	s_cbranch_vccz .LBB56_818
; %bb.815:
	s_cmp_eq_u32 s15, 44
	s_cbranch_scc0 .LBB56_817
; %bb.816:
	global_load_ubyte v2, v[0:1], off
	s_mov_b32 s21, 0
	s_mov_b32 s23, -1
	s_waitcnt vmcnt(0)
	v_lshlrev_b32_e32 v3, 23, v2
	v_cmp_ne_u32_e32 vcc_lo, 0xff, v2
	v_cndmask_b32_e32 v3, 0x7f800001, v3, vcc_lo
	v_cmp_ne_u32_e32 vcc_lo, 0, v2
	v_cndmask_b32_e32 v3, 0x400000, v3, vcc_lo
	s_branch .LBB56_818
.LBB56_817:
	s_mov_b32 s21, -1
                                        ; implicit-def: $vgpr3
.LBB56_818:
	s_mov_b32 s24, 0
.LBB56_819:
	s_and_b32 vcc_lo, exec_lo, s24
	s_cbranch_vccz .LBB56_823
; %bb.820:
	s_cmp_eq_u32 s15, 29
	s_cbranch_scc0 .LBB56_822
; %bb.821:
	global_load_dwordx2 v[2:3], v[0:1], off
	s_mov_b32 s21, 0
	s_mov_b32 s23, -1
	s_mov_b32 s24, 0
	s_waitcnt vmcnt(0)
	v_ffbh_u32_e32 v5, v3
	v_min_u32_e32 v5, 32, v5
	v_lshlrev_b64 v[2:3], v5, v[2:3]
	v_min_u32_e32 v2, 1, v2
	v_or_b32_e32 v2, v3, v2
	v_sub_nc_u32_e32 v3, 32, v5
	v_cvt_f32_u32_e32 v2, v2
	v_ldexp_f32 v3, v2, v3
	s_branch .LBB56_824
.LBB56_822:
	s_mov_b32 s21, -1
                                        ; implicit-def: $vgpr3
.LBB56_823:
	s_mov_b32 s24, 0
.LBB56_824:
	s_and_b32 vcc_lo, exec_lo, s24
	s_cbranch_vccz .LBB56_842
; %bb.825:
	s_cmp_lt_i32 s15, 27
	s_cbranch_scc1 .LBB56_828
; %bb.826:
	s_cmp_gt_i32 s15, 27
	s_cbranch_scc0 .LBB56_829
; %bb.827:
	global_load_dword v2, v[0:1], off
	s_mov_b32 s23, 0
	s_waitcnt vmcnt(0)
	v_cvt_f32_u32_e32 v3, v2
	s_branch .LBB56_830
.LBB56_828:
	s_mov_b32 s23, -1
                                        ; implicit-def: $vgpr3
	s_branch .LBB56_833
.LBB56_829:
	s_mov_b32 s23, -1
                                        ; implicit-def: $vgpr3
.LBB56_830:
	s_andn2_b32 vcc_lo, exec_lo, s23
	s_cbranch_vccnz .LBB56_832
; %bb.831:
	global_load_ushort v2, v[0:1], off
	s_waitcnt vmcnt(0)
	v_cvt_f32_u32_e32 v3, v2
.LBB56_832:
	s_mov_b32 s23, 0
.LBB56_833:
	s_andn2_b32 vcc_lo, exec_lo, s23
	s_cbranch_vccnz .LBB56_841
; %bb.834:
	global_load_ubyte v2, v[0:1], off
	s_mov_b32 s23, 0
	s_mov_b32 s24, exec_lo
	s_waitcnt vmcnt(0)
	v_cmpx_lt_i16_e32 0x7f, v2
	s_xor_b32 s24, exec_lo, s24
	s_cbranch_execz .LBB56_855
; %bb.835:
	s_mov_b32 s23, -1
	s_mov_b32 s25, exec_lo
	v_cmpx_eq_u16_e32 0x80, v2
; %bb.836:
	s_xor_b32 s23, exec_lo, -1
; %bb.837:
	s_or_b32 exec_lo, exec_lo, s25
	s_and_b32 s23, s23, exec_lo
	s_or_saveexec_b32 s24, s24
	v_mov_b32_e32 v3, 0x7f800001
	s_xor_b32 exec_lo, exec_lo, s24
	s_cbranch_execnz .LBB56_856
.LBB56_838:
	s_or_b32 exec_lo, exec_lo, s24
	s_and_saveexec_b32 s24, s23
	s_cbranch_execz .LBB56_840
.LBB56_839:
	v_and_b32_e32 v3, 0xffff, v2
	v_lshlrev_b32_e32 v2, 24, v2
	v_and_b32_e32 v5, 7, v3
	v_bfe_u32 v8, v3, 3, 4
	v_and_b32_e32 v2, 0x80000000, v2
	v_ffbh_u32_e32 v6, v5
	v_cmp_eq_u32_e32 vcc_lo, 0, v8
	v_min_u32_e32 v6, 32, v6
	v_subrev_nc_u32_e32 v7, 28, v6
	v_sub_nc_u32_e32 v6, 29, v6
	v_lshlrev_b32_e32 v3, v7, v3
	v_cndmask_b32_e32 v6, v8, v6, vcc_lo
	v_and_b32_e32 v3, 7, v3
	v_cndmask_b32_e32 v3, v5, v3, vcc_lo
	v_lshl_add_u32 v5, v6, 23, 0x3b800000
	v_lshlrev_b32_e32 v3, 20, v3
	v_or3_b32 v3, v2, v5, v3
.LBB56_840:
	s_or_b32 exec_lo, exec_lo, s24
.LBB56_841:
	s_mov_b32 s23, -1
.LBB56_842:
	s_mov_b32 s24, 0
.LBB56_843:
	s_and_b32 vcc_lo, exec_lo, s24
	s_cbranch_vccz .LBB56_876
; %bb.844:
	s_cmp_gt_i32 s15, 22
	s_cbranch_scc0 .LBB56_854
; %bb.845:
	s_cmp_lt_i32 s15, 24
	s_cbranch_scc1 .LBB56_857
; %bb.846:
	s_cmp_gt_i32 s15, 24
	s_cbranch_scc0 .LBB56_858
; %bb.847:
	global_load_ubyte v2, v[0:1], off
	s_mov_b32 s23, exec_lo
	s_waitcnt vmcnt(0)
	v_cmpx_lt_i16_e32 0x7f, v2
	s_xor_b32 s23, exec_lo, s23
	s_cbranch_execz .LBB56_870
; %bb.848:
	s_mov_b32 s22, -1
	s_mov_b32 s24, exec_lo
	v_cmpx_eq_u16_e32 0x80, v2
; %bb.849:
	s_xor_b32 s22, exec_lo, -1
; %bb.850:
	s_or_b32 exec_lo, exec_lo, s24
	s_and_b32 s22, s22, exec_lo
	s_or_saveexec_b32 s23, s23
	v_mov_b32_e32 v3, 0x7f800001
	s_xor_b32 exec_lo, exec_lo, s23
	s_cbranch_execnz .LBB56_871
.LBB56_851:
	s_or_b32 exec_lo, exec_lo, s23
	s_and_saveexec_b32 s23, s22
	s_cbranch_execz .LBB56_853
.LBB56_852:
	v_and_b32_e32 v3, 0xffff, v2
	v_lshlrev_b32_e32 v2, 24, v2
	v_and_b32_e32 v5, 3, v3
	v_bfe_u32 v8, v3, 2, 5
	v_and_b32_e32 v2, 0x80000000, v2
	v_ffbh_u32_e32 v6, v5
	v_cmp_eq_u32_e32 vcc_lo, 0, v8
	v_min_u32_e32 v6, 32, v6
	v_subrev_nc_u32_e32 v7, 29, v6
	v_sub_nc_u32_e32 v6, 30, v6
	v_lshlrev_b32_e32 v3, v7, v3
	v_cndmask_b32_e32 v6, v8, v6, vcc_lo
	v_and_b32_e32 v3, 3, v3
	v_cndmask_b32_e32 v3, v5, v3, vcc_lo
	v_lshl_add_u32 v5, v6, 23, 0x37800000
	v_lshlrev_b32_e32 v3, 21, v3
	v_or3_b32 v3, v2, v5, v3
.LBB56_853:
	s_or_b32 exec_lo, exec_lo, s23
	s_mov_b32 s22, 0
	s_branch .LBB56_859
.LBB56_854:
	s_mov_b32 s22, -1
                                        ; implicit-def: $vgpr3
	s_branch .LBB56_865
.LBB56_855:
	s_or_saveexec_b32 s24, s24
	v_mov_b32_e32 v3, 0x7f800001
	s_xor_b32 exec_lo, exec_lo, s24
	s_cbranch_execz .LBB56_838
.LBB56_856:
	v_cmp_ne_u16_e32 vcc_lo, 0, v2
	v_mov_b32_e32 v3, 0
	s_andn2_b32 s23, s23, exec_lo
	s_and_b32 s25, vcc_lo, exec_lo
	s_or_b32 s23, s23, s25
	s_or_b32 exec_lo, exec_lo, s24
	s_and_saveexec_b32 s24, s23
	s_cbranch_execnz .LBB56_839
	s_branch .LBB56_840
.LBB56_857:
	s_mov_b32 s22, -1
                                        ; implicit-def: $vgpr3
	s_branch .LBB56_862
.LBB56_858:
	s_mov_b32 s22, -1
                                        ; implicit-def: $vgpr3
.LBB56_859:
	s_and_b32 vcc_lo, exec_lo, s22
	s_cbranch_vccz .LBB56_861
; %bb.860:
	global_load_ubyte v2, v[0:1], off
	s_waitcnt vmcnt(0)
	v_lshlrev_b32_e32 v2, 24, v2
	v_and_b32_e32 v3, 0x7f000000, v2
	v_ffbh_u32_e32 v5, v3
	v_add_nc_u32_e32 v7, 0x1000000, v3
	v_cmp_ne_u32_e32 vcc_lo, 0, v3
	v_min_u32_e32 v5, 32, v5
	v_sub_nc_u32_e64 v5, v5, 4 clamp
	v_lshlrev_b32_e32 v6, v5, v3
	v_lshlrev_b32_e32 v5, 23, v5
	v_lshrrev_b32_e32 v6, 4, v6
	v_sub_nc_u32_e32 v5, v6, v5
	v_ashrrev_i32_e32 v6, 8, v7
	v_add_nc_u32_e32 v5, 0x3c000000, v5
	v_and_or_b32 v5, 0x7f800000, v6, v5
	v_cndmask_b32_e32 v3, 0, v5, vcc_lo
	v_and_or_b32 v3, 0x80000000, v2, v3
.LBB56_861:
	s_mov_b32 s22, 0
.LBB56_862:
	s_andn2_b32 vcc_lo, exec_lo, s22
	s_cbranch_vccnz .LBB56_864
; %bb.863:
	global_load_ubyte v2, v[0:1], off
	s_waitcnt vmcnt(0)
	v_lshlrev_b32_e32 v3, 25, v2
	v_lshlrev_b16 v2, 8, v2
	v_lshrrev_b32_e32 v5, 4, v3
	v_and_or_b32 v6, 0x7f00, v2, 0.5
	v_cmp_gt_u32_e32 vcc_lo, 0x8000000, v3
	v_bfe_i32 v2, v2, 0, 16
	v_or_b32_e32 v5, 0x70000000, v5
	v_add_f32_e32 v6, -0.5, v6
	v_mul_f32_e32 v5, 0x7800000, v5
	v_cndmask_b32_e32 v3, v5, v6, vcc_lo
	v_and_or_b32 v3, 0x80000000, v2, v3
.LBB56_864:
	s_mov_b32 s22, 0
	s_mov_b32 s23, -1
.LBB56_865:
	s_andn2_b32 vcc_lo, exec_lo, s22
	s_mov_b32 s22, 0
	s_cbranch_vccnz .LBB56_876
; %bb.866:
	s_cmp_gt_i32 s15, 14
	s_cbranch_scc0 .LBB56_869
; %bb.867:
	s_cmp_eq_u32 s15, 15
	s_cbranch_scc0 .LBB56_872
; %bb.868:
	global_load_ushort v2, v[0:1], off
	s_mov_b32 s21, 0
	s_mov_b32 s23, -1
	s_waitcnt vmcnt(0)
	v_lshlrev_b32_e32 v3, 16, v2
	s_branch .LBB56_874
.LBB56_869:
	s_mov_b32 s22, -1
	s_branch .LBB56_873
.LBB56_870:
	s_or_saveexec_b32 s23, s23
	v_mov_b32_e32 v3, 0x7f800001
	s_xor_b32 exec_lo, exec_lo, s23
	s_cbranch_execz .LBB56_851
.LBB56_871:
	v_cmp_ne_u16_e32 vcc_lo, 0, v2
	v_mov_b32_e32 v3, 0
	s_andn2_b32 s22, s22, exec_lo
	s_and_b32 s24, vcc_lo, exec_lo
	s_or_b32 s22, s22, s24
	s_or_b32 exec_lo, exec_lo, s23
	s_and_saveexec_b32 s23, s22
	s_cbranch_execnz .LBB56_852
	s_branch .LBB56_853
.LBB56_872:
	s_mov_b32 s21, -1
.LBB56_873:
                                        ; implicit-def: $vgpr3
.LBB56_874:
	s_and_b32 vcc_lo, exec_lo, s22
	s_mov_b32 s22, 0
	s_cbranch_vccz .LBB56_876
; %bb.875:
	s_cmp_lg_u32 s15, 11
	s_mov_b32 s22, -1
	s_cselect_b32 s15, -1, 0
	s_andn2_b32 s21, s21, exec_lo
	s_and_b32 s15, s15, exec_lo
	s_or_b32 s21, s21, s15
.LBB56_876:
	s_mov_b32 s15, 0
.LBB56_877:
	s_andn2_b32 s25, s0, exec_lo
	s_and_b32 s21, s21, exec_lo
	s_and_b32 s24, s23, exec_lo
	;; [unrolled: 1-line block ×4, first 2 shown]
	s_or_b32 s21, s25, s21
.LBB56_878:
	s_or_b32 exec_lo, exec_lo, s3
	s_and_b32 s22, s23, exec_lo
	s_andn2_b32 s0, s0, exec_lo
	s_and_b32 s23, s21, exec_lo
	s_and_b32 s3, s24, exec_lo
	;; [unrolled: 1-line block ×3, first 2 shown]
	s_or_b32 s0, s0, s23
.LBB56_879:
	s_or_b32 exec_lo, exec_lo, s2
	s_andn2_b32 s2, s19, exec_lo
	s_and_b32 s1, s1, exec_lo
	s_andn2_b32 s15, s18, exec_lo
	s_and_b32 s0, s0, exec_lo
	s_or_b32 s19, s2, s1
	s_and_b32 s3, s3, exec_lo
	s_and_b32 s2, s22, exec_lo
	;; [unrolled: 1-line block ×3, first 2 shown]
	s_or_b32 s18, s15, s0
.LBB56_880:
	s_or_b32 exec_lo, exec_lo, s20
	s_andn2_b32 s0, s14, exec_lo
	s_and_b32 s14, s19, exec_lo
	s_and_b32 s15, s18, exec_lo
	s_or_b32 s14, s0, s14
	s_and_b32 s0, s3, exec_lo
	s_andn2_b32 s3, s16, exec_lo
	s_and_b32 s2, s2, exec_lo
	s_and_b32 s18, s1, exec_lo
	s_or_b32 s16, s3, s15
	s_or_b32 exec_lo, exec_lo, s17
	s_mov_b32 s15, 0
	s_and_saveexec_b32 s1, s16
	s_cbranch_execz .LBB56_268
.LBB56_881:
	s_mov_b32 s15, exec_lo
	s_andn2_b32 s18, s18, exec_lo
	s_trap 2
	s_or_b32 exec_lo, exec_lo, s1
	s_and_saveexec_b32 s1, s18
	s_xor_b32 s1, exec_lo, s1
	s_cbranch_execnz .LBB56_269
.LBB56_882:
	s_or_b32 exec_lo, exec_lo, s1
	s_and_saveexec_b32 s1, s2
	s_cbranch_execz .LBB56_928
.LBB56_883:
	s_sext_i32_i16 s2, s6
	s_cmp_lt_i32 s2, 5
	s_cbranch_scc1 .LBB56_888
; %bb.884:
	s_cmp_lt_i32 s2, 8
	s_cbranch_scc1 .LBB56_889
; %bb.885:
	;; [unrolled: 3-line block ×3, first 2 shown]
	s_cmp_gt_i32 s2, 9
	s_cbranch_scc0 .LBB56_891
; %bb.887:
	global_load_dwordx2 v[2:3], v[0:1], off
	s_mov_b32 s2, 0
	s_waitcnt vmcnt(0)
	v_cvt_f32_f64_e32 v3, v[2:3]
	s_branch .LBB56_892
.LBB56_888:
                                        ; implicit-def: $vgpr3
	s_branch .LBB56_909
.LBB56_889:
                                        ; implicit-def: $vgpr3
	s_branch .LBB56_898
.LBB56_890:
	s_mov_b32 s2, -1
                                        ; implicit-def: $vgpr3
	s_branch .LBB56_895
.LBB56_891:
	s_mov_b32 s2, -1
                                        ; implicit-def: $vgpr3
.LBB56_892:
	s_andn2_b32 vcc_lo, exec_lo, s2
	s_cbranch_vccnz .LBB56_894
; %bb.893:
	global_load_dword v3, v[0:1], off
.LBB56_894:
	s_mov_b32 s2, 0
.LBB56_895:
	s_andn2_b32 vcc_lo, exec_lo, s2
	s_cbranch_vccnz .LBB56_897
; %bb.896:
	global_load_dword v2, v[0:1], off
	s_waitcnt vmcnt(0)
	v_cvt_f32_f16_e32 v3, v2
.LBB56_897:
	s_cbranch_execnz .LBB56_908
.LBB56_898:
	s_sext_i32_i16 s2, s6
	s_cmp_lt_i32 s2, 6
	s_cbranch_scc1 .LBB56_901
; %bb.899:
	s_cmp_gt_i32 s2, 6
	s_cbranch_scc0 .LBB56_902
; %bb.900:
	global_load_dwordx2 v[2:3], v[0:1], off
	s_mov_b32 s2, 0
	s_waitcnt vmcnt(0)
	v_cvt_f32_f64_e32 v3, v[2:3]
	s_branch .LBB56_903
.LBB56_901:
	s_mov_b32 s2, -1
                                        ; implicit-def: $vgpr3
	s_branch .LBB56_906
.LBB56_902:
	s_mov_b32 s2, -1
                                        ; implicit-def: $vgpr3
.LBB56_903:
	s_andn2_b32 vcc_lo, exec_lo, s2
	s_cbranch_vccnz .LBB56_905
; %bb.904:
	global_load_dword v3, v[0:1], off
.LBB56_905:
	s_mov_b32 s2, 0
.LBB56_906:
	s_andn2_b32 vcc_lo, exec_lo, s2
	s_cbranch_vccnz .LBB56_908
; %bb.907:
	global_load_ushort v2, v[0:1], off
	s_waitcnt vmcnt(0)
	v_cvt_f32_f16_e32 v3, v2
.LBB56_908:
	s_cbranch_execnz .LBB56_927
.LBB56_909:
	s_sext_i32_i16 s2, s6
	s_cmp_lt_i32 s2, 2
	s_cbranch_scc1 .LBB56_913
; %bb.910:
	s_cmp_lt_i32 s2, 3
	s_cbranch_scc1 .LBB56_914
; %bb.911:
	s_cmp_gt_i32 s2, 3
	s_cbranch_scc0 .LBB56_915
; %bb.912:
	global_load_dwordx2 v[2:3], v[0:1], off
	s_mov_b32 s2, 0
	s_waitcnt vmcnt(0)
	v_xor_b32_e32 v5, v2, v3
	v_ffbh_i32_e32 v6, v3
	v_ashrrev_i32_e32 v5, 31, v5
	v_add_nc_u32_e32 v6, -1, v6
	v_add_nc_u32_e32 v5, 32, v5
	v_min_u32_e32 v5, v6, v5
	v_lshlrev_b64 v[2:3], v5, v[2:3]
	v_min_u32_e32 v2, 1, v2
	v_or_b32_e32 v2, v3, v2
	v_sub_nc_u32_e32 v3, 32, v5
	v_cvt_f32_i32_e32 v2, v2
	v_ldexp_f32 v3, v2, v3
	s_branch .LBB56_916
.LBB56_913:
                                        ; implicit-def: $vgpr3
	s_branch .LBB56_922
.LBB56_914:
	s_mov_b32 s2, -1
                                        ; implicit-def: $vgpr3
	s_branch .LBB56_919
.LBB56_915:
	s_mov_b32 s2, -1
                                        ; implicit-def: $vgpr3
.LBB56_916:
	s_andn2_b32 vcc_lo, exec_lo, s2
	s_cbranch_vccnz .LBB56_918
; %bb.917:
	global_load_dword v2, v[0:1], off
	s_waitcnt vmcnt(0)
	v_cvt_f32_i32_e32 v3, v2
.LBB56_918:
	s_mov_b32 s2, 0
.LBB56_919:
	s_andn2_b32 vcc_lo, exec_lo, s2
	s_cbranch_vccnz .LBB56_921
; %bb.920:
	global_load_sshort v2, v[0:1], off
	s_waitcnt vmcnt(0)
	v_cvt_f32_i32_e32 v3, v2
.LBB56_921:
	s_cbranch_execnz .LBB56_927
.LBB56_922:
	s_sext_i32_i16 s2, s6
	s_cmp_gt_i32 s2, 0
	s_mov_b32 s2, 0
	s_cbranch_scc0 .LBB56_924
; %bb.923:
	global_load_sbyte v2, v[0:1], off
	s_waitcnt vmcnt(0)
	v_cvt_f32_i32_e32 v3, v2
	s_branch .LBB56_925
.LBB56_924:
	s_mov_b32 s2, -1
                                        ; implicit-def: $vgpr3
.LBB56_925:
	s_andn2_b32 vcc_lo, exec_lo, s2
	s_cbranch_vccnz .LBB56_927
; %bb.926:
	global_load_ubyte v0, v[0:1], off
	s_waitcnt vmcnt(0)
	v_cvt_f32_ubyte0_e32 v3, v0
.LBB56_927:
	s_or_b32 s0, s0, exec_lo
.LBB56_928:
	s_or_b32 exec_lo, exec_lo, s1
	s_mov_b32 s3, 0
	s_mov_b32 s2, 0
                                        ; implicit-def: $sgpr1
                                        ; implicit-def: $vgpr0_vgpr1
                                        ; implicit-def: $vgpr2
	s_and_saveexec_b32 s16, s0
	s_cbranch_execz .LBB56_942
; %bb.929:
	v_mov_b32_e32 v0, 0
	s_waitcnt vmcnt(0)
	v_mov_b32_e32 v2, 1.0
	s_mov_b32 s2, exec_lo
	v_cmpx_gt_f32_e32 0.5, v3
	s_cbranch_execz .LBB56_935
; %bb.930:
	v_mul_f32_e32 v0, 0x40490fdb, v3
                                        ; implicit-def: $vgpr5
                                        ; implicit-def: $vgpr2
	s_mov_b32 s1, exec_lo
	v_and_b32_e32 v1, 0x7fffffff, v0
	v_cmpx_ngt_f32_e64 0x48000000, |v0|
	s_xor_b32 s3, exec_lo, s1
	s_cbranch_execz .LBB56_932
; %bb.931:
	s_mov_b32 s0, 0x7fffff
	v_mov_b32_e32 v7, 0
	v_and_or_b32 v2, v1, s0, 0x800000
	v_lshrrev_b32_e32 v12, 23, v1
	v_mad_u64_u32 v[5:6], null, 0xfe5163ab, v2, 0
	v_add_nc_u32_e32 v13, 0xffffff88, v12
	v_cmp_lt_u32_e32 vcc_lo, 63, v13
	v_mad_u64_u32 v[8:9], null, 0x3c439041, v2, v[6:7]
	v_cndmask_b32_e64 v14, 0, 0xffffffc0, vcc_lo
	v_mov_b32_e32 v6, v9
	v_add_nc_u32_e32 v14, v14, v13
	v_mad_u64_u32 v[9:10], null, 0xdb629599, v2, v[6:7]
	v_cmp_lt_u32_e64 s0, 31, v14
	v_cndmask_b32_e64 v15, 0, 0xffffffe0, s0
	v_mov_b32_e32 v6, v10
	v_cndmask_b32_e32 v5, v9, v5, vcc_lo
	v_mad_u64_u32 v[10:11], null, 0xf534ddc0, v2, v[6:7]
	v_mov_b32_e32 v6, v11
	v_cndmask_b32_e32 v8, v10, v8, vcc_lo
	v_mad_u64_u32 v[11:12], null, 0xfc2757d1, v2, v[6:7]
	v_cndmask_b32_e64 v5, v8, v5, s0
	v_mov_b32_e32 v6, v12
	v_mad_u64_u32 v[12:13], null, 0x4e441529, v2, v[6:7]
	v_mov_b32_e32 v6, v13
	v_add_nc_u32_e32 v13, v15, v14
	v_cndmask_b32_e32 v14, v12, v10, vcc_lo
	v_mad_u64_u32 v[6:7], null, 0xa2f9836e, v2, v[6:7]
	v_cmp_lt_u32_e64 s1, 31, v13
	v_cndmask_b32_e64 v2, 0, 0xffffffe0, s1
	v_cndmask_b32_e32 v6, v6, v11, vcc_lo
	v_cndmask_b32_e32 v7, v7, v12, vcc_lo
	;; [unrolled: 1-line block ×3, first 2 shown]
	v_add_nc_u32_e32 v2, v2, v13
	v_cndmask_b32_e64 v10, v6, v14, s0
	v_cndmask_b32_e64 v6, v7, v6, s0
	;; [unrolled: 1-line block ×4, first 2 shown]
	v_sub_nc_u32_e32 v12, 32, v2
	v_cmp_eq_u32_e32 vcc_lo, 0, v2
	v_cndmask_b32_e64 v6, v6, v10, s1
	v_cndmask_b32_e64 v10, v10, v7, s1
	;; [unrolled: 1-line block ×4, first 2 shown]
	v_alignbit_b32 v13, v6, v10, v12
	v_alignbit_b32 v9, v10, v7, v12
	;; [unrolled: 1-line block ×3, first 2 shown]
	v_cndmask_b32_e32 v2, v13, v6, vcc_lo
	v_cndmask_b32_e32 v6, v9, v10, vcc_lo
	;; [unrolled: 1-line block ×3, first 2 shown]
	v_bfe_u32 v8, v2, 29, 1
	v_alignbit_b32 v9, v2, v6, 30
	v_alignbit_b32 v6, v6, v7, 30
	;; [unrolled: 1-line block ×3, first 2 shown]
	v_sub_nc_u32_e32 v10, 0, v8
	v_xor_b32_e32 v9, v9, v10
	v_xor_b32_e32 v6, v6, v10
	v_xor_b32_e32 v5, v5, v10
	v_lshrrev_b32_e32 v10, 29, v2
	v_ffbh_u32_e32 v11, v9
	v_min_u32_e32 v11, 32, v11
	v_sub_nc_u32_e32 v7, 31, v11
	v_lshlrev_b32_e32 v12, 23, v11
	v_alignbit_b32 v9, v9, v6, v7
	v_alignbit_b32 v5, v6, v5, v7
	v_lshlrev_b32_e32 v6, 31, v10
	v_alignbit_b32 v7, v9, v5, 9
	v_or_b32_e32 v10, 0.5, v6
	v_lshrrev_b32_e32 v9, 9, v9
	v_or_b32_e32 v6, 0x33000000, v6
	v_ffbh_u32_e32 v13, v7
	v_sub_nc_u32_e32 v10, v10, v12
	v_min_u32_e32 v12, 32, v13
	v_or_b32_e32 v9, v9, v10
	v_not_b32_e32 v10, v12
	v_mul_f32_e32 v13, 0x3fc90fda, v9
	v_add_lshl_u32 v11, v12, v11, 23
	v_alignbit_b32 v5, v7, v5, v10
	v_fma_f32 v7, 0x3fc90fda, v9, -v13
	v_sub_nc_u32_e32 v6, v6, v11
	v_lshrrev_b32_e32 v5, 9, v5
	v_fmamk_f32 v7, v9, 0x33a22168, v7
	v_or_b32_e32 v5, v6, v5
	v_fmac_f32_e32 v7, 0x3fc90fda, v5
	v_lshrrev_b32_e32 v5, 30, v2
	v_add_f32_e32 v2, v13, v7
	v_add_nc_u32_e32 v5, v8, v5
.LBB56_932:
	s_andn2_saveexec_b32 s0, s3
; %bb.933:
	v_mul_f32_e64 v2, 0x3f22f983, |v0|
	v_rndne_f32_e32 v5, v2
	v_fma_f32 v2, 0xbfc90fda, v5, |v0|
	v_fmamk_f32 v2, v5, 0xb3a22168, v2
	v_fmamk_f32 v2, v5, 0xa7c234c4, v2
	v_cvt_i32_f32_e32 v5, v5
; %bb.934:
	s_or_b32 exec_lo, exec_lo, s0
	v_mul_f32_e32 v6, v2, v2
	s_mov_b32 s0, 0xb94c1982
	s_mov_b32 s1, 0x37d75334
	v_and_b32_e32 v9, 1, v5
	v_lshlrev_b32_e32 v5, 30, v5
	v_fmaak_f32 v7, s0, v6, 0x3c0881c4
	v_fmaak_f32 v8, s1, v6, 0xbab64f3b
	v_xor_b32_e32 v1, v1, v0
	v_cmp_eq_u32_e32 vcc_lo, 0, v9
	v_and_b32_e32 v5, 0x80000000, v5
	v_fmaak_f32 v7, v6, v7, 0xbe2aaa9d
	v_fmaak_f32 v8, v6, v8, 0x3d2aabf7
	v_sub_f32_e32 v3, 1.0, v3
	v_mul_f32_e32 v7, v6, v7
	v_fmaak_f32 v8, v6, v8, 0xbf000004
	v_fmac_f32_e32 v2, v2, v7
	v_fma_f32 v6, v6, v8, 1.0
	v_cndmask_b32_e32 v2, v6, v2, vcc_lo
	v_cmp_class_f32_e64 vcc_lo, v0, 0x1f8
	v_xor3_b32 v1, v1, v5, v2
	v_cndmask_b32_e32 v0, 0x7fc00000, v1, vcc_lo
	v_mul_f32_e32 v0, v0, v0
	v_div_scale_f32 v1, null, v0, v0, 0xc11de9e7
	v_div_scale_f32 v6, vcc_lo, 0xc11de9e7, v0, 0xc11de9e7
	v_rcp_f32_e32 v2, v1
	v_fma_f32 v5, -v1, v2, 1.0
	v_fmac_f32_e32 v2, v5, v2
	v_mul_f32_e32 v5, v6, v2
	v_fma_f32 v7, -v1, v5, v6
	v_fmac_f32_e32 v5, v7, v2
	v_fma_f32 v1, -v1, v5, v6
	v_div_fmas_f32 v1, v1, v2, v5
	v_mov_b32_e32 v2, -1.0
	v_div_fixup_f32 v0, v1, v0, 0xc11de9e7
	v_add_f32_e32 v0, 0, v0
.LBB56_935:
	s_or_b32 exec_lo, exec_lo, s2
	v_add_f32_e32 v1, 1.0, v3
	v_mul_f32_e32 v3, v3, v3
	v_mul_lo_u32 v4, v4, s12
	v_mul_f32_e32 v5, v1, v1
	v_add_f32_e32 v1, 1.0, v1
	v_div_scale_f32 v6, null, v3, v3, 1.0
	v_div_scale_f32 v8, vcc_lo, 1.0, v3, 1.0
	v_mul_f32_e32 v9, v1, v1
	v_div_scale_f32 v7, null, v5, v5, 1.0
	v_rcp_f32_e32 v10, v6
	v_div_scale_f32 v13, s0, 1.0, v5, 1.0
	v_div_scale_f32 v12, null, v9, v9, 1.0
	v_rcp_f32_e32 v11, v7
	v_add_f32_e32 v1, 1.0, v1
	v_div_scale_f32 v14, s1, 1.0, v9, 1.0
	v_rcp_f32_e32 v15, v12
	v_fma_f32 v17, -v6, v10, 1.0
	v_mul_f32_e32 v16, v1, v1
	v_add_f32_e32 v1, 1.0, v1
	v_fma_f32 v18, -v7, v11, 1.0
	v_fmac_f32_e32 v10, v17, v10
	v_mul_f32_e32 v20, v1, v1
	v_add_f32_e32 v1, 1.0, v1
	v_fma_f32 v17, -v12, v15, 1.0
	v_fmac_f32_e32 v11, v18, v11
	v_mul_f32_e32 v21, v8, v10
	v_div_scale_f32 v19, null, v16, v16, 1.0
	v_fmac_f32_e32 v15, v17, v15
	v_mul_f32_e32 v22, v13, v11
	v_fma_f32 v23, -v6, v21, v8
	v_add_f32_e32 v26, 1.0, v1
	v_rcp_f32_e32 v18, v19
	v_mul_f32_e32 v25, v14, v15
	v_fma_f32 v24, -v7, v22, v13
	v_fmac_f32_e32 v21, v23, v10
	v_mul_f32_e32 v1, v1, v1
	v_div_scale_f32 v17, null, v20, v20, 1.0
	v_fma_f32 v23, -v12, v25, v14
	v_fmac_f32_e32 v22, v24, v11
	v_fma_f32 v6, -v6, v21, v8
	v_mul_f32_e32 v8, v26, v26
	v_rcp_f32_e32 v24, v17
	v_fmac_f32_e32 v25, v23, v15
	v_fma_f32 v7, -v7, v22, v13
	v_div_fmas_f32 v6, v6, v10, v21
	s_mov_b32 vcc_lo, s0
	v_fma_f32 v27, -v19, v18, 1.0
	v_fma_f32 v10, -v12, v25, v14
	v_div_fmas_f32 v7, v7, v11, v22
	s_mov_b32 vcc_lo, s1
	v_div_scale_f32 v11, null, v1, v1, 1.0
	v_div_fmas_f32 v10, v10, v15, v25
	v_div_scale_f32 v12, null, v8, v8, 1.0
	v_add_f32_e32 v15, v26, v26
	v_rcp_f32_e32 v14, v11
	v_fmac_f32_e32 v18, v27, v18
	v_rcp_f32_e32 v22, v12
	v_div_scale_f32 v13, vcc_lo, 1.0, v16, 1.0
	v_div_scale_f32 v25, null, v15, v15, 1.0
	v_fma_f32 v21, -v17, v24, 1.0
	v_mul_f32_e32 v23, v13, v18
	v_div_fixup_f32 v3, v6, v3, 1.0
	v_rcp_f32_e32 v28, v25
	v_fma_f32 v27, -v11, v14, 1.0
	v_fmac_f32_e32 v24, v21, v24
	v_div_scale_f32 v21, s0, 1.0, v20, 1.0
	v_fma_f32 v30, -v12, v22, 1.0
	v_fma_f32 v29, -v19, v23, v13
	v_fmac_f32_e32 v14, v27, v14
	v_div_scale_f32 v27, s1, 1.0, v1, 1.0
	v_mul_f32_e32 v31, v21, v24
	v_fmac_f32_e32 v22, v30, v22
	v_div_scale_f32 v30, s2, 1.0, v8, 1.0
	v_fma_f32 v32, -v25, v28, 1.0
	v_fmac_f32_e32 v23, v29, v18
	v_mul_f32_e32 v33, v27, v14
	v_fma_f32 v29, -v17, v31, v21
	v_mul_f32_e32 v34, v30, v22
	v_fmac_f32_e32 v28, v32, v28
	v_div_scale_f32 v32, s3, 1.0, v15, 1.0
	v_fma_f32 v13, -v19, v23, v13
	v_fma_f32 v19, -v11, v33, v27
	v_fmac_f32_e32 v31, v29, v24
	v_fma_f32 v29, -v12, v34, v30
	v_mul_f32_e32 v35, v32, v28
	v_div_fmas_f32 v13, v13, v18, v23
	v_fmac_f32_e32 v33, v19, v14
	v_fma_f32 v17, -v17, v31, v21
	v_fmac_f32_e32 v34, v29, v22
	v_fma_f32 v18, -v25, v35, v32
	s_mov_b32 vcc_lo, s0
	v_fma_f32 v11, -v11, v33, v27
	v_div_fmas_f32 v17, v17, v24, v31
	v_fma_f32 v12, -v12, v34, v30
	v_fmac_f32_e32 v35, v18, v28
	s_mov_b32 vcc_lo, s1
	s_mov_b32 s0, 0xbcc30c31
	v_div_fmas_f32 v11, v11, v14, v33
	s_mov_b32 vcc_lo, s2
	v_fma_f32 v14, -v25, v35, v32
	v_div_fmas_f32 v12, v12, v22, v34
	s_mov_b32 vcc_lo, s3
	v_add_f32_e32 v0, v0, v3
	v_div_fixup_f32 v3, v7, v5, 1.0
	v_div_fmas_f32 v14, v14, v28, v35
	v_div_fixup_f32 v8, v12, v8, 1.0
	v_div_fixup_f32 v1, v11, v1, 1.0
	s_and_b32 s1, s4, 0xff
	v_add_f32_e32 v0, v0, v3
	v_div_fixup_f32 v12, v14, v15, 1.0
	v_fmaak_f32 v14, s0, v8, 0x3d088889
	v_div_fixup_f32 v3, v10, v9, 1.0
	s_cmp_lt_i32 s1, 11
	v_add_f32_e32 v12, 1.0, v12
	v_fma_f32 v14, -v8, v14, 0x3e2aaaab
	v_add_f32_e32 v0, v0, v3
	v_div_fixup_f32 v3, v13, v16, 1.0
	v_fmac_f32_e32 v12, v8, v14
	v_add_f32_e32 v0, v0, v3
	v_div_fixup_f32 v3, v17, v20, 1.0
	v_div_scale_f32 v8, null, v26, v26, v12
	v_div_scale_f32 v5, vcc_lo, v12, v26, v12
	v_add_f32_e32 v0, v0, v3
	v_rcp_f32_e32 v14, v8
	v_add_f32_e32 v0, v0, v1
	v_fma_f32 v6, -v8, v14, 1.0
	v_fmac_f32_e32 v14, v6, v14
	v_mul_f32_e32 v6, v5, v14
	v_fma_f32 v7, -v8, v6, v5
	v_fmac_f32_e32 v6, v7, v14
	v_fma_f32 v5, -v8, v6, v5
	v_div_fmas_f32 v3, v5, v14, v6
	v_div_fixup_f32 v1, v3, v26, v12
	v_ashrrev_i32_e32 v3, 31, v4
	v_add_f32_e32 v5, v0, v1
	v_add_co_u32 v0, vcc_lo, s8, v4
	v_add_co_ci_u32_e64 v1, null, s9, v3, vcc_lo
	v_mul_f32_e32 v2, v2, v5
	s_cbranch_scc1 .LBB56_945
; %bb.936:
	s_and_b32 s2, 0xffff, s1
	s_mov_b32 s3, -1
	s_cmp_gt_i32 s2, 25
	s_mov_b32 s0, s14
	s_cbranch_scc0 .LBB56_973
; %bb.937:
	s_cmp_gt_i32 s2, 28
	s_mov_b32 s0, s14
	s_cbranch_scc0 .LBB56_957
; %bb.938:
	;; [unrolled: 4-line block ×4, first 2 shown]
	s_cmp_eq_u32 s2, 46
	s_mov_b32 s0, -1
	s_cbranch_scc0 .LBB56_946
; %bb.941:
	v_bfe_u32 v3, v2, 16, 1
	v_cmp_o_f32_e32 vcc_lo, v2, v2
	v_mov_b32_e32 v4, 0x7fc0
	s_mov_b32 s0, 0
	s_mov_b32 s3, 0
	v_add3_u32 v3, v2, v3, 0x7fff
	v_cndmask_b32_sdwa v3, v4, v3, vcc_lo dst_sel:DWORD dst_unused:UNUSED_PAD src0_sel:DWORD src1_sel:WORD_1
	global_store_dword v[0:1], v3, off
	s_branch .LBB56_947
.LBB56_942:
	s_or_b32 exec_lo, exec_lo, s16
	s_and_saveexec_b32 s0, s14
	s_cbranch_execnz .LBB56_1015
.LBB56_943:
	s_or_b32 exec_lo, exec_lo, s0
	s_and_saveexec_b32 s0, s3
	s_xor_b32 s0, exec_lo, s0
	s_cbranch_execz .LBB56_1016
.LBB56_944:
	s_waitcnt vmcnt(0)
	v_cmp_neq_f32_e32 vcc_lo, 0, v2
	v_cndmask_b32_e64 v3, 0, 1, vcc_lo
	global_store_byte v[0:1], v3, off
	s_or_b32 exec_lo, exec_lo, s0
	s_and_saveexec_b32 s0, s2
	s_xor_b32 s0, exec_lo, s0
	s_cbranch_execz .LBB56_1054
	s_branch .LBB56_1017
.LBB56_945:
	s_mov_b32 s17, 0
	s_mov_b32 s3, -1
	s_mov_b32 s0, s14
	s_branch .LBB56_1014
.LBB56_946:
	s_mov_b32 s3, 0
.LBB56_947:
	s_and_b32 vcc_lo, exec_lo, s3
	s_cbranch_vccz .LBB56_952
; %bb.948:
	s_cmp_eq_u32 s2, 44
	s_mov_b32 s0, -1
	s_cbranch_scc0 .LBB56_952
; %bb.949:
	v_bfe_u32 v4, v2, 23, 8
	v_mov_b32_e32 v3, 0xff
	s_mov_b32 s3, exec_lo
	v_cmpx_ne_u32_e32 0xff, v4
	s_cbranch_execz .LBB56_951
; %bb.950:
	v_and_b32_e32 v3, 0x400000, v2
	v_and_or_b32 v4, 0x3fffff, v2, v4
	v_cmp_ne_u32_e32 vcc_lo, 0, v3
	v_cmp_ne_u32_e64 s0, 0, v4
	v_lshrrev_b32_e32 v3, 23, v2
	s_and_b32 s0, vcc_lo, s0
	v_cndmask_b32_e64 v4, 0, 1, s0
	v_add_nc_u32_e32 v3, v3, v4
.LBB56_951:
	s_or_b32 exec_lo, exec_lo, s3
	s_mov_b32 s0, 0
	global_store_byte v[0:1], v3, off
.LBB56_952:
	s_mov_b32 s3, 0
.LBB56_953:
	s_and_b32 vcc_lo, exec_lo, s3
	s_cbranch_vccz .LBB56_956
; %bb.954:
	s_cmp_eq_u32 s2, 29
	s_mov_b32 s0, -1
	s_cbranch_scc0 .LBB56_956
; %bb.955:
	v_trunc_f32_e32 v3, v2
	s_mov_b32 s0, 0
	s_mov_b32 s3, 0
	v_mul_f32_e32 v4, 0x2f800000, v3
	v_floor_f32_e32 v4, v4
	v_fmamk_f32 v3, v4, 0xcf800000, v3
	v_cvt_u32_f32_e32 v4, v4
	v_cvt_u32_f32_e32 v3, v3
	global_store_dwordx2 v[0:1], v[3:4], off
	s_branch .LBB56_957
.LBB56_956:
	s_mov_b32 s3, 0
.LBB56_957:
	s_and_b32 vcc_lo, exec_lo, s3
	s_cbranch_vccz .LBB56_972
; %bb.958:
	s_cmp_lt_i32 s2, 27
	s_mov_b32 s3, -1
	s_cbranch_scc1 .LBB56_964
; %bb.959:
	v_cvt_u32_f32_e32 v3, v2
	s_cmp_gt_i32 s2, 27
	s_cbranch_scc0 .LBB56_961
; %bb.960:
	s_mov_b32 s3, 0
	global_store_dword v[0:1], v3, off
.LBB56_961:
	s_andn2_b32 vcc_lo, exec_lo, s3
	s_cbranch_vccnz .LBB56_963
; %bb.962:
	global_store_short v[0:1], v3, off
.LBB56_963:
	s_mov_b32 s3, 0
.LBB56_964:
	s_andn2_b32 vcc_lo, exec_lo, s3
	s_cbranch_vccnz .LBB56_972
; %bb.965:
	v_and_b32_e32 v3, 0x7fffffff, v2
	v_mov_b32_e32 v4, 0x80
	s_mov_b32 s3, exec_lo
	v_cmpx_gt_u32_e32 0x43800000, v3
	s_cbranch_execz .LBB56_971
; %bb.966:
	v_cmp_lt_u32_e32 vcc_lo, 0x3bffffff, v3
	s_mov_b32 s17, 0
                                        ; implicit-def: $vgpr3
	s_and_saveexec_b32 s18, vcc_lo
	s_xor_b32 s18, exec_lo, s18
	s_cbranch_execz .LBB56_1069
; %bb.967:
	v_bfe_u32 v3, v2, 20, 1
	s_mov_b32 s17, exec_lo
	v_add3_u32 v3, v2, v3, 0x487ffff
	v_lshrrev_b32_e32 v3, 20, v3
	s_andn2_saveexec_b32 s18, s18
	s_cbranch_execnz .LBB56_1070
.LBB56_968:
	s_or_b32 exec_lo, exec_lo, s18
	v_mov_b32_e32 v4, 0
	s_and_saveexec_b32 s18, s17
.LBB56_969:
	v_lshrrev_b32_e32 v4, 24, v2
	v_and_or_b32 v4, 0x80, v4, v3
.LBB56_970:
	s_or_b32 exec_lo, exec_lo, s18
.LBB56_971:
	s_or_b32 exec_lo, exec_lo, s3
	global_store_byte v[0:1], v4, off
.LBB56_972:
	s_mov_b32 s3, 0
.LBB56_973:
	s_and_b32 vcc_lo, exec_lo, s3
	s_mov_b32 s3, 0
	s_cbranch_vccz .LBB56_1013
; %bb.974:
	s_cmp_gt_i32 s2, 22
	s_mov_b32 s17, -1
	s_cbranch_scc0 .LBB56_1006
; %bb.975:
	s_cmp_lt_i32 s2, 24
	s_cbranch_scc1 .LBB56_995
; %bb.976:
	s_cmp_gt_i32 s2, 24
	s_cbranch_scc0 .LBB56_984
; %bb.977:
	v_and_b32_e32 v3, 0x7fffffff, v2
	v_mov_b32_e32 v4, 0x80
	s_mov_b32 s17, exec_lo
	v_cmpx_gt_u32_e32 0x47800000, v3
	s_cbranch_execz .LBB56_983
; %bb.978:
	v_cmp_lt_u32_e32 vcc_lo, 0x37ffffff, v3
	s_mov_b32 s18, 0
                                        ; implicit-def: $vgpr3
	s_and_saveexec_b32 s19, vcc_lo
	s_xor_b32 s19, exec_lo, s19
	s_cbranch_execz .LBB56_1201
; %bb.979:
	v_bfe_u32 v3, v2, 21, 1
	s_mov_b32 s18, exec_lo
	v_add3_u32 v3, v2, v3, 0x88fffff
	v_lshrrev_b32_e32 v3, 21, v3
	s_andn2_saveexec_b32 s19, s19
	s_cbranch_execnz .LBB56_1202
.LBB56_980:
	s_or_b32 exec_lo, exec_lo, s19
	v_mov_b32_e32 v4, 0
	s_and_saveexec_b32 s19, s18
.LBB56_981:
	v_lshrrev_b32_e32 v4, 24, v2
	v_and_or_b32 v4, 0x80, v4, v3
.LBB56_982:
	s_or_b32 exec_lo, exec_lo, s19
.LBB56_983:
	s_or_b32 exec_lo, exec_lo, s17
	s_mov_b32 s17, 0
	global_store_byte v[0:1], v4, off
.LBB56_984:
	s_and_b32 vcc_lo, exec_lo, s17
	s_cbranch_vccz .LBB56_994
; %bb.985:
	v_and_b32_e32 v4, 0x7fffffff, v2
	s_mov_b32 s17, exec_lo
                                        ; implicit-def: $vgpr3
	v_cmpx_gt_u32_e32 0x43f00000, v4
	s_xor_b32 s17, exec_lo, s17
	s_cbranch_execz .LBB56_991
; %bb.986:
	s_mov_b32 s18, exec_lo
                                        ; implicit-def: $vgpr3
	v_cmpx_lt_u32_e32 0x3c7fffff, v4
	s_xor_b32 s18, exec_lo, s18
; %bb.987:
	v_bfe_u32 v3, v2, 20, 1
	v_add3_u32 v3, v2, v3, 0x407ffff
	v_and_b32_e32 v4, 0xff00000, v3
	v_lshrrev_b32_e32 v3, 20, v3
	v_cmp_ne_u32_e32 vcc_lo, 0x7f00000, v4
	v_cndmask_b32_e32 v3, 0x7e, v3, vcc_lo
; %bb.988:
	s_andn2_saveexec_b32 s18, s18
; %bb.989:
	v_add_f32_e64 v3, 0x46800000, |v2|
; %bb.990:
	s_or_b32 exec_lo, exec_lo, s18
                                        ; implicit-def: $vgpr4
.LBB56_991:
	s_andn2_saveexec_b32 s17, s17
; %bb.992:
	v_mov_b32_e32 v3, 0x7f
	v_cmp_lt_u32_e32 vcc_lo, 0x7f800000, v4
	v_cndmask_b32_e32 v3, 0x7e, v3, vcc_lo
; %bb.993:
	s_or_b32 exec_lo, exec_lo, s17
	v_lshrrev_b32_e32 v4, 24, v2
	v_and_or_b32 v3, 0x80, v4, v3
	global_store_byte v[0:1], v3, off
.LBB56_994:
	s_mov_b32 s17, 0
.LBB56_995:
	s_andn2_b32 vcc_lo, exec_lo, s17
	s_cbranch_vccnz .LBB56_1005
; %bb.996:
	v_and_b32_e32 v4, 0x7fffffff, v2
	s_mov_b32 s17, exec_lo
                                        ; implicit-def: $vgpr3
	v_cmpx_gt_u32_e32 0x47800000, v4
	s_xor_b32 s17, exec_lo, s17
	s_cbranch_execz .LBB56_1002
; %bb.997:
	s_mov_b32 s18, exec_lo
                                        ; implicit-def: $vgpr3
	v_cmpx_lt_u32_e32 0x387fffff, v4
	s_xor_b32 s18, exec_lo, s18
; %bb.998:
	v_bfe_u32 v3, v2, 21, 1
	v_add3_u32 v3, v2, v3, 0x80fffff
	v_lshrrev_b32_e32 v3, 21, v3
; %bb.999:
	s_andn2_saveexec_b32 s18, s18
; %bb.1000:
	v_add_f32_e64 v3, 0x43000000, |v2|
; %bb.1001:
	s_or_b32 exec_lo, exec_lo, s18
                                        ; implicit-def: $vgpr4
.LBB56_1002:
	s_andn2_saveexec_b32 s17, s17
; %bb.1003:
	v_mov_b32_e32 v3, 0x7f
	v_cmp_lt_u32_e32 vcc_lo, 0x7f800000, v4
	v_cndmask_b32_e32 v3, 0x7c, v3, vcc_lo
; %bb.1004:
	s_or_b32 exec_lo, exec_lo, s17
	v_lshrrev_b32_e32 v4, 24, v2
	v_and_or_b32 v3, 0x80, v4, v3
	global_store_byte v[0:1], v3, off
.LBB56_1005:
	s_mov_b32 s17, 0
.LBB56_1006:
	s_andn2_b32 vcc_lo, exec_lo, s17
	s_mov_b32 s17, 0
	s_cbranch_vccnz .LBB56_1014
; %bb.1007:
	s_cmp_gt_i32 s2, 14
	s_mov_b32 s17, -1
	s_cbranch_scc0 .LBB56_1011
; %bb.1008:
	s_cmp_eq_u32 s2, 15
	s_mov_b32 s0, -1
	s_cbranch_scc0 .LBB56_1010
; %bb.1009:
	v_bfe_u32 v3, v2, 16, 1
	v_cmp_o_f32_e32 vcc_lo, v2, v2
	v_mov_b32_e32 v4, 0x7fc0
	s_mov_b32 s0, 0
	v_add3_u32 v3, v2, v3, 0x7fff
	v_cndmask_b32_sdwa v3, v4, v3, vcc_lo dst_sel:DWORD dst_unused:UNUSED_PAD src0_sel:DWORD src1_sel:WORD_1
	global_store_short v[0:1], v3, off
.LBB56_1010:
	s_mov_b32 s17, 0
.LBB56_1011:
	s_and_b32 vcc_lo, exec_lo, s17
	s_mov_b32 s17, 0
	s_cbranch_vccz .LBB56_1014
; %bb.1012:
	s_cmp_lg_u32 s2, 11
	s_mov_b32 s17, -1
	s_cselect_b32 s2, -1, 0
	s_andn2_b32 s0, s0, exec_lo
	s_and_b32 s2, s2, exec_lo
	s_or_b32 s0, s0, s2
	s_branch .LBB56_1014
.LBB56_1013:
	s_mov_b32 s17, 0
.LBB56_1014:
	s_andn2_b32 s14, s14, exec_lo
	s_and_b32 s0, s0, exec_lo
	s_and_b32 s2, s3, exec_lo
	;; [unrolled: 1-line block ×3, first 2 shown]
	s_or_b32 s14, s14, s0
	s_or_b32 exec_lo, exec_lo, s16
	s_and_saveexec_b32 s0, s14
	s_cbranch_execz .LBB56_943
.LBB56_1015:
	s_or_b32 s15, s15, exec_lo
	s_andn2_b32 s3, s3, exec_lo
	s_trap 2
	s_or_b32 exec_lo, exec_lo, s0
	s_and_saveexec_b32 s0, s3
	s_xor_b32 s0, exec_lo, s0
	s_cbranch_execnz .LBB56_944
.LBB56_1016:
	s_or_b32 exec_lo, exec_lo, s0
	s_and_saveexec_b32 s0, s2
	s_xor_b32 s0, exec_lo, s0
	s_cbranch_execz .LBB56_1054
.LBB56_1017:
	s_sext_i32_i16 s3, s1
	s_mov_b32 s2, -1
	s_cmp_lt_i32 s3, 5
	s_cbranch_scc1 .LBB56_1038
; %bb.1018:
	s_cmp_lt_i32 s3, 8
	s_cbranch_scc1 .LBB56_1028
; %bb.1019:
	s_cmp_lt_i32 s3, 9
	s_cbranch_scc1 .LBB56_1025
; %bb.1020:
	s_cmp_gt_i32 s3, 9
	s_cbranch_scc0 .LBB56_1022
; %bb.1021:
	s_waitcnt vmcnt(0)
	v_cvt_f64_f32_e32 v[3:4], v2
	v_mov_b32_e32 v5, 0
	s_mov_b32 s2, 0
	v_mov_b32_e32 v6, v5
	global_store_dwordx4 v[0:1], v[3:6], off
.LBB56_1022:
	s_andn2_b32 vcc_lo, exec_lo, s2
	s_cbranch_vccnz .LBB56_1024
; %bb.1023:
	s_waitcnt vmcnt(0)
	v_mov_b32_e32 v3, 0
	global_store_dwordx2 v[0:1], v[2:3], off
.LBB56_1024:
	s_mov_b32 s2, 0
.LBB56_1025:
	s_andn2_b32 vcc_lo, exec_lo, s2
	s_cbranch_vccnz .LBB56_1027
; %bb.1026:
	s_waitcnt vmcnt(0)
	v_cvt_f16_f32_e32 v3, v2
	v_and_b32_e32 v3, 0xffff, v3
	global_store_dword v[0:1], v3, off
.LBB56_1027:
	s_mov_b32 s2, 0
.LBB56_1028:
	s_andn2_b32 vcc_lo, exec_lo, s2
	s_cbranch_vccnz .LBB56_1037
; %bb.1029:
	s_sext_i32_i16 s3, s1
	s_mov_b32 s2, -1
	s_cmp_lt_i32 s3, 6
	s_cbranch_scc1 .LBB56_1035
; %bb.1030:
	s_cmp_gt_i32 s3, 6
	s_cbranch_scc0 .LBB56_1032
; %bb.1031:
	s_waitcnt vmcnt(0)
	v_cvt_f64_f32_e32 v[3:4], v2
	s_mov_b32 s2, 0
	global_store_dwordx2 v[0:1], v[3:4], off
.LBB56_1032:
	s_andn2_b32 vcc_lo, exec_lo, s2
	s_cbranch_vccnz .LBB56_1034
; %bb.1033:
	s_waitcnt vmcnt(0)
	global_store_dword v[0:1], v2, off
.LBB56_1034:
	s_mov_b32 s2, 0
.LBB56_1035:
	s_andn2_b32 vcc_lo, exec_lo, s2
	s_cbranch_vccnz .LBB56_1037
; %bb.1036:
	s_waitcnt vmcnt(0)
	v_cvt_f16_f32_e32 v3, v2
	global_store_short v[0:1], v3, off
.LBB56_1037:
	s_mov_b32 s2, 0
.LBB56_1038:
	s_andn2_b32 vcc_lo, exec_lo, s2
	s_cbranch_vccnz .LBB56_1054
; %bb.1039:
	s_sext_i32_i16 s3, s1
	s_mov_b32 s2, -1
	s_cmp_lt_i32 s3, 2
	s_cbranch_scc1 .LBB56_1049
; %bb.1040:
	s_cmp_lt_i32 s3, 3
	s_cbranch_scc1 .LBB56_1046
; %bb.1041:
	s_cmp_gt_i32 s3, 3
	s_cbranch_scc0 .LBB56_1043
; %bb.1042:
	s_waitcnt vmcnt(0)
	v_trunc_f32_e32 v3, v2
	s_mov_b32 s2, 0
	v_mul_f32_e64 v4, 0x2f800000, |v3|
	v_ashrrev_i32_e32 v6, 31, v3
	v_floor_f32_e32 v4, v4
	v_fma_f32 v5, 0xcf800000, v4, |v3|
	v_cvt_u32_f32_e32 v4, v4
	v_cvt_u32_f32_e32 v3, v5
	v_xor_b32_e32 v4, v4, v6
	v_xor_b32_e32 v3, v3, v6
	v_sub_co_u32 v3, vcc_lo, v3, v6
	v_sub_co_ci_u32_e64 v4, null, v4, v6, vcc_lo
	global_store_dwordx2 v[0:1], v[3:4], off
.LBB56_1043:
	s_andn2_b32 vcc_lo, exec_lo, s2
	s_cbranch_vccnz .LBB56_1045
; %bb.1044:
	s_waitcnt vmcnt(0)
	v_cvt_i32_f32_e32 v3, v2
	global_store_dword v[0:1], v3, off
.LBB56_1045:
	s_mov_b32 s2, 0
.LBB56_1046:
	s_andn2_b32 vcc_lo, exec_lo, s2
	s_cbranch_vccnz .LBB56_1048
; %bb.1047:
	s_waitcnt vmcnt(0)
	v_cvt_i32_f32_e32 v3, v2
	global_store_short v[0:1], v3, off
.LBB56_1048:
	s_mov_b32 s2, 0
.LBB56_1049:
	s_andn2_b32 vcc_lo, exec_lo, s2
	s_cbranch_vccnz .LBB56_1054
; %bb.1050:
	s_sext_i32_i16 s1, s1
	s_cmp_gt_i32 s1, 0
	s_mov_b32 s1, -1
	s_cbranch_scc0 .LBB56_1052
; %bb.1051:
	s_waitcnt vmcnt(0)
	v_cvt_i32_f32_e32 v3, v2
	s_mov_b32 s1, 0
	global_store_byte v[0:1], v3, off
.LBB56_1052:
	s_andn2_b32 vcc_lo, exec_lo, s1
	s_cbranch_vccnz .LBB56_1054
; %bb.1053:
	s_waitcnt vmcnt(0)
	v_trunc_f32_e32 v2, v2
	v_mul_f32_e64 v3, 0x2f800000, |v2|
	v_floor_f32_e32 v3, v3
	v_fma_f32 v3, 0xcf800000, v3, |v2|
	v_ashrrev_i32_e32 v2, 31, v2
	v_cvt_u32_f32_e32 v3, v3
	v_xor_b32_e32 v3, v3, v2
	v_sub_nc_u32_e32 v2, v3, v2
	global_store_byte v[0:1], v2, off
.LBB56_1054:
	s_or_b32 exec_lo, exec_lo, s0
	s_and_b32 s14, s15, exec_lo
                                        ; implicit-def: $vgpr4
.LBB56_1055:
	s_or_saveexec_b32 s7, s7
	s_mov_b32 s0, 0
                                        ; implicit-def: $sgpr15
                                        ; implicit-def: $vgpr0_vgpr1
                                        ; implicit-def: $vgpr2
	s_xor_b32 exec_lo, exec_lo, s7
	s_cbranch_execz .LBB56_2031
; %bb.1056:
	v_mul_lo_u32 v5, s13, v4
	s_and_b32 s2, 0xffff, s6
	s_cmp_lt_i32 s2, 11
	v_ashrrev_i32_e32 v1, 31, v5
	v_add_co_u32 v0, vcc_lo, s10, v5
	v_add_co_ci_u32_e64 v1, null, s11, v1, vcc_lo
	s_cbranch_scc1 .LBB56_1063
; %bb.1057:
	s_cmp_gt_i32 s2, 25
	s_mov_b32 s1, 0
	s_cbranch_scc0 .LBB56_1065
; %bb.1058:
	s_cmp_gt_i32 s2, 28
	s_cbranch_scc0 .LBB56_1066
; %bb.1059:
	s_cmp_gt_i32 s2, 43
	;; [unrolled: 3-line block ×3, first 2 shown]
	s_cbranch_scc0 .LBB56_1068
; %bb.1061:
	s_cmp_eq_u32 s2, 46
	s_cbranch_scc0 .LBB56_1071
; %bb.1062:
	global_load_dword v2, v[0:1], off
	s_mov_b32 s3, -1
	s_waitcnt vmcnt(0)
	v_lshlrev_b32_e32 v2, 16, v2
	s_branch .LBB56_1073
.LBB56_1063:
	s_mov_b32 s3, 0
	s_mov_b32 s5, s14
                                        ; implicit-def: $vgpr2
	s_cbranch_execnz .LBB56_1136
.LBB56_1064:
	s_andn2_b32 vcc_lo, exec_lo, s3
	s_cbranch_vccz .LBB56_1181
	s_branch .LBB56_2029
.LBB56_1065:
	s_mov_b32 s3, 0
                                        ; implicit-def: $vgpr2
	s_cbranch_execnz .LBB56_1101
	s_branch .LBB56_1132
.LBB56_1066:
	s_mov_b32 s5, -1
	s_mov_b32 s3, 0
                                        ; implicit-def: $vgpr2
	s_branch .LBB56_1082
.LBB56_1067:
	s_mov_b32 s3, 0
                                        ; implicit-def: $vgpr2
	s_cbranch_execnz .LBB56_1078
	s_branch .LBB56_1081
.LBB56_1068:
	s_mov_b32 s5, -1
	s_branch .LBB56_1072
.LBB56_1069:
	s_andn2_saveexec_b32 s18, s18
	s_cbranch_execz .LBB56_968
.LBB56_1070:
	v_add_f32_e64 v3, 0x46000000, |v2|
	s_andn2_b32 s17, s17, exec_lo
	v_and_b32_e32 v3, 0xff, v3
	v_cmp_ne_u32_e32 vcc_lo, 0, v3
	s_and_b32 s19, vcc_lo, exec_lo
	s_or_b32 s17, s17, s19
	s_or_b32 exec_lo, exec_lo, s18
	v_mov_b32_e32 v4, 0
	s_and_saveexec_b32 s18, s17
	s_cbranch_execnz .LBB56_969
	s_branch .LBB56_970
.LBB56_1071:
	s_mov_b32 s0, -1
.LBB56_1072:
	s_mov_b32 s3, 0
                                        ; implicit-def: $vgpr2
.LBB56_1073:
	s_and_b32 vcc_lo, exec_lo, s5
	s_cbranch_vccz .LBB56_1076
; %bb.1074:
	s_cmp_eq_u32 s2, 44
	s_cbranch_scc0 .LBB56_1077
; %bb.1075:
	global_load_ubyte v2, v[0:1], off
	s_mov_b32 s0, 0
	s_mov_b32 s3, -1
	s_waitcnt vmcnt(0)
	v_lshlrev_b32_e32 v3, 23, v2
	v_cmp_ne_u32_e32 vcc_lo, 0xff, v2
	v_cndmask_b32_e32 v3, 0x7f800001, v3, vcc_lo
	v_cmp_ne_u32_e32 vcc_lo, 0, v2
	v_cndmask_b32_e32 v2, 0x400000, v3, vcc_lo
.LBB56_1076:
	s_branch .LBB56_1081
.LBB56_1077:
	s_mov_b32 s0, -1
                                        ; implicit-def: $vgpr2
	s_branch .LBB56_1081
.LBB56_1078:
	s_cmp_eq_u32 s2, 29
	s_cbranch_scc0 .LBB56_1080
; %bb.1079:
	global_load_dwordx2 v[2:3], v[0:1], off
	s_mov_b32 s0, 0
	s_mov_b32 s3, -1
	s_mov_b32 s5, 0
	s_waitcnt vmcnt(0)
	v_ffbh_u32_e32 v6, v3
	v_min_u32_e32 v6, 32, v6
	v_lshlrev_b64 v[2:3], v6, v[2:3]
	v_min_u32_e32 v2, 1, v2
	v_or_b32_e32 v2, v3, v2
	v_sub_nc_u32_e32 v3, 32, v6
	v_cvt_f32_u32_e32 v2, v2
	v_ldexp_f32 v2, v2, v3
	s_branch .LBB56_1082
.LBB56_1080:
	s_mov_b32 s0, -1
                                        ; implicit-def: $vgpr2
.LBB56_1081:
	s_mov_b32 s5, 0
.LBB56_1082:
	s_and_b32 vcc_lo, exec_lo, s5
	s_cbranch_vccz .LBB56_1100
; %bb.1083:
	s_cmp_lt_i32 s2, 27
	s_cbranch_scc1 .LBB56_1086
; %bb.1084:
	s_cmp_gt_i32 s2, 27
	s_cbranch_scc0 .LBB56_1087
; %bb.1085:
	global_load_dword v2, v[0:1], off
	s_mov_b32 s3, 0
	s_waitcnt vmcnt(0)
	v_cvt_f32_u32_e32 v2, v2
	s_branch .LBB56_1088
.LBB56_1086:
	s_mov_b32 s3, -1
                                        ; implicit-def: $vgpr2
	s_branch .LBB56_1091
.LBB56_1087:
	s_mov_b32 s3, -1
                                        ; implicit-def: $vgpr2
.LBB56_1088:
	s_andn2_b32 vcc_lo, exec_lo, s3
	s_cbranch_vccnz .LBB56_1090
; %bb.1089:
	global_load_ushort v2, v[0:1], off
	s_waitcnt vmcnt(0)
	v_cvt_f32_u32_e32 v2, v2
.LBB56_1090:
	s_mov_b32 s3, 0
.LBB56_1091:
	s_andn2_b32 vcc_lo, exec_lo, s3
	s_cbranch_vccnz .LBB56_1099
; %bb.1092:
	global_load_ubyte v3, v[0:1], off
	s_mov_b32 s3, 0
	s_mov_b32 s5, exec_lo
	s_waitcnt vmcnt(0)
	v_cmpx_lt_i16_e32 0x7f, v3
	s_xor_b32 s5, exec_lo, s5
	s_cbranch_execz .LBB56_1112
; %bb.1093:
	s_mov_b32 s3, -1
	s_mov_b32 s6, exec_lo
	v_cmpx_eq_u16_e32 0x80, v3
; %bb.1094:
	s_xor_b32 s3, exec_lo, -1
; %bb.1095:
	s_or_b32 exec_lo, exec_lo, s6
	s_and_b32 s3, s3, exec_lo
	s_or_saveexec_b32 s5, s5
	v_mov_b32_e32 v2, 0x7f800001
	s_xor_b32 exec_lo, exec_lo, s5
	s_cbranch_execnz .LBB56_1113
.LBB56_1096:
	s_or_b32 exec_lo, exec_lo, s5
	s_and_saveexec_b32 s5, s3
	s_cbranch_execz .LBB56_1098
.LBB56_1097:
	v_and_b32_e32 v2, 0xffff, v3
	v_lshlrev_b32_e32 v3, 24, v3
	v_and_b32_e32 v6, 7, v2
	v_bfe_u32 v9, v2, 3, 4
	v_and_b32_e32 v3, 0x80000000, v3
	v_ffbh_u32_e32 v7, v6
	v_cmp_eq_u32_e32 vcc_lo, 0, v9
	v_min_u32_e32 v7, 32, v7
	v_subrev_nc_u32_e32 v8, 28, v7
	v_sub_nc_u32_e32 v7, 29, v7
	v_lshlrev_b32_e32 v2, v8, v2
	v_cndmask_b32_e32 v7, v9, v7, vcc_lo
	v_and_b32_e32 v2, 7, v2
	v_cndmask_b32_e32 v2, v6, v2, vcc_lo
	v_lshl_add_u32 v6, v7, 23, 0x3b800000
	v_lshlrev_b32_e32 v2, 20, v2
	v_or3_b32 v2, v3, v6, v2
.LBB56_1098:
	s_or_b32 exec_lo, exec_lo, s5
.LBB56_1099:
	s_mov_b32 s3, -1
.LBB56_1100:
	s_branch .LBB56_1132
.LBB56_1101:
	s_cmp_gt_i32 s2, 22
	s_cbranch_scc0 .LBB56_1111
; %bb.1102:
	s_cmp_lt_i32 s2, 24
	s_cbranch_scc1 .LBB56_1114
; %bb.1103:
	s_cmp_gt_i32 s2, 24
	s_cbranch_scc0 .LBB56_1115
; %bb.1104:
	global_load_ubyte v3, v[0:1], off
	s_mov_b32 s3, exec_lo
	s_waitcnt vmcnt(0)
	v_cmpx_lt_i16_e32 0x7f, v3
	s_xor_b32 s3, exec_lo, s3
	s_cbranch_execz .LBB56_1126
; %bb.1105:
	s_mov_b32 s1, -1
	s_mov_b32 s5, exec_lo
	v_cmpx_eq_u16_e32 0x80, v3
; %bb.1106:
	s_xor_b32 s1, exec_lo, -1
; %bb.1107:
	s_or_b32 exec_lo, exec_lo, s5
	s_and_b32 s1, s1, exec_lo
	s_or_saveexec_b32 s3, s3
	v_mov_b32_e32 v2, 0x7f800001
	s_xor_b32 exec_lo, exec_lo, s3
	s_cbranch_execnz .LBB56_1127
.LBB56_1108:
	s_or_b32 exec_lo, exec_lo, s3
	s_and_saveexec_b32 s3, s1
	s_cbranch_execz .LBB56_1110
.LBB56_1109:
	v_and_b32_e32 v2, 0xffff, v3
	v_lshlrev_b32_e32 v3, 24, v3
	v_and_b32_e32 v6, 3, v2
	v_bfe_u32 v9, v2, 2, 5
	v_and_b32_e32 v3, 0x80000000, v3
	v_ffbh_u32_e32 v7, v6
	v_cmp_eq_u32_e32 vcc_lo, 0, v9
	v_min_u32_e32 v7, 32, v7
	v_subrev_nc_u32_e32 v8, 29, v7
	v_sub_nc_u32_e32 v7, 30, v7
	v_lshlrev_b32_e32 v2, v8, v2
	v_cndmask_b32_e32 v7, v9, v7, vcc_lo
	v_and_b32_e32 v2, 3, v2
	v_cndmask_b32_e32 v2, v6, v2, vcc_lo
	v_lshl_add_u32 v6, v7, 23, 0x37800000
	v_lshlrev_b32_e32 v2, 21, v2
	v_or3_b32 v2, v3, v6, v2
.LBB56_1110:
	s_or_b32 exec_lo, exec_lo, s3
	s_mov_b32 s1, 0
	s_branch .LBB56_1116
.LBB56_1111:
                                        ; implicit-def: $vgpr2
	s_mov_b32 s1, 0
	s_branch .LBB56_1122
.LBB56_1112:
	s_or_saveexec_b32 s5, s5
	v_mov_b32_e32 v2, 0x7f800001
	s_xor_b32 exec_lo, exec_lo, s5
	s_cbranch_execz .LBB56_1096
.LBB56_1113:
	v_cmp_ne_u16_e32 vcc_lo, 0, v3
	v_mov_b32_e32 v2, 0
	s_andn2_b32 s3, s3, exec_lo
	s_and_b32 s6, vcc_lo, exec_lo
	s_or_b32 s3, s3, s6
	s_or_b32 exec_lo, exec_lo, s5
	s_and_saveexec_b32 s5, s3
	s_cbranch_execnz .LBB56_1097
	s_branch .LBB56_1098
.LBB56_1114:
	s_mov_b32 s1, -1
                                        ; implicit-def: $vgpr2
	s_branch .LBB56_1119
.LBB56_1115:
	s_mov_b32 s1, -1
                                        ; implicit-def: $vgpr2
.LBB56_1116:
	s_and_b32 vcc_lo, exec_lo, s1
	s_cbranch_vccz .LBB56_1118
; %bb.1117:
	global_load_ubyte v2, v[0:1], off
	s_waitcnt vmcnt(0)
	v_lshlrev_b32_e32 v2, 24, v2
	v_and_b32_e32 v3, 0x7f000000, v2
	v_ffbh_u32_e32 v6, v3
	v_add_nc_u32_e32 v8, 0x1000000, v3
	v_cmp_ne_u32_e32 vcc_lo, 0, v3
	v_min_u32_e32 v6, 32, v6
	v_sub_nc_u32_e64 v6, v6, 4 clamp
	v_lshlrev_b32_e32 v7, v6, v3
	v_lshlrev_b32_e32 v6, 23, v6
	v_lshrrev_b32_e32 v7, 4, v7
	v_sub_nc_u32_e32 v6, v7, v6
	v_ashrrev_i32_e32 v7, 8, v8
	v_add_nc_u32_e32 v6, 0x3c000000, v6
	v_and_or_b32 v6, 0x7f800000, v7, v6
	v_cndmask_b32_e32 v3, 0, v6, vcc_lo
	v_and_or_b32 v2, 0x80000000, v2, v3
.LBB56_1118:
	s_mov_b32 s1, 0
.LBB56_1119:
	s_andn2_b32 vcc_lo, exec_lo, s1
	s_cbranch_vccnz .LBB56_1121
; %bb.1120:
	global_load_ubyte v2, v[0:1], off
	s_waitcnt vmcnt(0)
	v_lshlrev_b32_e32 v3, 25, v2
	v_lshlrev_b16 v2, 8, v2
	v_lshrrev_b32_e32 v6, 4, v3
	v_and_or_b32 v7, 0x7f00, v2, 0.5
	v_cmp_gt_u32_e32 vcc_lo, 0x8000000, v3
	v_bfe_i32 v2, v2, 0, 16
	v_or_b32_e32 v6, 0x70000000, v6
	v_add_f32_e32 v7, -0.5, v7
	v_mul_f32_e32 v6, 0x7800000, v6
	v_cndmask_b32_e32 v3, v6, v7, vcc_lo
	v_and_or_b32 v2, 0x80000000, v2, v3
.LBB56_1121:
	s_mov_b32 s3, -1
	s_mov_b32 s1, 0
	s_cbranch_execnz .LBB56_1132
.LBB56_1122:
	s_cmp_gt_i32 s2, 14
	s_cbranch_scc0 .LBB56_1125
; %bb.1123:
	s_cmp_eq_u32 s2, 15
	s_cbranch_scc0 .LBB56_1128
; %bb.1124:
	global_load_ushort v2, v[0:1], off
	s_mov_b32 s0, 0
	s_mov_b32 s3, -1
	s_waitcnt vmcnt(0)
	v_lshlrev_b32_e32 v2, 16, v2
	s_branch .LBB56_1130
.LBB56_1125:
	s_mov_b32 s1, -1
	s_branch .LBB56_1129
.LBB56_1126:
	s_or_saveexec_b32 s3, s3
	v_mov_b32_e32 v2, 0x7f800001
	s_xor_b32 exec_lo, exec_lo, s3
	s_cbranch_execz .LBB56_1108
.LBB56_1127:
	v_cmp_ne_u16_e32 vcc_lo, 0, v3
	v_mov_b32_e32 v2, 0
	s_andn2_b32 s1, s1, exec_lo
	s_and_b32 s5, vcc_lo, exec_lo
	s_or_b32 s1, s1, s5
	s_or_b32 exec_lo, exec_lo, s3
	s_and_saveexec_b32 s3, s1
	s_cbranch_execnz .LBB56_1109
	s_branch .LBB56_1110
.LBB56_1128:
	s_mov_b32 s0, -1
.LBB56_1129:
                                        ; implicit-def: $vgpr2
.LBB56_1130:
	s_and_b32 vcc_lo, exec_lo, s1
	s_mov_b32 s1, 0
	s_cbranch_vccz .LBB56_1132
; %bb.1131:
	s_cmp_lg_u32 s2, 11
	s_mov_b32 s1, -1
	s_cselect_b32 s0, -1, 0
.LBB56_1132:
	s_and_b32 vcc_lo, exec_lo, s0
	s_mov_b32 s5, s14
	s_cbranch_vccnz .LBB56_1199
; %bb.1133:
	s_andn2_b32 vcc_lo, exec_lo, s1
	s_cbranch_vccnz .LBB56_1135
.LBB56_1134:
	global_load_ubyte v2, v[0:1], off
	s_mov_b32 s3, -1
	s_waitcnt vmcnt(0)
	v_cmp_ne_u16_e32 vcc_lo, 0, v2
	v_cndmask_b32_e64 v2, 0, 1.0, vcc_lo
.LBB56_1135:
	s_branch .LBB56_1064
.LBB56_1136:
	s_cmp_lt_i32 s2, 5
	s_cbranch_scc1 .LBB56_1141
; %bb.1137:
	s_cmp_lt_i32 s2, 8
	s_cbranch_scc1 .LBB56_1142
; %bb.1138:
	;; [unrolled: 3-line block ×3, first 2 shown]
	s_cmp_gt_i32 s2, 9
	s_cbranch_scc0 .LBB56_1144
; %bb.1140:
	global_load_dwordx2 v[2:3], v[0:1], off
	s_mov_b32 s0, 0
	s_waitcnt vmcnt(0)
	v_cvt_f32_f64_e32 v2, v[2:3]
	s_branch .LBB56_1145
.LBB56_1141:
                                        ; implicit-def: $vgpr2
	s_branch .LBB56_1162
.LBB56_1142:
                                        ; implicit-def: $vgpr2
	s_branch .LBB56_1151
.LBB56_1143:
	s_mov_b32 s0, -1
                                        ; implicit-def: $vgpr2
	s_branch .LBB56_1148
.LBB56_1144:
	s_mov_b32 s0, -1
                                        ; implicit-def: $vgpr2
.LBB56_1145:
	s_andn2_b32 vcc_lo, exec_lo, s0
	s_cbranch_vccnz .LBB56_1147
; %bb.1146:
	global_load_dword v2, v[0:1], off
.LBB56_1147:
	s_mov_b32 s0, 0
.LBB56_1148:
	s_andn2_b32 vcc_lo, exec_lo, s0
	s_cbranch_vccnz .LBB56_1150
; %bb.1149:
	global_load_dword v2, v[0:1], off
	s_waitcnt vmcnt(0)
	v_cvt_f32_f16_e32 v2, v2
.LBB56_1150:
	s_cbranch_execnz .LBB56_1161
.LBB56_1151:
	s_cmp_lt_i32 s2, 6
	s_cbranch_scc1 .LBB56_1154
; %bb.1152:
	s_cmp_gt_i32 s2, 6
	s_cbranch_scc0 .LBB56_1155
; %bb.1153:
	global_load_dwordx2 v[2:3], v[0:1], off
	s_mov_b32 s0, 0
	s_waitcnt vmcnt(0)
	v_cvt_f32_f64_e32 v2, v[2:3]
	s_branch .LBB56_1156
.LBB56_1154:
	s_mov_b32 s0, -1
                                        ; implicit-def: $vgpr2
	s_branch .LBB56_1159
.LBB56_1155:
	s_mov_b32 s0, -1
                                        ; implicit-def: $vgpr2
.LBB56_1156:
	s_andn2_b32 vcc_lo, exec_lo, s0
	s_cbranch_vccnz .LBB56_1158
; %bb.1157:
	global_load_dword v2, v[0:1], off
.LBB56_1158:
	s_mov_b32 s0, 0
.LBB56_1159:
	s_andn2_b32 vcc_lo, exec_lo, s0
	s_cbranch_vccnz .LBB56_1161
; %bb.1160:
	global_load_ushort v2, v[0:1], off
	s_waitcnt vmcnt(0)
	v_cvt_f32_f16_e32 v2, v2
.LBB56_1161:
	s_cbranch_execnz .LBB56_1180
.LBB56_1162:
	s_cmp_lt_i32 s2, 2
	s_cbranch_scc1 .LBB56_1166
; %bb.1163:
	s_cmp_lt_i32 s2, 3
	s_cbranch_scc1 .LBB56_1167
; %bb.1164:
	s_cmp_gt_i32 s2, 3
	s_cbranch_scc0 .LBB56_1168
; %bb.1165:
	global_load_dwordx2 v[2:3], v[0:1], off
	s_mov_b32 s0, 0
	s_waitcnt vmcnt(0)
	v_xor_b32_e32 v6, v2, v3
	v_ffbh_i32_e32 v7, v3
	v_ashrrev_i32_e32 v6, 31, v6
	v_add_nc_u32_e32 v7, -1, v7
	v_add_nc_u32_e32 v6, 32, v6
	v_min_u32_e32 v6, v7, v6
	v_lshlrev_b64 v[2:3], v6, v[2:3]
	v_min_u32_e32 v2, 1, v2
	v_or_b32_e32 v2, v3, v2
	v_sub_nc_u32_e32 v3, 32, v6
	v_cvt_f32_i32_e32 v2, v2
	v_ldexp_f32 v2, v2, v3
	s_branch .LBB56_1169
.LBB56_1166:
                                        ; implicit-def: $vgpr2
	s_branch .LBB56_1175
.LBB56_1167:
	s_mov_b32 s0, -1
                                        ; implicit-def: $vgpr2
	s_branch .LBB56_1172
.LBB56_1168:
	s_mov_b32 s0, -1
                                        ; implicit-def: $vgpr2
.LBB56_1169:
	s_andn2_b32 vcc_lo, exec_lo, s0
	s_cbranch_vccnz .LBB56_1171
; %bb.1170:
	global_load_dword v2, v[0:1], off
	s_waitcnt vmcnt(0)
	v_cvt_f32_i32_e32 v2, v2
.LBB56_1171:
	s_mov_b32 s0, 0
.LBB56_1172:
	s_andn2_b32 vcc_lo, exec_lo, s0
	s_cbranch_vccnz .LBB56_1174
; %bb.1173:
	global_load_sshort v2, v[0:1], off
	s_waitcnt vmcnt(0)
	v_cvt_f32_i32_e32 v2, v2
.LBB56_1174:
	s_cbranch_execnz .LBB56_1180
.LBB56_1175:
	s_cmp_gt_i32 s2, 0
	s_mov_b32 s0, 0
	s_cbranch_scc0 .LBB56_1177
; %bb.1176:
	global_load_sbyte v2, v[0:1], off
	s_waitcnt vmcnt(0)
	v_cvt_f32_i32_e32 v2, v2
	s_branch .LBB56_1178
.LBB56_1177:
	s_mov_b32 s0, -1
                                        ; implicit-def: $vgpr2
.LBB56_1178:
	s_andn2_b32 vcc_lo, exec_lo, s0
	s_cbranch_vccnz .LBB56_1180
; %bb.1179:
	global_load_ubyte v0, v[0:1], off
	s_waitcnt vmcnt(0)
	v_cvt_f32_ubyte0_e32 v2, v0
.LBB56_1180:
.LBB56_1181:
	v_mov_b32_e32 v10, 0
	s_waitcnt vmcnt(0)
	v_mov_b32_e32 v3, 1.0
	s_mov_b32 s3, exec_lo
	v_cmpx_gt_f32_e32 0.5, v2
	s_cbranch_execz .LBB56_1187
; %bb.1182:
	v_mul_f32_e32 v0, 0x40490fdb, v2
                                        ; implicit-def: $vgpr6
                                        ; implicit-def: $vgpr3
	s_mov_b32 s1, exec_lo
	v_and_b32_e32 v1, 0x7fffffff, v0
	v_cmpx_ngt_f32_e64 0x48000000, |v0|
	s_xor_b32 s6, exec_lo, s1
	s_cbranch_execz .LBB56_1184
; %bb.1183:
	s_mov_b32 s0, 0x7fffff
	v_mov_b32_e32 v8, 0
	v_and_or_b32 v3, v1, s0, 0x800000
	v_lshrrev_b32_e32 v13, 23, v1
	v_mad_u64_u32 v[6:7], null, 0xfe5163ab, v3, 0
	v_add_nc_u32_e32 v14, 0xffffff88, v13
	v_cmp_lt_u32_e32 vcc_lo, 63, v14
	v_mad_u64_u32 v[9:10], null, 0x3c439041, v3, v[7:8]
	v_cndmask_b32_e64 v15, 0, 0xffffffc0, vcc_lo
	v_mov_b32_e32 v7, v10
	v_add_nc_u32_e32 v15, v15, v14
	v_mad_u64_u32 v[10:11], null, 0xdb629599, v3, v[7:8]
	v_cmp_lt_u32_e64 s0, 31, v15
	v_cndmask_b32_e64 v16, 0, 0xffffffe0, s0
	v_mov_b32_e32 v7, v11
	v_cndmask_b32_e32 v6, v10, v6, vcc_lo
	v_mad_u64_u32 v[11:12], null, 0xf534ddc0, v3, v[7:8]
	v_mov_b32_e32 v7, v12
	v_cndmask_b32_e32 v9, v11, v9, vcc_lo
	v_mad_u64_u32 v[12:13], null, 0xfc2757d1, v3, v[7:8]
	v_cndmask_b32_e64 v6, v9, v6, s0
	v_mov_b32_e32 v7, v13
	v_mad_u64_u32 v[13:14], null, 0x4e441529, v3, v[7:8]
	v_mov_b32_e32 v7, v14
	v_add_nc_u32_e32 v14, v16, v15
	v_cndmask_b32_e32 v15, v13, v11, vcc_lo
	v_mad_u64_u32 v[7:8], null, 0xa2f9836e, v3, v[7:8]
	v_cmp_lt_u32_e64 s1, 31, v14
	v_cndmask_b32_e64 v3, 0, 0xffffffe0, s1
	v_cndmask_b32_e32 v7, v7, v12, vcc_lo
	v_cndmask_b32_e32 v8, v8, v13, vcc_lo
	;; [unrolled: 1-line block ×3, first 2 shown]
	v_add_nc_u32_e32 v3, v3, v14
	v_cndmask_b32_e64 v11, v7, v15, s0
	v_cndmask_b32_e64 v7, v8, v7, s0
	;; [unrolled: 1-line block ×4, first 2 shown]
	v_sub_nc_u32_e32 v13, 32, v3
	v_cmp_eq_u32_e32 vcc_lo, 0, v3
	v_cndmask_b32_e64 v7, v7, v11, s1
	v_cndmask_b32_e64 v11, v11, v8, s1
	;; [unrolled: 1-line block ×4, first 2 shown]
	v_alignbit_b32 v14, v7, v11, v13
	v_alignbit_b32 v10, v11, v8, v13
	;; [unrolled: 1-line block ×3, first 2 shown]
	v_cndmask_b32_e32 v3, v14, v7, vcc_lo
	v_cndmask_b32_e32 v7, v10, v11, vcc_lo
	;; [unrolled: 1-line block ×3, first 2 shown]
	v_bfe_u32 v9, v3, 29, 1
	v_alignbit_b32 v10, v3, v7, 30
	v_alignbit_b32 v7, v7, v8, 30
	;; [unrolled: 1-line block ×3, first 2 shown]
	v_sub_nc_u32_e32 v11, 0, v9
	v_xor_b32_e32 v10, v10, v11
	v_xor_b32_e32 v7, v7, v11
	;; [unrolled: 1-line block ×3, first 2 shown]
	v_lshrrev_b32_e32 v11, 29, v3
	v_ffbh_u32_e32 v12, v10
	v_min_u32_e32 v12, 32, v12
	v_sub_nc_u32_e32 v8, 31, v12
	v_lshlrev_b32_e32 v13, 23, v12
	v_alignbit_b32 v10, v10, v7, v8
	v_alignbit_b32 v6, v7, v6, v8
	v_lshlrev_b32_e32 v7, 31, v11
	v_alignbit_b32 v8, v10, v6, 9
	v_or_b32_e32 v11, 0.5, v7
	v_lshrrev_b32_e32 v10, 9, v10
	v_or_b32_e32 v7, 0x33000000, v7
	v_ffbh_u32_e32 v14, v8
	v_sub_nc_u32_e32 v11, v11, v13
	v_min_u32_e32 v13, 32, v14
	v_or_b32_e32 v10, v10, v11
	v_not_b32_e32 v11, v13
	v_mul_f32_e32 v14, 0x3fc90fda, v10
	v_add_lshl_u32 v12, v13, v12, 23
	v_alignbit_b32 v6, v8, v6, v11
	v_fma_f32 v8, 0x3fc90fda, v10, -v14
	v_sub_nc_u32_e32 v7, v7, v12
	v_lshrrev_b32_e32 v6, 9, v6
	v_fmamk_f32 v8, v10, 0x33a22168, v8
	v_or_b32_e32 v6, v7, v6
	v_fmac_f32_e32 v8, 0x3fc90fda, v6
	v_lshrrev_b32_e32 v6, 30, v3
	v_add_f32_e32 v3, v14, v8
	v_add_nc_u32_e32 v6, v9, v6
.LBB56_1184:
	s_andn2_saveexec_b32 s0, s6
; %bb.1185:
	v_mul_f32_e64 v3, 0x3f22f983, |v0|
	v_rndne_f32_e32 v6, v3
	v_fma_f32 v3, 0xbfc90fda, v6, |v0|
	v_fmamk_f32 v3, v6, 0xb3a22168, v3
	v_fmamk_f32 v3, v6, 0xa7c234c4, v3
	v_cvt_i32_f32_e32 v6, v6
; %bb.1186:
	s_or_b32 exec_lo, exec_lo, s0
	v_mul_f32_e32 v7, v3, v3
	s_mov_b32 s0, 0xb94c1982
	s_mov_b32 s1, 0x37d75334
	v_and_b32_e32 v10, 1, v6
	v_lshlrev_b32_e32 v6, 30, v6
	v_fmaak_f32 v8, s0, v7, 0x3c0881c4
	v_fmaak_f32 v9, s1, v7, 0xbab64f3b
	v_xor_b32_e32 v1, v1, v0
	v_cmp_eq_u32_e32 vcc_lo, 0, v10
	v_and_b32_e32 v6, 0x80000000, v6
	v_fmaak_f32 v8, v7, v8, 0xbe2aaa9d
	v_fmaak_f32 v9, v7, v9, 0x3d2aabf7
	v_sub_f32_e32 v2, 1.0, v2
	v_mul_f32_e32 v8, v7, v8
	v_fmaak_f32 v9, v7, v9, 0xbf000004
	v_fmac_f32_e32 v3, v3, v8
	v_fma_f32 v7, v7, v9, 1.0
	v_cndmask_b32_e32 v3, v7, v3, vcc_lo
	v_cmp_class_f32_e64 vcc_lo, v0, 0x1f8
	v_xor3_b32 v1, v1, v6, v3
	v_cndmask_b32_e32 v0, 0x7fc00000, v1, vcc_lo
	v_mul_f32_e32 v0, v0, v0
	v_div_scale_f32 v1, null, v0, v0, 0xc11de9e7
	v_div_scale_f32 v7, vcc_lo, 0xc11de9e7, v0, 0xc11de9e7
	v_rcp_f32_e32 v3, v1
	v_fma_f32 v6, -v1, v3, 1.0
	v_fmac_f32_e32 v3, v6, v3
	v_mul_f32_e32 v6, v7, v3
	v_fma_f32 v8, -v1, v6, v7
	v_fmac_f32_e32 v6, v8, v3
	v_fma_f32 v1, -v1, v6, v7
	v_div_fmas_f32 v1, v1, v3, v6
	v_mov_b32_e32 v3, -1.0
	v_div_fixup_f32 v0, v1, v0, 0xc11de9e7
	v_add_f32_e32 v10, 0, v0
.LBB56_1187:
	s_or_b32 exec_lo, exec_lo, s3
	s_lshl_b32 s3, s13, 7
	s_cmp_lt_i32 s2, 11
	v_add_nc_u32_e32 v6, s3, v5
	v_ashrrev_i32_e32 v1, 31, v6
	v_add_co_u32 v0, vcc_lo, s10, v6
	v_add_co_ci_u32_e64 v1, null, s11, v1, vcc_lo
	s_cbranch_scc1 .LBB56_1194
; %bb.1188:
	s_cmp_gt_i32 s2, 25
	s_mov_b32 s1, 0
	s_cbranch_scc0 .LBB56_1196
; %bb.1189:
	s_cmp_gt_i32 s2, 28
	s_cbranch_scc0 .LBB56_1197
; %bb.1190:
	s_cmp_gt_i32 s2, 43
	;; [unrolled: 3-line block ×3, first 2 shown]
	s_cbranch_scc0 .LBB56_1200
; %bb.1192:
	s_cmp_eq_u32 s2, 46
	s_mov_b32 s13, 0
	s_cbranch_scc0 .LBB56_1203
; %bb.1193:
	global_load_dword v5, v[0:1], off
	s_mov_b32 s0, 0
	s_mov_b32 s6, -1
	s_waitcnt vmcnt(0)
	v_lshlrev_b32_e32 v5, 16, v5
	s_branch .LBB56_1205
.LBB56_1194:
	s_mov_b32 s6, 0
                                        ; implicit-def: $vgpr5
	s_cbranch_execnz .LBB56_1270
.LBB56_1195:
	s_andn2_b32 vcc_lo, exec_lo, s6
	s_cbranch_vccnz .LBB56_2029
	s_branch .LBB56_1317
.LBB56_1196:
	s_mov_b32 s6, 0
	s_mov_b32 s0, 0
                                        ; implicit-def: $vgpr5
	s_cbranch_execnz .LBB56_1234
	s_branch .LBB56_1266
.LBB56_1197:
	s_mov_b32 s13, -1
	s_mov_b32 s6, 0
	s_mov_b32 s0, 0
                                        ; implicit-def: $vgpr5
	s_branch .LBB56_1215
.LBB56_1198:
	s_mov_b32 s13, -1
	s_mov_b32 s6, 0
	s_mov_b32 s0, 0
                                        ; implicit-def: $vgpr5
	s_branch .LBB56_1210
.LBB56_1199:
	s_or_b32 s5, s14, exec_lo
	s_trap 2
	s_cbranch_execz .LBB56_1134
	s_branch .LBB56_1135
.LBB56_1200:
	s_mov_b32 s13, -1
	s_mov_b32 s6, 0
	s_mov_b32 s0, 0
	s_branch .LBB56_1204
.LBB56_1201:
	s_andn2_saveexec_b32 s19, s19
	s_cbranch_execz .LBB56_980
.LBB56_1202:
	v_add_f32_e64 v3, 0x42800000, |v2|
	s_andn2_b32 s18, s18, exec_lo
	v_and_b32_e32 v3, 0xff, v3
	v_cmp_ne_u32_e32 vcc_lo, 0, v3
	s_and_b32 s20, vcc_lo, exec_lo
	s_or_b32 s18, s18, s20
	s_or_b32 exec_lo, exec_lo, s19
	v_mov_b32_e32 v4, 0
	s_and_saveexec_b32 s19, s18
	s_cbranch_execnz .LBB56_981
	s_branch .LBB56_982
.LBB56_1203:
	s_mov_b32 s0, -1
	s_mov_b32 s6, 0
.LBB56_1204:
                                        ; implicit-def: $vgpr5
.LBB56_1205:
	s_and_b32 vcc_lo, exec_lo, s13
	s_cbranch_vccz .LBB56_1209
; %bb.1206:
	s_cmp_eq_u32 s2, 44
	s_cbranch_scc0 .LBB56_1208
; %bb.1207:
	global_load_ubyte v5, v[0:1], off
	s_mov_b32 s0, 0
	s_mov_b32 s6, -1
	s_waitcnt vmcnt(0)
	v_lshlrev_b32_e32 v7, 23, v5
	v_cmp_ne_u32_e32 vcc_lo, 0xff, v5
	v_cndmask_b32_e32 v7, 0x7f800001, v7, vcc_lo
	v_cmp_ne_u32_e32 vcc_lo, 0, v5
	v_cndmask_b32_e32 v5, 0x400000, v7, vcc_lo
	s_branch .LBB56_1209
.LBB56_1208:
	s_mov_b32 s0, -1
                                        ; implicit-def: $vgpr5
.LBB56_1209:
	s_mov_b32 s13, 0
.LBB56_1210:
	s_and_b32 vcc_lo, exec_lo, s13
	s_cbranch_vccz .LBB56_1214
; %bb.1211:
	s_cmp_eq_u32 s2, 29
	s_cbranch_scc0 .LBB56_1213
; %bb.1212:
	global_load_dwordx2 v[7:8], v[0:1], off
	s_mov_b32 s0, 0
	s_mov_b32 s6, -1
	s_mov_b32 s13, 0
	s_waitcnt vmcnt(0)
	v_ffbh_u32_e32 v5, v8
	v_min_u32_e32 v5, 32, v5
	v_lshlrev_b64 v[7:8], v5, v[7:8]
	v_sub_nc_u32_e32 v5, 32, v5
	v_min_u32_e32 v7, 1, v7
	v_or_b32_e32 v7, v8, v7
	v_cvt_f32_u32_e32 v7, v7
	v_ldexp_f32 v5, v7, v5
	s_branch .LBB56_1215
.LBB56_1213:
	s_mov_b32 s0, -1
                                        ; implicit-def: $vgpr5
.LBB56_1214:
	s_mov_b32 s13, 0
.LBB56_1215:
	s_and_b32 vcc_lo, exec_lo, s13
	s_cbranch_vccz .LBB56_1233
; %bb.1216:
	s_cmp_lt_i32 s2, 27
	s_cbranch_scc1 .LBB56_1219
; %bb.1217:
	s_cmp_gt_i32 s2, 27
	s_cbranch_scc0 .LBB56_1220
; %bb.1218:
	global_load_dword v5, v[0:1], off
	s_mov_b32 s6, 0
	s_waitcnt vmcnt(0)
	v_cvt_f32_u32_e32 v5, v5
	s_branch .LBB56_1221
.LBB56_1219:
	s_mov_b32 s6, -1
                                        ; implicit-def: $vgpr5
	s_branch .LBB56_1224
.LBB56_1220:
	s_mov_b32 s6, -1
                                        ; implicit-def: $vgpr5
.LBB56_1221:
	s_andn2_b32 vcc_lo, exec_lo, s6
	s_cbranch_vccnz .LBB56_1223
; %bb.1222:
	global_load_ushort v5, v[0:1], off
	s_waitcnt vmcnt(0)
	v_cvt_f32_u32_e32 v5, v5
.LBB56_1223:
	s_mov_b32 s6, 0
.LBB56_1224:
	s_andn2_b32 vcc_lo, exec_lo, s6
	s_cbranch_vccnz .LBB56_1232
; %bb.1225:
	global_load_ubyte v7, v[0:1], off
	s_mov_b32 s6, 0
	s_mov_b32 s13, exec_lo
	s_waitcnt vmcnt(0)
	v_cmpx_lt_i16_e32 0x7f, v7
	s_xor_b32 s13, exec_lo, s13
	s_cbranch_execz .LBB56_1245
; %bb.1226:
	s_mov_b32 s6, -1
	s_mov_b32 s15, exec_lo
	v_cmpx_eq_u16_e32 0x80, v7
; %bb.1227:
	s_xor_b32 s6, exec_lo, -1
; %bb.1228:
	s_or_b32 exec_lo, exec_lo, s15
	s_and_b32 s6, s6, exec_lo
	s_or_saveexec_b32 s13, s13
	v_mov_b32_e32 v5, 0x7f800001
	s_xor_b32 exec_lo, exec_lo, s13
	s_cbranch_execnz .LBB56_1246
.LBB56_1229:
	s_or_b32 exec_lo, exec_lo, s13
	s_and_saveexec_b32 s13, s6
	s_cbranch_execz .LBB56_1231
.LBB56_1230:
	v_and_b32_e32 v5, 0xffff, v7
	v_lshlrev_b32_e32 v7, 24, v7
	v_and_b32_e32 v8, 7, v5
	v_bfe_u32 v12, v5, 3, 4
	v_and_b32_e32 v7, 0x80000000, v7
	v_ffbh_u32_e32 v9, v8
	v_cmp_eq_u32_e32 vcc_lo, 0, v12
	v_min_u32_e32 v9, 32, v9
	v_subrev_nc_u32_e32 v11, 28, v9
	v_sub_nc_u32_e32 v9, 29, v9
	v_lshlrev_b32_e32 v5, v11, v5
	v_cndmask_b32_e32 v9, v12, v9, vcc_lo
	v_and_b32_e32 v5, 7, v5
	v_cndmask_b32_e32 v5, v8, v5, vcc_lo
	v_lshl_add_u32 v8, v9, 23, 0x3b800000
	v_lshlrev_b32_e32 v5, 20, v5
	v_or3_b32 v5, v7, v8, v5
.LBB56_1231:
	s_or_b32 exec_lo, exec_lo, s13
.LBB56_1232:
	s_mov_b32 s6, -1
.LBB56_1233:
	s_branch .LBB56_1266
.LBB56_1234:
	s_cmp_gt_i32 s2, 22
	s_cbranch_scc0 .LBB56_1244
; %bb.1235:
	s_cmp_lt_i32 s2, 24
	s_cbranch_scc1 .LBB56_1247
; %bb.1236:
	s_cmp_gt_i32 s2, 24
	s_cbranch_scc0 .LBB56_1248
; %bb.1237:
	global_load_ubyte v7, v[0:1], off
	s_mov_b32 s6, exec_lo
	s_waitcnt vmcnt(0)
	v_cmpx_lt_i16_e32 0x7f, v7
	s_xor_b32 s6, exec_lo, s6
	s_cbranch_execz .LBB56_1260
; %bb.1238:
	s_mov_b32 s1, -1
	s_mov_b32 s13, exec_lo
	v_cmpx_eq_u16_e32 0x80, v7
; %bb.1239:
	s_xor_b32 s1, exec_lo, -1
; %bb.1240:
	s_or_b32 exec_lo, exec_lo, s13
	s_and_b32 s1, s1, exec_lo
	s_or_saveexec_b32 s6, s6
	v_mov_b32_e32 v5, 0x7f800001
	s_xor_b32 exec_lo, exec_lo, s6
	s_cbranch_execnz .LBB56_1261
.LBB56_1241:
	s_or_b32 exec_lo, exec_lo, s6
	s_and_saveexec_b32 s6, s1
	s_cbranch_execz .LBB56_1243
.LBB56_1242:
	v_and_b32_e32 v5, 0xffff, v7
	v_lshlrev_b32_e32 v7, 24, v7
	v_and_b32_e32 v8, 3, v5
	v_bfe_u32 v12, v5, 2, 5
	v_and_b32_e32 v7, 0x80000000, v7
	v_ffbh_u32_e32 v9, v8
	v_cmp_eq_u32_e32 vcc_lo, 0, v12
	v_min_u32_e32 v9, 32, v9
	v_subrev_nc_u32_e32 v11, 29, v9
	v_sub_nc_u32_e32 v9, 30, v9
	v_lshlrev_b32_e32 v5, v11, v5
	v_cndmask_b32_e32 v9, v12, v9, vcc_lo
	v_and_b32_e32 v5, 3, v5
	v_cndmask_b32_e32 v5, v8, v5, vcc_lo
	v_lshl_add_u32 v8, v9, 23, 0x37800000
	v_lshlrev_b32_e32 v5, 21, v5
	v_or3_b32 v5, v7, v8, v5
.LBB56_1243:
	s_or_b32 exec_lo, exec_lo, s6
	s_mov_b32 s1, 0
	s_branch .LBB56_1249
.LBB56_1244:
	s_mov_b32 s1, -1
                                        ; implicit-def: $vgpr5
	s_branch .LBB56_1255
.LBB56_1245:
	s_or_saveexec_b32 s13, s13
	v_mov_b32_e32 v5, 0x7f800001
	s_xor_b32 exec_lo, exec_lo, s13
	s_cbranch_execz .LBB56_1229
.LBB56_1246:
	v_cmp_ne_u16_e32 vcc_lo, 0, v7
	v_mov_b32_e32 v5, 0
	s_andn2_b32 s6, s6, exec_lo
	s_and_b32 s15, vcc_lo, exec_lo
	s_or_b32 s6, s6, s15
	s_or_b32 exec_lo, exec_lo, s13
	s_and_saveexec_b32 s13, s6
	s_cbranch_execnz .LBB56_1230
	s_branch .LBB56_1231
.LBB56_1247:
	s_mov_b32 s1, -1
                                        ; implicit-def: $vgpr5
	s_branch .LBB56_1252
.LBB56_1248:
	s_mov_b32 s1, -1
                                        ; implicit-def: $vgpr5
.LBB56_1249:
	s_and_b32 vcc_lo, exec_lo, s1
	s_cbranch_vccz .LBB56_1251
; %bb.1250:
	global_load_ubyte v5, v[0:1], off
	s_waitcnt vmcnt(0)
	v_lshlrev_b32_e32 v5, 24, v5
	v_and_b32_e32 v7, 0x7f000000, v5
	v_ffbh_u32_e32 v8, v7
	v_add_nc_u32_e32 v11, 0x1000000, v7
	v_cmp_ne_u32_e32 vcc_lo, 0, v7
	v_min_u32_e32 v8, 32, v8
	v_sub_nc_u32_e64 v8, v8, 4 clamp
	v_lshlrev_b32_e32 v9, v8, v7
	v_lshlrev_b32_e32 v8, 23, v8
	v_lshrrev_b32_e32 v9, 4, v9
	v_sub_nc_u32_e32 v8, v9, v8
	v_ashrrev_i32_e32 v9, 8, v11
	v_add_nc_u32_e32 v8, 0x3c000000, v8
	v_and_or_b32 v8, 0x7f800000, v9, v8
	v_cndmask_b32_e32 v7, 0, v8, vcc_lo
	v_and_or_b32 v5, 0x80000000, v5, v7
.LBB56_1251:
	s_mov_b32 s1, 0
.LBB56_1252:
	s_andn2_b32 vcc_lo, exec_lo, s1
	s_cbranch_vccnz .LBB56_1254
; %bb.1253:
	global_load_ubyte v5, v[0:1], off
	s_waitcnt vmcnt(0)
	v_lshlrev_b32_e32 v7, 25, v5
	v_lshlrev_b16 v5, 8, v5
	v_lshrrev_b32_e32 v8, 4, v7
	v_and_or_b32 v9, 0x7f00, v5, 0.5
	v_cmp_gt_u32_e32 vcc_lo, 0x8000000, v7
	v_bfe_i32 v5, v5, 0, 16
	v_or_b32_e32 v8, 0x70000000, v8
	v_add_f32_e32 v9, -0.5, v9
	v_mul_f32_e32 v8, 0x7800000, v8
	v_cndmask_b32_e32 v7, v8, v9, vcc_lo
	v_and_or_b32 v5, 0x80000000, v5, v7
.LBB56_1254:
	s_mov_b32 s1, 0
	s_mov_b32 s6, -1
.LBB56_1255:
	s_andn2_b32 vcc_lo, exec_lo, s1
	s_mov_b32 s1, 0
	s_cbranch_vccnz .LBB56_1266
; %bb.1256:
	s_cmp_gt_i32 s2, 14
	s_cbranch_scc0 .LBB56_1259
; %bb.1257:
	s_cmp_eq_u32 s2, 15
	s_cbranch_scc0 .LBB56_1262
; %bb.1258:
	global_load_ushort v5, v[0:1], off
	s_mov_b32 s0, 0
	s_mov_b32 s6, -1
	s_waitcnt vmcnt(0)
	v_lshlrev_b32_e32 v5, 16, v5
	s_branch .LBB56_1264
.LBB56_1259:
	s_mov_b32 s1, -1
	s_branch .LBB56_1263
.LBB56_1260:
	s_or_saveexec_b32 s6, s6
	v_mov_b32_e32 v5, 0x7f800001
	s_xor_b32 exec_lo, exec_lo, s6
	s_cbranch_execz .LBB56_1241
.LBB56_1261:
	v_cmp_ne_u16_e32 vcc_lo, 0, v7
	v_mov_b32_e32 v5, 0
	s_andn2_b32 s1, s1, exec_lo
	s_and_b32 s13, vcc_lo, exec_lo
	s_or_b32 s1, s1, s13
	s_or_b32 exec_lo, exec_lo, s6
	s_and_saveexec_b32 s6, s1
	s_cbranch_execnz .LBB56_1242
	s_branch .LBB56_1243
.LBB56_1262:
	s_mov_b32 s0, -1
.LBB56_1263:
                                        ; implicit-def: $vgpr5
.LBB56_1264:
	s_and_b32 vcc_lo, exec_lo, s1
	s_mov_b32 s1, 0
	s_cbranch_vccz .LBB56_1266
; %bb.1265:
	s_cmp_lg_u32 s2, 11
	s_mov_b32 s1, -1
	s_cselect_b32 s0, -1, 0
.LBB56_1266:
	s_and_b32 vcc_lo, exec_lo, s0
	s_cbranch_vccnz .LBB56_1335
; %bb.1267:
	s_andn2_b32 vcc_lo, exec_lo, s1
	s_cbranch_vccnz .LBB56_1269
.LBB56_1268:
	global_load_ubyte v5, v[0:1], off
	s_mov_b32 s6, -1
	s_waitcnt vmcnt(0)
	v_cmp_ne_u16_e32 vcc_lo, 0, v5
	v_cndmask_b32_e64 v5, 0, 1.0, vcc_lo
.LBB56_1269:
	s_branch .LBB56_1195
.LBB56_1270:
	s_cmp_lt_i32 s2, 5
	s_cbranch_scc1 .LBB56_1275
; %bb.1271:
	s_cmp_lt_i32 s2, 8
	s_cbranch_scc1 .LBB56_1276
; %bb.1272:
	;; [unrolled: 3-line block ×3, first 2 shown]
	s_cmp_gt_i32 s2, 9
	s_cbranch_scc0 .LBB56_1278
; %bb.1274:
	global_load_dwordx2 v[7:8], v[0:1], off
	s_mov_b32 s0, 0
	s_waitcnt vmcnt(0)
	v_cvt_f32_f64_e32 v5, v[7:8]
	s_branch .LBB56_1279
.LBB56_1275:
                                        ; implicit-def: $vgpr5
	s_branch .LBB56_1297
.LBB56_1276:
	s_mov_b32 s0, -1
                                        ; implicit-def: $vgpr5
	s_branch .LBB56_1285
.LBB56_1277:
	s_mov_b32 s0, -1
                                        ; implicit-def: $vgpr5
	s_branch .LBB56_1282
.LBB56_1278:
	s_mov_b32 s0, -1
                                        ; implicit-def: $vgpr5
.LBB56_1279:
	s_andn2_b32 vcc_lo, exec_lo, s0
	s_cbranch_vccnz .LBB56_1281
; %bb.1280:
	global_load_dword v5, v[0:1], off
.LBB56_1281:
	s_mov_b32 s0, 0
.LBB56_1282:
	s_andn2_b32 vcc_lo, exec_lo, s0
	s_cbranch_vccnz .LBB56_1284
; %bb.1283:
	global_load_dword v5, v[0:1], off
	s_waitcnt vmcnt(0)
	v_cvt_f32_f16_e32 v5, v5
.LBB56_1284:
	s_mov_b32 s0, 0
.LBB56_1285:
	s_andn2_b32 vcc_lo, exec_lo, s0
	s_cbranch_vccnz .LBB56_1296
; %bb.1286:
	s_cmp_lt_i32 s2, 6
	s_cbranch_scc1 .LBB56_1289
; %bb.1287:
	s_cmp_gt_i32 s2, 6
	s_cbranch_scc0 .LBB56_1290
; %bb.1288:
	global_load_dwordx2 v[7:8], v[0:1], off
	s_mov_b32 s0, 0
	s_waitcnt vmcnt(0)
	v_cvt_f32_f64_e32 v5, v[7:8]
	s_branch .LBB56_1291
.LBB56_1289:
	s_mov_b32 s0, -1
                                        ; implicit-def: $vgpr5
	s_branch .LBB56_1294
.LBB56_1290:
	s_mov_b32 s0, -1
                                        ; implicit-def: $vgpr5
.LBB56_1291:
	s_andn2_b32 vcc_lo, exec_lo, s0
	s_cbranch_vccnz .LBB56_1293
; %bb.1292:
	global_load_dword v5, v[0:1], off
.LBB56_1293:
	s_mov_b32 s0, 0
.LBB56_1294:
	s_andn2_b32 vcc_lo, exec_lo, s0
	s_cbranch_vccnz .LBB56_1296
; %bb.1295:
	global_load_ushort v5, v[0:1], off
	s_waitcnt vmcnt(0)
	v_cvt_f32_f16_e32 v5, v5
.LBB56_1296:
	s_cbranch_execnz .LBB56_1316
.LBB56_1297:
	s_cmp_lt_i32 s2, 2
	s_cbranch_scc1 .LBB56_1301
; %bb.1298:
	s_cmp_lt_i32 s2, 3
	s_cbranch_scc1 .LBB56_1302
; %bb.1299:
	s_cmp_gt_i32 s2, 3
	s_cbranch_scc0 .LBB56_1303
; %bb.1300:
	global_load_dwordx2 v[7:8], v[0:1], off
	s_mov_b32 s0, 0
	s_waitcnt vmcnt(0)
	v_xor_b32_e32 v5, v7, v8
	v_ffbh_i32_e32 v9, v8
	v_ashrrev_i32_e32 v5, 31, v5
	v_add_nc_u32_e32 v9, -1, v9
	v_add_nc_u32_e32 v5, 32, v5
	v_min_u32_e32 v5, v9, v5
	v_lshlrev_b64 v[7:8], v5, v[7:8]
	v_sub_nc_u32_e32 v5, 32, v5
	v_min_u32_e32 v7, 1, v7
	v_or_b32_e32 v7, v8, v7
	v_cvt_f32_i32_e32 v7, v7
	v_ldexp_f32 v5, v7, v5
	s_branch .LBB56_1304
.LBB56_1301:
	s_mov_b32 s0, -1
                                        ; implicit-def: $vgpr5
	s_branch .LBB56_1310
.LBB56_1302:
	s_mov_b32 s0, -1
                                        ; implicit-def: $vgpr5
	s_branch .LBB56_1307
.LBB56_1303:
	s_mov_b32 s0, -1
                                        ; implicit-def: $vgpr5
.LBB56_1304:
	s_andn2_b32 vcc_lo, exec_lo, s0
	s_cbranch_vccnz .LBB56_1306
; %bb.1305:
	global_load_dword v5, v[0:1], off
	s_waitcnt vmcnt(0)
	v_cvt_f32_i32_e32 v5, v5
.LBB56_1306:
	s_mov_b32 s0, 0
.LBB56_1307:
	s_andn2_b32 vcc_lo, exec_lo, s0
	s_cbranch_vccnz .LBB56_1309
; %bb.1308:
	global_load_sshort v5, v[0:1], off
	s_waitcnt vmcnt(0)
	v_cvt_f32_i32_e32 v5, v5
.LBB56_1309:
	s_mov_b32 s0, 0
.LBB56_1310:
	s_andn2_b32 vcc_lo, exec_lo, s0
	s_cbranch_vccnz .LBB56_1316
; %bb.1311:
	s_cmp_gt_i32 s2, 0
	s_mov_b32 s0, 0
	s_cbranch_scc0 .LBB56_1313
; %bb.1312:
	global_load_sbyte v5, v[0:1], off
	s_waitcnt vmcnt(0)
	v_cvt_f32_i32_e32 v5, v5
	s_branch .LBB56_1314
.LBB56_1313:
	s_mov_b32 s0, -1
                                        ; implicit-def: $vgpr5
.LBB56_1314:
	s_andn2_b32 vcc_lo, exec_lo, s0
	s_cbranch_vccnz .LBB56_1316
; %bb.1315:
	global_load_ubyte v0, v[0:1], off
	s_waitcnt vmcnt(0)
	v_cvt_f32_ubyte0_e32 v5, v0
.LBB56_1316:
.LBB56_1317:
	v_mov_b32_e32 v11, 0
	v_mov_b32_e32 v8, 1.0
	s_mov_b32 s6, exec_lo
	s_waitcnt vmcnt(0)
	v_cmpx_gt_f32_e32 0.5, v5
	s_cbranch_execz .LBB56_1323
; %bb.1318:
	v_mul_f32_e32 v0, 0x40490fdb, v5
                                        ; implicit-def: $vgpr8
                                        ; implicit-def: $vgpr7
	s_mov_b32 s1, exec_lo
	v_and_b32_e32 v1, 0x7fffffff, v0
	v_cmpx_ngt_f32_e64 0x48000000, |v0|
	s_xor_b32 s13, exec_lo, s1
	s_cbranch_execz .LBB56_1320
; %bb.1319:
	s_mov_b32 s0, 0x7fffff
	v_mov_b32_e32 v9, 0
	v_and_or_b32 v17, v1, s0, 0x800000
	v_lshrrev_b32_e32 v15, 23, v1
	v_mad_u64_u32 v[7:8], null, 0xfe5163ab, v17, 0
	v_add_nc_u32_e32 v16, 0xffffff88, v15
	v_cmp_lt_u32_e32 vcc_lo, 63, v16
	v_mad_u64_u32 v[11:12], null, 0x3c439041, v17, v[8:9]
	v_cndmask_b32_e64 v18, 0, 0xffffffc0, vcc_lo
	v_mov_b32_e32 v8, v12
	v_add_nc_u32_e32 v18, v18, v16
	v_mad_u64_u32 v[12:13], null, 0xdb629599, v17, v[8:9]
	v_cmp_lt_u32_e64 s0, 31, v18
	v_cndmask_b32_e64 v19, 0, 0xffffffe0, s0
	v_mov_b32_e32 v8, v13
	v_cndmask_b32_e32 v7, v12, v7, vcc_lo
	v_mad_u64_u32 v[13:14], null, 0xf534ddc0, v17, v[8:9]
	v_mov_b32_e32 v8, v14
	v_cndmask_b32_e32 v11, v13, v11, vcc_lo
	v_mad_u64_u32 v[14:15], null, 0xfc2757d1, v17, v[8:9]
	v_cndmask_b32_e64 v7, v11, v7, s0
	v_mov_b32_e32 v8, v15
	v_mad_u64_u32 v[15:16], null, 0x4e441529, v17, v[8:9]
	v_mov_b32_e32 v8, v16
	v_add_nc_u32_e32 v16, v19, v18
	v_cndmask_b32_e32 v18, v15, v13, vcc_lo
	v_mad_u64_u32 v[8:9], null, 0xa2f9836e, v17, v[8:9]
	v_cmp_lt_u32_e64 s1, 31, v16
	v_cndmask_b32_e64 v17, 0, 0xffffffe0, s1
	v_cndmask_b32_e32 v8, v8, v14, vcc_lo
	v_cndmask_b32_e32 v9, v9, v15, vcc_lo
	v_cndmask_b32_e32 v14, v14, v12, vcc_lo
	v_add_nc_u32_e32 v15, v17, v16
	v_cndmask_b32_e64 v13, v8, v18, s0
	v_cndmask_b32_e64 v8, v9, v8, s0
	;; [unrolled: 1-line block ×4, first 2 shown]
	v_sub_nc_u32_e32 v16, 32, v15
	v_cmp_eq_u32_e32 vcc_lo, 0, v15
	v_cndmask_b32_e64 v8, v8, v13, s1
	v_cndmask_b32_e64 v13, v13, v9, s1
	v_cndmask_b32_e64 v9, v9, v14, s1
	v_cndmask_b32_e64 v7, v14, v7, s1
	v_alignbit_b32 v17, v8, v13, v16
	v_alignbit_b32 v12, v13, v9, v16
	;; [unrolled: 1-line block ×3, first 2 shown]
	v_cndmask_b32_e32 v8, v17, v8, vcc_lo
	v_cndmask_b32_e32 v11, v12, v13, vcc_lo
	;; [unrolled: 1-line block ×3, first 2 shown]
	v_bfe_u32 v12, v8, 29, 1
	v_alignbit_b32 v13, v8, v11, 30
	v_alignbit_b32 v11, v11, v9, 30
	;; [unrolled: 1-line block ×3, first 2 shown]
	v_sub_nc_u32_e32 v14, 0, v12
	v_xor_b32_e32 v13, v13, v14
	v_xor_b32_e32 v9, v11, v14
	v_xor_b32_e32 v7, v7, v14
	v_lshrrev_b32_e32 v14, 29, v8
	v_lshrrev_b32_e32 v8, 30, v8
	v_ffbh_u32_e32 v15, v13
	v_add_nc_u32_e32 v8, v12, v8
	v_min_u32_e32 v15, 32, v15
	v_sub_nc_u32_e32 v11, 31, v15
	v_lshlrev_b32_e32 v16, 23, v15
	v_alignbit_b32 v13, v13, v9, v11
	v_alignbit_b32 v7, v9, v7, v11
	v_lshlrev_b32_e32 v9, 31, v14
	v_alignbit_b32 v11, v13, v7, 9
	v_or_b32_e32 v14, 0.5, v9
	v_lshrrev_b32_e32 v13, 9, v13
	v_or_b32_e32 v9, 0x33000000, v9
	v_ffbh_u32_e32 v17, v11
	v_sub_nc_u32_e32 v14, v14, v16
	v_min_u32_e32 v16, 32, v17
	v_or_b32_e32 v13, v13, v14
	v_not_b32_e32 v14, v16
	v_mul_f32_e32 v17, 0x3fc90fda, v13
	v_add_lshl_u32 v15, v16, v15, 23
	v_alignbit_b32 v7, v11, v7, v14
	v_fma_f32 v11, 0x3fc90fda, v13, -v17
	v_sub_nc_u32_e32 v9, v9, v15
	v_lshrrev_b32_e32 v7, 9, v7
	v_fmamk_f32 v11, v13, 0x33a22168, v11
	v_or_b32_e32 v7, v9, v7
	v_fmac_f32_e32 v11, 0x3fc90fda, v7
	v_add_f32_e32 v7, v17, v11
.LBB56_1320:
	s_andn2_saveexec_b32 s0, s13
; %bb.1321:
	v_mul_f32_e64 v7, 0x3f22f983, |v0|
	v_rndne_f32_e32 v8, v7
	v_fma_f32 v7, 0xbfc90fda, v8, |v0|
	v_fmamk_f32 v7, v8, 0xb3a22168, v7
	v_fmamk_f32 v7, v8, 0xa7c234c4, v7
	v_cvt_i32_f32_e32 v8, v8
; %bb.1322:
	s_or_b32 exec_lo, exec_lo, s0
	v_mul_f32_e32 v9, v7, v7
	s_mov_b32 s0, 0xb94c1982
	s_mov_b32 s1, 0x37d75334
	v_and_b32_e32 v13, 1, v8
	v_lshlrev_b32_e32 v8, 30, v8
	v_fmaak_f32 v11, s0, v9, 0x3c0881c4
	v_fmaak_f32 v12, s1, v9, 0xbab64f3b
	v_xor_b32_e32 v1, v1, v0
	v_cmp_eq_u32_e32 vcc_lo, 0, v13
	v_and_b32_e32 v8, 0x80000000, v8
	v_fmaak_f32 v11, v9, v11, 0xbe2aaa9d
	v_fmaak_f32 v12, v9, v12, 0x3d2aabf7
	v_sub_f32_e32 v5, 1.0, v5
	v_mul_f32_e32 v11, v9, v11
	v_fmaak_f32 v12, v9, v12, 0xbf000004
	v_fmac_f32_e32 v7, v7, v11
	v_fma_f32 v9, v9, v12, 1.0
	v_cndmask_b32_e32 v7, v9, v7, vcc_lo
	v_cmp_class_f32_e64 vcc_lo, v0, 0x1f8
	v_xor3_b32 v1, v1, v8, v7
	v_cndmask_b32_e32 v0, 0x7fc00000, v1, vcc_lo
	v_mul_f32_e32 v0, v0, v0
	v_div_scale_f32 v1, null, v0, v0, 0xc11de9e7
	v_div_scale_f32 v9, vcc_lo, 0xc11de9e7, v0, 0xc11de9e7
	v_rcp_f32_e32 v7, v1
	v_fma_f32 v8, -v1, v7, 1.0
	v_fmac_f32_e32 v7, v8, v7
	v_mul_f32_e32 v8, v9, v7
	v_fma_f32 v11, -v1, v8, v9
	v_fmac_f32_e32 v8, v11, v7
	v_fma_f32 v1, -v1, v8, v9
	v_div_fmas_f32 v1, v1, v7, v8
	v_mov_b32_e32 v8, -1.0
	v_div_fixup_f32 v0, v1, v0, 0xc11de9e7
	v_add_f32_e32 v11, 0, v0
.LBB56_1323:
	s_or_b32 exec_lo, exec_lo, s6
	v_add_nc_u32_e32 v7, s3, v6
	s_cmp_lt_i32 s2, 11
	v_ashrrev_i32_e32 v1, 31, v7
	v_add_co_u32 v0, vcc_lo, s10, v7
	v_add_co_ci_u32_e64 v1, null, s11, v1, vcc_lo
	s_cbranch_scc1 .LBB56_1330
; %bb.1324:
	s_cmp_gt_i32 s2, 25
	s_mov_b32 s1, 0
	s_cbranch_scc0 .LBB56_1332
; %bb.1325:
	s_cmp_gt_i32 s2, 28
	s_cbranch_scc0 .LBB56_1333
; %bb.1326:
	s_cmp_gt_i32 s2, 43
	;; [unrolled: 3-line block ×3, first 2 shown]
	s_cbranch_scc0 .LBB56_1336
; %bb.1328:
	s_cmp_eq_u32 s2, 46
	s_mov_b32 s13, 0
	s_cbranch_scc0 .LBB56_1337
; %bb.1329:
	global_load_dword v6, v[0:1], off
	s_mov_b32 s0, 0
	s_mov_b32 s6, -1
	s_waitcnt vmcnt(0)
	v_lshlrev_b32_e32 v6, 16, v6
	s_branch .LBB56_1339
.LBB56_1330:
	s_mov_b32 s6, 0
                                        ; implicit-def: $vgpr6
	s_cbranch_execnz .LBB56_1405
.LBB56_1331:
	s_andn2_b32 vcc_lo, exec_lo, s6
	s_cbranch_vccnz .LBB56_2029
	s_branch .LBB56_1453
.LBB56_1332:
	s_mov_b32 s13, -1
	s_mov_b32 s6, 0
	s_mov_b32 s0, 0
                                        ; implicit-def: $vgpr6
	s_branch .LBB56_1368
.LBB56_1333:
	s_mov_b32 s13, -1
	s_mov_b32 s6, 0
	s_mov_b32 s0, 0
                                        ; implicit-def: $vgpr6
	s_branch .LBB56_1349
.LBB56_1334:
	s_mov_b32 s13, -1
	s_mov_b32 s6, 0
	s_mov_b32 s0, 0
                                        ; implicit-def: $vgpr6
	s_branch .LBB56_1344
.LBB56_1335:
	s_or_b32 s5, s5, exec_lo
	s_trap 2
	s_cbranch_execz .LBB56_1268
	s_branch .LBB56_1269
.LBB56_1336:
	s_mov_b32 s13, -1
	s_mov_b32 s6, 0
	s_mov_b32 s0, 0
	s_branch .LBB56_1338
.LBB56_1337:
	s_mov_b32 s0, -1
	s_mov_b32 s6, 0
.LBB56_1338:
                                        ; implicit-def: $vgpr6
.LBB56_1339:
	s_and_b32 vcc_lo, exec_lo, s13
	s_cbranch_vccz .LBB56_1343
; %bb.1340:
	s_cmp_eq_u32 s2, 44
	s_cbranch_scc0 .LBB56_1342
; %bb.1341:
	global_load_ubyte v6, v[0:1], off
	s_mov_b32 s0, 0
	s_mov_b32 s6, -1
	s_waitcnt vmcnt(0)
	v_lshlrev_b32_e32 v9, 23, v6
	v_cmp_ne_u32_e32 vcc_lo, 0xff, v6
	v_cndmask_b32_e32 v9, 0x7f800001, v9, vcc_lo
	v_cmp_ne_u32_e32 vcc_lo, 0, v6
	v_cndmask_b32_e32 v6, 0x400000, v9, vcc_lo
	s_branch .LBB56_1343
.LBB56_1342:
	s_mov_b32 s0, -1
                                        ; implicit-def: $vgpr6
.LBB56_1343:
	s_mov_b32 s13, 0
.LBB56_1344:
	s_and_b32 vcc_lo, exec_lo, s13
	s_cbranch_vccz .LBB56_1348
; %bb.1345:
	s_cmp_eq_u32 s2, 29
	s_cbranch_scc0 .LBB56_1347
; %bb.1346:
	global_load_dwordx2 v[12:13], v[0:1], off
	s_mov_b32 s0, 0
	s_mov_b32 s6, -1
	s_mov_b32 s13, 0
	s_waitcnt vmcnt(0)
	v_ffbh_u32_e32 v6, v13
	v_min_u32_e32 v6, 32, v6
	v_lshlrev_b64 v[12:13], v6, v[12:13]
	v_sub_nc_u32_e32 v6, 32, v6
	v_min_u32_e32 v9, 1, v12
	v_or_b32_e32 v9, v13, v9
	v_cvt_f32_u32_e32 v9, v9
	v_ldexp_f32 v6, v9, v6
	s_branch .LBB56_1349
.LBB56_1347:
	s_mov_b32 s0, -1
                                        ; implicit-def: $vgpr6
.LBB56_1348:
	s_mov_b32 s13, 0
.LBB56_1349:
	s_and_b32 vcc_lo, exec_lo, s13
	s_cbranch_vccz .LBB56_1367
; %bb.1350:
	s_cmp_lt_i32 s2, 27
	s_cbranch_scc1 .LBB56_1353
; %bb.1351:
	s_cmp_gt_i32 s2, 27
	s_cbranch_scc0 .LBB56_1354
; %bb.1352:
	global_load_dword v6, v[0:1], off
	s_mov_b32 s6, 0
	s_waitcnt vmcnt(0)
	v_cvt_f32_u32_e32 v6, v6
	s_branch .LBB56_1355
.LBB56_1353:
	s_mov_b32 s6, -1
                                        ; implicit-def: $vgpr6
	s_branch .LBB56_1358
.LBB56_1354:
	s_mov_b32 s6, -1
                                        ; implicit-def: $vgpr6
.LBB56_1355:
	s_andn2_b32 vcc_lo, exec_lo, s6
	s_cbranch_vccnz .LBB56_1357
; %bb.1356:
	global_load_ushort v6, v[0:1], off
	s_waitcnt vmcnt(0)
	v_cvt_f32_u32_e32 v6, v6
.LBB56_1357:
	s_mov_b32 s6, 0
.LBB56_1358:
	s_andn2_b32 vcc_lo, exec_lo, s6
	s_cbranch_vccnz .LBB56_1366
; %bb.1359:
	global_load_ubyte v9, v[0:1], off
	s_mov_b32 s6, 0
	s_mov_b32 s13, exec_lo
	s_waitcnt vmcnt(0)
	v_cmpx_lt_i16_e32 0x7f, v9
	s_xor_b32 s13, exec_lo, s13
	s_cbranch_execz .LBB56_1380
; %bb.1360:
	s_mov_b32 s6, -1
	s_mov_b32 s15, exec_lo
	v_cmpx_eq_u16_e32 0x80, v9
; %bb.1361:
	s_xor_b32 s6, exec_lo, -1
; %bb.1362:
	s_or_b32 exec_lo, exec_lo, s15
	s_and_b32 s6, s6, exec_lo
	s_or_saveexec_b32 s13, s13
	v_mov_b32_e32 v6, 0x7f800001
	s_xor_b32 exec_lo, exec_lo, s13
	s_cbranch_execnz .LBB56_1381
.LBB56_1363:
	s_or_b32 exec_lo, exec_lo, s13
	s_and_saveexec_b32 s13, s6
	s_cbranch_execz .LBB56_1365
.LBB56_1364:
	v_and_b32_e32 v6, 0xffff, v9
	v_lshlrev_b32_e32 v9, 24, v9
	v_and_b32_e32 v12, 7, v6
	v_bfe_u32 v15, v6, 3, 4
	v_and_b32_e32 v9, 0x80000000, v9
	v_ffbh_u32_e32 v13, v12
	v_cmp_eq_u32_e32 vcc_lo, 0, v15
	v_min_u32_e32 v13, 32, v13
	v_subrev_nc_u32_e32 v14, 28, v13
	v_sub_nc_u32_e32 v13, 29, v13
	v_lshlrev_b32_e32 v6, v14, v6
	v_cndmask_b32_e32 v13, v15, v13, vcc_lo
	v_and_b32_e32 v6, 7, v6
	v_cndmask_b32_e32 v6, v12, v6, vcc_lo
	v_lshl_add_u32 v12, v13, 23, 0x3b800000
	v_lshlrev_b32_e32 v6, 20, v6
	v_or3_b32 v6, v9, v12, v6
.LBB56_1365:
	s_or_b32 exec_lo, exec_lo, s13
.LBB56_1366:
	s_mov_b32 s6, -1
.LBB56_1367:
	s_mov_b32 s13, 0
.LBB56_1368:
	s_and_b32 vcc_lo, exec_lo, s13
	s_cbranch_vccz .LBB56_1401
; %bb.1369:
	s_cmp_gt_i32 s2, 22
	s_cbranch_scc0 .LBB56_1379
; %bb.1370:
	s_cmp_lt_i32 s2, 24
	s_cbranch_scc1 .LBB56_1382
; %bb.1371:
	s_cmp_gt_i32 s2, 24
	s_cbranch_scc0 .LBB56_1383
; %bb.1372:
	global_load_ubyte v9, v[0:1], off
	s_mov_b32 s6, exec_lo
	s_waitcnt vmcnt(0)
	v_cmpx_lt_i16_e32 0x7f, v9
	s_xor_b32 s6, exec_lo, s6
	s_cbranch_execz .LBB56_1395
; %bb.1373:
	s_mov_b32 s1, -1
	s_mov_b32 s13, exec_lo
	v_cmpx_eq_u16_e32 0x80, v9
; %bb.1374:
	s_xor_b32 s1, exec_lo, -1
; %bb.1375:
	s_or_b32 exec_lo, exec_lo, s13
	s_and_b32 s1, s1, exec_lo
	s_or_saveexec_b32 s6, s6
	v_mov_b32_e32 v6, 0x7f800001
	s_xor_b32 exec_lo, exec_lo, s6
	s_cbranch_execnz .LBB56_1396
.LBB56_1376:
	s_or_b32 exec_lo, exec_lo, s6
	s_and_saveexec_b32 s6, s1
	s_cbranch_execz .LBB56_1378
.LBB56_1377:
	v_and_b32_e32 v6, 0xffff, v9
	v_lshlrev_b32_e32 v9, 24, v9
	v_and_b32_e32 v12, 3, v6
	v_bfe_u32 v15, v6, 2, 5
	v_and_b32_e32 v9, 0x80000000, v9
	v_ffbh_u32_e32 v13, v12
	v_cmp_eq_u32_e32 vcc_lo, 0, v15
	v_min_u32_e32 v13, 32, v13
	v_subrev_nc_u32_e32 v14, 29, v13
	v_sub_nc_u32_e32 v13, 30, v13
	v_lshlrev_b32_e32 v6, v14, v6
	v_cndmask_b32_e32 v13, v15, v13, vcc_lo
	v_and_b32_e32 v6, 3, v6
	v_cndmask_b32_e32 v6, v12, v6, vcc_lo
	v_lshl_add_u32 v12, v13, 23, 0x37800000
	v_lshlrev_b32_e32 v6, 21, v6
	v_or3_b32 v6, v9, v12, v6
.LBB56_1378:
	s_or_b32 exec_lo, exec_lo, s6
	s_mov_b32 s1, 0
	s_branch .LBB56_1384
.LBB56_1379:
	s_mov_b32 s1, -1
                                        ; implicit-def: $vgpr6
	s_branch .LBB56_1390
.LBB56_1380:
	s_or_saveexec_b32 s13, s13
	v_mov_b32_e32 v6, 0x7f800001
	s_xor_b32 exec_lo, exec_lo, s13
	s_cbranch_execz .LBB56_1363
.LBB56_1381:
	v_cmp_ne_u16_e32 vcc_lo, 0, v9
	v_mov_b32_e32 v6, 0
	s_andn2_b32 s6, s6, exec_lo
	s_and_b32 s15, vcc_lo, exec_lo
	s_or_b32 s6, s6, s15
	s_or_b32 exec_lo, exec_lo, s13
	s_and_saveexec_b32 s13, s6
	s_cbranch_execnz .LBB56_1364
	s_branch .LBB56_1365
.LBB56_1382:
	s_mov_b32 s1, -1
                                        ; implicit-def: $vgpr6
	s_branch .LBB56_1387
.LBB56_1383:
	s_mov_b32 s1, -1
                                        ; implicit-def: $vgpr6
.LBB56_1384:
	s_and_b32 vcc_lo, exec_lo, s1
	s_cbranch_vccz .LBB56_1386
; %bb.1385:
	global_load_ubyte v6, v[0:1], off
	s_waitcnt vmcnt(0)
	v_lshlrev_b32_e32 v6, 24, v6
	v_and_b32_e32 v9, 0x7f000000, v6
	v_ffbh_u32_e32 v12, v9
	v_add_nc_u32_e32 v14, 0x1000000, v9
	v_cmp_ne_u32_e32 vcc_lo, 0, v9
	v_min_u32_e32 v12, 32, v12
	v_sub_nc_u32_e64 v12, v12, 4 clamp
	v_lshlrev_b32_e32 v13, v12, v9
	v_lshlrev_b32_e32 v12, 23, v12
	v_lshrrev_b32_e32 v13, 4, v13
	v_sub_nc_u32_e32 v12, v13, v12
	v_ashrrev_i32_e32 v13, 8, v14
	v_add_nc_u32_e32 v12, 0x3c000000, v12
	v_and_or_b32 v12, 0x7f800000, v13, v12
	v_cndmask_b32_e32 v9, 0, v12, vcc_lo
	v_and_or_b32 v6, 0x80000000, v6, v9
.LBB56_1386:
	s_mov_b32 s1, 0
.LBB56_1387:
	s_andn2_b32 vcc_lo, exec_lo, s1
	s_cbranch_vccnz .LBB56_1389
; %bb.1388:
	global_load_ubyte v6, v[0:1], off
	s_waitcnt vmcnt(0)
	v_lshlrev_b32_e32 v9, 25, v6
	v_lshlrev_b16 v6, 8, v6
	v_lshrrev_b32_e32 v12, 4, v9
	v_and_or_b32 v13, 0x7f00, v6, 0.5
	v_cmp_gt_u32_e32 vcc_lo, 0x8000000, v9
	v_bfe_i32 v6, v6, 0, 16
	v_or_b32_e32 v12, 0x70000000, v12
	v_add_f32_e32 v13, -0.5, v13
	v_mul_f32_e32 v12, 0x7800000, v12
	v_cndmask_b32_e32 v9, v12, v13, vcc_lo
	v_and_or_b32 v6, 0x80000000, v6, v9
.LBB56_1389:
	s_mov_b32 s1, 0
	s_mov_b32 s6, -1
.LBB56_1390:
	s_andn2_b32 vcc_lo, exec_lo, s1
	s_mov_b32 s1, 0
	s_cbranch_vccnz .LBB56_1401
; %bb.1391:
	s_cmp_gt_i32 s2, 14
	s_cbranch_scc0 .LBB56_1394
; %bb.1392:
	s_cmp_eq_u32 s2, 15
	s_cbranch_scc0 .LBB56_1397
; %bb.1393:
	global_load_ushort v6, v[0:1], off
	s_mov_b32 s0, 0
	s_mov_b32 s6, -1
	s_waitcnt vmcnt(0)
	v_lshlrev_b32_e32 v6, 16, v6
	s_branch .LBB56_1399
.LBB56_1394:
	s_mov_b32 s1, -1
	s_branch .LBB56_1398
.LBB56_1395:
	s_or_saveexec_b32 s6, s6
	v_mov_b32_e32 v6, 0x7f800001
	s_xor_b32 exec_lo, exec_lo, s6
	s_cbranch_execz .LBB56_1376
.LBB56_1396:
	v_cmp_ne_u16_e32 vcc_lo, 0, v9
	v_mov_b32_e32 v6, 0
	s_andn2_b32 s1, s1, exec_lo
	s_and_b32 s13, vcc_lo, exec_lo
	s_or_b32 s1, s1, s13
	s_or_b32 exec_lo, exec_lo, s6
	s_and_saveexec_b32 s6, s1
	s_cbranch_execnz .LBB56_1377
	s_branch .LBB56_1378
.LBB56_1397:
	s_mov_b32 s0, -1
.LBB56_1398:
                                        ; implicit-def: $vgpr6
.LBB56_1399:
	s_and_b32 vcc_lo, exec_lo, s1
	s_mov_b32 s1, 0
	s_cbranch_vccz .LBB56_1401
; %bb.1400:
	s_cmp_lg_u32 s2, 11
	s_mov_b32 s1, -1
	s_cselect_b32 s0, -1, 0
.LBB56_1401:
	s_and_b32 vcc_lo, exec_lo, s0
	s_cbranch_vccnz .LBB56_1470
; %bb.1402:
	s_andn2_b32 vcc_lo, exec_lo, s1
	s_cbranch_vccnz .LBB56_1404
.LBB56_1403:
	global_load_ubyte v6, v[0:1], off
	s_mov_b32 s6, -1
	s_waitcnt vmcnt(0)
	v_cmp_ne_u16_e32 vcc_lo, 0, v6
	v_cndmask_b32_e64 v6, 0, 1.0, vcc_lo
.LBB56_1404:
	s_branch .LBB56_1331
.LBB56_1405:
	s_cmp_lt_i32 s2, 5
	s_cbranch_scc1 .LBB56_1410
; %bb.1406:
	s_cmp_lt_i32 s2, 8
	s_cbranch_scc1 .LBB56_1411
; %bb.1407:
	s_cmp_lt_i32 s2, 9
	s_cbranch_scc1 .LBB56_1412
; %bb.1408:
	s_cmp_gt_i32 s2, 9
	s_cbranch_scc0 .LBB56_1413
; %bb.1409:
	global_load_dwordx2 v[12:13], v[0:1], off
	s_mov_b32 s0, 0
	s_waitcnt vmcnt(0)
	v_cvt_f32_f64_e32 v6, v[12:13]
	s_branch .LBB56_1414
.LBB56_1410:
	s_mov_b32 s0, -1
                                        ; implicit-def: $vgpr6
	s_branch .LBB56_1432
.LBB56_1411:
	s_mov_b32 s0, -1
                                        ; implicit-def: $vgpr6
	s_branch .LBB56_1420
.LBB56_1412:
	s_mov_b32 s0, -1
                                        ; implicit-def: $vgpr6
	s_branch .LBB56_1417
.LBB56_1413:
	s_mov_b32 s0, -1
                                        ; implicit-def: $vgpr6
.LBB56_1414:
	s_andn2_b32 vcc_lo, exec_lo, s0
	s_cbranch_vccnz .LBB56_1416
; %bb.1415:
	global_load_dword v6, v[0:1], off
.LBB56_1416:
	s_mov_b32 s0, 0
.LBB56_1417:
	s_andn2_b32 vcc_lo, exec_lo, s0
	s_cbranch_vccnz .LBB56_1419
; %bb.1418:
	global_load_dword v6, v[0:1], off
	s_waitcnt vmcnt(0)
	v_cvt_f32_f16_e32 v6, v6
.LBB56_1419:
	s_mov_b32 s0, 0
.LBB56_1420:
	s_andn2_b32 vcc_lo, exec_lo, s0
	s_cbranch_vccnz .LBB56_1431
; %bb.1421:
	s_cmp_lt_i32 s2, 6
	s_cbranch_scc1 .LBB56_1424
; %bb.1422:
	s_cmp_gt_i32 s2, 6
	s_cbranch_scc0 .LBB56_1425
; %bb.1423:
	global_load_dwordx2 v[12:13], v[0:1], off
	s_mov_b32 s0, 0
	s_waitcnt vmcnt(0)
	v_cvt_f32_f64_e32 v6, v[12:13]
	s_branch .LBB56_1426
.LBB56_1424:
	s_mov_b32 s0, -1
                                        ; implicit-def: $vgpr6
	s_branch .LBB56_1429
.LBB56_1425:
	s_mov_b32 s0, -1
                                        ; implicit-def: $vgpr6
.LBB56_1426:
	s_andn2_b32 vcc_lo, exec_lo, s0
	s_cbranch_vccnz .LBB56_1428
; %bb.1427:
	global_load_dword v6, v[0:1], off
.LBB56_1428:
	s_mov_b32 s0, 0
.LBB56_1429:
	s_andn2_b32 vcc_lo, exec_lo, s0
	s_cbranch_vccnz .LBB56_1431
; %bb.1430:
	global_load_ushort v6, v[0:1], off
	s_waitcnt vmcnt(0)
	v_cvt_f32_f16_e32 v6, v6
.LBB56_1431:
	s_mov_b32 s0, 0
.LBB56_1432:
	s_andn2_b32 vcc_lo, exec_lo, s0
	s_cbranch_vccnz .LBB56_1452
; %bb.1433:
	s_cmp_lt_i32 s2, 2
	s_cbranch_scc1 .LBB56_1437
; %bb.1434:
	s_cmp_lt_i32 s2, 3
	s_cbranch_scc1 .LBB56_1438
; %bb.1435:
	s_cmp_gt_i32 s2, 3
	s_cbranch_scc0 .LBB56_1439
; %bb.1436:
	global_load_dwordx2 v[12:13], v[0:1], off
	s_mov_b32 s0, 0
	s_waitcnt vmcnt(0)
	v_xor_b32_e32 v6, v12, v13
	v_ffbh_i32_e32 v9, v13
	v_ashrrev_i32_e32 v6, 31, v6
	v_add_nc_u32_e32 v9, -1, v9
	v_add_nc_u32_e32 v6, 32, v6
	v_min_u32_e32 v6, v9, v6
	v_lshlrev_b64 v[12:13], v6, v[12:13]
	v_sub_nc_u32_e32 v6, 32, v6
	v_min_u32_e32 v9, 1, v12
	v_or_b32_e32 v9, v13, v9
	v_cvt_f32_i32_e32 v9, v9
	v_ldexp_f32 v6, v9, v6
	s_branch .LBB56_1440
.LBB56_1437:
	s_mov_b32 s0, -1
                                        ; implicit-def: $vgpr6
	s_branch .LBB56_1446
.LBB56_1438:
	s_mov_b32 s0, -1
                                        ; implicit-def: $vgpr6
	s_branch .LBB56_1443
.LBB56_1439:
	s_mov_b32 s0, -1
                                        ; implicit-def: $vgpr6
.LBB56_1440:
	s_andn2_b32 vcc_lo, exec_lo, s0
	s_cbranch_vccnz .LBB56_1442
; %bb.1441:
	global_load_dword v6, v[0:1], off
	s_waitcnt vmcnt(0)
	v_cvt_f32_i32_e32 v6, v6
.LBB56_1442:
	s_mov_b32 s0, 0
.LBB56_1443:
	s_andn2_b32 vcc_lo, exec_lo, s0
	s_cbranch_vccnz .LBB56_1445
; %bb.1444:
	global_load_sshort v6, v[0:1], off
	s_waitcnt vmcnt(0)
	v_cvt_f32_i32_e32 v6, v6
.LBB56_1445:
	s_mov_b32 s0, 0
.LBB56_1446:
	s_andn2_b32 vcc_lo, exec_lo, s0
	s_cbranch_vccnz .LBB56_1452
; %bb.1447:
	s_cmp_gt_i32 s2, 0
	s_mov_b32 s0, 0
	s_cbranch_scc0 .LBB56_1449
; %bb.1448:
	global_load_sbyte v6, v[0:1], off
	s_waitcnt vmcnt(0)
	v_cvt_f32_i32_e32 v6, v6
	s_branch .LBB56_1450
.LBB56_1449:
	s_mov_b32 s0, -1
                                        ; implicit-def: $vgpr6
.LBB56_1450:
	s_andn2_b32 vcc_lo, exec_lo, s0
	s_cbranch_vccnz .LBB56_1452
; %bb.1451:
	global_load_ubyte v0, v[0:1], off
	s_waitcnt vmcnt(0)
	v_cvt_f32_ubyte0_e32 v6, v0
.LBB56_1452:
.LBB56_1453:
	v_mov_b32_e32 v13, 0
	v_mov_b32_e32 v9, 1.0
	s_mov_b32 s6, exec_lo
	s_waitcnt vmcnt(0)
	v_cmpx_gt_f32_e32 0.5, v6
	s_cbranch_execz .LBB56_1459
; %bb.1454:
	v_mul_f32_e32 v0, 0x40490fdb, v6
                                        ; implicit-def: $vgpr12
                                        ; implicit-def: $vgpr9
	s_mov_b32 s1, exec_lo
	v_and_b32_e32 v1, 0x7fffffff, v0
	v_cmpx_ngt_f32_e64 0x48000000, |v0|
	s_xor_b32 s13, exec_lo, s1
	s_cbranch_execz .LBB56_1456
; %bb.1455:
	s_mov_b32 s0, 0x7fffff
	v_mov_b32_e32 v14, 0
	v_and_or_b32 v9, v1, s0, 0x800000
	v_lshrrev_b32_e32 v19, 23, v1
	v_mad_u64_u32 v[12:13], null, 0xfe5163ab, v9, 0
	v_add_nc_u32_e32 v20, 0xffffff88, v19
	v_cmp_lt_u32_e32 vcc_lo, 63, v20
	v_mad_u64_u32 v[15:16], null, 0x3c439041, v9, v[13:14]
	v_cndmask_b32_e64 v21, 0, 0xffffffc0, vcc_lo
	v_mov_b32_e32 v13, v16
	v_add_nc_u32_e32 v21, v21, v20
	v_mad_u64_u32 v[16:17], null, 0xdb629599, v9, v[13:14]
	v_cmp_lt_u32_e64 s0, 31, v21
	v_cndmask_b32_e64 v22, 0, 0xffffffe0, s0
	v_mov_b32_e32 v13, v17
	v_cndmask_b32_e32 v12, v16, v12, vcc_lo
	v_mad_u64_u32 v[17:18], null, 0xf534ddc0, v9, v[13:14]
	v_mov_b32_e32 v13, v18
	v_cndmask_b32_e32 v15, v17, v15, vcc_lo
	v_mad_u64_u32 v[18:19], null, 0xfc2757d1, v9, v[13:14]
	v_cndmask_b32_e64 v12, v15, v12, s0
	v_mov_b32_e32 v13, v19
	v_mad_u64_u32 v[19:20], null, 0x4e441529, v9, v[13:14]
	v_mov_b32_e32 v13, v20
	v_add_nc_u32_e32 v20, v22, v21
	v_cndmask_b32_e32 v21, v19, v17, vcc_lo
	v_mad_u64_u32 v[13:14], null, 0xa2f9836e, v9, v[13:14]
	v_cmp_lt_u32_e64 s1, 31, v20
	v_cndmask_b32_e64 v9, 0, 0xffffffe0, s1
	v_cndmask_b32_e32 v13, v13, v18, vcc_lo
	v_cndmask_b32_e32 v14, v14, v19, vcc_lo
	;; [unrolled: 1-line block ×3, first 2 shown]
	v_add_nc_u32_e32 v9, v9, v20
	v_cndmask_b32_e64 v17, v13, v21, s0
	v_cndmask_b32_e64 v13, v14, v13, s0
	;; [unrolled: 1-line block ×4, first 2 shown]
	v_sub_nc_u32_e32 v19, 32, v9
	v_cmp_eq_u32_e32 vcc_lo, 0, v9
	v_cndmask_b32_e64 v13, v13, v17, s1
	v_cndmask_b32_e64 v17, v17, v14, s1
	;; [unrolled: 1-line block ×4, first 2 shown]
	v_alignbit_b32 v20, v13, v17, v19
	v_alignbit_b32 v16, v17, v14, v19
	;; [unrolled: 1-line block ×3, first 2 shown]
	v_cndmask_b32_e32 v9, v20, v13, vcc_lo
	v_cndmask_b32_e32 v13, v16, v17, vcc_lo
	;; [unrolled: 1-line block ×3, first 2 shown]
	v_bfe_u32 v15, v9, 29, 1
	v_alignbit_b32 v16, v9, v13, 30
	v_alignbit_b32 v13, v13, v14, 30
	;; [unrolled: 1-line block ×3, first 2 shown]
	v_sub_nc_u32_e32 v17, 0, v15
	v_xor_b32_e32 v16, v16, v17
	v_xor_b32_e32 v13, v13, v17
	;; [unrolled: 1-line block ×3, first 2 shown]
	v_lshrrev_b32_e32 v17, 29, v9
	v_ffbh_u32_e32 v18, v16
	v_min_u32_e32 v18, 32, v18
	v_sub_nc_u32_e32 v14, 31, v18
	v_lshlrev_b32_e32 v19, 23, v18
	v_alignbit_b32 v16, v16, v13, v14
	v_alignbit_b32 v12, v13, v12, v14
	v_lshlrev_b32_e32 v13, 31, v17
	v_alignbit_b32 v14, v16, v12, 9
	v_or_b32_e32 v17, 0.5, v13
	v_lshrrev_b32_e32 v16, 9, v16
	v_or_b32_e32 v13, 0x33000000, v13
	v_ffbh_u32_e32 v20, v14
	v_sub_nc_u32_e32 v17, v17, v19
	v_min_u32_e32 v19, 32, v20
	v_or_b32_e32 v16, v16, v17
	v_not_b32_e32 v17, v19
	v_mul_f32_e32 v20, 0x3fc90fda, v16
	v_add_lshl_u32 v18, v19, v18, 23
	v_alignbit_b32 v12, v14, v12, v17
	v_fma_f32 v14, 0x3fc90fda, v16, -v20
	v_sub_nc_u32_e32 v13, v13, v18
	v_lshrrev_b32_e32 v12, 9, v12
	v_fmamk_f32 v14, v16, 0x33a22168, v14
	v_or_b32_e32 v12, v13, v12
	v_fmac_f32_e32 v14, 0x3fc90fda, v12
	v_lshrrev_b32_e32 v12, 30, v9
	v_add_f32_e32 v9, v20, v14
	v_add_nc_u32_e32 v12, v15, v12
.LBB56_1456:
	s_andn2_saveexec_b32 s0, s13
; %bb.1457:
	v_mul_f32_e64 v9, 0x3f22f983, |v0|
	v_rndne_f32_e32 v12, v9
	v_fma_f32 v9, 0xbfc90fda, v12, |v0|
	v_fmamk_f32 v9, v12, 0xb3a22168, v9
	v_fmamk_f32 v9, v12, 0xa7c234c4, v9
	v_cvt_i32_f32_e32 v12, v12
; %bb.1458:
	s_or_b32 exec_lo, exec_lo, s0
	v_mul_f32_e32 v13, v9, v9
	s_mov_b32 s0, 0xb94c1982
	s_mov_b32 s1, 0x37d75334
	v_and_b32_e32 v16, 1, v12
	v_lshlrev_b32_e32 v12, 30, v12
	v_fmaak_f32 v14, s0, v13, 0x3c0881c4
	v_fmaak_f32 v15, s1, v13, 0xbab64f3b
	v_xor_b32_e32 v1, v1, v0
	v_cmp_eq_u32_e32 vcc_lo, 0, v16
	v_and_b32_e32 v12, 0x80000000, v12
	v_fmaak_f32 v14, v13, v14, 0xbe2aaa9d
	v_fmaak_f32 v15, v13, v15, 0x3d2aabf7
	v_sub_f32_e32 v6, 1.0, v6
	v_mul_f32_e32 v14, v13, v14
	v_fmaak_f32 v15, v13, v15, 0xbf000004
	v_fmac_f32_e32 v9, v9, v14
	v_fma_f32 v13, v13, v15, 1.0
	v_cndmask_b32_e32 v9, v13, v9, vcc_lo
	v_cmp_class_f32_e64 vcc_lo, v0, 0x1f8
	v_xor3_b32 v1, v1, v12, v9
	v_cndmask_b32_e32 v0, 0x7fc00000, v1, vcc_lo
	v_mul_f32_e32 v0, v0, v0
	v_div_scale_f32 v1, null, v0, v0, 0xc11de9e7
	v_div_scale_f32 v13, vcc_lo, 0xc11de9e7, v0, 0xc11de9e7
	v_rcp_f32_e32 v9, v1
	v_fma_f32 v12, -v1, v9, 1.0
	v_fmac_f32_e32 v9, v12, v9
	v_mul_f32_e32 v12, v13, v9
	v_fma_f32 v14, -v1, v12, v13
	v_fmac_f32_e32 v12, v14, v9
	v_fma_f32 v1, -v1, v12, v13
	v_div_fmas_f32 v1, v1, v9, v12
	v_mov_b32_e32 v9, -1.0
	v_div_fixup_f32 v0, v1, v0, 0xc11de9e7
	v_add_f32_e32 v13, 0, v0
.LBB56_1459:
	s_or_b32 exec_lo, exec_lo, s6
	v_add_nc_u32_e32 v0, s3, v7
	s_cmp_lt_i32 s2, 11
	v_ashrrev_i32_e32 v1, 31, v0
	v_add_co_u32 v0, vcc_lo, s10, v0
	v_add_co_ci_u32_e64 v1, null, s11, v1, vcc_lo
	s_cbranch_scc1 .LBB56_1466
; %bb.1460:
	s_cmp_gt_i32 s2, 25
	s_mov_b32 s1, 0
	s_cbranch_scc0 .LBB56_1467
; %bb.1461:
	s_cmp_gt_i32 s2, 28
	s_cbranch_scc0 .LBB56_1468
; %bb.1462:
	s_cmp_gt_i32 s2, 43
	;; [unrolled: 3-line block ×3, first 2 shown]
	s_cbranch_scc0 .LBB56_1471
; %bb.1464:
	s_cmp_eq_u32 s2, 46
	s_mov_b32 s6, 0
	s_cbranch_scc0 .LBB56_1472
; %bb.1465:
	global_load_dword v7, v[0:1], off
	s_mov_b32 s0, 0
	s_mov_b32 s3, -1
	s_waitcnt vmcnt(0)
	v_lshlrev_b32_e32 v7, 16, v7
	s_branch .LBB56_1474
.LBB56_1466:
	s_mov_b32 s0, -1
	s_mov_b32 s3, 0
                                        ; implicit-def: $vgpr7
	s_branch .LBB56_1540
.LBB56_1467:
	s_mov_b32 s6, -1
	s_mov_b32 s3, 0
	s_mov_b32 s0, 0
                                        ; implicit-def: $vgpr7
	s_branch .LBB56_1503
.LBB56_1468:
	s_mov_b32 s6, -1
	s_mov_b32 s3, 0
	s_mov_b32 s0, 0
                                        ; implicit-def: $vgpr7
	s_branch .LBB56_1484
.LBB56_1469:
	s_mov_b32 s6, -1
	s_mov_b32 s3, 0
	s_mov_b32 s0, 0
                                        ; implicit-def: $vgpr7
	s_branch .LBB56_1479
.LBB56_1470:
	s_or_b32 s5, s5, exec_lo
	s_trap 2
	s_cbranch_execz .LBB56_1403
	s_branch .LBB56_1404
.LBB56_1471:
	s_mov_b32 s6, -1
	s_mov_b32 s3, 0
	s_mov_b32 s0, 0
	s_branch .LBB56_1473
.LBB56_1472:
	s_mov_b32 s0, -1
	s_mov_b32 s3, 0
.LBB56_1473:
                                        ; implicit-def: $vgpr7
.LBB56_1474:
	s_and_b32 vcc_lo, exec_lo, s6
	s_cbranch_vccz .LBB56_1478
; %bb.1475:
	s_cmp_eq_u32 s2, 44
	s_cbranch_scc0 .LBB56_1477
; %bb.1476:
	global_load_ubyte v7, v[0:1], off
	s_mov_b32 s0, 0
	s_mov_b32 s3, -1
	s_waitcnt vmcnt(0)
	v_lshlrev_b32_e32 v12, 23, v7
	v_cmp_ne_u32_e32 vcc_lo, 0xff, v7
	v_cndmask_b32_e32 v12, 0x7f800001, v12, vcc_lo
	v_cmp_ne_u32_e32 vcc_lo, 0, v7
	v_cndmask_b32_e32 v7, 0x400000, v12, vcc_lo
	s_branch .LBB56_1478
.LBB56_1477:
	s_mov_b32 s0, -1
                                        ; implicit-def: $vgpr7
.LBB56_1478:
	s_mov_b32 s6, 0
.LBB56_1479:
	s_and_b32 vcc_lo, exec_lo, s6
	s_cbranch_vccz .LBB56_1483
; %bb.1480:
	s_cmp_eq_u32 s2, 29
	s_cbranch_scc0 .LBB56_1482
; %bb.1481:
	global_load_dwordx2 v[14:15], v[0:1], off
	s_mov_b32 s0, 0
	s_mov_b32 s3, -1
	s_mov_b32 s6, 0
	s_waitcnt vmcnt(0)
	v_ffbh_u32_e32 v7, v15
	v_min_u32_e32 v7, 32, v7
	v_lshlrev_b64 v[14:15], v7, v[14:15]
	v_sub_nc_u32_e32 v7, 32, v7
	v_min_u32_e32 v12, 1, v14
	v_or_b32_e32 v12, v15, v12
	v_cvt_f32_u32_e32 v12, v12
	v_ldexp_f32 v7, v12, v7
	s_branch .LBB56_1484
.LBB56_1482:
	s_mov_b32 s0, -1
                                        ; implicit-def: $vgpr7
.LBB56_1483:
	s_mov_b32 s6, 0
.LBB56_1484:
	s_and_b32 vcc_lo, exec_lo, s6
	s_cbranch_vccz .LBB56_1502
; %bb.1485:
	s_cmp_lt_i32 s2, 27
	s_cbranch_scc1 .LBB56_1488
; %bb.1486:
	s_cmp_gt_i32 s2, 27
	s_cbranch_scc0 .LBB56_1489
; %bb.1487:
	global_load_dword v7, v[0:1], off
	s_mov_b32 s3, 0
	s_waitcnt vmcnt(0)
	v_cvt_f32_u32_e32 v7, v7
	s_branch .LBB56_1490
.LBB56_1488:
	s_mov_b32 s3, -1
                                        ; implicit-def: $vgpr7
	s_branch .LBB56_1493
.LBB56_1489:
	s_mov_b32 s3, -1
                                        ; implicit-def: $vgpr7
.LBB56_1490:
	s_andn2_b32 vcc_lo, exec_lo, s3
	s_cbranch_vccnz .LBB56_1492
; %bb.1491:
	global_load_ushort v7, v[0:1], off
	s_waitcnt vmcnt(0)
	v_cvt_f32_u32_e32 v7, v7
.LBB56_1492:
	s_mov_b32 s3, 0
.LBB56_1493:
	s_andn2_b32 vcc_lo, exec_lo, s3
	s_cbranch_vccnz .LBB56_1501
; %bb.1494:
	global_load_ubyte v12, v[0:1], off
	s_mov_b32 s3, 0
	s_mov_b32 s6, exec_lo
	s_waitcnt vmcnt(0)
	v_cmpx_lt_i16_e32 0x7f, v12
	s_xor_b32 s6, exec_lo, s6
	s_cbranch_execz .LBB56_1515
; %bb.1495:
	s_mov_b32 s3, -1
	s_mov_b32 s10, exec_lo
	v_cmpx_eq_u16_e32 0x80, v12
; %bb.1496:
	s_xor_b32 s3, exec_lo, -1
; %bb.1497:
	s_or_b32 exec_lo, exec_lo, s10
	s_and_b32 s3, s3, exec_lo
	s_or_saveexec_b32 s6, s6
	v_mov_b32_e32 v7, 0x7f800001
	s_xor_b32 exec_lo, exec_lo, s6
	s_cbranch_execnz .LBB56_1516
.LBB56_1498:
	s_or_b32 exec_lo, exec_lo, s6
	s_and_saveexec_b32 s6, s3
	s_cbranch_execz .LBB56_1500
.LBB56_1499:
	v_and_b32_e32 v7, 0xffff, v12
	v_lshlrev_b32_e32 v12, 24, v12
	v_and_b32_e32 v14, 7, v7
	v_bfe_u32 v17, v7, 3, 4
	v_and_b32_e32 v12, 0x80000000, v12
	v_ffbh_u32_e32 v15, v14
	v_cmp_eq_u32_e32 vcc_lo, 0, v17
	v_min_u32_e32 v15, 32, v15
	v_subrev_nc_u32_e32 v16, 28, v15
	v_sub_nc_u32_e32 v15, 29, v15
	v_lshlrev_b32_e32 v7, v16, v7
	v_cndmask_b32_e32 v15, v17, v15, vcc_lo
	v_and_b32_e32 v7, 7, v7
	v_cndmask_b32_e32 v7, v14, v7, vcc_lo
	v_lshl_add_u32 v14, v15, 23, 0x3b800000
	v_lshlrev_b32_e32 v7, 20, v7
	v_or3_b32 v7, v12, v14, v7
.LBB56_1500:
	s_or_b32 exec_lo, exec_lo, s6
.LBB56_1501:
	s_mov_b32 s3, -1
.LBB56_1502:
	s_mov_b32 s6, 0
.LBB56_1503:
	s_and_b32 vcc_lo, exec_lo, s6
	s_cbranch_vccz .LBB56_1536
; %bb.1504:
	s_cmp_gt_i32 s2, 22
	s_cbranch_scc0 .LBB56_1514
; %bb.1505:
	s_cmp_lt_i32 s2, 24
	s_cbranch_scc1 .LBB56_1517
; %bb.1506:
	s_cmp_gt_i32 s2, 24
	s_cbranch_scc0 .LBB56_1518
; %bb.1507:
	global_load_ubyte v12, v[0:1], off
	s_mov_b32 s3, exec_lo
	s_waitcnt vmcnt(0)
	v_cmpx_lt_i16_e32 0x7f, v12
	s_xor_b32 s3, exec_lo, s3
	s_cbranch_execz .LBB56_1530
; %bb.1508:
	s_mov_b32 s1, -1
	s_mov_b32 s6, exec_lo
	v_cmpx_eq_u16_e32 0x80, v12
; %bb.1509:
	s_xor_b32 s1, exec_lo, -1
; %bb.1510:
	s_or_b32 exec_lo, exec_lo, s6
	s_and_b32 s1, s1, exec_lo
	s_or_saveexec_b32 s3, s3
	v_mov_b32_e32 v7, 0x7f800001
	s_xor_b32 exec_lo, exec_lo, s3
	s_cbranch_execnz .LBB56_1531
.LBB56_1511:
	s_or_b32 exec_lo, exec_lo, s3
	s_and_saveexec_b32 s3, s1
	s_cbranch_execz .LBB56_1513
.LBB56_1512:
	v_and_b32_e32 v7, 0xffff, v12
	v_lshlrev_b32_e32 v12, 24, v12
	v_and_b32_e32 v14, 3, v7
	v_bfe_u32 v17, v7, 2, 5
	v_and_b32_e32 v12, 0x80000000, v12
	v_ffbh_u32_e32 v15, v14
	v_cmp_eq_u32_e32 vcc_lo, 0, v17
	v_min_u32_e32 v15, 32, v15
	v_subrev_nc_u32_e32 v16, 29, v15
	v_sub_nc_u32_e32 v15, 30, v15
	v_lshlrev_b32_e32 v7, v16, v7
	v_cndmask_b32_e32 v15, v17, v15, vcc_lo
	v_and_b32_e32 v7, 3, v7
	v_cndmask_b32_e32 v7, v14, v7, vcc_lo
	v_lshl_add_u32 v14, v15, 23, 0x37800000
	v_lshlrev_b32_e32 v7, 21, v7
	v_or3_b32 v7, v12, v14, v7
.LBB56_1513:
	s_or_b32 exec_lo, exec_lo, s3
	s_mov_b32 s1, 0
	s_branch .LBB56_1519
.LBB56_1514:
	s_mov_b32 s1, -1
                                        ; implicit-def: $vgpr7
	s_branch .LBB56_1525
.LBB56_1515:
	s_or_saveexec_b32 s6, s6
	v_mov_b32_e32 v7, 0x7f800001
	s_xor_b32 exec_lo, exec_lo, s6
	s_cbranch_execz .LBB56_1498
.LBB56_1516:
	v_cmp_ne_u16_e32 vcc_lo, 0, v12
	v_mov_b32_e32 v7, 0
	s_andn2_b32 s3, s3, exec_lo
	s_and_b32 s10, vcc_lo, exec_lo
	s_or_b32 s3, s3, s10
	s_or_b32 exec_lo, exec_lo, s6
	s_and_saveexec_b32 s6, s3
	s_cbranch_execnz .LBB56_1499
	s_branch .LBB56_1500
.LBB56_1517:
	s_mov_b32 s1, -1
                                        ; implicit-def: $vgpr7
	s_branch .LBB56_1522
.LBB56_1518:
	s_mov_b32 s1, -1
                                        ; implicit-def: $vgpr7
.LBB56_1519:
	s_and_b32 vcc_lo, exec_lo, s1
	s_cbranch_vccz .LBB56_1521
; %bb.1520:
	global_load_ubyte v7, v[0:1], off
	s_waitcnt vmcnt(0)
	v_lshlrev_b32_e32 v7, 24, v7
	v_and_b32_e32 v12, 0x7f000000, v7
	v_ffbh_u32_e32 v14, v12
	v_add_nc_u32_e32 v16, 0x1000000, v12
	v_cmp_ne_u32_e32 vcc_lo, 0, v12
	v_min_u32_e32 v14, 32, v14
	v_sub_nc_u32_e64 v14, v14, 4 clamp
	v_lshlrev_b32_e32 v15, v14, v12
	v_lshlrev_b32_e32 v14, 23, v14
	v_lshrrev_b32_e32 v15, 4, v15
	v_sub_nc_u32_e32 v14, v15, v14
	v_ashrrev_i32_e32 v15, 8, v16
	v_add_nc_u32_e32 v14, 0x3c000000, v14
	v_and_or_b32 v14, 0x7f800000, v15, v14
	v_cndmask_b32_e32 v12, 0, v14, vcc_lo
	v_and_or_b32 v7, 0x80000000, v7, v12
.LBB56_1521:
	s_mov_b32 s1, 0
.LBB56_1522:
	s_andn2_b32 vcc_lo, exec_lo, s1
	s_cbranch_vccnz .LBB56_1524
; %bb.1523:
	global_load_ubyte v7, v[0:1], off
	s_waitcnt vmcnt(0)
	v_lshlrev_b32_e32 v12, 25, v7
	v_lshlrev_b16 v7, 8, v7
	v_lshrrev_b32_e32 v14, 4, v12
	v_and_or_b32 v15, 0x7f00, v7, 0.5
	v_cmp_gt_u32_e32 vcc_lo, 0x8000000, v12
	v_bfe_i32 v7, v7, 0, 16
	v_or_b32_e32 v14, 0x70000000, v14
	v_add_f32_e32 v15, -0.5, v15
	v_mul_f32_e32 v14, 0x7800000, v14
	v_cndmask_b32_e32 v12, v14, v15, vcc_lo
	v_and_or_b32 v7, 0x80000000, v7, v12
.LBB56_1524:
	s_mov_b32 s1, 0
	s_mov_b32 s3, -1
.LBB56_1525:
	s_andn2_b32 vcc_lo, exec_lo, s1
	s_mov_b32 s1, 0
	s_cbranch_vccnz .LBB56_1536
; %bb.1526:
	s_cmp_gt_i32 s2, 14
	s_cbranch_scc0 .LBB56_1529
; %bb.1527:
	s_cmp_eq_u32 s2, 15
	s_cbranch_scc0 .LBB56_1532
; %bb.1528:
	global_load_ushort v7, v[0:1], off
	s_mov_b32 s0, 0
	s_mov_b32 s3, -1
	s_waitcnt vmcnt(0)
	v_lshlrev_b32_e32 v7, 16, v7
	s_branch .LBB56_1534
.LBB56_1529:
	s_mov_b32 s1, -1
	s_branch .LBB56_1533
.LBB56_1530:
	s_or_saveexec_b32 s3, s3
	v_mov_b32_e32 v7, 0x7f800001
	s_xor_b32 exec_lo, exec_lo, s3
	s_cbranch_execz .LBB56_1511
.LBB56_1531:
	v_cmp_ne_u16_e32 vcc_lo, 0, v12
	v_mov_b32_e32 v7, 0
	s_andn2_b32 s1, s1, exec_lo
	s_and_b32 s6, vcc_lo, exec_lo
	s_or_b32 s1, s1, s6
	s_or_b32 exec_lo, exec_lo, s3
	s_and_saveexec_b32 s3, s1
	s_cbranch_execnz .LBB56_1512
	s_branch .LBB56_1513
.LBB56_1532:
	s_mov_b32 s0, -1
.LBB56_1533:
                                        ; implicit-def: $vgpr7
.LBB56_1534:
	s_and_b32 vcc_lo, exec_lo, s1
	s_mov_b32 s1, 0
	s_cbranch_vccz .LBB56_1536
; %bb.1535:
	s_cmp_lg_u32 s2, 11
	s_mov_b32 s1, -1
	s_cselect_b32 s0, -1, 0
.LBB56_1536:
	s_and_b32 vcc_lo, exec_lo, s0
	s_cbranch_vccnz .LBB56_2075
; %bb.1537:
	s_andn2_b32 vcc_lo, exec_lo, s1
	s_cbranch_vccnz .LBB56_1539
.LBB56_1538:
	global_load_ubyte v7, v[0:1], off
	s_mov_b32 s3, -1
	s_waitcnt vmcnt(0)
	v_cmp_ne_u16_e32 vcc_lo, 0, v7
	v_cndmask_b32_e64 v7, 0, 1.0, vcc_lo
.LBB56_1539:
	s_mov_b32 s0, 0
.LBB56_1540:
	s_and_b32 vcc_lo, exec_lo, s0
	s_cbranch_vccz .LBB56_1589
; %bb.1541:
	s_cmp_lt_i32 s2, 5
	s_cbranch_scc1 .LBB56_1546
; %bb.1542:
	s_cmp_lt_i32 s2, 8
	s_cbranch_scc1 .LBB56_1547
	;; [unrolled: 3-line block ×3, first 2 shown]
; %bb.1544:
	s_cmp_gt_i32 s2, 9
	s_cbranch_scc0 .LBB56_1549
; %bb.1545:
	global_load_dwordx2 v[14:15], v[0:1], off
	s_mov_b32 s0, 0
	s_waitcnt vmcnt(0)
	v_cvt_f32_f64_e32 v7, v[14:15]
	s_branch .LBB56_1550
.LBB56_1546:
	s_mov_b32 s0, -1
                                        ; implicit-def: $vgpr7
	s_branch .LBB56_1568
.LBB56_1547:
	s_mov_b32 s0, -1
                                        ; implicit-def: $vgpr7
	s_branch .LBB56_1556
.LBB56_1548:
	s_mov_b32 s0, -1
                                        ; implicit-def: $vgpr7
	s_branch .LBB56_1553
.LBB56_1549:
	s_mov_b32 s0, -1
                                        ; implicit-def: $vgpr7
.LBB56_1550:
	s_andn2_b32 vcc_lo, exec_lo, s0
	s_cbranch_vccnz .LBB56_1552
; %bb.1551:
	global_load_dword v7, v[0:1], off
.LBB56_1552:
	s_mov_b32 s0, 0
.LBB56_1553:
	s_andn2_b32 vcc_lo, exec_lo, s0
	s_cbranch_vccnz .LBB56_1555
; %bb.1554:
	global_load_dword v7, v[0:1], off
	s_waitcnt vmcnt(0)
	v_cvt_f32_f16_e32 v7, v7
.LBB56_1555:
	s_mov_b32 s0, 0
.LBB56_1556:
	s_andn2_b32 vcc_lo, exec_lo, s0
	s_cbranch_vccnz .LBB56_1567
; %bb.1557:
	s_cmp_lt_i32 s2, 6
	s_cbranch_scc1 .LBB56_1560
; %bb.1558:
	s_cmp_gt_i32 s2, 6
	s_cbranch_scc0 .LBB56_1561
; %bb.1559:
	global_load_dwordx2 v[14:15], v[0:1], off
	s_mov_b32 s0, 0
	s_waitcnt vmcnt(0)
	v_cvt_f32_f64_e32 v7, v[14:15]
	s_branch .LBB56_1562
.LBB56_1560:
	s_mov_b32 s0, -1
                                        ; implicit-def: $vgpr7
	s_branch .LBB56_1565
.LBB56_1561:
	s_mov_b32 s0, -1
                                        ; implicit-def: $vgpr7
.LBB56_1562:
	s_andn2_b32 vcc_lo, exec_lo, s0
	s_cbranch_vccnz .LBB56_1564
; %bb.1563:
	global_load_dword v7, v[0:1], off
.LBB56_1564:
	s_mov_b32 s0, 0
.LBB56_1565:
	s_andn2_b32 vcc_lo, exec_lo, s0
	s_cbranch_vccnz .LBB56_1567
; %bb.1566:
	global_load_ushort v7, v[0:1], off
	s_waitcnt vmcnt(0)
	v_cvt_f32_f16_e32 v7, v7
.LBB56_1567:
	s_mov_b32 s0, 0
.LBB56_1568:
	s_andn2_b32 vcc_lo, exec_lo, s0
	s_cbranch_vccnz .LBB56_1588
; %bb.1569:
	s_cmp_lt_i32 s2, 2
	s_cbranch_scc1 .LBB56_1573
; %bb.1570:
	s_cmp_lt_i32 s2, 3
	s_cbranch_scc1 .LBB56_1574
; %bb.1571:
	s_cmp_gt_i32 s2, 3
	s_cbranch_scc0 .LBB56_1575
; %bb.1572:
	global_load_dwordx2 v[14:15], v[0:1], off
	s_mov_b32 s0, 0
	s_waitcnt vmcnt(0)
	v_xor_b32_e32 v7, v14, v15
	v_ffbh_i32_e32 v12, v15
	v_ashrrev_i32_e32 v7, 31, v7
	v_add_nc_u32_e32 v12, -1, v12
	v_add_nc_u32_e32 v7, 32, v7
	v_min_u32_e32 v7, v12, v7
	v_lshlrev_b64 v[14:15], v7, v[14:15]
	v_sub_nc_u32_e32 v7, 32, v7
	v_min_u32_e32 v12, 1, v14
	v_or_b32_e32 v12, v15, v12
	v_cvt_f32_i32_e32 v12, v12
	v_ldexp_f32 v7, v12, v7
	s_branch .LBB56_1576
.LBB56_1573:
	s_mov_b32 s0, -1
                                        ; implicit-def: $vgpr7
	s_branch .LBB56_1582
.LBB56_1574:
	s_mov_b32 s0, -1
                                        ; implicit-def: $vgpr7
	s_branch .LBB56_1579
.LBB56_1575:
	s_mov_b32 s0, -1
                                        ; implicit-def: $vgpr7
.LBB56_1576:
	s_andn2_b32 vcc_lo, exec_lo, s0
	s_cbranch_vccnz .LBB56_1578
; %bb.1577:
	global_load_dword v7, v[0:1], off
	s_waitcnt vmcnt(0)
	v_cvt_f32_i32_e32 v7, v7
.LBB56_1578:
	s_mov_b32 s0, 0
.LBB56_1579:
	s_andn2_b32 vcc_lo, exec_lo, s0
	s_cbranch_vccnz .LBB56_1581
; %bb.1580:
	global_load_sshort v7, v[0:1], off
	s_waitcnt vmcnt(0)
	v_cvt_f32_i32_e32 v7, v7
.LBB56_1581:
	s_mov_b32 s0, 0
.LBB56_1582:
	s_andn2_b32 vcc_lo, exec_lo, s0
	s_cbranch_vccnz .LBB56_1588
; %bb.1583:
	s_cmp_gt_i32 s2, 0
	s_mov_b32 s0, 0
	s_cbranch_scc0 .LBB56_1585
; %bb.1584:
	global_load_sbyte v7, v[0:1], off
	s_waitcnt vmcnt(0)
	v_cvt_f32_i32_e32 v7, v7
	s_branch .LBB56_1586
.LBB56_1585:
	s_mov_b32 s0, -1
                                        ; implicit-def: $vgpr7
.LBB56_1586:
	s_andn2_b32 vcc_lo, exec_lo, s0
	s_cbranch_vccnz .LBB56_1588
; %bb.1587:
	global_load_ubyte v0, v[0:1], off
	s_waitcnt vmcnt(0)
	v_cvt_f32_ubyte0_e32 v7, v0
.LBB56_1588:
	s_mov_b32 s3, -1
.LBB56_1589:
	s_andn2_b32 vcc_lo, exec_lo, s3
	s_cbranch_vccnz .LBB56_2029
; %bb.1590:
	v_mov_b32_e32 v14, 0
	v_mov_b32_e32 v12, 1.0
	s_mov_b32 s2, exec_lo
	s_waitcnt vmcnt(0)
	v_cmpx_gt_f32_e32 0.5, v7
	s_cbranch_execz .LBB56_1596
; %bb.1591:
	v_mul_f32_e32 v0, 0x40490fdb, v7
                                        ; implicit-def: $vgpr14
                                        ; implicit-def: $vgpr12
	s_mov_b32 s1, exec_lo
	v_and_b32_e32 v1, 0x7fffffff, v0
	v_cmpx_ngt_f32_e64 0x48000000, |v0|
	s_xor_b32 s3, exec_lo, s1
	s_cbranch_execz .LBB56_1593
; %bb.1592:
	s_mov_b32 s0, 0x7fffff
	v_mov_b32_e32 v16, 0
	v_and_or_b32 v12, v1, s0, 0x800000
	v_lshrrev_b32_e32 v21, 23, v1
	v_mad_u64_u32 v[14:15], null, 0xfe5163ab, v12, 0
	v_add_nc_u32_e32 v22, 0xffffff88, v21
	v_cmp_lt_u32_e32 vcc_lo, 63, v22
	v_mad_u64_u32 v[17:18], null, 0x3c439041, v12, v[15:16]
	v_cndmask_b32_e64 v23, 0, 0xffffffc0, vcc_lo
	v_mov_b32_e32 v15, v18
	v_add_nc_u32_e32 v23, v23, v22
	v_mad_u64_u32 v[18:19], null, 0xdb629599, v12, v[15:16]
	v_cmp_lt_u32_e64 s0, 31, v23
	v_cndmask_b32_e64 v24, 0, 0xffffffe0, s0
	v_mov_b32_e32 v15, v19
	v_cndmask_b32_e32 v14, v18, v14, vcc_lo
	v_mad_u64_u32 v[19:20], null, 0xf534ddc0, v12, v[15:16]
	v_mov_b32_e32 v15, v20
	v_cndmask_b32_e32 v17, v19, v17, vcc_lo
	v_mad_u64_u32 v[20:21], null, 0xfc2757d1, v12, v[15:16]
	v_cndmask_b32_e64 v14, v17, v14, s0
	v_mov_b32_e32 v15, v21
	v_mad_u64_u32 v[21:22], null, 0x4e441529, v12, v[15:16]
	v_mov_b32_e32 v15, v22
	v_add_nc_u32_e32 v22, v24, v23
	v_cndmask_b32_e32 v23, v21, v19, vcc_lo
	v_mad_u64_u32 v[15:16], null, 0xa2f9836e, v12, v[15:16]
	v_cmp_lt_u32_e64 s1, 31, v22
	v_cndmask_b32_e64 v12, 0, 0xffffffe0, s1
	v_cndmask_b32_e32 v15, v15, v20, vcc_lo
	v_cndmask_b32_e32 v16, v16, v21, vcc_lo
	;; [unrolled: 1-line block ×3, first 2 shown]
	v_add_nc_u32_e32 v12, v12, v22
	v_cndmask_b32_e64 v19, v15, v23, s0
	v_cndmask_b32_e64 v15, v16, v15, s0
	;; [unrolled: 1-line block ×4, first 2 shown]
	v_sub_nc_u32_e32 v21, 32, v12
	v_cmp_eq_u32_e32 vcc_lo, 0, v12
	v_cndmask_b32_e64 v15, v15, v19, s1
	v_cndmask_b32_e64 v19, v19, v16, s1
	;; [unrolled: 1-line block ×4, first 2 shown]
	v_alignbit_b32 v22, v15, v19, v21
	v_alignbit_b32 v18, v19, v16, v21
	;; [unrolled: 1-line block ×3, first 2 shown]
	v_cndmask_b32_e32 v12, v22, v15, vcc_lo
	v_cndmask_b32_e32 v15, v18, v19, vcc_lo
	;; [unrolled: 1-line block ×3, first 2 shown]
	v_bfe_u32 v17, v12, 29, 1
	v_alignbit_b32 v18, v12, v15, 30
	v_alignbit_b32 v15, v15, v16, 30
	;; [unrolled: 1-line block ×3, first 2 shown]
	v_sub_nc_u32_e32 v19, 0, v17
	v_xor_b32_e32 v18, v18, v19
	v_xor_b32_e32 v15, v15, v19
	v_xor_b32_e32 v14, v14, v19
	v_lshrrev_b32_e32 v19, 29, v12
	v_ffbh_u32_e32 v20, v18
	v_min_u32_e32 v20, 32, v20
	v_sub_nc_u32_e32 v16, 31, v20
	v_lshlrev_b32_e32 v21, 23, v20
	v_alignbit_b32 v18, v18, v15, v16
	v_alignbit_b32 v14, v15, v14, v16
	v_lshlrev_b32_e32 v15, 31, v19
	v_alignbit_b32 v16, v18, v14, 9
	v_or_b32_e32 v19, 0.5, v15
	v_lshrrev_b32_e32 v18, 9, v18
	v_or_b32_e32 v15, 0x33000000, v15
	v_ffbh_u32_e32 v22, v16
	v_sub_nc_u32_e32 v19, v19, v21
	v_min_u32_e32 v21, 32, v22
	v_or_b32_e32 v18, v18, v19
	v_not_b32_e32 v19, v21
	v_mul_f32_e32 v22, 0x3fc90fda, v18
	v_add_lshl_u32 v20, v21, v20, 23
	v_alignbit_b32 v14, v16, v14, v19
	v_fma_f32 v16, 0x3fc90fda, v18, -v22
	v_sub_nc_u32_e32 v15, v15, v20
	v_lshrrev_b32_e32 v14, 9, v14
	v_fmamk_f32 v16, v18, 0x33a22168, v16
	v_or_b32_e32 v14, v15, v14
	v_fmac_f32_e32 v16, 0x3fc90fda, v14
	v_lshrrev_b32_e32 v14, 30, v12
	v_add_f32_e32 v12, v22, v16
	v_add_nc_u32_e32 v14, v17, v14
.LBB56_1593:
	s_andn2_saveexec_b32 s0, s3
; %bb.1594:
	v_mul_f32_e64 v12, 0x3f22f983, |v0|
	v_rndne_f32_e32 v14, v12
	v_fma_f32 v12, 0xbfc90fda, v14, |v0|
	v_fmamk_f32 v12, v14, 0xb3a22168, v12
	v_fmamk_f32 v12, v14, 0xa7c234c4, v12
	v_cvt_i32_f32_e32 v14, v14
; %bb.1595:
	s_or_b32 exec_lo, exec_lo, s0
	v_mul_f32_e32 v15, v12, v12
	s_mov_b32 s0, 0xb94c1982
	s_mov_b32 s1, 0x37d75334
	v_and_b32_e32 v18, 1, v14
	v_lshlrev_b32_e32 v14, 30, v14
	v_fmaak_f32 v16, s0, v15, 0x3c0881c4
	v_fmaak_f32 v17, s1, v15, 0xbab64f3b
	v_xor_b32_e32 v1, v1, v0
	v_cmp_eq_u32_e32 vcc_lo, 0, v18
	v_and_b32_e32 v14, 0x80000000, v14
	v_fmaak_f32 v16, v15, v16, 0xbe2aaa9d
	v_fmaak_f32 v17, v15, v17, 0x3d2aabf7
	v_sub_f32_e32 v7, 1.0, v7
	v_mul_f32_e32 v16, v15, v16
	v_fmaak_f32 v17, v15, v17, 0xbf000004
	v_fmac_f32_e32 v12, v12, v16
	v_fma_f32 v15, v15, v17, 1.0
	v_cndmask_b32_e32 v12, v15, v12, vcc_lo
	v_cmp_class_f32_e64 vcc_lo, v0, 0x1f8
	v_xor3_b32 v1, v1, v14, v12
	v_cndmask_b32_e32 v0, 0x7fc00000, v1, vcc_lo
	v_mul_f32_e32 v0, v0, v0
	v_div_scale_f32 v1, null, v0, v0, 0xc11de9e7
	v_div_scale_f32 v15, vcc_lo, 0xc11de9e7, v0, 0xc11de9e7
	v_rcp_f32_e32 v12, v1
	v_fma_f32 v14, -v1, v12, 1.0
	v_fmac_f32_e32 v12, v14, v12
	v_mul_f32_e32 v14, v15, v12
	v_fma_f32 v16, -v1, v14, v15
	v_fmac_f32_e32 v14, v16, v12
	v_fma_f32 v1, -v1, v14, v15
	v_div_fmas_f32 v1, v1, v12, v14
	v_mov_b32_e32 v12, -1.0
	v_div_fixup_f32 v0, v1, v0, 0xc11de9e7
	v_add_f32_e32 v14, 0, v0
.LBB56_1596:
	s_or_b32 exec_lo, exec_lo, s2
	v_add_f32_e32 v0, 1.0, v2
	v_mul_f32_e32 v1, v2, v2
	v_mul_lo_u32 v4, s12, v4
	s_and_b32 s15, s4, 0xff
	s_cmp_lt_i32 s15, 11
	v_mul_f32_e32 v2, v0, v0
	v_add_f32_e32 v0, 1.0, v0
	v_div_scale_f32 v15, null, v1, v1, 1.0
	v_div_scale_f32 v17, vcc_lo, 1.0, v1, 1.0
	v_mul_f32_e32 v18, v0, v0
	v_div_scale_f32 v16, null, v2, v2, 1.0
	v_rcp_f32_e32 v19, v15
	v_div_scale_f32 v22, s0, 1.0, v2, 1.0
	v_div_scale_f32 v21, null, v18, v18, 1.0
	v_rcp_f32_e32 v20, v16
	v_add_f32_e32 v0, 1.0, v0
	v_div_scale_f32 v23, s1, 1.0, v18, 1.0
	v_rcp_f32_e32 v24, v21
	v_fma_f32 v26, -v15, v19, 1.0
	v_mul_f32_e32 v25, v0, v0
	v_add_f32_e32 v0, 1.0, v0
	v_fma_f32 v27, -v16, v20, 1.0
	v_fmac_f32_e32 v19, v26, v19
	v_mul_f32_e32 v29, v0, v0
	v_add_f32_e32 v0, 1.0, v0
	v_fma_f32 v26, -v21, v24, 1.0
	v_fmac_f32_e32 v20, v27, v20
	v_mul_f32_e32 v30, v17, v19
	v_div_scale_f32 v28, null, v25, v25, 1.0
	v_fmac_f32_e32 v24, v26, v24
	v_mul_f32_e32 v31, v22, v20
	v_fma_f32 v32, -v15, v30, v17
	v_add_f32_e32 v35, 1.0, v0
	v_rcp_f32_e32 v27, v28
	v_mul_f32_e32 v34, v23, v24
	v_fma_f32 v33, -v16, v31, v22
	v_fmac_f32_e32 v30, v32, v19
	v_mul_f32_e32 v0, v0, v0
	v_div_scale_f32 v26, null, v29, v29, 1.0
	v_fma_f32 v32, -v21, v34, v23
	v_fmac_f32_e32 v31, v33, v20
	v_fma_f32 v15, -v15, v30, v17
	v_mul_f32_e32 v17, v35, v35
	v_rcp_f32_e32 v33, v26
	v_fmac_f32_e32 v34, v32, v24
	v_fma_f32 v16, -v16, v31, v22
	v_div_fmas_f32 v15, v15, v19, v30
	s_mov_b32 vcc_lo, s0
	v_fma_f32 v36, -v28, v27, 1.0
	v_fma_f32 v19, -v21, v34, v23
	v_div_fmas_f32 v16, v16, v20, v31
	s_mov_b32 vcc_lo, s1
	v_div_scale_f32 v20, null, v0, v0, 1.0
	v_div_fmas_f32 v19, v19, v24, v34
	v_div_scale_f32 v21, null, v17, v17, 1.0
	v_add_f32_e32 v24, v35, v35
	v_rcp_f32_e32 v23, v20
	v_fmac_f32_e32 v27, v36, v27
	v_rcp_f32_e32 v31, v21
	v_div_scale_f32 v22, vcc_lo, 1.0, v25, 1.0
	v_div_scale_f32 v34, null, v24, v24, 1.0
	v_fma_f32 v30, -v26, v33, 1.0
	v_mul_f32_e32 v32, v22, v27
	v_div_fixup_f32 v1, v15, v1, 1.0
	v_rcp_f32_e32 v37, v34
	v_fma_f32 v36, -v20, v23, 1.0
	v_fmac_f32_e32 v33, v30, v33
	v_div_scale_f32 v30, s0, 1.0, v29, 1.0
	v_fma_f32 v39, -v21, v31, 1.0
	v_fma_f32 v38, -v28, v32, v22
	v_fmac_f32_e32 v23, v36, v23
	v_div_scale_f32 v36, s1, 1.0, v0, 1.0
	v_mul_f32_e32 v40, v30, v33
	v_fmac_f32_e32 v31, v39, v31
	v_div_scale_f32 v39, s2, 1.0, v17, 1.0
	v_fma_f32 v41, -v34, v37, 1.0
	v_fmac_f32_e32 v32, v38, v27
	v_mul_f32_e32 v42, v36, v23
	v_fma_f32 v38, -v26, v40, v30
	v_mul_f32_e32 v43, v39, v31
	v_fmac_f32_e32 v37, v41, v37
	v_div_scale_f32 v41, s3, 1.0, v24, 1.0
	v_fma_f32 v22, -v28, v32, v22
	v_fma_f32 v28, -v20, v42, v36
	v_fmac_f32_e32 v40, v38, v33
	v_fma_f32 v38, -v21, v43, v39
	v_mul_f32_e32 v44, v41, v37
	v_div_fmas_f32 v22, v22, v27, v32
	v_fmac_f32_e32 v42, v28, v23
	v_fma_f32 v26, -v26, v40, v30
	v_fmac_f32_e32 v43, v38, v31
	v_fma_f32 v27, -v34, v44, v41
	s_mov_b32 vcc_lo, s0
	v_fma_f32 v20, -v20, v42, v36
	v_div_fmas_f32 v26, v26, v33, v40
	v_fma_f32 v21, -v21, v43, v39
	v_fmac_f32_e32 v44, v27, v37
	s_mov_b32 vcc_lo, s1
	s_mov_b32 s0, 0xbcc30c31
	v_div_fmas_f32 v20, v20, v23, v42
	s_mov_b32 vcc_lo, s2
	v_fma_f32 v23, -v34, v44, v41
	v_div_fmas_f32 v21, v21, v31, v43
	s_mov_b32 vcc_lo, s3
	v_add_f32_e32 v1, v10, v1
	v_div_fixup_f32 v2, v16, v2, 1.0
	v_div_fmas_f32 v23, v23, v37, v44
	v_div_fixup_f32 v17, v21, v17, 1.0
	v_div_fixup_f32 v0, v20, v0, 1.0
	v_add_f32_e32 v1, v1, v2
	v_div_fixup_f32 v21, v23, v24, 1.0
	v_fmaak_f32 v23, s0, v17, 0x3d088889
	v_div_fixup_f32 v2, v19, v18, 1.0
	v_add_f32_e32 v21, 1.0, v21
	v_fma_f32 v23, -v17, v23, 0x3e2aaaab
	v_add_f32_e32 v1, v1, v2
	v_div_fixup_f32 v2, v22, v25, 1.0
	v_fmac_f32_e32 v21, v17, v23
	v_add_f32_e32 v1, v1, v2
	v_div_fixup_f32 v2, v26, v29, 1.0
	v_div_scale_f32 v17, null, v35, v35, v21
	v_div_scale_f32 v10, vcc_lo, v21, v35, v21
	v_add_f32_e32 v1, v1, v2
	v_rcp_f32_e32 v23, v17
	v_add_f32_e32 v0, v1, v0
	v_fma_f32 v15, -v17, v23, 1.0
	v_fmac_f32_e32 v23, v15, v23
	v_mul_f32_e32 v15, v10, v23
	v_fma_f32 v16, -v17, v15, v10
	v_fmac_f32_e32 v15, v16, v23
	v_fma_f32 v10, -v17, v15, v10
	v_div_fmas_f32 v2, v10, v23, v15
	v_div_fixup_f32 v1, v2, v35, v21
	v_ashrrev_i32_e32 v2, 31, v4
	v_add_f32_e32 v10, v0, v1
	v_add_co_u32 v0, vcc_lo, s8, v4
	v_add_co_ci_u32_e64 v1, null, s9, v2, vcc_lo
	v_mul_f32_e32 v2, v3, v10
	s_cbranch_scc1 .LBB56_1674
; %bb.1597:
	s_and_b32 s1, 0xffff, s15
	s_mov_b32 s4, -1
	s_mov_b32 s2, 0
	s_cmp_gt_i32 s1, 25
	s_mov_b32 s3, 0
	s_mov_b32 s0, 0
	s_cbranch_scc0 .LBB56_1630
; %bb.1598:
	s_cmp_gt_i32 s1, 28
	s_cbranch_scc0 .LBB56_1613
; %bb.1599:
	s_cmp_gt_i32 s1, 43
	;; [unrolled: 3-line block ×3, first 2 shown]
	s_cbranch_scc0 .LBB56_1603
; %bb.1601:
	s_mov_b32 s0, -1
	s_mov_b32 s4, 0
	s_cmp_eq_u32 s1, 46
	s_cbranch_scc0 .LBB56_1603
; %bb.1602:
	v_bfe_u32 v3, v2, 16, 1
	v_cmp_o_f32_e32 vcc_lo, v2, v2
	v_mov_b32_e32 v10, 0x7fc0
	s_mov_b32 s0, 0
	s_mov_b32 s3, -1
	v_add3_u32 v3, v2, v3, 0x7fff
	v_cndmask_b32_sdwa v3, v10, v3, vcc_lo dst_sel:DWORD dst_unused:UNUSED_PAD src0_sel:DWORD src1_sel:WORD_1
	global_store_dword v[0:1], v3, off
.LBB56_1603:
	s_and_b32 vcc_lo, exec_lo, s4
	s_cbranch_vccz .LBB56_1608
; %bb.1604:
	s_cmp_eq_u32 s1, 44
	s_mov_b32 s0, -1
	s_cbranch_scc0 .LBB56_1608
; %bb.1605:
	v_bfe_u32 v10, v2, 23, 8
	v_mov_b32_e32 v3, 0xff
	s_mov_b32 s3, exec_lo
	v_cmpx_ne_u32_e32 0xff, v10
	s_cbranch_execz .LBB56_1607
; %bb.1606:
	v_and_b32_e32 v3, 0x400000, v2
	v_and_or_b32 v10, 0x3fffff, v2, v10
	v_cmp_ne_u32_e32 vcc_lo, 0, v3
	v_cmp_ne_u32_e64 s0, 0, v10
	v_lshrrev_b32_e32 v3, 23, v2
	s_and_b32 s0, vcc_lo, s0
	v_cndmask_b32_e64 v10, 0, 1, s0
	v_add_nc_u32_e32 v3, v3, v10
.LBB56_1607:
	s_or_b32 exec_lo, exec_lo, s3
	s_mov_b32 s0, 0
	s_mov_b32 s3, -1
	global_store_byte v[0:1], v3, off
.LBB56_1608:
	s_mov_b32 s4, 0
.LBB56_1609:
	s_and_b32 vcc_lo, exec_lo, s4
	s_cbranch_vccz .LBB56_1612
; %bb.1610:
	s_cmp_eq_u32 s1, 29
	s_mov_b32 s0, -1
	s_cbranch_scc0 .LBB56_1612
; %bb.1611:
	v_trunc_f32_e32 v3, v2
	s_mov_b32 s0, 0
	s_mov_b32 s3, -1
	v_mul_f32_e32 v10, 0x2f800000, v3
	v_floor_f32_e32 v10, v10
	v_fmamk_f32 v3, v10, 0xcf800000, v3
	v_cvt_u32_f32_e32 v16, v10
	v_cvt_u32_f32_e32 v15, v3
	global_store_dwordx2 v[0:1], v[15:16], off
.LBB56_1612:
	s_mov_b32 s4, 0
.LBB56_1613:
	s_and_b32 vcc_lo, exec_lo, s4
	s_cbranch_vccz .LBB56_1629
; %bb.1614:
	s_cmp_lt_i32 s1, 27
	s_mov_b32 s3, -1
	s_cbranch_scc1 .LBB56_1620
; %bb.1615:
	v_cvt_u32_f32_e32 v3, v2
	s_cmp_gt_i32 s1, 27
	s_cbranch_scc0 .LBB56_1617
; %bb.1616:
	s_mov_b32 s3, 0
	global_store_dword v[0:1], v3, off
.LBB56_1617:
	s_andn2_b32 vcc_lo, exec_lo, s3
	s_cbranch_vccnz .LBB56_1619
; %bb.1618:
	global_store_short v[0:1], v3, off
.LBB56_1619:
	s_mov_b32 s3, 0
.LBB56_1620:
	s_andn2_b32 vcc_lo, exec_lo, s3
	s_cbranch_vccnz .LBB56_1628
; %bb.1621:
	v_and_b32_e32 v3, 0x7fffffff, v2
	v_mov_b32_e32 v10, 0x80
	s_mov_b32 s3, exec_lo
	v_cmpx_gt_u32_e32 0x43800000, v3
	s_cbranch_execz .LBB56_1627
; %bb.1622:
	v_cmp_lt_u32_e32 vcc_lo, 0x3bffffff, v3
	s_mov_b32 s4, 0
                                        ; implicit-def: $vgpr3
	s_and_saveexec_b32 s6, vcc_lo
	s_xor_b32 s6, exec_lo, s6
	s_cbranch_execz .LBB56_2076
; %bb.1623:
	v_bfe_u32 v3, v2, 20, 1
	s_mov_b32 s4, exec_lo
	v_add3_u32 v3, v2, v3, 0x487ffff
	v_lshrrev_b32_e32 v3, 20, v3
	s_andn2_saveexec_b32 s6, s6
	s_cbranch_execnz .LBB56_2077
.LBB56_1624:
	s_or_b32 exec_lo, exec_lo, s6
	v_mov_b32_e32 v10, 0
	s_and_saveexec_b32 s6, s4
.LBB56_1625:
	v_lshrrev_b32_e32 v10, 24, v2
	v_and_or_b32 v10, 0x80, v10, v3
.LBB56_1626:
	s_or_b32 exec_lo, exec_lo, s6
.LBB56_1627:
	s_or_b32 exec_lo, exec_lo, s3
	global_store_byte v[0:1], v10, off
.LBB56_1628:
	s_mov_b32 s3, -1
.LBB56_1629:
	s_mov_b32 s4, 0
.LBB56_1630:
	s_and_b32 vcc_lo, exec_lo, s4
	s_cbranch_vccz .LBB56_1670
; %bb.1631:
	s_cmp_gt_i32 s1, 22
	s_mov_b32 s2, -1
	s_cbranch_scc0 .LBB56_1663
; %bb.1632:
	s_cmp_lt_i32 s1, 24
	s_cbranch_scc1 .LBB56_1652
; %bb.1633:
	s_cmp_gt_i32 s1, 24
	s_cbranch_scc0 .LBB56_1641
; %bb.1634:
	v_and_b32_e32 v3, 0x7fffffff, v2
	v_mov_b32_e32 v10, 0x80
	s_mov_b32 s2, exec_lo
	v_cmpx_gt_u32_e32 0x47800000, v3
	s_cbranch_execz .LBB56_1640
; %bb.1635:
	v_cmp_lt_u32_e32 vcc_lo, 0x37ffffff, v3
	s_mov_b32 s3, 0
                                        ; implicit-def: $vgpr3
	s_and_saveexec_b32 s4, vcc_lo
	s_xor_b32 s4, exec_lo, s4
	s_cbranch_execz .LBB56_2079
; %bb.1636:
	v_bfe_u32 v3, v2, 21, 1
	s_mov_b32 s3, exec_lo
	v_add3_u32 v3, v2, v3, 0x88fffff
	v_lshrrev_b32_e32 v3, 21, v3
	s_andn2_saveexec_b32 s4, s4
	s_cbranch_execnz .LBB56_2080
.LBB56_1637:
	s_or_b32 exec_lo, exec_lo, s4
	v_mov_b32_e32 v10, 0
	s_and_saveexec_b32 s4, s3
.LBB56_1638:
	v_lshrrev_b32_e32 v10, 24, v2
	v_and_or_b32 v10, 0x80, v10, v3
.LBB56_1639:
	s_or_b32 exec_lo, exec_lo, s4
.LBB56_1640:
	s_or_b32 exec_lo, exec_lo, s2
	s_mov_b32 s2, 0
	global_store_byte v[0:1], v10, off
.LBB56_1641:
	s_and_b32 vcc_lo, exec_lo, s2
	s_cbranch_vccz .LBB56_1651
; %bb.1642:
	v_and_b32_e32 v10, 0x7fffffff, v2
	s_mov_b32 s2, exec_lo
                                        ; implicit-def: $vgpr3
	v_cmpx_gt_u32_e32 0x43f00000, v10
	s_xor_b32 s2, exec_lo, s2
	s_cbranch_execz .LBB56_1648
; %bb.1643:
	s_mov_b32 s3, exec_lo
                                        ; implicit-def: $vgpr3
	v_cmpx_lt_u32_e32 0x3c7fffff, v10
	s_xor_b32 s3, exec_lo, s3
; %bb.1644:
	v_bfe_u32 v3, v2, 20, 1
	v_add3_u32 v3, v2, v3, 0x407ffff
	v_and_b32_e32 v10, 0xff00000, v3
	v_lshrrev_b32_e32 v3, 20, v3
	v_cmp_ne_u32_e32 vcc_lo, 0x7f00000, v10
	v_cndmask_b32_e32 v3, 0x7e, v3, vcc_lo
; %bb.1645:
	s_andn2_saveexec_b32 s3, s3
; %bb.1646:
	v_add_f32_e64 v3, 0x46800000, |v2|
; %bb.1647:
	s_or_b32 exec_lo, exec_lo, s3
                                        ; implicit-def: $vgpr10
.LBB56_1648:
	s_andn2_saveexec_b32 s2, s2
; %bb.1649:
	v_mov_b32_e32 v3, 0x7f
	v_cmp_lt_u32_e32 vcc_lo, 0x7f800000, v10
	v_cndmask_b32_e32 v3, 0x7e, v3, vcc_lo
; %bb.1650:
	s_or_b32 exec_lo, exec_lo, s2
	v_lshrrev_b32_e32 v10, 24, v2
	v_and_or_b32 v3, 0x80, v10, v3
	global_store_byte v[0:1], v3, off
.LBB56_1651:
	s_mov_b32 s2, 0
.LBB56_1652:
	s_andn2_b32 vcc_lo, exec_lo, s2
	s_cbranch_vccnz .LBB56_1662
; %bb.1653:
	v_and_b32_e32 v10, 0x7fffffff, v2
	s_mov_b32 s2, exec_lo
                                        ; implicit-def: $vgpr3
	v_cmpx_gt_u32_e32 0x47800000, v10
	s_xor_b32 s2, exec_lo, s2
	s_cbranch_execz .LBB56_1659
; %bb.1654:
	s_mov_b32 s3, exec_lo
                                        ; implicit-def: $vgpr3
	v_cmpx_lt_u32_e32 0x387fffff, v10
	s_xor_b32 s3, exec_lo, s3
; %bb.1655:
	v_bfe_u32 v3, v2, 21, 1
	v_add3_u32 v3, v2, v3, 0x80fffff
	v_lshrrev_b32_e32 v3, 21, v3
; %bb.1656:
	s_andn2_saveexec_b32 s3, s3
; %bb.1657:
	v_add_f32_e64 v3, 0x43000000, |v2|
; %bb.1658:
	s_or_b32 exec_lo, exec_lo, s3
                                        ; implicit-def: $vgpr10
.LBB56_1659:
	s_andn2_saveexec_b32 s2, s2
; %bb.1660:
	v_mov_b32_e32 v3, 0x7f
	v_cmp_lt_u32_e32 vcc_lo, 0x7f800000, v10
	v_cndmask_b32_e32 v3, 0x7c, v3, vcc_lo
; %bb.1661:
	s_or_b32 exec_lo, exec_lo, s2
	v_lshrrev_b32_e32 v10, 24, v2
	v_and_or_b32 v3, 0x80, v10, v3
	global_store_byte v[0:1], v3, off
.LBB56_1662:
	s_mov_b32 s2, 0
	s_mov_b32 s3, -1
.LBB56_1663:
	s_andn2_b32 vcc_lo, exec_lo, s2
	s_mov_b32 s2, 0
	s_cbranch_vccnz .LBB56_1670
; %bb.1664:
	s_cmp_gt_i32 s1, 14
	s_mov_b32 s2, -1
	s_cbranch_scc0 .LBB56_1668
; %bb.1665:
	s_cmp_eq_u32 s1, 15
	s_mov_b32 s0, -1
	s_cbranch_scc0 .LBB56_1667
; %bb.1666:
	v_bfe_u32 v3, v2, 16, 1
	v_cmp_o_f32_e32 vcc_lo, v2, v2
	v_mov_b32_e32 v10, 0x7fc0
	s_mov_b32 s0, 0
	s_mov_b32 s3, -1
	v_add3_u32 v3, v2, v3, 0x7fff
	v_cndmask_b32_sdwa v3, v10, v3, vcc_lo dst_sel:DWORD dst_unused:UNUSED_PAD src0_sel:DWORD src1_sel:WORD_1
	global_store_short v[0:1], v3, off
.LBB56_1667:
	s_mov_b32 s2, 0
.LBB56_1668:
	s_and_b32 vcc_lo, exec_lo, s2
	s_mov_b32 s2, 0
	s_cbranch_vccz .LBB56_1670
; %bb.1669:
	s_cmp_lg_u32 s1, 11
	s_mov_b32 s2, -1
	s_cselect_b32 s0, -1, 0
.LBB56_1670:
	s_and_b32 vcc_lo, exec_lo, s0
	s_cbranch_vccnz .LBB56_2078
; %bb.1671:
	s_andn2_b32 vcc_lo, exec_lo, s2
	s_cbranch_vccnz .LBB56_1673
.LBB56_1672:
	v_cmp_neq_f32_e32 vcc_lo, 0, v2
	s_mov_b32 s3, -1
	v_cndmask_b32_e64 v3, 0, 1, vcc_lo
	global_store_byte v[0:1], v3, off
.LBB56_1673:
	s_mov_b32 s0, 0
	s_branch .LBB56_1675
.LBB56_1674:
	s_mov_b32 s0, -1
	s_mov_b32 s3, 0
.LBB56_1675:
	s_and_b32 vcc_lo, exec_lo, s0
	s_cbranch_vccz .LBB56_1714
; %bb.1676:
	s_and_b32 s0, 0xffff, s15
	s_mov_b32 s1, -1
	s_cmp_lt_i32 s0, 5
	s_cbranch_scc1 .LBB56_1697
; %bb.1677:
	s_cmp_lt_i32 s0, 8
	s_cbranch_scc1 .LBB56_1687
; %bb.1678:
	;; [unrolled: 3-line block ×3, first 2 shown]
	s_cmp_gt_i32 s0, 9
	s_cbranch_scc0 .LBB56_1681
; %bb.1680:
	v_cvt_f64_f32_e32 v[15:16], v2
	v_mov_b32_e32 v17, 0
	s_mov_b32 s1, 0
	v_mov_b32_e32 v18, v17
	global_store_dwordx4 v[0:1], v[15:18], off
.LBB56_1681:
	s_andn2_b32 vcc_lo, exec_lo, s1
	s_cbranch_vccnz .LBB56_1683
; %bb.1682:
	v_mov_b32_e32 v3, 0
	global_store_dwordx2 v[0:1], v[2:3], off
.LBB56_1683:
	s_mov_b32 s1, 0
.LBB56_1684:
	s_andn2_b32 vcc_lo, exec_lo, s1
	s_cbranch_vccnz .LBB56_1686
; %bb.1685:
	v_cvt_f16_f32_e32 v3, v2
	v_and_b32_e32 v3, 0xffff, v3
	global_store_dword v[0:1], v3, off
.LBB56_1686:
	s_mov_b32 s1, 0
.LBB56_1687:
	s_andn2_b32 vcc_lo, exec_lo, s1
	s_cbranch_vccnz .LBB56_1696
; %bb.1688:
	s_cmp_lt_i32 s0, 6
	s_mov_b32 s1, -1
	s_cbranch_scc1 .LBB56_1694
; %bb.1689:
	s_cmp_gt_i32 s0, 6
	s_cbranch_scc0 .LBB56_1691
; %bb.1690:
	v_cvt_f64_f32_e32 v[15:16], v2
	s_mov_b32 s1, 0
	global_store_dwordx2 v[0:1], v[15:16], off
.LBB56_1691:
	s_andn2_b32 vcc_lo, exec_lo, s1
	s_cbranch_vccnz .LBB56_1693
; %bb.1692:
	global_store_dword v[0:1], v2, off
.LBB56_1693:
	s_mov_b32 s1, 0
.LBB56_1694:
	s_andn2_b32 vcc_lo, exec_lo, s1
	s_cbranch_vccnz .LBB56_1696
; %bb.1695:
	v_cvt_f16_f32_e32 v3, v2
	global_store_short v[0:1], v3, off
.LBB56_1696:
	s_mov_b32 s1, 0
.LBB56_1697:
	s_andn2_b32 vcc_lo, exec_lo, s1
	s_cbranch_vccnz .LBB56_1713
; %bb.1698:
	s_cmp_lt_i32 s0, 2
	s_mov_b32 s1, -1
	s_cbranch_scc1 .LBB56_1708
; %bb.1699:
	s_cmp_lt_i32 s0, 3
	s_cbranch_scc1 .LBB56_1705
; %bb.1700:
	s_cmp_gt_i32 s0, 3
	s_cbranch_scc0 .LBB56_1702
; %bb.1701:
	v_trunc_f32_e32 v3, v2
	s_mov_b32 s1, 0
	v_mul_f32_e64 v10, 0x2f800000, |v3|
	v_floor_f32_e32 v10, v10
	v_fma_f32 v15, 0xcf800000, v10, |v3|
	v_ashrrev_i32_e32 v3, 31, v3
	v_cvt_u32_f32_e32 v10, v10
	v_cvt_u32_f32_e32 v15, v15
	v_xor_b32_e32 v10, v10, v3
	v_xor_b32_e32 v15, v15, v3
	v_sub_co_u32 v15, vcc_lo, v15, v3
	v_sub_co_ci_u32_e64 v16, null, v10, v3, vcc_lo
	global_store_dwordx2 v[0:1], v[15:16], off
.LBB56_1702:
	s_andn2_b32 vcc_lo, exec_lo, s1
	s_cbranch_vccnz .LBB56_1704
; %bb.1703:
	v_cvt_i32_f32_e32 v3, v2
	global_store_dword v[0:1], v3, off
.LBB56_1704:
	s_mov_b32 s1, 0
.LBB56_1705:
	s_andn2_b32 vcc_lo, exec_lo, s1
	s_cbranch_vccnz .LBB56_1707
; %bb.1706:
	v_cvt_i32_f32_e32 v3, v2
	global_store_short v[0:1], v3, off
.LBB56_1707:
	s_mov_b32 s1, 0
.LBB56_1708:
	s_andn2_b32 vcc_lo, exec_lo, s1
	s_cbranch_vccnz .LBB56_1713
; %bb.1709:
	s_cmp_gt_i32 s0, 0
	s_mov_b32 s0, -1
	s_cbranch_scc0 .LBB56_1711
; %bb.1710:
	v_cvt_i32_f32_e32 v3, v2
	s_mov_b32 s0, 0
	global_store_byte v[0:1], v3, off
.LBB56_1711:
	s_andn2_b32 vcc_lo, exec_lo, s0
	s_cbranch_vccnz .LBB56_1713
; %bb.1712:
	v_trunc_f32_e32 v2, v2
	v_mul_f32_e64 v3, 0x2f800000, |v2|
	v_floor_f32_e32 v3, v3
	v_fma_f32 v3, 0xcf800000, v3, |v2|
	v_ashrrev_i32_e32 v2, 31, v2
	v_cvt_u32_f32_e32 v3, v3
	v_xor_b32_e32 v3, v3, v2
	v_sub_nc_u32_e32 v2, v3, v2
	global_store_byte v[0:1], v2, off
.LBB56_1713:
	s_mov_b32 s3, -1
.LBB56_1714:
	s_andn2_b32 vcc_lo, exec_lo, s3
	s_cbranch_vccnz .LBB56_2029
; %bb.1715:
	v_add_f32_e32 v0, 1.0, v5
	v_mul_f32_e32 v1, v5, v5
	s_lshl_b32 s4, s12, 7
	s_cmp_lt_i32 s15, 11
	v_add_nc_u32_e32 v4, s4, v4
	v_mul_f32_e32 v2, v0, v0
	v_add_f32_e32 v0, 1.0, v0
	v_div_scale_f32 v3, null, v1, v1, 1.0
	v_div_scale_f32 v10, vcc_lo, 1.0, v1, 1.0
	v_mul_f32_e32 v15, v0, v0
	v_div_scale_f32 v5, null, v2, v2, 1.0
	v_rcp_f32_e32 v16, v3
	v_div_scale_f32 v19, s0, 1.0, v2, 1.0
	v_div_scale_f32 v18, null, v15, v15, 1.0
	v_rcp_f32_e32 v17, v5
	v_add_f32_e32 v0, 1.0, v0
	v_div_scale_f32 v20, s1, 1.0, v15, 1.0
	v_rcp_f32_e32 v21, v18
	v_fma_f32 v23, -v3, v16, 1.0
	v_mul_f32_e32 v22, v0, v0
	v_add_f32_e32 v0, 1.0, v0
	v_fma_f32 v24, -v5, v17, 1.0
	v_fmac_f32_e32 v16, v23, v16
	v_mul_f32_e32 v26, v0, v0
	v_add_f32_e32 v0, 1.0, v0
	v_fma_f32 v23, -v18, v21, 1.0
	v_fmac_f32_e32 v17, v24, v17
	v_mul_f32_e32 v27, v10, v16
	v_div_scale_f32 v25, null, v22, v22, 1.0
	v_fmac_f32_e32 v21, v23, v21
	v_mul_f32_e32 v28, v19, v17
	v_fma_f32 v29, -v3, v27, v10
	v_add_f32_e32 v32, 1.0, v0
	v_rcp_f32_e32 v24, v25
	v_mul_f32_e32 v31, v20, v21
	v_fma_f32 v30, -v5, v28, v19
	v_fmac_f32_e32 v27, v29, v16
	v_mul_f32_e32 v0, v0, v0
	v_div_scale_f32 v23, null, v26, v26, 1.0
	v_fma_f32 v29, -v18, v31, v20
	v_fmac_f32_e32 v28, v30, v17
	v_fma_f32 v3, -v3, v27, v10
	v_mul_f32_e32 v10, v32, v32
	v_rcp_f32_e32 v30, v23
	v_fmac_f32_e32 v31, v29, v21
	v_fma_f32 v5, -v5, v28, v19
	v_div_fmas_f32 v3, v3, v16, v27
	s_mov_b32 vcc_lo, s0
	v_fma_f32 v33, -v25, v24, 1.0
	v_fma_f32 v16, -v18, v31, v20
	v_div_fmas_f32 v5, v5, v17, v28
	s_mov_b32 vcc_lo, s1
	v_div_scale_f32 v17, null, v0, v0, 1.0
	v_div_fmas_f32 v16, v16, v21, v31
	v_div_scale_f32 v18, null, v10, v10, 1.0
	v_add_f32_e32 v21, v32, v32
	v_rcp_f32_e32 v20, v17
	v_fmac_f32_e32 v24, v33, v24
	v_rcp_f32_e32 v28, v18
	v_div_scale_f32 v19, vcc_lo, 1.0, v22, 1.0
	v_div_scale_f32 v31, null, v21, v21, 1.0
	v_fma_f32 v27, -v23, v30, 1.0
	v_mul_f32_e32 v29, v19, v24
	v_div_fixup_f32 v1, v3, v1, 1.0
	v_rcp_f32_e32 v34, v31
	v_fma_f32 v33, -v17, v20, 1.0
	v_fmac_f32_e32 v30, v27, v30
	v_div_scale_f32 v27, s0, 1.0, v26, 1.0
	v_fma_f32 v36, -v18, v28, 1.0
	v_fma_f32 v35, -v25, v29, v19
	v_fmac_f32_e32 v20, v33, v20
	v_div_scale_f32 v33, s1, 1.0, v0, 1.0
	v_mul_f32_e32 v37, v27, v30
	v_fmac_f32_e32 v28, v36, v28
	v_div_scale_f32 v36, s2, 1.0, v10, 1.0
	v_fma_f32 v38, -v31, v34, 1.0
	v_fmac_f32_e32 v29, v35, v24
	v_mul_f32_e32 v39, v33, v20
	v_fma_f32 v35, -v23, v37, v27
	v_mul_f32_e32 v40, v36, v28
	v_fmac_f32_e32 v34, v38, v34
	v_div_scale_f32 v38, s3, 1.0, v21, 1.0
	v_fma_f32 v19, -v25, v29, v19
	v_fma_f32 v25, -v17, v39, v33
	v_fmac_f32_e32 v37, v35, v30
	v_fma_f32 v35, -v18, v40, v36
	v_mul_f32_e32 v41, v38, v34
	v_div_fmas_f32 v19, v19, v24, v29
	v_fmac_f32_e32 v39, v25, v20
	v_fma_f32 v23, -v23, v37, v27
	v_fmac_f32_e32 v40, v35, v28
	v_fma_f32 v24, -v31, v41, v38
	s_mov_b32 vcc_lo, s0
	v_fma_f32 v17, -v17, v39, v33
	v_div_fmas_f32 v23, v23, v30, v37
	v_fma_f32 v18, -v18, v40, v36
	v_fmac_f32_e32 v41, v24, v34
	s_mov_b32 vcc_lo, s1
	s_mov_b32 s0, 0xbcc30c31
	v_div_fmas_f32 v17, v17, v20, v39
	s_mov_b32 vcc_lo, s2
	v_fma_f32 v20, -v31, v41, v38
	v_div_fmas_f32 v18, v18, v28, v40
	s_mov_b32 vcc_lo, s3
	v_add_f32_e32 v1, v11, v1
	v_div_fixup_f32 v2, v5, v2, 1.0
	v_div_fmas_f32 v20, v20, v34, v41
	v_div_fixup_f32 v10, v18, v10, 1.0
	v_div_fixup_f32 v0, v17, v0, 1.0
	v_add_f32_e32 v1, v1, v2
	v_div_fixup_f32 v18, v20, v21, 1.0
	v_fmaak_f32 v20, s0, v10, 0x3d088889
	v_div_fixup_f32 v2, v16, v15, 1.0
	v_add_f32_e32 v18, 1.0, v18
	v_fma_f32 v20, -v10, v20, 0x3e2aaaab
	v_add_f32_e32 v1, v1, v2
	v_div_fixup_f32 v2, v19, v22, 1.0
	v_fmac_f32_e32 v18, v10, v20
	v_add_f32_e32 v1, v1, v2
	v_div_fixup_f32 v2, v23, v26, 1.0
	v_div_scale_f32 v10, null, v32, v32, v18
	v_add_f32_e32 v1, v1, v2
	v_rcp_f32_e32 v20, v10
	v_add_f32_e32 v0, v1, v0
	v_fma_f32 v3, -v10, v20, 1.0
	v_fmac_f32_e32 v20, v3, v20
	v_div_scale_f32 v3, vcc_lo, v18, v32, v18
	v_mul_f32_e32 v5, v3, v20
	v_fma_f32 v11, -v10, v5, v3
	v_fmac_f32_e32 v5, v11, v20
	v_fma_f32 v3, -v10, v5, v3
	v_div_fmas_f32 v2, v3, v20, v5
	v_div_fixup_f32 v1, v2, v32, v18
	v_add_f32_e32 v0, v0, v1
	v_ashrrev_i32_e32 v1, 31, v4
	v_mul_f32_e32 v2, v8, v0
	v_add_co_u32 v0, vcc_lo, s8, v4
	v_add_co_ci_u32_e64 v1, null, s9, v1, vcc_lo
	s_cbranch_scc1 .LBB56_1793
; %bb.1716:
	s_and_b32 s1, 0xffff, s15
	s_mov_b32 s6, -1
	s_mov_b32 s2, 0
	s_cmp_gt_i32 s1, 25
	s_mov_b32 s3, 0
	s_mov_b32 s0, 0
	s_cbranch_scc0 .LBB56_1749
; %bb.1717:
	s_cmp_gt_i32 s1, 28
	s_cbranch_scc0 .LBB56_1732
; %bb.1718:
	s_cmp_gt_i32 s1, 43
	;; [unrolled: 3-line block ×3, first 2 shown]
	s_cbranch_scc0 .LBB56_1722
; %bb.1720:
	s_mov_b32 s0, -1
	s_mov_b32 s6, 0
	s_cmp_eq_u32 s1, 46
	s_cbranch_scc0 .LBB56_1722
; %bb.1721:
	v_bfe_u32 v3, v2, 16, 1
	v_cmp_o_f32_e32 vcc_lo, v2, v2
	v_mov_b32_e32 v5, 0x7fc0
	s_mov_b32 s0, 0
	s_mov_b32 s3, -1
	v_add3_u32 v3, v2, v3, 0x7fff
	v_cndmask_b32_sdwa v3, v5, v3, vcc_lo dst_sel:DWORD dst_unused:UNUSED_PAD src0_sel:DWORD src1_sel:WORD_1
	global_store_dword v[0:1], v3, off
.LBB56_1722:
	s_and_b32 vcc_lo, exec_lo, s6
	s_cbranch_vccz .LBB56_1727
; %bb.1723:
	s_cmp_eq_u32 s1, 44
	s_mov_b32 s0, -1
	s_cbranch_scc0 .LBB56_1727
; %bb.1724:
	v_bfe_u32 v5, v2, 23, 8
	v_mov_b32_e32 v3, 0xff
	s_mov_b32 s3, exec_lo
	v_cmpx_ne_u32_e32 0xff, v5
	s_cbranch_execz .LBB56_1726
; %bb.1725:
	v_and_b32_e32 v3, 0x400000, v2
	v_and_or_b32 v5, 0x3fffff, v2, v5
	v_cmp_ne_u32_e32 vcc_lo, 0, v3
	v_cmp_ne_u32_e64 s0, 0, v5
	v_lshrrev_b32_e32 v3, 23, v2
	s_and_b32 s0, vcc_lo, s0
	v_cndmask_b32_e64 v5, 0, 1, s0
	v_add_nc_u32_e32 v3, v3, v5
.LBB56_1726:
	s_or_b32 exec_lo, exec_lo, s3
	s_mov_b32 s0, 0
	s_mov_b32 s3, -1
	global_store_byte v[0:1], v3, off
.LBB56_1727:
	s_mov_b32 s6, 0
.LBB56_1728:
	s_and_b32 vcc_lo, exec_lo, s6
	s_cbranch_vccz .LBB56_1731
; %bb.1729:
	s_cmp_eq_u32 s1, 29
	s_mov_b32 s0, -1
	s_cbranch_scc0 .LBB56_1731
; %bb.1730:
	v_trunc_f32_e32 v3, v2
	s_mov_b32 s0, 0
	s_mov_b32 s3, -1
	v_mul_f32_e32 v5, 0x2f800000, v3
	v_floor_f32_e32 v5, v5
	v_fmamk_f32 v3, v5, 0xcf800000, v3
	v_cvt_u32_f32_e32 v11, v5
	v_cvt_u32_f32_e32 v10, v3
	global_store_dwordx2 v[0:1], v[10:11], off
.LBB56_1731:
	s_mov_b32 s6, 0
.LBB56_1732:
	s_and_b32 vcc_lo, exec_lo, s6
	s_cbranch_vccz .LBB56_1748
; %bb.1733:
	s_cmp_lt_i32 s1, 27
	s_mov_b32 s3, -1
	s_cbranch_scc1 .LBB56_1739
; %bb.1734:
	v_cvt_u32_f32_e32 v3, v2
	s_cmp_gt_i32 s1, 27
	s_cbranch_scc0 .LBB56_1736
; %bb.1735:
	s_mov_b32 s3, 0
	global_store_dword v[0:1], v3, off
.LBB56_1736:
	s_andn2_b32 vcc_lo, exec_lo, s3
	s_cbranch_vccnz .LBB56_1738
; %bb.1737:
	global_store_short v[0:1], v3, off
.LBB56_1738:
	s_mov_b32 s3, 0
.LBB56_1739:
	s_andn2_b32 vcc_lo, exec_lo, s3
	s_cbranch_vccnz .LBB56_1747
; %bb.1740:
	v_and_b32_e32 v3, 0x7fffffff, v2
	v_mov_b32_e32 v5, 0x80
	s_mov_b32 s3, exec_lo
	v_cmpx_gt_u32_e32 0x43800000, v3
	s_cbranch_execz .LBB56_1746
; %bb.1741:
	v_cmp_lt_u32_e32 vcc_lo, 0x3bffffff, v3
	s_mov_b32 s6, 0
                                        ; implicit-def: $vgpr3
	s_and_saveexec_b32 s10, vcc_lo
	s_xor_b32 s10, exec_lo, s10
	s_cbranch_execz .LBB56_2081
; %bb.1742:
	v_bfe_u32 v3, v2, 20, 1
	s_mov_b32 s6, exec_lo
	v_add3_u32 v3, v2, v3, 0x487ffff
	v_lshrrev_b32_e32 v3, 20, v3
	s_andn2_saveexec_b32 s10, s10
	s_cbranch_execnz .LBB56_2082
.LBB56_1743:
	s_or_b32 exec_lo, exec_lo, s10
	v_mov_b32_e32 v5, 0
	s_and_saveexec_b32 s10, s6
.LBB56_1744:
	v_lshrrev_b32_e32 v5, 24, v2
	v_and_or_b32 v5, 0x80, v5, v3
.LBB56_1745:
	s_or_b32 exec_lo, exec_lo, s10
.LBB56_1746:
	s_or_b32 exec_lo, exec_lo, s3
	global_store_byte v[0:1], v5, off
.LBB56_1747:
	s_mov_b32 s3, -1
.LBB56_1748:
	s_mov_b32 s6, 0
.LBB56_1749:
	s_and_b32 vcc_lo, exec_lo, s6
	s_cbranch_vccz .LBB56_1789
; %bb.1750:
	s_cmp_gt_i32 s1, 22
	s_mov_b32 s2, -1
	s_cbranch_scc0 .LBB56_1782
; %bb.1751:
	s_cmp_lt_i32 s1, 24
	s_cbranch_scc1 .LBB56_1771
; %bb.1752:
	s_cmp_gt_i32 s1, 24
	s_cbranch_scc0 .LBB56_1760
; %bb.1753:
	v_and_b32_e32 v3, 0x7fffffff, v2
	v_mov_b32_e32 v5, 0x80
	s_mov_b32 s2, exec_lo
	v_cmpx_gt_u32_e32 0x47800000, v3
	s_cbranch_execz .LBB56_1759
; %bb.1754:
	v_cmp_lt_u32_e32 vcc_lo, 0x37ffffff, v3
	s_mov_b32 s3, 0
                                        ; implicit-def: $vgpr3
	s_and_saveexec_b32 s6, vcc_lo
	s_xor_b32 s6, exec_lo, s6
	s_cbranch_execz .LBB56_2084
; %bb.1755:
	v_bfe_u32 v3, v2, 21, 1
	s_mov_b32 s3, exec_lo
	v_add3_u32 v3, v2, v3, 0x88fffff
	v_lshrrev_b32_e32 v3, 21, v3
	s_andn2_saveexec_b32 s6, s6
	s_cbranch_execnz .LBB56_2085
.LBB56_1756:
	s_or_b32 exec_lo, exec_lo, s6
	v_mov_b32_e32 v5, 0
	s_and_saveexec_b32 s6, s3
.LBB56_1757:
	v_lshrrev_b32_e32 v5, 24, v2
	v_and_or_b32 v5, 0x80, v5, v3
.LBB56_1758:
	s_or_b32 exec_lo, exec_lo, s6
.LBB56_1759:
	s_or_b32 exec_lo, exec_lo, s2
	s_mov_b32 s2, 0
	global_store_byte v[0:1], v5, off
.LBB56_1760:
	s_and_b32 vcc_lo, exec_lo, s2
	s_cbranch_vccz .LBB56_1770
; %bb.1761:
	v_and_b32_e32 v5, 0x7fffffff, v2
	s_mov_b32 s2, exec_lo
                                        ; implicit-def: $vgpr3
	v_cmpx_gt_u32_e32 0x43f00000, v5
	s_xor_b32 s2, exec_lo, s2
	s_cbranch_execz .LBB56_1767
; %bb.1762:
	s_mov_b32 s3, exec_lo
                                        ; implicit-def: $vgpr3
	v_cmpx_lt_u32_e32 0x3c7fffff, v5
	s_xor_b32 s3, exec_lo, s3
; %bb.1763:
	v_bfe_u32 v3, v2, 20, 1
	v_add3_u32 v3, v2, v3, 0x407ffff
	v_and_b32_e32 v5, 0xff00000, v3
	v_lshrrev_b32_e32 v3, 20, v3
	v_cmp_ne_u32_e32 vcc_lo, 0x7f00000, v5
	v_cndmask_b32_e32 v3, 0x7e, v3, vcc_lo
; %bb.1764:
	s_andn2_saveexec_b32 s3, s3
; %bb.1765:
	v_add_f32_e64 v3, 0x46800000, |v2|
; %bb.1766:
	s_or_b32 exec_lo, exec_lo, s3
                                        ; implicit-def: $vgpr5
.LBB56_1767:
	s_andn2_saveexec_b32 s2, s2
; %bb.1768:
	v_mov_b32_e32 v3, 0x7f
	v_cmp_lt_u32_e32 vcc_lo, 0x7f800000, v5
	v_cndmask_b32_e32 v3, 0x7e, v3, vcc_lo
; %bb.1769:
	s_or_b32 exec_lo, exec_lo, s2
	v_lshrrev_b32_e32 v5, 24, v2
	v_and_or_b32 v3, 0x80, v5, v3
	global_store_byte v[0:1], v3, off
.LBB56_1770:
	s_mov_b32 s2, 0
.LBB56_1771:
	s_andn2_b32 vcc_lo, exec_lo, s2
	s_cbranch_vccnz .LBB56_1781
; %bb.1772:
	v_and_b32_e32 v5, 0x7fffffff, v2
	s_mov_b32 s2, exec_lo
                                        ; implicit-def: $vgpr3
	v_cmpx_gt_u32_e32 0x47800000, v5
	s_xor_b32 s2, exec_lo, s2
	s_cbranch_execz .LBB56_1778
; %bb.1773:
	s_mov_b32 s3, exec_lo
                                        ; implicit-def: $vgpr3
	v_cmpx_lt_u32_e32 0x387fffff, v5
	s_xor_b32 s3, exec_lo, s3
; %bb.1774:
	v_bfe_u32 v3, v2, 21, 1
	v_add3_u32 v3, v2, v3, 0x80fffff
	v_lshrrev_b32_e32 v3, 21, v3
; %bb.1775:
	s_andn2_saveexec_b32 s3, s3
; %bb.1776:
	v_add_f32_e64 v3, 0x43000000, |v2|
; %bb.1777:
	s_or_b32 exec_lo, exec_lo, s3
                                        ; implicit-def: $vgpr5
.LBB56_1778:
	s_andn2_saveexec_b32 s2, s2
; %bb.1779:
	v_mov_b32_e32 v3, 0x7f
	v_cmp_lt_u32_e32 vcc_lo, 0x7f800000, v5
	v_cndmask_b32_e32 v3, 0x7c, v3, vcc_lo
; %bb.1780:
	s_or_b32 exec_lo, exec_lo, s2
	v_lshrrev_b32_e32 v5, 24, v2
	v_and_or_b32 v3, 0x80, v5, v3
	global_store_byte v[0:1], v3, off
.LBB56_1781:
	s_mov_b32 s2, 0
	s_mov_b32 s3, -1
.LBB56_1782:
	s_andn2_b32 vcc_lo, exec_lo, s2
	s_mov_b32 s2, 0
	s_cbranch_vccnz .LBB56_1789
; %bb.1783:
	s_cmp_gt_i32 s1, 14
	s_mov_b32 s2, -1
	s_cbranch_scc0 .LBB56_1787
; %bb.1784:
	s_cmp_eq_u32 s1, 15
	s_mov_b32 s0, -1
	s_cbranch_scc0 .LBB56_1786
; %bb.1785:
	v_bfe_u32 v3, v2, 16, 1
	v_cmp_o_f32_e32 vcc_lo, v2, v2
	v_mov_b32_e32 v5, 0x7fc0
	s_mov_b32 s0, 0
	s_mov_b32 s3, -1
	v_add3_u32 v3, v2, v3, 0x7fff
	v_cndmask_b32_sdwa v3, v5, v3, vcc_lo dst_sel:DWORD dst_unused:UNUSED_PAD src0_sel:DWORD src1_sel:WORD_1
	global_store_short v[0:1], v3, off
.LBB56_1786:
	s_mov_b32 s2, 0
.LBB56_1787:
	s_and_b32 vcc_lo, exec_lo, s2
	s_mov_b32 s2, 0
	s_cbranch_vccz .LBB56_1789
; %bb.1788:
	s_cmp_lg_u32 s1, 11
	s_mov_b32 s2, -1
	s_cselect_b32 s0, -1, 0
.LBB56_1789:
	s_and_b32 vcc_lo, exec_lo, s0
	s_cbranch_vccnz .LBB56_2083
; %bb.1790:
	s_andn2_b32 vcc_lo, exec_lo, s2
	s_cbranch_vccnz .LBB56_1792
.LBB56_1791:
	v_cmp_neq_f32_e32 vcc_lo, 0, v2
	s_mov_b32 s3, -1
	v_cndmask_b32_e64 v3, 0, 1, vcc_lo
	global_store_byte v[0:1], v3, off
.LBB56_1792:
	s_mov_b32 s0, 0
	s_branch .LBB56_1794
.LBB56_1793:
	s_mov_b32 s0, -1
	s_mov_b32 s3, 0
.LBB56_1794:
	s_and_b32 vcc_lo, exec_lo, s0
	s_cbranch_vccz .LBB56_1833
; %bb.1795:
	s_and_b32 s0, 0xffff, s15
	s_mov_b32 s1, -1
	s_cmp_lt_i32 s0, 5
	s_cbranch_scc1 .LBB56_1816
; %bb.1796:
	s_cmp_lt_i32 s0, 8
	s_cbranch_scc1 .LBB56_1806
; %bb.1797:
	;; [unrolled: 3-line block ×3, first 2 shown]
	s_cmp_gt_i32 s0, 9
	s_cbranch_scc0 .LBB56_1800
; %bb.1799:
	v_cvt_f64_f32_e32 v[15:16], v2
	v_mov_b32_e32 v17, 0
	s_mov_b32 s1, 0
	v_mov_b32_e32 v18, v17
	global_store_dwordx4 v[0:1], v[15:18], off
.LBB56_1800:
	s_andn2_b32 vcc_lo, exec_lo, s1
	s_cbranch_vccnz .LBB56_1802
; %bb.1801:
	v_mov_b32_e32 v3, 0
	global_store_dwordx2 v[0:1], v[2:3], off
.LBB56_1802:
	s_mov_b32 s1, 0
.LBB56_1803:
	s_andn2_b32 vcc_lo, exec_lo, s1
	s_cbranch_vccnz .LBB56_1805
; %bb.1804:
	v_cvt_f16_f32_e32 v3, v2
	v_and_b32_e32 v3, 0xffff, v3
	global_store_dword v[0:1], v3, off
.LBB56_1805:
	s_mov_b32 s1, 0
.LBB56_1806:
	s_andn2_b32 vcc_lo, exec_lo, s1
	s_cbranch_vccnz .LBB56_1815
; %bb.1807:
	s_cmp_lt_i32 s0, 6
	s_mov_b32 s1, -1
	s_cbranch_scc1 .LBB56_1813
; %bb.1808:
	s_cmp_gt_i32 s0, 6
	s_cbranch_scc0 .LBB56_1810
; %bb.1809:
	v_cvt_f64_f32_e32 v[10:11], v2
	s_mov_b32 s1, 0
	global_store_dwordx2 v[0:1], v[10:11], off
.LBB56_1810:
	s_andn2_b32 vcc_lo, exec_lo, s1
	s_cbranch_vccnz .LBB56_1812
; %bb.1811:
	global_store_dword v[0:1], v2, off
.LBB56_1812:
	s_mov_b32 s1, 0
.LBB56_1813:
	s_andn2_b32 vcc_lo, exec_lo, s1
	s_cbranch_vccnz .LBB56_1815
; %bb.1814:
	v_cvt_f16_f32_e32 v3, v2
	global_store_short v[0:1], v3, off
.LBB56_1815:
	s_mov_b32 s1, 0
.LBB56_1816:
	s_andn2_b32 vcc_lo, exec_lo, s1
	s_cbranch_vccnz .LBB56_1832
; %bb.1817:
	s_cmp_lt_i32 s0, 2
	s_mov_b32 s1, -1
	s_cbranch_scc1 .LBB56_1827
; %bb.1818:
	s_cmp_lt_i32 s0, 3
	s_cbranch_scc1 .LBB56_1824
; %bb.1819:
	s_cmp_gt_i32 s0, 3
	s_cbranch_scc0 .LBB56_1821
; %bb.1820:
	v_trunc_f32_e32 v3, v2
	s_mov_b32 s1, 0
	v_mul_f32_e64 v5, 0x2f800000, |v3|
	v_floor_f32_e32 v5, v5
	v_fma_f32 v8, 0xcf800000, v5, |v3|
	v_ashrrev_i32_e32 v3, 31, v3
	v_cvt_u32_f32_e32 v5, v5
	v_cvt_u32_f32_e32 v8, v8
	v_xor_b32_e32 v5, v5, v3
	v_xor_b32_e32 v8, v8, v3
	v_sub_co_u32 v10, vcc_lo, v8, v3
	v_sub_co_ci_u32_e64 v11, null, v5, v3, vcc_lo
	global_store_dwordx2 v[0:1], v[10:11], off
.LBB56_1821:
	s_andn2_b32 vcc_lo, exec_lo, s1
	s_cbranch_vccnz .LBB56_1823
; %bb.1822:
	v_cvt_i32_f32_e32 v3, v2
	global_store_dword v[0:1], v3, off
.LBB56_1823:
	s_mov_b32 s1, 0
.LBB56_1824:
	s_andn2_b32 vcc_lo, exec_lo, s1
	s_cbranch_vccnz .LBB56_1826
; %bb.1825:
	v_cvt_i32_f32_e32 v3, v2
	global_store_short v[0:1], v3, off
.LBB56_1826:
	s_mov_b32 s1, 0
.LBB56_1827:
	s_andn2_b32 vcc_lo, exec_lo, s1
	s_cbranch_vccnz .LBB56_1832
; %bb.1828:
	s_cmp_gt_i32 s0, 0
	s_mov_b32 s0, -1
	s_cbranch_scc0 .LBB56_1830
; %bb.1829:
	v_cvt_i32_f32_e32 v3, v2
	s_mov_b32 s0, 0
	global_store_byte v[0:1], v3, off
.LBB56_1830:
	s_andn2_b32 vcc_lo, exec_lo, s0
	s_cbranch_vccnz .LBB56_1832
; %bb.1831:
	v_trunc_f32_e32 v2, v2
	v_mul_f32_e64 v3, 0x2f800000, |v2|
	v_floor_f32_e32 v3, v3
	v_fma_f32 v3, 0xcf800000, v3, |v2|
	v_ashrrev_i32_e32 v2, 31, v2
	v_cvt_u32_f32_e32 v3, v3
	v_xor_b32_e32 v3, v3, v2
	v_sub_nc_u32_e32 v2, v3, v2
	global_store_byte v[0:1], v2, off
.LBB56_1832:
	s_mov_b32 s3, -1
.LBB56_1833:
	s_andn2_b32 vcc_lo, exec_lo, s3
	s_cbranch_vccnz .LBB56_2029
; %bb.1834:
	v_add_f32_e32 v0, 1.0, v6
	v_mul_f32_e32 v1, v6, v6
	v_add_nc_u32_e32 v4, s4, v4
	s_cmp_lt_i32 s15, 11
	v_mul_f32_e32 v2, v0, v0
	v_add_f32_e32 v0, 1.0, v0
	v_div_scale_f32 v3, null, v1, v1, 1.0
	v_div_scale_f32 v6, vcc_lo, 1.0, v1, 1.0
	v_mul_f32_e32 v8, v0, v0
	v_div_scale_f32 v5, null, v2, v2, 1.0
	v_rcp_f32_e32 v10, v3
	v_div_scale_f32 v16, s0, 1.0, v2, 1.0
	v_div_scale_f32 v15, null, v8, v8, 1.0
	v_rcp_f32_e32 v11, v5
	v_add_f32_e32 v0, 1.0, v0
	v_div_scale_f32 v17, s1, 1.0, v8, 1.0
	v_rcp_f32_e32 v18, v15
	v_fma_f32 v20, -v3, v10, 1.0
	v_mul_f32_e32 v19, v0, v0
	v_add_f32_e32 v0, 1.0, v0
	v_fma_f32 v21, -v5, v11, 1.0
	v_fmac_f32_e32 v10, v20, v10
	v_mul_f32_e32 v23, v0, v0
	v_add_f32_e32 v0, 1.0, v0
	v_fma_f32 v20, -v15, v18, 1.0
	v_fmac_f32_e32 v11, v21, v11
	v_mul_f32_e32 v24, v6, v10
	v_div_scale_f32 v22, null, v19, v19, 1.0
	v_fmac_f32_e32 v18, v20, v18
	v_mul_f32_e32 v25, v16, v11
	v_fma_f32 v26, -v3, v24, v6
	v_add_f32_e32 v29, 1.0, v0
	v_rcp_f32_e32 v21, v22
	v_mul_f32_e32 v28, v17, v18
	v_fma_f32 v27, -v5, v25, v16
	v_fmac_f32_e32 v24, v26, v10
	v_mul_f32_e32 v0, v0, v0
	v_div_scale_f32 v20, null, v23, v23, 1.0
	v_fma_f32 v26, -v15, v28, v17
	v_fmac_f32_e32 v25, v27, v11
	v_fma_f32 v3, -v3, v24, v6
	v_mul_f32_e32 v6, v29, v29
	v_rcp_f32_e32 v27, v20
	v_fmac_f32_e32 v28, v26, v18
	v_fma_f32 v5, -v5, v25, v16
	v_div_fmas_f32 v3, v3, v10, v24
	s_mov_b32 vcc_lo, s0
	v_fma_f32 v30, -v22, v21, 1.0
	v_fma_f32 v10, -v15, v28, v17
	v_div_fmas_f32 v5, v5, v11, v25
	s_mov_b32 vcc_lo, s1
	v_div_scale_f32 v11, null, v0, v0, 1.0
	v_div_fmas_f32 v10, v10, v18, v28
	v_div_scale_f32 v15, null, v6, v6, 1.0
	v_add_f32_e32 v18, v29, v29
	v_rcp_f32_e32 v17, v11
	v_fmac_f32_e32 v21, v30, v21
	v_rcp_f32_e32 v25, v15
	v_div_scale_f32 v16, vcc_lo, 1.0, v19, 1.0
	v_div_scale_f32 v28, null, v18, v18, 1.0
	v_fma_f32 v24, -v20, v27, 1.0
	v_mul_f32_e32 v26, v16, v21
	v_div_fixup_f32 v1, v3, v1, 1.0
	v_rcp_f32_e32 v31, v28
	v_fma_f32 v30, -v11, v17, 1.0
	v_fmac_f32_e32 v27, v24, v27
	v_div_scale_f32 v24, s0, 1.0, v23, 1.0
	v_fma_f32 v33, -v15, v25, 1.0
	v_fma_f32 v32, -v22, v26, v16
	v_fmac_f32_e32 v17, v30, v17
	v_div_scale_f32 v30, s1, 1.0, v0, 1.0
	v_mul_f32_e32 v34, v24, v27
	v_fmac_f32_e32 v25, v33, v25
	v_div_scale_f32 v33, s2, 1.0, v6, 1.0
	v_fma_f32 v35, -v28, v31, 1.0
	v_fmac_f32_e32 v26, v32, v21
	v_mul_f32_e32 v36, v30, v17
	v_fma_f32 v32, -v20, v34, v24
	v_mul_f32_e32 v37, v33, v25
	v_fmac_f32_e32 v31, v35, v31
	v_div_scale_f32 v35, s3, 1.0, v18, 1.0
	v_fma_f32 v16, -v22, v26, v16
	v_fma_f32 v22, -v11, v36, v30
	v_fmac_f32_e32 v34, v32, v27
	v_fma_f32 v32, -v15, v37, v33
	v_mul_f32_e32 v38, v35, v31
	v_div_fmas_f32 v16, v16, v21, v26
	v_fmac_f32_e32 v36, v22, v17
	v_fma_f32 v20, -v20, v34, v24
	v_fmac_f32_e32 v37, v32, v25
	v_fma_f32 v21, -v28, v38, v35
	s_mov_b32 vcc_lo, s0
	v_fma_f32 v11, -v11, v36, v30
	v_div_fmas_f32 v20, v20, v27, v34
	v_fma_f32 v15, -v15, v37, v33
	v_fmac_f32_e32 v38, v21, v31
	s_mov_b32 vcc_lo, s1
	s_mov_b32 s0, 0xbcc30c31
	v_div_fmas_f32 v11, v11, v17, v36
	s_mov_b32 vcc_lo, s2
	v_fma_f32 v17, -v28, v38, v35
	v_div_fmas_f32 v15, v15, v25, v37
	s_mov_b32 vcc_lo, s3
	v_add_f32_e32 v1, v13, v1
	v_div_fixup_f32 v2, v5, v2, 1.0
	v_div_fmas_f32 v17, v17, v31, v38
	v_div_fixup_f32 v6, v15, v6, 1.0
	v_div_fixup_f32 v0, v11, v0, 1.0
	v_add_f32_e32 v1, v1, v2
	v_div_fixup_f32 v15, v17, v18, 1.0
	v_fmaak_f32 v17, s0, v6, 0x3d088889
	v_div_fixup_f32 v2, v10, v8, 1.0
	v_add_f32_e32 v15, 1.0, v15
	v_fma_f32 v17, -v6, v17, 0x3e2aaaab
	v_add_f32_e32 v1, v1, v2
	v_div_fixup_f32 v2, v16, v19, 1.0
	v_fmac_f32_e32 v15, v6, v17
	v_add_f32_e32 v1, v1, v2
	v_div_fixup_f32 v2, v20, v23, 1.0
	v_div_scale_f32 v6, null, v29, v29, v15
	v_add_f32_e32 v1, v1, v2
	v_rcp_f32_e32 v17, v6
	v_add_f32_e32 v0, v1, v0
	v_fma_f32 v3, -v6, v17, 1.0
	v_fmac_f32_e32 v17, v3, v17
	v_div_scale_f32 v3, vcc_lo, v15, v29, v15
	v_mul_f32_e32 v5, v3, v17
	v_fma_f32 v8, -v6, v5, v3
	v_fmac_f32_e32 v5, v8, v17
	v_fma_f32 v3, -v6, v5, v3
	v_div_fmas_f32 v2, v3, v17, v5
	v_div_fixup_f32 v1, v2, v29, v15
	v_add_f32_e32 v0, v0, v1
	v_ashrrev_i32_e32 v1, 31, v4
	v_mul_f32_e32 v2, v9, v0
	v_add_co_u32 v0, vcc_lo, s8, v4
	v_add_co_ci_u32_e64 v1, null, s9, v1, vcc_lo
	s_cbranch_scc1 .LBB56_1912
; %bb.1835:
	s_and_b32 s1, 0xffff, s15
	s_mov_b32 s6, -1
	s_mov_b32 s2, 0
	s_cmp_gt_i32 s1, 25
	s_mov_b32 s3, 0
	s_mov_b32 s0, 0
	s_cbranch_scc0 .LBB56_1868
; %bb.1836:
	s_cmp_gt_i32 s1, 28
	s_cbranch_scc0 .LBB56_1851
; %bb.1837:
	s_cmp_gt_i32 s1, 43
	;; [unrolled: 3-line block ×3, first 2 shown]
	s_cbranch_scc0 .LBB56_1841
; %bb.1839:
	s_mov_b32 s0, -1
	s_mov_b32 s6, 0
	s_cmp_eq_u32 s1, 46
	s_cbranch_scc0 .LBB56_1841
; %bb.1840:
	v_bfe_u32 v3, v2, 16, 1
	v_cmp_o_f32_e32 vcc_lo, v2, v2
	v_mov_b32_e32 v5, 0x7fc0
	s_mov_b32 s0, 0
	s_mov_b32 s3, -1
	v_add3_u32 v3, v2, v3, 0x7fff
	v_cndmask_b32_sdwa v3, v5, v3, vcc_lo dst_sel:DWORD dst_unused:UNUSED_PAD src0_sel:DWORD src1_sel:WORD_1
	global_store_dword v[0:1], v3, off
.LBB56_1841:
	s_and_b32 vcc_lo, exec_lo, s6
	s_cbranch_vccz .LBB56_1846
; %bb.1842:
	s_cmp_eq_u32 s1, 44
	s_mov_b32 s0, -1
	s_cbranch_scc0 .LBB56_1846
; %bb.1843:
	v_bfe_u32 v5, v2, 23, 8
	v_mov_b32_e32 v3, 0xff
	s_mov_b32 s3, exec_lo
	v_cmpx_ne_u32_e32 0xff, v5
	s_cbranch_execz .LBB56_1845
; %bb.1844:
	v_and_b32_e32 v3, 0x400000, v2
	v_and_or_b32 v5, 0x3fffff, v2, v5
	v_cmp_ne_u32_e32 vcc_lo, 0, v3
	v_cmp_ne_u32_e64 s0, 0, v5
	v_lshrrev_b32_e32 v3, 23, v2
	s_and_b32 s0, vcc_lo, s0
	v_cndmask_b32_e64 v5, 0, 1, s0
	v_add_nc_u32_e32 v3, v3, v5
.LBB56_1845:
	s_or_b32 exec_lo, exec_lo, s3
	s_mov_b32 s0, 0
	s_mov_b32 s3, -1
	global_store_byte v[0:1], v3, off
.LBB56_1846:
	s_mov_b32 s6, 0
.LBB56_1847:
	s_and_b32 vcc_lo, exec_lo, s6
	s_cbranch_vccz .LBB56_1850
; %bb.1848:
	s_cmp_eq_u32 s1, 29
	s_mov_b32 s0, -1
	s_cbranch_scc0 .LBB56_1850
; %bb.1849:
	v_trunc_f32_e32 v3, v2
	s_mov_b32 s0, 0
	s_mov_b32 s3, -1
	v_mul_f32_e32 v5, 0x2f800000, v3
	v_floor_f32_e32 v5, v5
	v_fmamk_f32 v3, v5, 0xcf800000, v3
	v_cvt_u32_f32_e32 v6, v5
	v_cvt_u32_f32_e32 v5, v3
	global_store_dwordx2 v[0:1], v[5:6], off
.LBB56_1850:
	s_mov_b32 s6, 0
.LBB56_1851:
	s_and_b32 vcc_lo, exec_lo, s6
	s_cbranch_vccz .LBB56_1867
; %bb.1852:
	s_cmp_lt_i32 s1, 27
	s_mov_b32 s3, -1
	s_cbranch_scc1 .LBB56_1858
; %bb.1853:
	v_cvt_u32_f32_e32 v3, v2
	s_cmp_gt_i32 s1, 27
	s_cbranch_scc0 .LBB56_1855
; %bb.1854:
	s_mov_b32 s3, 0
	global_store_dword v[0:1], v3, off
.LBB56_1855:
	s_andn2_b32 vcc_lo, exec_lo, s3
	s_cbranch_vccnz .LBB56_1857
; %bb.1856:
	global_store_short v[0:1], v3, off
.LBB56_1857:
	s_mov_b32 s3, 0
.LBB56_1858:
	s_andn2_b32 vcc_lo, exec_lo, s3
	s_cbranch_vccnz .LBB56_1866
; %bb.1859:
	v_and_b32_e32 v3, 0x7fffffff, v2
	v_mov_b32_e32 v5, 0x80
	s_mov_b32 s3, exec_lo
	v_cmpx_gt_u32_e32 0x43800000, v3
	s_cbranch_execz .LBB56_1865
; %bb.1860:
	v_cmp_lt_u32_e32 vcc_lo, 0x3bffffff, v3
	s_mov_b32 s6, 0
                                        ; implicit-def: $vgpr3
	s_and_saveexec_b32 s10, vcc_lo
	s_xor_b32 s10, exec_lo, s10
	s_cbranch_execz .LBB56_2086
; %bb.1861:
	v_bfe_u32 v3, v2, 20, 1
	s_mov_b32 s6, exec_lo
	v_add3_u32 v3, v2, v3, 0x487ffff
	v_lshrrev_b32_e32 v3, 20, v3
	s_andn2_saveexec_b32 s10, s10
	s_cbranch_execnz .LBB56_2087
.LBB56_1862:
	s_or_b32 exec_lo, exec_lo, s10
	v_mov_b32_e32 v5, 0
	s_and_saveexec_b32 s10, s6
.LBB56_1863:
	v_lshrrev_b32_e32 v5, 24, v2
	v_and_or_b32 v5, 0x80, v5, v3
.LBB56_1864:
	s_or_b32 exec_lo, exec_lo, s10
.LBB56_1865:
	s_or_b32 exec_lo, exec_lo, s3
	global_store_byte v[0:1], v5, off
.LBB56_1866:
	s_mov_b32 s3, -1
.LBB56_1867:
	s_mov_b32 s6, 0
.LBB56_1868:
	s_and_b32 vcc_lo, exec_lo, s6
	s_cbranch_vccz .LBB56_1908
; %bb.1869:
	s_cmp_gt_i32 s1, 22
	s_mov_b32 s2, -1
	s_cbranch_scc0 .LBB56_1901
; %bb.1870:
	s_cmp_lt_i32 s1, 24
	s_cbranch_scc1 .LBB56_1890
; %bb.1871:
	s_cmp_gt_i32 s1, 24
	s_cbranch_scc0 .LBB56_1879
; %bb.1872:
	v_and_b32_e32 v3, 0x7fffffff, v2
	v_mov_b32_e32 v5, 0x80
	s_mov_b32 s2, exec_lo
	v_cmpx_gt_u32_e32 0x47800000, v3
	s_cbranch_execz .LBB56_1878
; %bb.1873:
	v_cmp_lt_u32_e32 vcc_lo, 0x37ffffff, v3
	s_mov_b32 s3, 0
                                        ; implicit-def: $vgpr3
	s_and_saveexec_b32 s6, vcc_lo
	s_xor_b32 s6, exec_lo, s6
	s_cbranch_execz .LBB56_2089
; %bb.1874:
	v_bfe_u32 v3, v2, 21, 1
	s_mov_b32 s3, exec_lo
	v_add3_u32 v3, v2, v3, 0x88fffff
	v_lshrrev_b32_e32 v3, 21, v3
	s_andn2_saveexec_b32 s6, s6
	s_cbranch_execnz .LBB56_2090
.LBB56_1875:
	s_or_b32 exec_lo, exec_lo, s6
	v_mov_b32_e32 v5, 0
	s_and_saveexec_b32 s6, s3
.LBB56_1876:
	v_lshrrev_b32_e32 v5, 24, v2
	v_and_or_b32 v5, 0x80, v5, v3
.LBB56_1877:
	s_or_b32 exec_lo, exec_lo, s6
.LBB56_1878:
	s_or_b32 exec_lo, exec_lo, s2
	s_mov_b32 s2, 0
	global_store_byte v[0:1], v5, off
.LBB56_1879:
	s_and_b32 vcc_lo, exec_lo, s2
	s_cbranch_vccz .LBB56_1889
; %bb.1880:
	v_and_b32_e32 v5, 0x7fffffff, v2
	s_mov_b32 s2, exec_lo
                                        ; implicit-def: $vgpr3
	v_cmpx_gt_u32_e32 0x43f00000, v5
	s_xor_b32 s2, exec_lo, s2
	s_cbranch_execz .LBB56_1886
; %bb.1881:
	s_mov_b32 s3, exec_lo
                                        ; implicit-def: $vgpr3
	v_cmpx_lt_u32_e32 0x3c7fffff, v5
	s_xor_b32 s3, exec_lo, s3
; %bb.1882:
	v_bfe_u32 v3, v2, 20, 1
	v_add3_u32 v3, v2, v3, 0x407ffff
	v_and_b32_e32 v5, 0xff00000, v3
	v_lshrrev_b32_e32 v3, 20, v3
	v_cmp_ne_u32_e32 vcc_lo, 0x7f00000, v5
	v_cndmask_b32_e32 v3, 0x7e, v3, vcc_lo
; %bb.1883:
	s_andn2_saveexec_b32 s3, s3
; %bb.1884:
	v_add_f32_e64 v3, 0x46800000, |v2|
; %bb.1885:
	s_or_b32 exec_lo, exec_lo, s3
                                        ; implicit-def: $vgpr5
.LBB56_1886:
	s_andn2_saveexec_b32 s2, s2
; %bb.1887:
	v_mov_b32_e32 v3, 0x7f
	v_cmp_lt_u32_e32 vcc_lo, 0x7f800000, v5
	v_cndmask_b32_e32 v3, 0x7e, v3, vcc_lo
; %bb.1888:
	s_or_b32 exec_lo, exec_lo, s2
	v_lshrrev_b32_e32 v5, 24, v2
	v_and_or_b32 v3, 0x80, v5, v3
	global_store_byte v[0:1], v3, off
.LBB56_1889:
	s_mov_b32 s2, 0
.LBB56_1890:
	s_andn2_b32 vcc_lo, exec_lo, s2
	s_cbranch_vccnz .LBB56_1900
; %bb.1891:
	v_and_b32_e32 v5, 0x7fffffff, v2
	s_mov_b32 s2, exec_lo
                                        ; implicit-def: $vgpr3
	v_cmpx_gt_u32_e32 0x47800000, v5
	s_xor_b32 s2, exec_lo, s2
	s_cbranch_execz .LBB56_1897
; %bb.1892:
	s_mov_b32 s3, exec_lo
                                        ; implicit-def: $vgpr3
	v_cmpx_lt_u32_e32 0x387fffff, v5
	s_xor_b32 s3, exec_lo, s3
; %bb.1893:
	v_bfe_u32 v3, v2, 21, 1
	v_add3_u32 v3, v2, v3, 0x80fffff
	v_lshrrev_b32_e32 v3, 21, v3
; %bb.1894:
	s_andn2_saveexec_b32 s3, s3
; %bb.1895:
	v_add_f32_e64 v3, 0x43000000, |v2|
; %bb.1896:
	s_or_b32 exec_lo, exec_lo, s3
                                        ; implicit-def: $vgpr5
.LBB56_1897:
	s_andn2_saveexec_b32 s2, s2
; %bb.1898:
	v_mov_b32_e32 v3, 0x7f
	v_cmp_lt_u32_e32 vcc_lo, 0x7f800000, v5
	v_cndmask_b32_e32 v3, 0x7c, v3, vcc_lo
; %bb.1899:
	s_or_b32 exec_lo, exec_lo, s2
	v_lshrrev_b32_e32 v5, 24, v2
	v_and_or_b32 v3, 0x80, v5, v3
	global_store_byte v[0:1], v3, off
.LBB56_1900:
	s_mov_b32 s2, 0
	s_mov_b32 s3, -1
.LBB56_1901:
	s_andn2_b32 vcc_lo, exec_lo, s2
	s_mov_b32 s2, 0
	s_cbranch_vccnz .LBB56_1908
; %bb.1902:
	s_cmp_gt_i32 s1, 14
	s_mov_b32 s2, -1
	s_cbranch_scc0 .LBB56_1906
; %bb.1903:
	s_cmp_eq_u32 s1, 15
	s_mov_b32 s0, -1
	s_cbranch_scc0 .LBB56_1905
; %bb.1904:
	v_bfe_u32 v3, v2, 16, 1
	v_cmp_o_f32_e32 vcc_lo, v2, v2
	v_mov_b32_e32 v5, 0x7fc0
	s_mov_b32 s0, 0
	s_mov_b32 s3, -1
	v_add3_u32 v3, v2, v3, 0x7fff
	v_cndmask_b32_sdwa v3, v5, v3, vcc_lo dst_sel:DWORD dst_unused:UNUSED_PAD src0_sel:DWORD src1_sel:WORD_1
	global_store_short v[0:1], v3, off
.LBB56_1905:
	s_mov_b32 s2, 0
.LBB56_1906:
	s_and_b32 vcc_lo, exec_lo, s2
	s_mov_b32 s2, 0
	s_cbranch_vccz .LBB56_1908
; %bb.1907:
	s_cmp_lg_u32 s1, 11
	s_mov_b32 s2, -1
	s_cselect_b32 s0, -1, 0
.LBB56_1908:
	s_and_b32 vcc_lo, exec_lo, s0
	s_cbranch_vccnz .LBB56_2088
; %bb.1909:
	s_andn2_b32 vcc_lo, exec_lo, s2
	s_cbranch_vccnz .LBB56_1911
.LBB56_1910:
	v_cmp_neq_f32_e32 vcc_lo, 0, v2
	s_mov_b32 s3, -1
	v_cndmask_b32_e64 v3, 0, 1, vcc_lo
	global_store_byte v[0:1], v3, off
.LBB56_1911:
	s_mov_b32 s0, 0
	s_branch .LBB56_1913
.LBB56_1912:
	s_mov_b32 s0, -1
	s_mov_b32 s3, 0
.LBB56_1913:
	s_and_b32 vcc_lo, exec_lo, s0
	s_cbranch_vccz .LBB56_1952
; %bb.1914:
	s_and_b32 s0, 0xffff, s15
	s_mov_b32 s1, -1
	s_cmp_lt_i32 s0, 5
	s_cbranch_scc1 .LBB56_1935
; %bb.1915:
	s_cmp_lt_i32 s0, 8
	s_cbranch_scc1 .LBB56_1925
; %bb.1916:
	;; [unrolled: 3-line block ×3, first 2 shown]
	s_cmp_gt_i32 s0, 9
	s_cbranch_scc0 .LBB56_1919
; %bb.1918:
	v_cvt_f64_f32_e32 v[8:9], v2
	v_mov_b32_e32 v10, 0
	s_mov_b32 s1, 0
	v_mov_b32_e32 v11, v10
	global_store_dwordx4 v[0:1], v[8:11], off
.LBB56_1919:
	s_andn2_b32 vcc_lo, exec_lo, s1
	s_cbranch_vccnz .LBB56_1921
; %bb.1920:
	v_mov_b32_e32 v3, 0
	global_store_dwordx2 v[0:1], v[2:3], off
.LBB56_1921:
	s_mov_b32 s1, 0
.LBB56_1922:
	s_andn2_b32 vcc_lo, exec_lo, s1
	s_cbranch_vccnz .LBB56_1924
; %bb.1923:
	v_cvt_f16_f32_e32 v3, v2
	v_and_b32_e32 v3, 0xffff, v3
	global_store_dword v[0:1], v3, off
.LBB56_1924:
	s_mov_b32 s1, 0
.LBB56_1925:
	s_andn2_b32 vcc_lo, exec_lo, s1
	s_cbranch_vccnz .LBB56_1934
; %bb.1926:
	s_cmp_lt_i32 s0, 6
	s_mov_b32 s1, -1
	s_cbranch_scc1 .LBB56_1932
; %bb.1927:
	s_cmp_gt_i32 s0, 6
	s_cbranch_scc0 .LBB56_1929
; %bb.1928:
	v_cvt_f64_f32_e32 v[5:6], v2
	s_mov_b32 s1, 0
	global_store_dwordx2 v[0:1], v[5:6], off
.LBB56_1929:
	s_andn2_b32 vcc_lo, exec_lo, s1
	s_cbranch_vccnz .LBB56_1931
; %bb.1930:
	global_store_dword v[0:1], v2, off
.LBB56_1931:
	s_mov_b32 s1, 0
.LBB56_1932:
	s_andn2_b32 vcc_lo, exec_lo, s1
	s_cbranch_vccnz .LBB56_1934
; %bb.1933:
	v_cvt_f16_f32_e32 v3, v2
	global_store_short v[0:1], v3, off
.LBB56_1934:
	s_mov_b32 s1, 0
.LBB56_1935:
	s_andn2_b32 vcc_lo, exec_lo, s1
	s_cbranch_vccnz .LBB56_1951
; %bb.1936:
	s_cmp_lt_i32 s0, 2
	s_mov_b32 s1, -1
	s_cbranch_scc1 .LBB56_1946
; %bb.1937:
	s_cmp_lt_i32 s0, 3
	s_cbranch_scc1 .LBB56_1943
; %bb.1938:
	s_cmp_gt_i32 s0, 3
	s_cbranch_scc0 .LBB56_1940
; %bb.1939:
	v_trunc_f32_e32 v3, v2
	s_mov_b32 s1, 0
	v_mul_f32_e64 v5, 0x2f800000, |v3|
	v_floor_f32_e32 v5, v5
	v_fma_f32 v6, 0xcf800000, v5, |v3|
	v_ashrrev_i32_e32 v3, 31, v3
	v_cvt_u32_f32_e32 v5, v5
	v_cvt_u32_f32_e32 v6, v6
	v_xor_b32_e32 v8, v5, v3
	v_xor_b32_e32 v6, v6, v3
	v_sub_co_u32 v5, vcc_lo, v6, v3
	v_sub_co_ci_u32_e64 v6, null, v8, v3, vcc_lo
	global_store_dwordx2 v[0:1], v[5:6], off
.LBB56_1940:
	s_andn2_b32 vcc_lo, exec_lo, s1
	s_cbranch_vccnz .LBB56_1942
; %bb.1941:
	v_cvt_i32_f32_e32 v3, v2
	global_store_dword v[0:1], v3, off
.LBB56_1942:
	s_mov_b32 s1, 0
.LBB56_1943:
	s_andn2_b32 vcc_lo, exec_lo, s1
	s_cbranch_vccnz .LBB56_1945
; %bb.1944:
	v_cvt_i32_f32_e32 v3, v2
	global_store_short v[0:1], v3, off
.LBB56_1945:
	s_mov_b32 s1, 0
.LBB56_1946:
	s_andn2_b32 vcc_lo, exec_lo, s1
	s_cbranch_vccnz .LBB56_1951
; %bb.1947:
	s_cmp_gt_i32 s0, 0
	s_mov_b32 s0, -1
	s_cbranch_scc0 .LBB56_1949
; %bb.1948:
	v_cvt_i32_f32_e32 v3, v2
	s_mov_b32 s0, 0
	global_store_byte v[0:1], v3, off
.LBB56_1949:
	s_andn2_b32 vcc_lo, exec_lo, s0
	s_cbranch_vccnz .LBB56_1951
; %bb.1950:
	v_trunc_f32_e32 v2, v2
	v_mul_f32_e64 v3, 0x2f800000, |v2|
	v_floor_f32_e32 v3, v3
	v_fma_f32 v3, 0xcf800000, v3, |v2|
	v_ashrrev_i32_e32 v2, 31, v2
	v_cvt_u32_f32_e32 v3, v3
	v_xor_b32_e32 v3, v3, v2
	v_sub_nc_u32_e32 v2, v3, v2
	global_store_byte v[0:1], v2, off
.LBB56_1951:
	s_mov_b32 s3, -1
.LBB56_1952:
	s_andn2_b32 vcc_lo, exec_lo, s3
	s_cbranch_vccnz .LBB56_2029
; %bb.1953:
	v_add_f32_e32 v0, 1.0, v7
	v_mul_f32_e32 v1, v7, v7
	s_cmp_lt_i32 s15, 11
	v_mul_f32_e32 v2, v0, v0
	v_add_f32_e32 v0, 1.0, v0
	v_div_scale_f32 v3, null, v1, v1, 1.0
	v_div_scale_f32 v6, vcc_lo, 1.0, v1, 1.0
	v_mul_f32_e32 v7, v0, v0
	v_div_scale_f32 v5, null, v2, v2, 1.0
	v_rcp_f32_e32 v8, v3
	v_div_scale_f32 v11, s0, 1.0, v2, 1.0
	v_div_scale_f32 v10, null, v7, v7, 1.0
	v_rcp_f32_e32 v9, v5
	v_add_f32_e32 v0, 1.0, v0
	v_div_scale_f32 v13, s1, 1.0, v7, 1.0
	v_rcp_f32_e32 v15, v10
	v_fma_f32 v17, -v3, v8, 1.0
	v_mul_f32_e32 v16, v0, v0
	v_add_f32_e32 v0, 1.0, v0
	v_fma_f32 v18, -v5, v9, 1.0
	v_fmac_f32_e32 v8, v17, v8
	v_mul_f32_e32 v20, v0, v0
	v_add_f32_e32 v0, 1.0, v0
	v_fma_f32 v17, -v10, v15, 1.0
	v_fmac_f32_e32 v9, v18, v9
	v_mul_f32_e32 v21, v6, v8
	v_div_scale_f32 v19, null, v16, v16, 1.0
	v_fmac_f32_e32 v15, v17, v15
	v_mul_f32_e32 v22, v11, v9
	v_fma_f32 v23, -v3, v21, v6
	v_add_f32_e32 v26, 1.0, v0
	v_rcp_f32_e32 v18, v19
	v_mul_f32_e32 v25, v13, v15
	v_fma_f32 v24, -v5, v22, v11
	v_fmac_f32_e32 v21, v23, v8
	v_mul_f32_e32 v0, v0, v0
	v_div_scale_f32 v17, null, v20, v20, 1.0
	v_fma_f32 v23, -v10, v25, v13
	v_fmac_f32_e32 v22, v24, v9
	v_fma_f32 v3, -v3, v21, v6
	v_mul_f32_e32 v6, v26, v26
	v_rcp_f32_e32 v24, v17
	v_fmac_f32_e32 v25, v23, v15
	v_fma_f32 v5, -v5, v22, v11
	v_div_fmas_f32 v3, v3, v8, v21
	s_mov_b32 vcc_lo, s0
	v_fma_f32 v27, -v19, v18, 1.0
	v_fma_f32 v8, -v10, v25, v13
	v_div_fmas_f32 v5, v5, v9, v22
	s_mov_b32 vcc_lo, s1
	v_div_scale_f32 v9, null, v0, v0, 1.0
	v_div_fmas_f32 v8, v8, v15, v25
	v_div_scale_f32 v10, null, v6, v6, 1.0
	v_add_f32_e32 v15, v26, v26
	v_rcp_f32_e32 v13, v9
	v_fmac_f32_e32 v18, v27, v18
	v_rcp_f32_e32 v22, v10
	v_div_scale_f32 v11, vcc_lo, 1.0, v16, 1.0
	v_div_scale_f32 v25, null, v15, v15, 1.0
	v_fma_f32 v21, -v17, v24, 1.0
	v_mul_f32_e32 v23, v11, v18
	v_div_fixup_f32 v1, v3, v1, 1.0
	v_rcp_f32_e32 v28, v25
	v_fma_f32 v27, -v9, v13, 1.0
	v_fmac_f32_e32 v24, v21, v24
	v_div_scale_f32 v21, s0, 1.0, v20, 1.0
	v_fma_f32 v30, -v10, v22, 1.0
	v_fma_f32 v29, -v19, v23, v11
	v_fmac_f32_e32 v13, v27, v13
	v_div_scale_f32 v27, s1, 1.0, v0, 1.0
	v_mul_f32_e32 v31, v21, v24
	v_fmac_f32_e32 v22, v30, v22
	v_div_scale_f32 v30, s2, 1.0, v6, 1.0
	v_fma_f32 v32, -v25, v28, 1.0
	v_fmac_f32_e32 v23, v29, v18
	v_mul_f32_e32 v33, v27, v13
	v_fma_f32 v29, -v17, v31, v21
	v_mul_f32_e32 v34, v30, v22
	v_fmac_f32_e32 v28, v32, v28
	v_div_scale_f32 v32, s3, 1.0, v15, 1.0
	v_fma_f32 v11, -v19, v23, v11
	v_fma_f32 v19, -v9, v33, v27
	v_fmac_f32_e32 v31, v29, v24
	v_fma_f32 v29, -v10, v34, v30
	v_mul_f32_e32 v35, v32, v28
	v_div_fmas_f32 v11, v11, v18, v23
	v_fmac_f32_e32 v33, v19, v13
	v_fma_f32 v17, -v17, v31, v21
	v_fmac_f32_e32 v34, v29, v22
	v_fma_f32 v18, -v25, v35, v32
	s_mov_b32 vcc_lo, s0
	v_fma_f32 v9, -v9, v33, v27
	v_div_fmas_f32 v17, v17, v24, v31
	v_fma_f32 v10, -v10, v34, v30
	v_fmac_f32_e32 v35, v18, v28
	s_mov_b32 vcc_lo, s1
	s_mov_b32 s0, 0xbcc30c31
	v_div_fmas_f32 v9, v9, v13, v33
	s_mov_b32 vcc_lo, s2
	v_fma_f32 v13, -v25, v35, v32
	v_div_fmas_f32 v10, v10, v22, v34
	s_mov_b32 vcc_lo, s3
	v_add_f32_e32 v1, v14, v1
	v_div_fixup_f32 v2, v5, v2, 1.0
	v_div_fmas_f32 v13, v13, v28, v35
	v_div_fixup_f32 v6, v10, v6, 1.0
	v_div_fixup_f32 v0, v9, v0, 1.0
	v_add_f32_e32 v1, v1, v2
	v_div_fixup_f32 v10, v13, v15, 1.0
	v_fmaak_f32 v13, s0, v6, 0x3d088889
	v_div_fixup_f32 v2, v8, v7, 1.0
	v_add_f32_e32 v10, 1.0, v10
	v_fma_f32 v13, -v6, v13, 0x3e2aaaab
	v_add_f32_e32 v1, v1, v2
	v_div_fixup_f32 v2, v11, v16, 1.0
	v_fmac_f32_e32 v10, v6, v13
	v_add_f32_e32 v1, v1, v2
	v_div_fixup_f32 v2, v17, v20, 1.0
	v_div_scale_f32 v6, null, v26, v26, v10
	v_add_f32_e32 v1, v1, v2
	v_rcp_f32_e32 v13, v6
	v_add_f32_e32 v0, v1, v0
	v_fma_f32 v3, -v6, v13, 1.0
	v_fmac_f32_e32 v13, v3, v13
	v_div_scale_f32 v3, vcc_lo, v10, v26, v10
	v_mul_f32_e32 v5, v3, v13
	v_fma_f32 v7, -v6, v5, v3
	v_fmac_f32_e32 v5, v7, v13
	v_fma_f32 v3, -v6, v5, v3
	v_div_fmas_f32 v2, v3, v13, v5
	v_add_nc_u32_e32 v3, s4, v4
	v_div_fixup_f32 v1, v2, v26, v10
	v_add_f32_e32 v0, v0, v1
	v_ashrrev_i32_e32 v1, 31, v3
	v_mul_f32_e32 v2, v12, v0
	v_add_co_u32 v0, vcc_lo, s8, v3
	v_add_co_ci_u32_e64 v1, null, s9, v1, vcc_lo
	s_cbranch_scc1 .LBB56_2074
; %bb.1954:
	s_and_b32 s1, 0xffff, s15
	s_mov_b32 s3, -1
	s_mov_b32 s2, 0
	s_cmp_gt_i32 s1, 25
	s_mov_b32 s0, 0
	s_cbranch_scc0 .LBB56_1987
; %bb.1955:
	s_cmp_gt_i32 s1, 28
	s_cbranch_scc0 .LBB56_1971
; %bb.1956:
	s_cmp_gt_i32 s1, 43
	s_cbranch_scc0 .LBB56_1967
; %bb.1957:
	s_cmp_gt_i32 s1, 45
	s_cbranch_scc0 .LBB56_1961
; %bb.1958:
	s_cmp_eq_u32 s1, 46
	s_mov_b32 s0, -1
	s_cbranch_scc0 .LBB56_1960
; %bb.1959:
	v_bfe_u32 v3, v2, 16, 1
	v_cmp_o_f32_e32 vcc_lo, v2, v2
	v_mov_b32_e32 v4, 0x7fc0
	s_mov_b32 s0, 0
	v_add3_u32 v3, v2, v3, 0x7fff
	v_cndmask_b32_sdwa v3, v4, v3, vcc_lo dst_sel:DWORD dst_unused:UNUSED_PAD src0_sel:DWORD src1_sel:WORD_1
	global_store_dword v[0:1], v3, off
.LBB56_1960:
	s_mov_b32 s3, 0
.LBB56_1961:
	s_and_b32 vcc_lo, exec_lo, s3
	s_cbranch_vccz .LBB56_1966
; %bb.1962:
	s_cmp_eq_u32 s1, 44
	s_mov_b32 s0, -1
	s_cbranch_scc0 .LBB56_1966
; %bb.1963:
	v_bfe_u32 v4, v2, 23, 8
	v_mov_b32_e32 v3, 0xff
	s_mov_b32 s3, exec_lo
	v_cmpx_ne_u32_e32 0xff, v4
	s_cbranch_execz .LBB56_1965
; %bb.1964:
	v_and_b32_e32 v3, 0x400000, v2
	v_and_or_b32 v4, 0x3fffff, v2, v4
	v_cmp_ne_u32_e32 vcc_lo, 0, v3
	v_cmp_ne_u32_e64 s0, 0, v4
	v_lshrrev_b32_e32 v3, 23, v2
	s_and_b32 s0, vcc_lo, s0
	v_cndmask_b32_e64 v4, 0, 1, s0
	v_add_nc_u32_e32 v3, v3, v4
.LBB56_1965:
	s_or_b32 exec_lo, exec_lo, s3
	s_mov_b32 s0, 0
	global_store_byte v[0:1], v3, off
.LBB56_1966:
	s_mov_b32 s3, 0
.LBB56_1967:
	s_and_b32 vcc_lo, exec_lo, s3
	s_cbranch_vccz .LBB56_1970
; %bb.1968:
	s_cmp_eq_u32 s1, 29
	s_mov_b32 s0, -1
	s_cbranch_scc0 .LBB56_1970
; %bb.1969:
	v_trunc_f32_e32 v3, v2
	s_mov_b32 s0, 0
	v_mul_f32_e32 v4, 0x2f800000, v3
	v_floor_f32_e32 v4, v4
	v_fmamk_f32 v3, v4, 0xcf800000, v3
	v_cvt_u32_f32_e32 v4, v4
	v_cvt_u32_f32_e32 v3, v3
	global_store_dwordx2 v[0:1], v[3:4], off
.LBB56_1970:
	s_mov_b32 s3, 0
.LBB56_1971:
	s_and_b32 vcc_lo, exec_lo, s3
	s_cbranch_vccz .LBB56_1986
; %bb.1972:
	s_cmp_lt_i32 s1, 27
	s_mov_b32 s3, -1
	s_cbranch_scc1 .LBB56_1978
; %bb.1973:
	v_cvt_u32_f32_e32 v3, v2
	s_cmp_gt_i32 s1, 27
	s_cbranch_scc0 .LBB56_1975
; %bb.1974:
	s_mov_b32 s3, 0
	global_store_dword v[0:1], v3, off
.LBB56_1975:
	s_andn2_b32 vcc_lo, exec_lo, s3
	s_cbranch_vccnz .LBB56_1977
; %bb.1976:
	global_store_short v[0:1], v3, off
.LBB56_1977:
	s_mov_b32 s3, 0
.LBB56_1978:
	s_andn2_b32 vcc_lo, exec_lo, s3
	s_cbranch_vccnz .LBB56_1986
; %bb.1979:
	v_and_b32_e32 v3, 0x7fffffff, v2
	v_mov_b32_e32 v4, 0x80
	s_mov_b32 s3, exec_lo
	v_cmpx_gt_u32_e32 0x43800000, v3
	s_cbranch_execz .LBB56_1985
; %bb.1980:
	v_cmp_lt_u32_e32 vcc_lo, 0x3bffffff, v3
	s_mov_b32 s4, 0
                                        ; implicit-def: $vgpr3
	s_and_saveexec_b32 s6, vcc_lo
	s_xor_b32 s6, exec_lo, s6
	s_cbranch_execz .LBB56_2091
; %bb.1981:
	v_bfe_u32 v3, v2, 20, 1
	s_mov_b32 s4, exec_lo
	v_add3_u32 v3, v2, v3, 0x487ffff
	v_lshrrev_b32_e32 v3, 20, v3
	s_andn2_saveexec_b32 s6, s6
	s_cbranch_execnz .LBB56_2092
.LBB56_1982:
	s_or_b32 exec_lo, exec_lo, s6
	v_mov_b32_e32 v4, 0
	s_and_saveexec_b32 s6, s4
.LBB56_1983:
	v_lshrrev_b32_e32 v4, 24, v2
	v_and_or_b32 v4, 0x80, v4, v3
.LBB56_1984:
	s_or_b32 exec_lo, exec_lo, s6
.LBB56_1985:
	s_or_b32 exec_lo, exec_lo, s3
	global_store_byte v[0:1], v4, off
.LBB56_1986:
	s_mov_b32 s3, 0
.LBB56_1987:
	s_and_b32 vcc_lo, exec_lo, s3
	s_cbranch_vccz .LBB56_2027
; %bb.1988:
	s_cmp_gt_i32 s1, 22
	s_mov_b32 s2, -1
	s_cbranch_scc0 .LBB56_2020
; %bb.1989:
	s_cmp_lt_i32 s1, 24
	s_cbranch_scc1 .LBB56_2009
; %bb.1990:
	s_cmp_gt_i32 s1, 24
	s_cbranch_scc0 .LBB56_1998
; %bb.1991:
	v_and_b32_e32 v3, 0x7fffffff, v2
	v_mov_b32_e32 v4, 0x80
	s_mov_b32 s2, exec_lo
	v_cmpx_gt_u32_e32 0x47800000, v3
	s_cbranch_execz .LBB56_1997
; %bb.1992:
	v_cmp_lt_u32_e32 vcc_lo, 0x37ffffff, v3
	s_mov_b32 s3, 0
                                        ; implicit-def: $vgpr3
	s_and_saveexec_b32 s4, vcc_lo
	s_xor_b32 s4, exec_lo, s4
	s_cbranch_execz .LBB56_2094
; %bb.1993:
	v_bfe_u32 v3, v2, 21, 1
	s_mov_b32 s3, exec_lo
	v_add3_u32 v3, v2, v3, 0x88fffff
	v_lshrrev_b32_e32 v3, 21, v3
	s_andn2_saveexec_b32 s4, s4
	s_cbranch_execnz .LBB56_2095
.LBB56_1994:
	s_or_b32 exec_lo, exec_lo, s4
	v_mov_b32_e32 v4, 0
	s_and_saveexec_b32 s4, s3
.LBB56_1995:
	v_lshrrev_b32_e32 v4, 24, v2
	v_and_or_b32 v4, 0x80, v4, v3
.LBB56_1996:
	s_or_b32 exec_lo, exec_lo, s4
.LBB56_1997:
	s_or_b32 exec_lo, exec_lo, s2
	s_mov_b32 s2, 0
	global_store_byte v[0:1], v4, off
.LBB56_1998:
	s_and_b32 vcc_lo, exec_lo, s2
	s_cbranch_vccz .LBB56_2008
; %bb.1999:
	v_and_b32_e32 v4, 0x7fffffff, v2
	s_mov_b32 s2, exec_lo
                                        ; implicit-def: $vgpr3
	v_cmpx_gt_u32_e32 0x43f00000, v4
	s_xor_b32 s2, exec_lo, s2
	s_cbranch_execz .LBB56_2005
; %bb.2000:
	s_mov_b32 s3, exec_lo
                                        ; implicit-def: $vgpr3
	v_cmpx_lt_u32_e32 0x3c7fffff, v4
	s_xor_b32 s3, exec_lo, s3
; %bb.2001:
	v_bfe_u32 v3, v2, 20, 1
	v_add3_u32 v3, v2, v3, 0x407ffff
	v_and_b32_e32 v4, 0xff00000, v3
	v_lshrrev_b32_e32 v3, 20, v3
	v_cmp_ne_u32_e32 vcc_lo, 0x7f00000, v4
	v_cndmask_b32_e32 v3, 0x7e, v3, vcc_lo
; %bb.2002:
	s_andn2_saveexec_b32 s3, s3
; %bb.2003:
	v_add_f32_e64 v3, 0x46800000, |v2|
; %bb.2004:
	s_or_b32 exec_lo, exec_lo, s3
                                        ; implicit-def: $vgpr4
.LBB56_2005:
	s_andn2_saveexec_b32 s2, s2
; %bb.2006:
	v_mov_b32_e32 v3, 0x7f
	v_cmp_lt_u32_e32 vcc_lo, 0x7f800000, v4
	v_cndmask_b32_e32 v3, 0x7e, v3, vcc_lo
; %bb.2007:
	s_or_b32 exec_lo, exec_lo, s2
	v_lshrrev_b32_e32 v4, 24, v2
	v_and_or_b32 v3, 0x80, v4, v3
	global_store_byte v[0:1], v3, off
.LBB56_2008:
	s_mov_b32 s2, 0
.LBB56_2009:
	s_andn2_b32 vcc_lo, exec_lo, s2
	s_cbranch_vccnz .LBB56_2019
; %bb.2010:
	v_and_b32_e32 v4, 0x7fffffff, v2
	s_mov_b32 s2, exec_lo
                                        ; implicit-def: $vgpr3
	v_cmpx_gt_u32_e32 0x47800000, v4
	s_xor_b32 s2, exec_lo, s2
	s_cbranch_execz .LBB56_2016
; %bb.2011:
	s_mov_b32 s3, exec_lo
                                        ; implicit-def: $vgpr3
	v_cmpx_lt_u32_e32 0x387fffff, v4
	s_xor_b32 s3, exec_lo, s3
; %bb.2012:
	v_bfe_u32 v3, v2, 21, 1
	v_add3_u32 v3, v2, v3, 0x80fffff
	v_lshrrev_b32_e32 v3, 21, v3
; %bb.2013:
	s_andn2_saveexec_b32 s3, s3
; %bb.2014:
	v_add_f32_e64 v3, 0x43000000, |v2|
; %bb.2015:
	s_or_b32 exec_lo, exec_lo, s3
                                        ; implicit-def: $vgpr4
.LBB56_2016:
	s_andn2_saveexec_b32 s2, s2
; %bb.2017:
	v_mov_b32_e32 v3, 0x7f
	v_cmp_lt_u32_e32 vcc_lo, 0x7f800000, v4
	v_cndmask_b32_e32 v3, 0x7c, v3, vcc_lo
; %bb.2018:
	s_or_b32 exec_lo, exec_lo, s2
	v_lshrrev_b32_e32 v4, 24, v2
	v_and_or_b32 v3, 0x80, v4, v3
	global_store_byte v[0:1], v3, off
.LBB56_2019:
	s_mov_b32 s2, 0
.LBB56_2020:
	s_andn2_b32 vcc_lo, exec_lo, s2
	s_mov_b32 s2, 0
	s_cbranch_vccnz .LBB56_2027
; %bb.2021:
	s_cmp_gt_i32 s1, 14
	s_mov_b32 s2, -1
	s_cbranch_scc0 .LBB56_2025
; %bb.2022:
	s_cmp_eq_u32 s1, 15
	s_mov_b32 s0, -1
	s_cbranch_scc0 .LBB56_2024
; %bb.2023:
	v_bfe_u32 v3, v2, 16, 1
	v_cmp_o_f32_e32 vcc_lo, v2, v2
	v_mov_b32_e32 v4, 0x7fc0
	s_mov_b32 s0, 0
	v_add3_u32 v3, v2, v3, 0x7fff
	v_cndmask_b32_sdwa v3, v4, v3, vcc_lo dst_sel:DWORD dst_unused:UNUSED_PAD src0_sel:DWORD src1_sel:WORD_1
	global_store_short v[0:1], v3, off
.LBB56_2024:
	s_mov_b32 s2, 0
.LBB56_2025:
	s_and_b32 vcc_lo, exec_lo, s2
	s_mov_b32 s2, 0
	s_cbranch_vccz .LBB56_2027
; %bb.2026:
	s_cmp_lg_u32 s1, 11
	s_mov_b32 s2, -1
	s_cselect_b32 s0, -1, 0
.LBB56_2027:
	s_and_b32 vcc_lo, exec_lo, s0
	s_cbranch_vccnz .LBB56_2093
.LBB56_2028:
	s_mov_b32 s0, 0
	s_branch .LBB56_2030
.LBB56_2029:
	s_mov_b32 s0, 0
	s_mov_b32 s2, 0
                                        ; implicit-def: $sgpr15
                                        ; implicit-def: $vgpr0_vgpr1
                                        ; implicit-def: $vgpr2
.LBB56_2030:
	s_andn2_b32 s1, s14, exec_lo
	s_and_b32 s3, s5, exec_lo
	s_and_b32 s0, s0, exec_lo
	;; [unrolled: 1-line block ×3, first 2 shown]
	s_or_b32 s14, s1, s3
.LBB56_2031:
	s_or_b32 exec_lo, exec_lo, s7
	s_and_saveexec_b32 s1, s14
	s_cbranch_execz .LBB56_2034
; %bb.2032:
	; divergent unreachable
	s_or_b32 exec_lo, exec_lo, s1
	s_and_saveexec_b32 s1, s5
	s_xor_b32 s1, exec_lo, s1
	s_cbranch_execnz .LBB56_2035
.LBB56_2033:
	s_or_b32 exec_lo, exec_lo, s1
	s_and_saveexec_b32 s1, s0
	s_cbranch_execnz .LBB56_2036
	s_branch .LBB56_2073
.LBB56_2034:
	s_or_b32 exec_lo, exec_lo, s1
	s_and_saveexec_b32 s1, s5
	s_xor_b32 s1, exec_lo, s1
	s_cbranch_execz .LBB56_2033
.LBB56_2035:
	s_waitcnt vmcnt(0)
	v_cmp_neq_f32_e32 vcc_lo, 0, v2
	v_cndmask_b32_e64 v3, 0, 1, vcc_lo
	global_store_byte v[0:1], v3, off
	s_or_b32 exec_lo, exec_lo, s1
	s_and_saveexec_b32 s1, s0
	s_cbranch_execz .LBB56_2073
.LBB56_2036:
	s_sext_i32_i16 s1, s15
	s_mov_b32 s0, -1
	s_cmp_lt_i32 s1, 5
	s_cbranch_scc1 .LBB56_2057
; %bb.2037:
	s_cmp_lt_i32 s1, 8
	s_cbranch_scc1 .LBB56_2047
; %bb.2038:
	;; [unrolled: 3-line block ×3, first 2 shown]
	s_cmp_gt_i32 s1, 9
	s_cbranch_scc0 .LBB56_2041
; %bb.2040:
	s_waitcnt vmcnt(0)
	v_cvt_f64_f32_e32 v[3:4], v2
	v_mov_b32_e32 v5, 0
	s_mov_b32 s0, 0
	v_mov_b32_e32 v6, v5
	global_store_dwordx4 v[0:1], v[3:6], off
.LBB56_2041:
	s_andn2_b32 vcc_lo, exec_lo, s0
	s_cbranch_vccnz .LBB56_2043
; %bb.2042:
	s_waitcnt vmcnt(0)
	v_mov_b32_e32 v3, 0
	global_store_dwordx2 v[0:1], v[2:3], off
.LBB56_2043:
	s_mov_b32 s0, 0
.LBB56_2044:
	s_andn2_b32 vcc_lo, exec_lo, s0
	s_cbranch_vccnz .LBB56_2046
; %bb.2045:
	s_waitcnt vmcnt(0)
	v_cvt_f16_f32_e32 v3, v2
	v_and_b32_e32 v3, 0xffff, v3
	global_store_dword v[0:1], v3, off
.LBB56_2046:
	s_mov_b32 s0, 0
.LBB56_2047:
	s_andn2_b32 vcc_lo, exec_lo, s0
	s_cbranch_vccnz .LBB56_2056
; %bb.2048:
	s_sext_i32_i16 s1, s15
	s_mov_b32 s0, -1
	s_cmp_lt_i32 s1, 6
	s_cbranch_scc1 .LBB56_2054
; %bb.2049:
	s_cmp_gt_i32 s1, 6
	s_cbranch_scc0 .LBB56_2051
; %bb.2050:
	s_waitcnt vmcnt(0)
	v_cvt_f64_f32_e32 v[3:4], v2
	s_mov_b32 s0, 0
	global_store_dwordx2 v[0:1], v[3:4], off
.LBB56_2051:
	s_andn2_b32 vcc_lo, exec_lo, s0
	s_cbranch_vccnz .LBB56_2053
; %bb.2052:
	s_waitcnt vmcnt(0)
	global_store_dword v[0:1], v2, off
.LBB56_2053:
	s_mov_b32 s0, 0
.LBB56_2054:
	s_andn2_b32 vcc_lo, exec_lo, s0
	s_cbranch_vccnz .LBB56_2056
; %bb.2055:
	s_waitcnt vmcnt(0)
	v_cvt_f16_f32_e32 v3, v2
	global_store_short v[0:1], v3, off
.LBB56_2056:
	s_mov_b32 s0, 0
.LBB56_2057:
	s_andn2_b32 vcc_lo, exec_lo, s0
	s_cbranch_vccnz .LBB56_2073
; %bb.2058:
	s_sext_i32_i16 s1, s15
	s_mov_b32 s0, -1
	s_cmp_lt_i32 s1, 2
	s_cbranch_scc1 .LBB56_2068
; %bb.2059:
	s_cmp_lt_i32 s1, 3
	s_cbranch_scc1 .LBB56_2065
; %bb.2060:
	s_cmp_gt_i32 s1, 3
	s_cbranch_scc0 .LBB56_2062
; %bb.2061:
	s_waitcnt vmcnt(0)
	v_trunc_f32_e32 v3, v2
	s_mov_b32 s0, 0
	v_mul_f32_e64 v4, 0x2f800000, |v3|
	v_ashrrev_i32_e32 v6, 31, v3
	v_floor_f32_e32 v4, v4
	v_fma_f32 v5, 0xcf800000, v4, |v3|
	v_cvt_u32_f32_e32 v4, v4
	v_cvt_u32_f32_e32 v3, v5
	v_xor_b32_e32 v4, v4, v6
	v_xor_b32_e32 v3, v3, v6
	v_sub_co_u32 v3, vcc_lo, v3, v6
	v_sub_co_ci_u32_e64 v4, null, v4, v6, vcc_lo
	global_store_dwordx2 v[0:1], v[3:4], off
.LBB56_2062:
	s_andn2_b32 vcc_lo, exec_lo, s0
	s_cbranch_vccnz .LBB56_2064
; %bb.2063:
	s_waitcnt vmcnt(0)
	v_cvt_i32_f32_e32 v3, v2
	global_store_dword v[0:1], v3, off
.LBB56_2064:
	s_mov_b32 s0, 0
.LBB56_2065:
	s_andn2_b32 vcc_lo, exec_lo, s0
	s_cbranch_vccnz .LBB56_2067
; %bb.2066:
	s_waitcnt vmcnt(0)
	v_cvt_i32_f32_e32 v3, v2
	global_store_short v[0:1], v3, off
.LBB56_2067:
	s_mov_b32 s0, 0
.LBB56_2068:
	s_andn2_b32 vcc_lo, exec_lo, s0
	s_cbranch_vccnz .LBB56_2073
; %bb.2069:
	s_sext_i32_i16 s0, s15
	s_cmp_gt_i32 s0, 0
	s_mov_b32 s0, -1
	s_cbranch_scc0 .LBB56_2071
; %bb.2070:
	s_waitcnt vmcnt(0)
	v_cvt_i32_f32_e32 v3, v2
	s_mov_b32 s0, 0
	global_store_byte v[0:1], v3, off
.LBB56_2071:
	s_andn2_b32 vcc_lo, exec_lo, s0
	s_cbranch_vccnz .LBB56_2073
; %bb.2072:
	s_waitcnt vmcnt(0)
	v_trunc_f32_e32 v2, v2
	v_mul_f32_e64 v3, 0x2f800000, |v2|
	v_floor_f32_e32 v3, v3
	v_fma_f32 v3, 0xcf800000, v3, |v2|
	v_ashrrev_i32_e32 v2, 31, v2
	v_cvt_u32_f32_e32 v3, v3
	v_xor_b32_e32 v3, v3, v2
	v_sub_nc_u32_e32 v2, v3, v2
	global_store_byte v[0:1], v2, off
	s_endpgm
.LBB56_2073:
	s_endpgm
.LBB56_2074:
	s_mov_b32 s2, 0
	s_mov_b32 s0, -1
	s_branch .LBB56_2030
.LBB56_2075:
	s_or_b32 s5, s5, exec_lo
	s_trap 2
	s_cbranch_execz .LBB56_1538
	s_branch .LBB56_1539
.LBB56_2076:
	s_andn2_saveexec_b32 s6, s6
	s_cbranch_execz .LBB56_1624
.LBB56_2077:
	v_add_f32_e64 v3, 0x46000000, |v2|
	s_andn2_b32 s4, s4, exec_lo
	v_and_b32_e32 v3, 0xff, v3
	v_cmp_ne_u32_e32 vcc_lo, 0, v3
	s_and_b32 s10, vcc_lo, exec_lo
	s_or_b32 s4, s4, s10
	s_or_b32 exec_lo, exec_lo, s6
	v_mov_b32_e32 v10, 0
	s_and_saveexec_b32 s6, s4
	s_cbranch_execnz .LBB56_1625
	s_branch .LBB56_1626
.LBB56_2078:
	s_or_b32 s5, s5, exec_lo
	s_trap 2
	s_cbranch_execz .LBB56_1672
	s_branch .LBB56_1673
.LBB56_2079:
	s_andn2_saveexec_b32 s4, s4
	s_cbranch_execz .LBB56_1637
.LBB56_2080:
	v_add_f32_e64 v3, 0x42800000, |v2|
	s_andn2_b32 s3, s3, exec_lo
	v_and_b32_e32 v3, 0xff, v3
	v_cmp_ne_u32_e32 vcc_lo, 0, v3
	s_and_b32 s6, vcc_lo, exec_lo
	s_or_b32 s3, s3, s6
	s_or_b32 exec_lo, exec_lo, s4
	v_mov_b32_e32 v10, 0
	s_and_saveexec_b32 s4, s3
	s_cbranch_execnz .LBB56_1638
	s_branch .LBB56_1639
.LBB56_2081:
	s_andn2_saveexec_b32 s10, s10
	s_cbranch_execz .LBB56_1743
.LBB56_2082:
	v_add_f32_e64 v3, 0x46000000, |v2|
	s_andn2_b32 s6, s6, exec_lo
	v_and_b32_e32 v3, 0xff, v3
	v_cmp_ne_u32_e32 vcc_lo, 0, v3
	s_and_b32 s11, vcc_lo, exec_lo
	s_or_b32 s6, s6, s11
	s_or_b32 exec_lo, exec_lo, s10
	v_mov_b32_e32 v5, 0
	s_and_saveexec_b32 s10, s6
	s_cbranch_execnz .LBB56_1744
	s_branch .LBB56_1745
.LBB56_2083:
	s_or_b32 s5, s5, exec_lo
	s_trap 2
	s_cbranch_execz .LBB56_1791
	s_branch .LBB56_1792
.LBB56_2084:
	s_andn2_saveexec_b32 s6, s6
	s_cbranch_execz .LBB56_1756
.LBB56_2085:
	v_add_f32_e64 v3, 0x42800000, |v2|
	s_andn2_b32 s3, s3, exec_lo
	v_and_b32_e32 v3, 0xff, v3
	v_cmp_ne_u32_e32 vcc_lo, 0, v3
	s_and_b32 s10, vcc_lo, exec_lo
	s_or_b32 s3, s3, s10
	s_or_b32 exec_lo, exec_lo, s6
	v_mov_b32_e32 v5, 0
	s_and_saveexec_b32 s6, s3
	s_cbranch_execnz .LBB56_1757
	s_branch .LBB56_1758
.LBB56_2086:
	s_andn2_saveexec_b32 s10, s10
	s_cbranch_execz .LBB56_1862
.LBB56_2087:
	v_add_f32_e64 v3, 0x46000000, |v2|
	s_andn2_b32 s6, s6, exec_lo
	v_and_b32_e32 v3, 0xff, v3
	v_cmp_ne_u32_e32 vcc_lo, 0, v3
	s_and_b32 s11, vcc_lo, exec_lo
	s_or_b32 s6, s6, s11
	s_or_b32 exec_lo, exec_lo, s10
	v_mov_b32_e32 v5, 0
	s_and_saveexec_b32 s10, s6
	s_cbranch_execnz .LBB56_1863
	s_branch .LBB56_1864
.LBB56_2088:
	s_or_b32 s5, s5, exec_lo
	s_trap 2
	s_cbranch_execz .LBB56_1910
	s_branch .LBB56_1911
.LBB56_2089:
	s_andn2_saveexec_b32 s6, s6
	s_cbranch_execz .LBB56_1875
.LBB56_2090:
	v_add_f32_e64 v3, 0x42800000, |v2|
	s_andn2_b32 s3, s3, exec_lo
	v_and_b32_e32 v3, 0xff, v3
	v_cmp_ne_u32_e32 vcc_lo, 0, v3
	s_and_b32 s10, vcc_lo, exec_lo
	s_or_b32 s3, s3, s10
	s_or_b32 exec_lo, exec_lo, s6
	v_mov_b32_e32 v5, 0
	s_and_saveexec_b32 s6, s3
	s_cbranch_execnz .LBB56_1876
	s_branch .LBB56_1877
.LBB56_2091:
	s_andn2_saveexec_b32 s6, s6
	s_cbranch_execz .LBB56_1982
.LBB56_2092:
	v_add_f32_e64 v3, 0x46000000, |v2|
	s_andn2_b32 s4, s4, exec_lo
	v_and_b32_e32 v3, 0xff, v3
	v_cmp_ne_u32_e32 vcc_lo, 0, v3
	s_and_b32 s8, vcc_lo, exec_lo
	s_or_b32 s4, s4, s8
	s_or_b32 exec_lo, exec_lo, s6
	v_mov_b32_e32 v4, 0
	s_and_saveexec_b32 s6, s4
	s_cbranch_execnz .LBB56_1983
	s_branch .LBB56_1984
.LBB56_2093:
	s_mov_b32 s2, 0
	s_or_b32 s5, s5, exec_lo
	s_trap 2
	s_branch .LBB56_2028
.LBB56_2094:
	s_andn2_saveexec_b32 s4, s4
	s_cbranch_execz .LBB56_1994
.LBB56_2095:
	v_add_f32_e64 v3, 0x42800000, |v2|
	s_andn2_b32 s3, s3, exec_lo
	v_and_b32_e32 v3, 0xff, v3
	v_cmp_ne_u32_e32 vcc_lo, 0, v3
	s_and_b32 s6, vcc_lo, exec_lo
	s_or_b32 s3, s3, s6
	s_or_b32 exec_lo, exec_lo, s4
	v_mov_b32_e32 v4, 0
	s_and_saveexec_b32 s4, s3
	s_cbranch_execnz .LBB56_1995
	s_branch .LBB56_1996
	.section	.rodata,"a",@progbits
	.p2align	6, 0x0
	.amdhsa_kernel _ZN2at6native32elementwise_kernel_manual_unrollILi128ELi4EZNS0_15gpu_kernel_implIZZZNS0_20trigamma_kernel_cudaERNS_18TensorIteratorBaseEENKUlvE_clEvENKUlvE0_clEvEUlfE_EEvS4_RKT_EUlibE_EEviT1_
		.amdhsa_group_segment_fixed_size 0
		.amdhsa_private_segment_fixed_size 0
		.amdhsa_kernarg_size 40
		.amdhsa_user_sgpr_count 6
		.amdhsa_user_sgpr_private_segment_buffer 1
		.amdhsa_user_sgpr_dispatch_ptr 0
		.amdhsa_user_sgpr_queue_ptr 0
		.amdhsa_user_sgpr_kernarg_segment_ptr 1
		.amdhsa_user_sgpr_dispatch_id 0
		.amdhsa_user_sgpr_flat_scratch_init 0
		.amdhsa_user_sgpr_private_segment_size 0
		.amdhsa_wavefront_size32 1
		.amdhsa_uses_dynamic_stack 0
		.amdhsa_system_sgpr_private_segment_wavefront_offset 0
		.amdhsa_system_sgpr_workgroup_id_x 1
		.amdhsa_system_sgpr_workgroup_id_y 0
		.amdhsa_system_sgpr_workgroup_id_z 0
		.amdhsa_system_sgpr_workgroup_info 0
		.amdhsa_system_vgpr_workitem_id 0
		.amdhsa_next_free_vgpr 45
		.amdhsa_next_free_sgpr 26
		.amdhsa_reserve_vcc 1
		.amdhsa_reserve_flat_scratch 0
		.amdhsa_float_round_mode_32 0
		.amdhsa_float_round_mode_16_64 0
		.amdhsa_float_denorm_mode_32 3
		.amdhsa_float_denorm_mode_16_64 3
		.amdhsa_dx10_clamp 1
		.amdhsa_ieee_mode 1
		.amdhsa_fp16_overflow 0
		.amdhsa_workgroup_processor_mode 1
		.amdhsa_memory_ordered 1
		.amdhsa_forward_progress 1
		.amdhsa_shared_vgpr_count 0
		.amdhsa_exception_fp_ieee_invalid_op 0
		.amdhsa_exception_fp_denorm_src 0
		.amdhsa_exception_fp_ieee_div_zero 0
		.amdhsa_exception_fp_ieee_overflow 0
		.amdhsa_exception_fp_ieee_underflow 0
		.amdhsa_exception_fp_ieee_inexact 0
		.amdhsa_exception_int_div_zero 0
	.end_amdhsa_kernel
	.section	.text._ZN2at6native32elementwise_kernel_manual_unrollILi128ELi4EZNS0_15gpu_kernel_implIZZZNS0_20trigamma_kernel_cudaERNS_18TensorIteratorBaseEENKUlvE_clEvENKUlvE0_clEvEUlfE_EEvS4_RKT_EUlibE_EEviT1_,"axG",@progbits,_ZN2at6native32elementwise_kernel_manual_unrollILi128ELi4EZNS0_15gpu_kernel_implIZZZNS0_20trigamma_kernel_cudaERNS_18TensorIteratorBaseEENKUlvE_clEvENKUlvE0_clEvEUlfE_EEvS4_RKT_EUlibE_EEviT1_,comdat
.Lfunc_end56:
	.size	_ZN2at6native32elementwise_kernel_manual_unrollILi128ELi4EZNS0_15gpu_kernel_implIZZZNS0_20trigamma_kernel_cudaERNS_18TensorIteratorBaseEENKUlvE_clEvENKUlvE0_clEvEUlfE_EEvS4_RKT_EUlibE_EEviT1_, .Lfunc_end56-_ZN2at6native32elementwise_kernel_manual_unrollILi128ELi4EZNS0_15gpu_kernel_implIZZZNS0_20trigamma_kernel_cudaERNS_18TensorIteratorBaseEENKUlvE_clEvENKUlvE0_clEvEUlfE_EEvS4_RKT_EUlibE_EEviT1_
                                        ; -- End function
	.set _ZN2at6native32elementwise_kernel_manual_unrollILi128ELi4EZNS0_15gpu_kernel_implIZZZNS0_20trigamma_kernel_cudaERNS_18TensorIteratorBaseEENKUlvE_clEvENKUlvE0_clEvEUlfE_EEvS4_RKT_EUlibE_EEviT1_.num_vgpr, 45
	.set _ZN2at6native32elementwise_kernel_manual_unrollILi128ELi4EZNS0_15gpu_kernel_implIZZZNS0_20trigamma_kernel_cudaERNS_18TensorIteratorBaseEENKUlvE_clEvENKUlvE0_clEvEUlfE_EEvS4_RKT_EUlibE_EEviT1_.num_agpr, 0
	.set _ZN2at6native32elementwise_kernel_manual_unrollILi128ELi4EZNS0_15gpu_kernel_implIZZZNS0_20trigamma_kernel_cudaERNS_18TensorIteratorBaseEENKUlvE_clEvENKUlvE0_clEvEUlfE_EEvS4_RKT_EUlibE_EEviT1_.numbered_sgpr, 26
	.set _ZN2at6native32elementwise_kernel_manual_unrollILi128ELi4EZNS0_15gpu_kernel_implIZZZNS0_20trigamma_kernel_cudaERNS_18TensorIteratorBaseEENKUlvE_clEvENKUlvE0_clEvEUlfE_EEvS4_RKT_EUlibE_EEviT1_.num_named_barrier, 0
	.set _ZN2at6native32elementwise_kernel_manual_unrollILi128ELi4EZNS0_15gpu_kernel_implIZZZNS0_20trigamma_kernel_cudaERNS_18TensorIteratorBaseEENKUlvE_clEvENKUlvE0_clEvEUlfE_EEvS4_RKT_EUlibE_EEviT1_.private_seg_size, 0
	.set _ZN2at6native32elementwise_kernel_manual_unrollILi128ELi4EZNS0_15gpu_kernel_implIZZZNS0_20trigamma_kernel_cudaERNS_18TensorIteratorBaseEENKUlvE_clEvENKUlvE0_clEvEUlfE_EEvS4_RKT_EUlibE_EEviT1_.uses_vcc, 1
	.set _ZN2at6native32elementwise_kernel_manual_unrollILi128ELi4EZNS0_15gpu_kernel_implIZZZNS0_20trigamma_kernel_cudaERNS_18TensorIteratorBaseEENKUlvE_clEvENKUlvE0_clEvEUlfE_EEvS4_RKT_EUlibE_EEviT1_.uses_flat_scratch, 0
	.set _ZN2at6native32elementwise_kernel_manual_unrollILi128ELi4EZNS0_15gpu_kernel_implIZZZNS0_20trigamma_kernel_cudaERNS_18TensorIteratorBaseEENKUlvE_clEvENKUlvE0_clEvEUlfE_EEvS4_RKT_EUlibE_EEviT1_.has_dyn_sized_stack, 0
	.set _ZN2at6native32elementwise_kernel_manual_unrollILi128ELi4EZNS0_15gpu_kernel_implIZZZNS0_20trigamma_kernel_cudaERNS_18TensorIteratorBaseEENKUlvE_clEvENKUlvE0_clEvEUlfE_EEvS4_RKT_EUlibE_EEviT1_.has_recursion, 0
	.set _ZN2at6native32elementwise_kernel_manual_unrollILi128ELi4EZNS0_15gpu_kernel_implIZZZNS0_20trigamma_kernel_cudaERNS_18TensorIteratorBaseEENKUlvE_clEvENKUlvE0_clEvEUlfE_EEvS4_RKT_EUlibE_EEviT1_.has_indirect_call, 0
	.section	.AMDGPU.csdata,"",@progbits
; Kernel info:
; codeLenInByte = 45048
; TotalNumSgprs: 28
; NumVgprs: 45
; ScratchSize: 0
; MemoryBound: 1
; FloatMode: 240
; IeeeMode: 1
; LDSByteSize: 0 bytes/workgroup (compile time only)
; SGPRBlocks: 0
; VGPRBlocks: 5
; NumSGPRsForWavesPerEU: 28
; NumVGPRsForWavesPerEU: 45
; Occupancy: 16
; WaveLimiterHint : 0
; COMPUTE_PGM_RSRC2:SCRATCH_EN: 0
; COMPUTE_PGM_RSRC2:USER_SGPR: 6
; COMPUTE_PGM_RSRC2:TRAP_HANDLER: 0
; COMPUTE_PGM_RSRC2:TGID_X_EN: 1
; COMPUTE_PGM_RSRC2:TGID_Y_EN: 0
; COMPUTE_PGM_RSRC2:TGID_Z_EN: 0
; COMPUTE_PGM_RSRC2:TIDIG_COMP_CNT: 0
	.section	.text._ZN2at6native32elementwise_kernel_manual_unrollILi128ELi4EZNS0_15gpu_kernel_implIZZZNS0_20trigamma_kernel_cudaERNS_18TensorIteratorBaseEENKUlvE_clEvENKUlvE0_clEvEUlfE_EEvS4_RKT_EUlibE0_EEviT1_,"axG",@progbits,_ZN2at6native32elementwise_kernel_manual_unrollILi128ELi4EZNS0_15gpu_kernel_implIZZZNS0_20trigamma_kernel_cudaERNS_18TensorIteratorBaseEENKUlvE_clEvENKUlvE0_clEvEUlfE_EEvS4_RKT_EUlibE0_EEviT1_,comdat
	.globl	_ZN2at6native32elementwise_kernel_manual_unrollILi128ELi4EZNS0_15gpu_kernel_implIZZZNS0_20trigamma_kernel_cudaERNS_18TensorIteratorBaseEENKUlvE_clEvENKUlvE0_clEvEUlfE_EEvS4_RKT_EUlibE0_EEviT1_ ; -- Begin function _ZN2at6native32elementwise_kernel_manual_unrollILi128ELi4EZNS0_15gpu_kernel_implIZZZNS0_20trigamma_kernel_cudaERNS_18TensorIteratorBaseEENKUlvE_clEvENKUlvE0_clEvEUlfE_EEvS4_RKT_EUlibE0_EEviT1_
	.p2align	8
	.type	_ZN2at6native32elementwise_kernel_manual_unrollILi128ELi4EZNS0_15gpu_kernel_implIZZZNS0_20trigamma_kernel_cudaERNS_18TensorIteratorBaseEENKUlvE_clEvENKUlvE0_clEvEUlfE_EEvS4_RKT_EUlibE0_EEviT1_,@function
_ZN2at6native32elementwise_kernel_manual_unrollILi128ELi4EZNS0_15gpu_kernel_implIZZZNS0_20trigamma_kernel_cudaERNS_18TensorIteratorBaseEENKUlvE_clEvENKUlvE0_clEvEUlfE_EEvS4_RKT_EUlibE0_EEviT1_: ; @_ZN2at6native32elementwise_kernel_manual_unrollILi128ELi4EZNS0_15gpu_kernel_implIZZZNS0_20trigamma_kernel_cudaERNS_18TensorIteratorBaseEENKUlvE_clEvENKUlvE0_clEvEUlfE_EEvS4_RKT_EUlibE0_EEviT1_
; %bb.0:
	s_clause 0x1
	s_load_dword s24, s[4:5], 0x8
	s_load_dword s33, s[4:5], 0x0
	v_lshl_or_b32 v8, s6, 9, v0
	s_add_u32 s6, s4, 8
	s_addc_u32 s7, s5, 0
	s_mov_b32 s1, -1
	s_mov_b32 s26, 0
	v_or_b32_e32 v15, 0x180, v8
	s_mov_b32 s12, 0
	s_mov_b32 s0, exec_lo
	s_waitcnt lgkmcnt(0)
	s_add_i32 s25, s24, -1
	s_cmp_gt_u32 s25, 1
	s_cselect_b32 s27, -1, 0
	v_cmpx_le_i32_e64 s33, v15
	s_xor_b32 s28, exec_lo, s0
	s_cbranch_execz .LBB57_1113
; %bb.1:
	v_mov_b32_e32 v0, 0
	s_clause 0x3
	s_load_dwordx4 s[16:19], s[6:7], 0x4
	s_load_dwordx2 s[20:21], s[6:7], 0x14
	s_load_dwordx4 s[12:15], s[6:7], 0xc4
	s_load_dwordx4 s[8:11], s[6:7], 0x148
	s_cmp_lg_u32 s24, 0
	s_mov_b32 s39, 0
	s_cselect_b32 s34, -1, 0
	global_load_ushort v0, v0, s[6:7] offset:345
	s_add_u32 s22, s6, 0xc4
	s_addc_u32 s23, s7, 0
	s_min_u32 s35, s25, 15
	s_cmp_gt_u32 s24, 1
	s_mov_b32 s37, 0
	s_cselect_b32 s31, -1, 0
	s_mov_b32 s36, 0
	s_mov_b32 s38, exec_lo
	s_waitcnt vmcnt(0)
	v_readfirstlane_b32 s29, v0
	s_and_b32 s0, 0xffff, s29
	s_lshr_b32 s30, s0, 8
	v_cmpx_gt_i32_e64 s33, v8
	s_cbranch_execz .LBB57_272
; %bb.2:
	s_andn2_b32 vcc_lo, exec_lo, s27
	s_cbranch_vccnz .LBB57_7
; %bb.3:
	s_andn2_b32 vcc_lo, exec_lo, s34
	s_cbranch_vccnz .LBB57_8
; %bb.4:
	s_add_i32 s37, s35, 1
	s_cmp_eq_u32 s25, 2
	s_cbranch_scc1 .LBB57_9
; %bb.5:
	v_mov_b32_e32 v2, 0
	v_mov_b32_e32 v0, 0
	;; [unrolled: 1-line block ×3, first 2 shown]
	s_and_b32 s36, s37, 28
	s_mov_b32 s40, 0
	s_mov_b64 s[0:1], s[6:7]
	s_mov_b64 s[2:3], s[22:23]
.LBB57_6:                               ; =>This Inner Loop Header: Depth=1
	s_clause 0x1
	s_load_dwordx8 s[44:51], s[0:1], 0x4
	s_load_dwordx4 s[60:63], s[0:1], 0x24
	s_load_dwordx8 s[52:59], s[2:3], 0x0
	s_add_u32 s0, s0, 48
	s_addc_u32 s1, s1, 0
	s_add_i32 s40, s40, 4
	s_add_u32 s2, s2, 32
	s_addc_u32 s3, s3, 0
	s_cmp_lg_u32 s36, s40
	s_waitcnt lgkmcnt(0)
	v_mul_hi_u32 v3, s45, v1
	v_add_nc_u32_e32 v3, v1, v3
	v_lshrrev_b32_e32 v3, s46, v3
	v_mul_hi_u32 v4, s48, v3
	v_mul_lo_u32 v6, v3, s44
	v_add_nc_u32_e32 v4, v3, v4
	v_sub_nc_u32_e32 v1, v1, v6
	v_lshrrev_b32_e32 v4, s49, v4
	v_mul_lo_u32 v6, v1, s52
	v_mul_lo_u32 v9, v1, s53
	v_mul_hi_u32 v5, s51, v4
	v_add_nc_u32_e32 v5, v4, v5
	v_lshrrev_b32_e32 v5, s60, v5
	v_mul_hi_u32 v7, s62, v5
	v_mul_lo_u32 v10, v5, s50
	v_add_nc_u32_e32 v1, v5, v7
	v_mul_lo_u32 v7, v4, s47
	v_sub_nc_u32_e32 v4, v4, v10
	v_lshrrev_b32_e32 v1, s63, v1
	v_mul_lo_u32 v10, v4, s56
	v_mul_lo_u32 v4, v4, s57
	v_sub_nc_u32_e32 v3, v3, v7
	v_mul_lo_u32 v11, v1, s61
	v_mul_lo_u32 v7, v3, s54
	;; [unrolled: 1-line block ×3, first 2 shown]
	v_sub_nc_u32_e32 v5, v5, v11
	v_add3_u32 v0, v6, v0, v7
	v_mul_lo_u32 v11, v5, s58
	v_mul_lo_u32 v5, v5, s59
	v_add3_u32 v2, v9, v2, v3
	v_add3_u32 v0, v10, v0, v11
	;; [unrolled: 1-line block ×3, first 2 shown]
	s_cbranch_scc1 .LBB57_6
	s_branch .LBB57_10
.LBB57_7:
                                        ; implicit-def: $vgpr0
                                        ; implicit-def: $vgpr2
	s_branch .LBB57_14
.LBB57_8:
	v_mov_b32_e32 v0, 0
	v_mov_b32_e32 v2, 0
	s_branch .LBB57_13
.LBB57_9:
	v_mov_b32_e32 v0, 0
	v_mov_b32_e32 v2, 0
	;; [unrolled: 1-line block ×3, first 2 shown]
.LBB57_10:
	s_and_b32 s37, s37, 3
	s_cmp_eq_u32 s37, 0
	s_cbranch_scc1 .LBB57_13
; %bb.11:
	s_lshl_b32 s0, s36, 3
	s_mul_i32 s2, s36, 12
	s_add_u32 s0, s6, s0
	s_addc_u32 s1, s7, 0
	s_add_u32 s0, s0, 0xc4
	s_addc_u32 s1, s1, 0
	;; [unrolled: 2-line block ×3, first 2 shown]
	.p2align	6
.LBB57_12:                              ; =>This Inner Loop Header: Depth=1
	s_clause 0x1
	s_load_dwordx2 s[40:41], s[2:3], 0x4
	s_load_dword s36, s[2:3], 0xc
	s_load_dwordx2 s[42:43], s[0:1], 0x0
	s_add_u32 s2, s2, 12
	s_addc_u32 s3, s3, 0
	s_add_u32 s0, s0, 8
	s_addc_u32 s1, s1, 0
	s_add_i32 s37, s37, -1
	s_cmp_lg_u32 s37, 0
	s_waitcnt lgkmcnt(0)
	v_mul_hi_u32 v3, s41, v1
	v_add_nc_u32_e32 v3, v1, v3
	v_lshrrev_b32_e32 v4, s36, v3
	v_mul_lo_u32 v3, v4, s40
	v_sub_nc_u32_e32 v3, v1, v3
	v_mad_u64_u32 v[0:1], null, v3, s42, v[0:1]
	v_mad_u64_u32 v[2:3], null, v3, s43, v[2:3]
	v_mov_b32_e32 v1, v4
	s_cbranch_scc1 .LBB57_12
.LBB57_13:
	s_cbranch_execnz .LBB57_16
.LBB57_14:
	s_waitcnt lgkmcnt(0)
	v_mul_hi_u32 v0, s17, v8
	s_andn2_b32 vcc_lo, exec_lo, s31
	v_add_nc_u32_e32 v0, v8, v0
	v_lshrrev_b32_e32 v1, s18, v0
	v_mul_lo_u32 v0, v1, s16
	v_sub_nc_u32_e32 v2, v8, v0
	v_mul_lo_u32 v0, v2, s12
	v_mul_lo_u32 v2, v2, s13
	s_cbranch_vccnz .LBB57_16
; %bb.15:
	v_mul_hi_u32 v3, s20, v1
	v_add_nc_u32_e32 v3, v1, v3
	v_lshrrev_b32_e32 v3, s21, v3
	v_mul_lo_u32 v3, v3, s19
	v_sub_nc_u32_e32 v3, v1, v3
	v_mad_u64_u32 v[0:1], null, v3, s14, v[0:1]
	v_mad_u64_u32 v[2:3], null, v3, s15, v[2:3]
.LBB57_16:
	s_waitcnt lgkmcnt(0)
	v_add_co_u32 v1, s0, s10, v2
	v_add_co_ci_u32_e64 v2, null, s11, 0, s0
	s_and_b32 s0, 0xffff, s30
	s_cmp_lt_i32 s0, 11
	s_cbranch_scc1 .LBB57_23
; %bb.17:
	s_cmp_gt_i32 s0, 25
	s_cbranch_scc0 .LBB57_38
; %bb.18:
	s_cmp_gt_i32 s0, 28
	s_cbranch_scc0 .LBB57_41
	;; [unrolled: 3-line block ×4, first 2 shown]
; %bb.21:
	s_cmp_eq_u32 s0, 46
	s_mov_b32 s2, 0
	s_cbranch_scc0 .LBB57_47
; %bb.22:
	global_load_dword v3, v[1:2], off
	s_mov_b32 s1, -1
	s_mov_b32 s37, 0
	s_waitcnt vmcnt(0)
	v_lshlrev_b32_e32 v3, 16, v3
	s_branch .LBB57_49
.LBB57_23:
	s_mov_b32 s37, 0
	s_mov_b32 s1, 0
                                        ; implicit-def: $vgpr3
	s_cbranch_execnz .LBB57_222
.LBB57_24:
	s_andn2_b32 vcc_lo, exec_lo, s1
	s_cbranch_vccnz .LBB57_269
.LBB57_25:
	v_mov_b32_e32 v1, 0
	v_mov_b32_e32 v2, 1.0
	s_mov_b32 s2, exec_lo
	s_waitcnt vmcnt(0)
	v_cmpx_gt_f32_e32 0.5, v3
	s_cbranch_execz .LBB57_31
; %bb.26:
	v_mul_f32_e32 v1, 0x40490fdb, v3
                                        ; implicit-def: $vgpr5
                                        ; implicit-def: $vgpr4
	s_mov_b32 s1, exec_lo
	v_and_b32_e32 v2, 0x7fffffff, v1
	v_cmpx_ngt_f32_e64 0x48000000, |v1|
	s_xor_b32 s3, exec_lo, s1
	s_cbranch_execz .LBB57_28
; %bb.27:
	s_mov_b32 s0, 0x7fffff
	v_mov_b32_e32 v6, 0
	v_and_or_b32 v7, v2, s0, 0x800000
	v_lshrrev_b32_e32 v13, 23, v2
	v_mad_u64_u32 v[4:5], null, 0xfe5163ab, v7, 0
	v_add_nc_u32_e32 v14, 0xffffff88, v13
	v_cmp_lt_u32_e32 vcc_lo, 63, v14
	v_mad_u64_u32 v[9:10], null, 0x3c439041, v7, v[5:6]
	v_cndmask_b32_e64 v15, 0, 0xffffffc0, vcc_lo
	v_mov_b32_e32 v5, v10
	v_add_nc_u32_e32 v15, v15, v14
	v_mad_u64_u32 v[10:11], null, 0xdb629599, v7, v[5:6]
	v_cmp_lt_u32_e64 s0, 31, v15
	v_cndmask_b32_e64 v16, 0, 0xffffffe0, s0
	v_mov_b32_e32 v5, v11
	v_cndmask_b32_e32 v4, v10, v4, vcc_lo
	v_mad_u64_u32 v[11:12], null, 0xf534ddc0, v7, v[5:6]
	v_mov_b32_e32 v5, v12
	v_cndmask_b32_e32 v9, v11, v9, vcc_lo
	v_mad_u64_u32 v[12:13], null, 0xfc2757d1, v7, v[5:6]
	v_cndmask_b32_e64 v4, v9, v4, s0
	v_mov_b32_e32 v5, v13
	v_mad_u64_u32 v[13:14], null, 0x4e441529, v7, v[5:6]
	v_mov_b32_e32 v5, v14
	v_add_nc_u32_e32 v14, v16, v15
	v_cndmask_b32_e32 v15, v13, v11, vcc_lo
	v_mad_u64_u32 v[5:6], null, 0xa2f9836e, v7, v[5:6]
	v_cmp_lt_u32_e64 s1, 31, v14
	v_cndmask_b32_e64 v7, 0, 0xffffffe0, s1
	v_cndmask_b32_e32 v5, v5, v12, vcc_lo
	v_cndmask_b32_e32 v6, v6, v13, vcc_lo
	;; [unrolled: 1-line block ×3, first 2 shown]
	v_add_nc_u32_e32 v7, v7, v14
	v_cndmask_b32_e64 v11, v5, v15, s0
	v_cndmask_b32_e64 v5, v6, v5, s0
	;; [unrolled: 1-line block ×4, first 2 shown]
	v_sub_nc_u32_e32 v13, 32, v7
	v_cmp_eq_u32_e32 vcc_lo, 0, v7
	v_cndmask_b32_e64 v5, v5, v11, s1
	v_cndmask_b32_e64 v11, v11, v6, s1
	;; [unrolled: 1-line block ×4, first 2 shown]
	v_alignbit_b32 v14, v5, v11, v13
	v_alignbit_b32 v10, v11, v6, v13
	;; [unrolled: 1-line block ×3, first 2 shown]
	v_cndmask_b32_e32 v5, v14, v5, vcc_lo
	v_cndmask_b32_e32 v7, v10, v11, vcc_lo
	;; [unrolled: 1-line block ×3, first 2 shown]
	v_bfe_u32 v9, v5, 29, 1
	v_alignbit_b32 v10, v5, v7, 30
	v_alignbit_b32 v7, v7, v6, 30
	;; [unrolled: 1-line block ×3, first 2 shown]
	v_sub_nc_u32_e32 v11, 0, v9
	v_xor_b32_e32 v10, v10, v11
	v_xor_b32_e32 v6, v7, v11
	;; [unrolled: 1-line block ×3, first 2 shown]
	v_lshrrev_b32_e32 v11, 29, v5
	v_lshrrev_b32_e32 v5, 30, v5
	v_ffbh_u32_e32 v12, v10
	v_add_nc_u32_e32 v5, v9, v5
	v_min_u32_e32 v12, 32, v12
	v_sub_nc_u32_e32 v7, 31, v12
	v_lshlrev_b32_e32 v13, 23, v12
	v_alignbit_b32 v10, v10, v6, v7
	v_alignbit_b32 v4, v6, v4, v7
	v_lshlrev_b32_e32 v6, 31, v11
	v_alignbit_b32 v7, v10, v4, 9
	v_or_b32_e32 v11, 0.5, v6
	v_lshrrev_b32_e32 v10, 9, v10
	v_or_b32_e32 v6, 0x33000000, v6
	v_ffbh_u32_e32 v14, v7
	v_sub_nc_u32_e32 v11, v11, v13
	v_min_u32_e32 v13, 32, v14
	v_or_b32_e32 v10, v10, v11
	v_not_b32_e32 v11, v13
	v_mul_f32_e32 v14, 0x3fc90fda, v10
	v_add_lshl_u32 v12, v13, v12, 23
	v_alignbit_b32 v4, v7, v4, v11
	v_fma_f32 v7, 0x3fc90fda, v10, -v14
	v_sub_nc_u32_e32 v6, v6, v12
	v_lshrrev_b32_e32 v4, 9, v4
	v_fmamk_f32 v7, v10, 0x33a22168, v7
	v_or_b32_e32 v4, v6, v4
	v_fmac_f32_e32 v7, 0x3fc90fda, v4
	v_add_f32_e32 v4, v14, v7
.LBB57_28:
	s_andn2_saveexec_b32 s0, s3
; %bb.29:
	v_mul_f32_e64 v4, 0x3f22f983, |v1|
	v_rndne_f32_e32 v5, v4
	v_fma_f32 v4, 0xbfc90fda, v5, |v1|
	v_fmamk_f32 v4, v5, 0xb3a22168, v4
	v_fmamk_f32 v4, v5, 0xa7c234c4, v4
	v_cvt_i32_f32_e32 v5, v5
; %bb.30:
	s_or_b32 exec_lo, exec_lo, s0
	v_mul_f32_e32 v6, v4, v4
	s_mov_b32 s0, 0xb94c1982
	s_mov_b32 s1, 0x37d75334
	v_and_b32_e32 v10, 1, v5
	v_lshlrev_b32_e32 v5, 30, v5
	v_fmaak_f32 v7, s0, v6, 0x3c0881c4
	v_fmaak_f32 v9, s1, v6, 0xbab64f3b
	v_xor_b32_e32 v2, v2, v1
	v_cmp_eq_u32_e32 vcc_lo, 0, v10
	v_and_b32_e32 v5, 0x80000000, v5
	v_fmaak_f32 v7, v6, v7, 0xbe2aaa9d
	v_fmaak_f32 v9, v6, v9, 0x3d2aabf7
	v_sub_f32_e32 v3, 1.0, v3
	v_mul_f32_e32 v7, v6, v7
	v_fmaak_f32 v9, v6, v9, 0xbf000004
	v_fmac_f32_e32 v4, v4, v7
	v_fma_f32 v6, v6, v9, 1.0
	v_cndmask_b32_e32 v4, v6, v4, vcc_lo
	v_cmp_class_f32_e64 vcc_lo, v1, 0x1f8
	v_xor3_b32 v2, v2, v5, v4
	v_cndmask_b32_e32 v1, 0x7fc00000, v2, vcc_lo
	v_mul_f32_e32 v1, v1, v1
	v_div_scale_f32 v2, null, v1, v1, 0xc11de9e7
	v_div_scale_f32 v6, vcc_lo, 0xc11de9e7, v1, 0xc11de9e7
	v_rcp_f32_e32 v4, v2
	v_fma_f32 v5, -v2, v4, 1.0
	v_fmac_f32_e32 v4, v5, v4
	v_mul_f32_e32 v5, v6, v4
	v_fma_f32 v7, -v2, v5, v6
	v_fmac_f32_e32 v5, v7, v4
	v_fma_f32 v2, -v2, v5, v6
	v_div_fmas_f32 v2, v2, v4, v5
	v_div_fixup_f32 v1, v2, v1, 0xc11de9e7
	v_mov_b32_e32 v2, -1.0
	v_add_f32_e32 v1, 0, v1
.LBB57_31:
	s_or_b32 exec_lo, exec_lo, s2
	v_add_f32_e32 v4, 1.0, v3
	v_mul_f32_e32 v3, v3, v3
	v_mul_f32_e32 v5, v4, v4
	v_add_f32_e32 v4, 1.0, v4
	v_div_scale_f32 v6, null, v3, v3, 1.0
	v_div_scale_f32 v9, vcc_lo, 1.0, v3, 1.0
	v_mul_f32_e32 v10, v4, v4
	v_div_scale_f32 v7, null, v5, v5, 1.0
	v_rcp_f32_e32 v11, v6
	v_div_scale_f32 v14, s0, 1.0, v5, 1.0
	v_div_scale_f32 v13, null, v10, v10, 1.0
	v_rcp_f32_e32 v12, v7
	v_add_f32_e32 v4, 1.0, v4
	v_div_scale_f32 v15, s1, 1.0, v10, 1.0
	v_rcp_f32_e32 v16, v13
	v_fma_f32 v18, -v6, v11, 1.0
	v_mul_f32_e32 v17, v4, v4
	v_add_f32_e32 v4, 1.0, v4
	v_fma_f32 v19, -v7, v12, 1.0
	v_fmac_f32_e32 v11, v18, v11
	v_mul_f32_e32 v21, v4, v4
	v_add_f32_e32 v4, 1.0, v4
	v_fma_f32 v18, -v13, v16, 1.0
	v_fmac_f32_e32 v12, v19, v12
	v_mul_f32_e32 v22, v9, v11
	v_div_scale_f32 v20, null, v17, v17, 1.0
	v_fmac_f32_e32 v16, v18, v16
	v_mul_f32_e32 v23, v14, v12
	v_fma_f32 v24, -v6, v22, v9
	v_add_f32_e32 v27, 1.0, v4
	v_rcp_f32_e32 v19, v20
	v_mul_f32_e32 v26, v15, v16
	v_fma_f32 v25, -v7, v23, v14
	v_fmac_f32_e32 v22, v24, v11
	v_mul_f32_e32 v4, v4, v4
	v_div_scale_f32 v18, null, v21, v21, 1.0
	v_fma_f32 v24, -v13, v26, v15
	v_fmac_f32_e32 v23, v25, v12
	v_fma_f32 v6, -v6, v22, v9
	v_mul_f32_e32 v9, v27, v27
	v_rcp_f32_e32 v25, v18
	v_fmac_f32_e32 v26, v24, v16
	v_fma_f32 v7, -v7, v23, v14
	v_div_fmas_f32 v6, v6, v11, v22
	s_mov_b32 vcc_lo, s0
	v_fma_f32 v28, -v20, v19, 1.0
	v_fma_f32 v11, -v13, v26, v15
	v_div_fmas_f32 v7, v7, v12, v23
	s_mov_b32 vcc_lo, s1
	v_div_scale_f32 v12, null, v4, v4, 1.0
	v_div_fmas_f32 v11, v11, v16, v26
	v_div_scale_f32 v13, null, v9, v9, 1.0
	v_add_f32_e32 v16, v27, v27
	v_rcp_f32_e32 v15, v12
	v_fmac_f32_e32 v19, v28, v19
	v_rcp_f32_e32 v23, v13
	v_div_scale_f32 v14, vcc_lo, 1.0, v17, 1.0
	v_div_scale_f32 v26, null, v16, v16, 1.0
	v_fma_f32 v22, -v18, v25, 1.0
	v_mul_f32_e32 v24, v14, v19
	v_div_fixup_f32 v3, v6, v3, 1.0
	v_rcp_f32_e32 v29, v26
	v_fma_f32 v28, -v12, v15, 1.0
	v_fmac_f32_e32 v25, v22, v25
	v_div_scale_f32 v22, s0, 1.0, v21, 1.0
	v_fma_f32 v31, -v13, v23, 1.0
	v_fma_f32 v30, -v20, v24, v14
	v_fmac_f32_e32 v15, v28, v15
	v_div_scale_f32 v28, s1, 1.0, v4, 1.0
	v_mul_f32_e32 v32, v22, v25
	v_fmac_f32_e32 v23, v31, v23
	v_div_scale_f32 v31, s2, 1.0, v9, 1.0
	v_fma_f32 v33, -v26, v29, 1.0
	v_fmac_f32_e32 v24, v30, v19
	v_mul_f32_e32 v34, v28, v15
	v_fma_f32 v30, -v18, v32, v22
	v_mul_f32_e32 v35, v31, v23
	v_fmac_f32_e32 v29, v33, v29
	v_div_scale_f32 v33, s3, 1.0, v16, 1.0
	v_fma_f32 v14, -v20, v24, v14
	v_fma_f32 v20, -v12, v34, v28
	v_fmac_f32_e32 v32, v30, v25
	v_fma_f32 v30, -v13, v35, v31
	v_mul_f32_e32 v36, v33, v29
	v_div_fmas_f32 v14, v14, v19, v24
	v_fmac_f32_e32 v34, v20, v15
	v_fma_f32 v18, -v18, v32, v22
	v_fmac_f32_e32 v35, v30, v23
	v_fma_f32 v19, -v26, v36, v33
	s_mov_b32 vcc_lo, s0
	v_fma_f32 v12, -v12, v34, v28
	v_div_fmas_f32 v18, v18, v25, v32
	v_fma_f32 v13, -v13, v35, v31
	v_fmac_f32_e32 v36, v19, v29
	s_mov_b32 vcc_lo, s1
	s_mov_b32 s0, 0xbcc30c31
	v_div_fmas_f32 v12, v12, v15, v34
	s_mov_b32 vcc_lo, s2
	v_fma_f32 v15, -v26, v36, v33
	v_div_fmas_f32 v13, v13, v23, v35
	s_mov_b32 vcc_lo, s3
	v_add_f32_e32 v1, v1, v3
	v_div_fixup_f32 v3, v7, v5, 1.0
	v_div_fmas_f32 v15, v15, v29, v36
	v_div_fixup_f32 v9, v13, v9, 1.0
	s_and_b32 s1, s29, 0xff
	v_add_f32_e32 v1, v1, v3
	v_div_fixup_f32 v13, v15, v16, 1.0
	v_fmaak_f32 v15, s0, v9, 0x3d088889
	v_div_fixup_f32 v3, v11, v10, 1.0
	v_add_co_u32 v0, s0, s8, v0
	v_add_f32_e32 v13, 1.0, v13
	v_fma_f32 v15, -v9, v15, 0x3e2aaaab
	v_add_f32_e32 v1, v1, v3
	v_div_fixup_f32 v3, v14, v17, 1.0
	s_cmp_lt_i32 s1, 11
	v_fmac_f32_e32 v13, v9, v15
	v_add_f32_e32 v1, v1, v3
	v_div_fixup_f32 v3, v18, v21, 1.0
	v_div_scale_f32 v9, null, v27, v27, v13
	v_div_scale_f32 v5, vcc_lo, v13, v27, v13
	v_add_f32_e32 v1, v1, v3
	v_rcp_f32_e32 v15, v9
	v_div_fixup_f32 v3, v12, v4, 1.0
	v_add_f32_e32 v1, v1, v3
	v_fma_f32 v6, -v9, v15, 1.0
	v_fmac_f32_e32 v15, v6, v15
	v_mul_f32_e32 v6, v5, v15
	v_fma_f32 v7, -v9, v6, v5
	v_fmac_f32_e32 v6, v7, v15
	v_fma_f32 v5, -v9, v6, v5
	v_div_fmas_f32 v4, v5, v15, v6
	v_div_fixup_f32 v3, v4, v27, v13
	v_add_f32_e32 v3, v1, v3
	v_add_co_ci_u32_e64 v1, null, s9, 0, s0
	v_mul_f32_e32 v2, v2, v3
	s_cbranch_scc1 .LBB57_39
; %bb.32:
	s_and_b32 s2, 0xffff, s1
	s_cmp_gt_i32 s2, 25
	s_cbranch_scc0 .LBB57_42
; %bb.33:
	s_cmp_gt_i32 s2, 28
	s_cbranch_scc0 .LBB57_44
; %bb.34:
	;; [unrolled: 3-line block ×4, first 2 shown]
	s_mov_b32 s36, 0
	s_mov_b32 s0, -1
	s_cmp_eq_u32 s2, 46
	s_mov_b32 s3, 0
	s_cbranch_scc0 .LBB57_53
; %bb.37:
	v_bfe_u32 v3, v2, 16, 1
	v_cmp_o_f32_e32 vcc_lo, v2, v2
	v_mov_b32_e32 v4, 0x7fc0
	s_mov_b32 s3, -1
	s_mov_b32 s0, 0
	v_add3_u32 v3, v2, v3, 0x7fff
	v_cndmask_b32_sdwa v3, v4, v3, vcc_lo dst_sel:DWORD dst_unused:UNUSED_PAD src0_sel:DWORD src1_sel:WORD_1
	global_store_dword v[0:1], v3, off
	s_branch .LBB57_53
.LBB57_38:
	s_mov_b32 s37, 0
	s_mov_b32 s1, 0
                                        ; implicit-def: $vgpr3
	s_cbranch_execnz .LBB57_187
	s_branch .LBB57_221
.LBB57_39:
	s_mov_b32 s0, 0
	s_mov_b32 s3, 0
	s_cbranch_execnz .LBB57_122
.LBB57_40:
	s_andn2_b32 vcc_lo, exec_lo, s3
	s_cbranch_vccz .LBB57_160
	s_branch .LBB57_270
.LBB57_41:
	s_mov_b32 s2, -1
	s_mov_b32 s37, 0
	s_mov_b32 s1, 0
                                        ; implicit-def: $vgpr3
	s_branch .LBB57_168
.LBB57_42:
	s_mov_b32 s36, -1
	s_mov_b32 s0, 0
	s_mov_b32 s3, 0
	s_branch .LBB57_80
.LBB57_43:
	s_mov_b32 s2, -1
	s_mov_b32 s37, 0
	s_mov_b32 s1, 0
                                        ; implicit-def: $vgpr3
	s_branch .LBB57_163
.LBB57_44:
	s_mov_b32 s36, -1
	s_mov_b32 s0, 0
	s_mov_b32 s3, 0
	s_branch .LBB57_63
.LBB57_45:
	s_mov_b32 s2, -1
	s_mov_b32 s37, 0
	s_branch .LBB57_48
.LBB57_46:
	s_mov_b32 s36, -1
	s_mov_b32 s0, 0
	s_mov_b32 s3, 0
	s_branch .LBB57_59
.LBB57_47:
	s_mov_b32 s37, -1
.LBB57_48:
	s_mov_b32 s1, 0
                                        ; implicit-def: $vgpr3
.LBB57_49:
	s_and_b32 vcc_lo, exec_lo, s2
	s_cbranch_vccz .LBB57_162
; %bb.50:
	s_cmp_eq_u32 s0, 44
	s_cbranch_scc0 .LBB57_161
; %bb.51:
	global_load_ubyte v3, v[1:2], off
	s_mov_b32 s37, 0
	s_mov_b32 s1, -1
	s_waitcnt vmcnt(0)
	v_lshlrev_b32_e32 v4, 23, v3
	v_cmp_ne_u32_e32 vcc_lo, 0xff, v3
	v_cndmask_b32_e32 v4, 0x7f800001, v4, vcc_lo
	v_cmp_ne_u32_e32 vcc_lo, 0, v3
	v_cndmask_b32_e32 v3, 0x400000, v4, vcc_lo
	s_branch .LBB57_162
.LBB57_52:
	s_mov_b32 s36, -1
	s_mov_b32 s0, 0
	s_mov_b32 s3, 0
.LBB57_53:
	s_and_b32 vcc_lo, exec_lo, s36
	s_cbranch_vccz .LBB57_58
; %bb.54:
	s_cmp_eq_u32 s2, 44
	s_mov_b32 s0, -1
	s_cbranch_scc0 .LBB57_58
; %bb.55:
	v_bfe_u32 v4, v2, 23, 8
	v_mov_b32_e32 v3, 0xff
	s_mov_b32 s3, exec_lo
	v_cmpx_ne_u32_e32 0xff, v4
	s_cbranch_execz .LBB57_57
; %bb.56:
	v_and_b32_e32 v3, 0x400000, v2
	v_and_or_b32 v4, 0x3fffff, v2, v4
	v_cmp_ne_u32_e32 vcc_lo, 0, v3
	v_cmp_ne_u32_e64 s0, 0, v4
	v_lshrrev_b32_e32 v3, 23, v2
	s_and_b32 s0, vcc_lo, s0
	v_cndmask_b32_e64 v4, 0, 1, s0
	v_add_nc_u32_e32 v3, v3, v4
.LBB57_57:
	s_or_b32 exec_lo, exec_lo, s3
	s_mov_b32 s3, -1
	s_mov_b32 s0, 0
	global_store_byte v[0:1], v3, off
.LBB57_58:
	s_mov_b32 s36, 0
.LBB57_59:
	s_and_b32 vcc_lo, exec_lo, s36
	s_cbranch_vccz .LBB57_62
; %bb.60:
	s_cmp_eq_u32 s2, 29
	s_mov_b32 s0, -1
	s_cbranch_scc0 .LBB57_62
; %bb.61:
	v_trunc_f32_e32 v3, v2
	s_mov_b32 s3, -1
	s_mov_b32 s0, 0
	s_mov_b32 s36, 0
	v_mul_f32_e32 v4, 0x2f800000, v3
	v_floor_f32_e32 v4, v4
	v_fmamk_f32 v3, v4, 0xcf800000, v3
	v_cvt_u32_f32_e32 v4, v4
	v_cvt_u32_f32_e32 v3, v3
	global_store_dwordx2 v[0:1], v[3:4], off
	s_branch .LBB57_63
.LBB57_62:
	s_mov_b32 s36, 0
.LBB57_63:
	s_and_b32 vcc_lo, exec_lo, s36
	s_cbranch_vccz .LBB57_79
; %bb.64:
	s_cmp_lt_i32 s2, 27
	s_mov_b32 s3, -1
	s_cbranch_scc1 .LBB57_70
; %bb.65:
	v_cvt_u32_f32_e32 v3, v2
	s_cmp_gt_i32 s2, 27
	s_cbranch_scc0 .LBB57_67
; %bb.66:
	s_mov_b32 s3, 0
	global_store_dword v[0:1], v3, off
.LBB57_67:
	s_andn2_b32 vcc_lo, exec_lo, s3
	s_cbranch_vccnz .LBB57_69
; %bb.68:
	global_store_short v[0:1], v3, off
.LBB57_69:
	s_mov_b32 s3, 0
.LBB57_70:
	s_andn2_b32 vcc_lo, exec_lo, s3
	s_cbranch_vccnz .LBB57_78
; %bb.71:
	v_and_b32_e32 v3, 0x7fffffff, v2
	v_mov_b32_e32 v4, 0x80
	s_mov_b32 s3, exec_lo
	v_cmpx_gt_u32_e32 0x43800000, v3
	s_cbranch_execz .LBB57_77
; %bb.72:
	v_cmp_lt_u32_e32 vcc_lo, 0x3bffffff, v3
	s_mov_b32 s36, 0
                                        ; implicit-def: $vgpr3
	s_and_saveexec_b32 s40, vcc_lo
	s_xor_b32 s40, exec_lo, s40
	s_cbranch_execz .LBB57_319
; %bb.73:
	v_bfe_u32 v3, v2, 20, 1
	s_mov_b32 s36, exec_lo
	v_add3_u32 v3, v2, v3, 0x487ffff
	v_lshrrev_b32_e32 v3, 20, v3
	s_andn2_saveexec_b32 s40, s40
	s_cbranch_execnz .LBB57_320
.LBB57_74:
	s_or_b32 exec_lo, exec_lo, s40
	v_mov_b32_e32 v4, 0
	s_and_saveexec_b32 s40, s36
.LBB57_75:
	v_lshrrev_b32_e32 v4, 24, v2
	v_and_or_b32 v4, 0x80, v4, v3
.LBB57_76:
	s_or_b32 exec_lo, exec_lo, s40
.LBB57_77:
	s_or_b32 exec_lo, exec_lo, s3
	global_store_byte v[0:1], v4, off
.LBB57_78:
	s_mov_b32 s3, -1
.LBB57_79:
	s_mov_b32 s36, 0
.LBB57_80:
	s_and_b32 vcc_lo, exec_lo, s36
	s_cbranch_vccz .LBB57_121
; %bb.81:
	s_cmp_gt_i32 s2, 22
	s_mov_b32 s36, -1
	s_cbranch_scc0 .LBB57_113
; %bb.82:
	s_cmp_lt_i32 s2, 24
	s_mov_b32 s3, -1
	s_cbranch_scc1 .LBB57_102
; %bb.83:
	s_cmp_gt_i32 s2, 24
	s_cbranch_scc0 .LBB57_91
; %bb.84:
	v_and_b32_e32 v3, 0x7fffffff, v2
	v_mov_b32_e32 v4, 0x80
	s_mov_b32 s3, exec_lo
	v_cmpx_gt_u32_e32 0x47800000, v3
	s_cbranch_execz .LBB57_90
; %bb.85:
	v_cmp_lt_u32_e32 vcc_lo, 0x37ffffff, v3
	s_mov_b32 s36, 0
                                        ; implicit-def: $vgpr3
	s_and_saveexec_b32 s40, vcc_lo
	s_xor_b32 s40, exec_lo, s40
	s_cbranch_execz .LBB57_323
; %bb.86:
	v_bfe_u32 v3, v2, 21, 1
	s_mov_b32 s36, exec_lo
	v_add3_u32 v3, v2, v3, 0x88fffff
	v_lshrrev_b32_e32 v3, 21, v3
	s_andn2_saveexec_b32 s40, s40
	s_cbranch_execnz .LBB57_324
.LBB57_87:
	s_or_b32 exec_lo, exec_lo, s40
	v_mov_b32_e32 v4, 0
	s_and_saveexec_b32 s40, s36
.LBB57_88:
	v_lshrrev_b32_e32 v4, 24, v2
	v_and_or_b32 v4, 0x80, v4, v3
.LBB57_89:
	s_or_b32 exec_lo, exec_lo, s40
.LBB57_90:
	s_or_b32 exec_lo, exec_lo, s3
	s_mov_b32 s3, 0
	global_store_byte v[0:1], v4, off
.LBB57_91:
	s_and_b32 vcc_lo, exec_lo, s3
	s_cbranch_vccz .LBB57_101
; %bb.92:
	v_and_b32_e32 v4, 0x7fffffff, v2
	s_mov_b32 s3, exec_lo
                                        ; implicit-def: $vgpr3
	v_cmpx_gt_u32_e32 0x43f00000, v4
	s_xor_b32 s3, exec_lo, s3
	s_cbranch_execz .LBB57_98
; %bb.93:
	s_mov_b32 s36, exec_lo
                                        ; implicit-def: $vgpr3
	v_cmpx_lt_u32_e32 0x3c7fffff, v4
	s_xor_b32 s36, exec_lo, s36
; %bb.94:
	v_bfe_u32 v3, v2, 20, 1
	v_add3_u32 v3, v2, v3, 0x407ffff
	v_and_b32_e32 v4, 0xff00000, v3
	v_lshrrev_b32_e32 v3, 20, v3
	v_cmp_ne_u32_e32 vcc_lo, 0x7f00000, v4
	v_cndmask_b32_e32 v3, 0x7e, v3, vcc_lo
; %bb.95:
	s_andn2_saveexec_b32 s36, s36
; %bb.96:
	v_add_f32_e64 v3, 0x46800000, |v2|
; %bb.97:
	s_or_b32 exec_lo, exec_lo, s36
                                        ; implicit-def: $vgpr4
.LBB57_98:
	s_andn2_saveexec_b32 s3, s3
; %bb.99:
	v_mov_b32_e32 v3, 0x7f
	v_cmp_lt_u32_e32 vcc_lo, 0x7f800000, v4
	v_cndmask_b32_e32 v3, 0x7e, v3, vcc_lo
; %bb.100:
	s_or_b32 exec_lo, exec_lo, s3
	v_lshrrev_b32_e32 v4, 24, v2
	v_and_or_b32 v3, 0x80, v4, v3
	global_store_byte v[0:1], v3, off
.LBB57_101:
	s_mov_b32 s3, 0
.LBB57_102:
	s_andn2_b32 vcc_lo, exec_lo, s3
	s_cbranch_vccnz .LBB57_112
; %bb.103:
	v_and_b32_e32 v4, 0x7fffffff, v2
	s_mov_b32 s3, exec_lo
                                        ; implicit-def: $vgpr3
	v_cmpx_gt_u32_e32 0x47800000, v4
	s_xor_b32 s3, exec_lo, s3
	s_cbranch_execz .LBB57_109
; %bb.104:
	s_mov_b32 s36, exec_lo
                                        ; implicit-def: $vgpr3
	v_cmpx_lt_u32_e32 0x387fffff, v4
	s_xor_b32 s36, exec_lo, s36
; %bb.105:
	v_bfe_u32 v3, v2, 21, 1
	v_add3_u32 v3, v2, v3, 0x80fffff
	v_lshrrev_b32_e32 v3, 21, v3
; %bb.106:
	s_andn2_saveexec_b32 s36, s36
; %bb.107:
	v_add_f32_e64 v3, 0x43000000, |v2|
; %bb.108:
	s_or_b32 exec_lo, exec_lo, s36
                                        ; implicit-def: $vgpr4
.LBB57_109:
	s_andn2_saveexec_b32 s3, s3
; %bb.110:
	v_mov_b32_e32 v3, 0x7f
	v_cmp_lt_u32_e32 vcc_lo, 0x7f800000, v4
	v_cndmask_b32_e32 v3, 0x7c, v3, vcc_lo
; %bb.111:
	s_or_b32 exec_lo, exec_lo, s3
	v_lshrrev_b32_e32 v4, 24, v2
	v_and_or_b32 v3, 0x80, v4, v3
	global_store_byte v[0:1], v3, off
.LBB57_112:
	s_mov_b32 s36, 0
	s_mov_b32 s3, -1
.LBB57_113:
	s_andn2_b32 vcc_lo, exec_lo, s36
	s_cbranch_vccnz .LBB57_121
; %bb.114:
	s_cmp_gt_i32 s2, 14
	s_mov_b32 s36, -1
	s_cbranch_scc0 .LBB57_118
; %bb.115:
	s_cmp_eq_u32 s2, 15
	s_mov_b32 s0, -1
	s_cbranch_scc0 .LBB57_117
; %bb.116:
	v_bfe_u32 v3, v2, 16, 1
	v_cmp_o_f32_e32 vcc_lo, v2, v2
	v_mov_b32_e32 v4, 0x7fc0
	s_mov_b32 s3, -1
	s_mov_b32 s0, 0
	v_add3_u32 v3, v2, v3, 0x7fff
	v_cndmask_b32_sdwa v3, v4, v3, vcc_lo dst_sel:DWORD dst_unused:UNUSED_PAD src0_sel:DWORD src1_sel:WORD_1
	global_store_short v[0:1], v3, off
.LBB57_117:
	s_mov_b32 s36, 0
.LBB57_118:
	s_and_b32 vcc_lo, exec_lo, s36
	s_cbranch_vccz .LBB57_121
; %bb.119:
	s_cmp_eq_u32 s2, 11
	s_mov_b32 s0, -1
	s_cbranch_scc0 .LBB57_121
; %bb.120:
	v_cmp_neq_f32_e32 vcc_lo, 0, v2
	s_mov_b32 s0, 0
	s_mov_b32 s3, -1
	v_cndmask_b32_e64 v3, 0, 1, vcc_lo
	global_store_byte v[0:1], v3, off
.LBB57_121:
	s_branch .LBB57_40
.LBB57_122:
	s_and_b32 s1, 0xffff, s1
	s_mov_b32 s2, -1
	s_cmp_lt_i32 s1, 5
	s_cbranch_scc1 .LBB57_143
; %bb.123:
	s_cmp_lt_i32 s1, 8
	s_cbranch_scc1 .LBB57_133
; %bb.124:
	;; [unrolled: 3-line block ×3, first 2 shown]
	s_cmp_gt_i32 s1, 9
	s_cbranch_scc0 .LBB57_127
; %bb.126:
	v_cvt_f64_f32_e32 v[3:4], v2
	v_mov_b32_e32 v5, 0
	s_mov_b32 s2, 0
	v_mov_b32_e32 v6, v5
	global_store_dwordx4 v[0:1], v[3:6], off
.LBB57_127:
	s_andn2_b32 vcc_lo, exec_lo, s2
	s_cbranch_vccnz .LBB57_129
; %bb.128:
	v_mov_b32_e32 v3, 0
	global_store_dwordx2 v[0:1], v[2:3], off
.LBB57_129:
	s_mov_b32 s2, 0
.LBB57_130:
	s_andn2_b32 vcc_lo, exec_lo, s2
	s_cbranch_vccnz .LBB57_132
; %bb.131:
	v_cvt_f16_f32_e32 v3, v2
	v_and_b32_e32 v3, 0xffff, v3
	global_store_dword v[0:1], v3, off
.LBB57_132:
	s_mov_b32 s2, 0
.LBB57_133:
	s_andn2_b32 vcc_lo, exec_lo, s2
	s_cbranch_vccnz .LBB57_142
; %bb.134:
	s_cmp_lt_i32 s1, 6
	s_mov_b32 s2, -1
	s_cbranch_scc1 .LBB57_140
; %bb.135:
	s_cmp_gt_i32 s1, 6
	s_cbranch_scc0 .LBB57_137
; %bb.136:
	v_cvt_f64_f32_e32 v[3:4], v2
	s_mov_b32 s2, 0
	global_store_dwordx2 v[0:1], v[3:4], off
.LBB57_137:
	s_andn2_b32 vcc_lo, exec_lo, s2
	s_cbranch_vccnz .LBB57_139
; %bb.138:
	global_store_dword v[0:1], v2, off
.LBB57_139:
	s_mov_b32 s2, 0
.LBB57_140:
	s_andn2_b32 vcc_lo, exec_lo, s2
	s_cbranch_vccnz .LBB57_142
; %bb.141:
	v_cvt_f16_f32_e32 v3, v2
	global_store_short v[0:1], v3, off
.LBB57_142:
	s_mov_b32 s2, 0
.LBB57_143:
	s_andn2_b32 vcc_lo, exec_lo, s2
	s_cbranch_vccnz .LBB57_159
; %bb.144:
	s_cmp_lt_i32 s1, 2
	s_mov_b32 s2, -1
	s_cbranch_scc1 .LBB57_154
; %bb.145:
	s_cmp_lt_i32 s1, 3
	s_cbranch_scc1 .LBB57_151
; %bb.146:
	s_cmp_gt_i32 s1, 3
	s_cbranch_scc0 .LBB57_148
; %bb.147:
	v_trunc_f32_e32 v3, v2
	s_mov_b32 s2, 0
	v_mul_f32_e64 v4, 0x2f800000, |v3|
	v_ashrrev_i32_e32 v6, 31, v3
	v_floor_f32_e32 v4, v4
	v_fma_f32 v5, 0xcf800000, v4, |v3|
	v_cvt_u32_f32_e32 v4, v4
	v_cvt_u32_f32_e32 v3, v5
	v_xor_b32_e32 v4, v4, v6
	v_xor_b32_e32 v3, v3, v6
	v_sub_co_u32 v3, vcc_lo, v3, v6
	v_sub_co_ci_u32_e64 v4, null, v4, v6, vcc_lo
	global_store_dwordx2 v[0:1], v[3:4], off
.LBB57_148:
	s_andn2_b32 vcc_lo, exec_lo, s2
	s_cbranch_vccnz .LBB57_150
; %bb.149:
	v_cvt_i32_f32_e32 v3, v2
	global_store_dword v[0:1], v3, off
.LBB57_150:
	s_mov_b32 s2, 0
.LBB57_151:
	s_andn2_b32 vcc_lo, exec_lo, s2
	s_cbranch_vccnz .LBB57_153
; %bb.152:
	v_cvt_i32_f32_e32 v3, v2
	global_store_short v[0:1], v3, off
.LBB57_153:
	s_mov_b32 s2, 0
.LBB57_154:
	s_andn2_b32 vcc_lo, exec_lo, s2
	s_cbranch_vccnz .LBB57_159
; %bb.155:
	s_cmp_gt_i32 s1, 0
	s_mov_b32 s1, -1
	s_cbranch_scc0 .LBB57_157
; %bb.156:
	v_cvt_i32_f32_e32 v3, v2
	s_mov_b32 s1, 0
	global_store_byte v[0:1], v3, off
.LBB57_157:
	s_andn2_b32 vcc_lo, exec_lo, s1
	s_cbranch_vccnz .LBB57_159
; %bb.158:
	v_trunc_f32_e32 v2, v2
	v_mul_f32_e64 v3, 0x2f800000, |v2|
	v_floor_f32_e32 v3, v3
	v_fma_f32 v3, 0xcf800000, v3, |v2|
	v_ashrrev_i32_e32 v2, 31, v2
	v_cvt_u32_f32_e32 v3, v3
	v_xor_b32_e32 v3, v3, v2
	v_sub_nc_u32_e32 v2, v3, v2
	global_store_byte v[0:1], v2, off
.LBB57_159:
.LBB57_160:
	v_add_nc_u32_e32 v8, 0x80, v8
	s_mov_b32 s1, -1
	s_branch .LBB57_271
.LBB57_161:
	s_mov_b32 s37, -1
                                        ; implicit-def: $vgpr3
.LBB57_162:
	s_mov_b32 s2, 0
.LBB57_163:
	s_and_b32 vcc_lo, exec_lo, s2
	s_cbranch_vccz .LBB57_167
; %bb.164:
	s_cmp_eq_u32 s0, 29
	s_cbranch_scc0 .LBB57_166
; %bb.165:
	global_load_dwordx2 v[3:4], v[1:2], off
	s_mov_b32 s1, -1
	s_mov_b32 s37, 0
	s_mov_b32 s2, 0
	s_waitcnt vmcnt(0)
	v_ffbh_u32_e32 v5, v4
	v_min_u32_e32 v5, 32, v5
	v_lshlrev_b64 v[3:4], v5, v[3:4]
	v_min_u32_e32 v3, 1, v3
	v_or_b32_e32 v3, v4, v3
	v_sub_nc_u32_e32 v4, 32, v5
	v_cvt_f32_u32_e32 v3, v3
	v_ldexp_f32 v3, v3, v4
	s_branch .LBB57_168
.LBB57_166:
	s_mov_b32 s37, -1
                                        ; implicit-def: $vgpr3
.LBB57_167:
	s_mov_b32 s2, 0
.LBB57_168:
	s_and_b32 vcc_lo, exec_lo, s2
	s_cbranch_vccz .LBB57_186
; %bb.169:
	s_cmp_lt_i32 s0, 27
	s_cbranch_scc1 .LBB57_172
; %bb.170:
	s_cmp_gt_i32 s0, 27
	s_cbranch_scc0 .LBB57_173
; %bb.171:
	global_load_dword v3, v[1:2], off
	s_mov_b32 s1, 0
	s_waitcnt vmcnt(0)
	v_cvt_f32_u32_e32 v3, v3
	s_branch .LBB57_174
.LBB57_172:
	s_mov_b32 s1, -1
                                        ; implicit-def: $vgpr3
	s_branch .LBB57_177
.LBB57_173:
	s_mov_b32 s1, -1
                                        ; implicit-def: $vgpr3
.LBB57_174:
	s_andn2_b32 vcc_lo, exec_lo, s1
	s_cbranch_vccnz .LBB57_176
; %bb.175:
	global_load_ushort v3, v[1:2], off
	s_waitcnt vmcnt(0)
	v_cvt_f32_u32_e32 v3, v3
.LBB57_176:
	s_mov_b32 s1, 0
.LBB57_177:
	s_andn2_b32 vcc_lo, exec_lo, s1
	s_cbranch_vccnz .LBB57_185
; %bb.178:
	global_load_ubyte v4, v[1:2], off
	s_mov_b32 s1, 0
	s_mov_b32 s2, exec_lo
	s_waitcnt vmcnt(0)
	v_cmpx_lt_i16_e32 0x7f, v4
	s_xor_b32 s2, exec_lo, s2
	s_cbranch_execz .LBB57_198
; %bb.179:
	s_mov_b32 s1, -1
	s_mov_b32 s3, exec_lo
	v_cmpx_eq_u16_e32 0x80, v4
; %bb.180:
	s_xor_b32 s1, exec_lo, -1
; %bb.181:
	s_or_b32 exec_lo, exec_lo, s3
	s_and_b32 s1, s1, exec_lo
	s_or_saveexec_b32 s2, s2
	v_mov_b32_e32 v3, 0x7f800001
	s_xor_b32 exec_lo, exec_lo, s2
	s_cbranch_execnz .LBB57_199
.LBB57_182:
	s_or_b32 exec_lo, exec_lo, s2
	s_and_saveexec_b32 s2, s1
	s_cbranch_execz .LBB57_184
.LBB57_183:
	v_and_b32_e32 v3, 0xffff, v4
	v_lshlrev_b32_e32 v4, 24, v4
	v_and_b32_e32 v5, 7, v3
	v_bfe_u32 v9, v3, 3, 4
	v_and_b32_e32 v4, 0x80000000, v4
	v_ffbh_u32_e32 v6, v5
	v_cmp_eq_u32_e32 vcc_lo, 0, v9
	v_min_u32_e32 v6, 32, v6
	v_subrev_nc_u32_e32 v7, 28, v6
	v_sub_nc_u32_e32 v6, 29, v6
	v_lshlrev_b32_e32 v3, v7, v3
	v_cndmask_b32_e32 v6, v9, v6, vcc_lo
	v_and_b32_e32 v3, 7, v3
	v_cndmask_b32_e32 v3, v5, v3, vcc_lo
	v_lshl_add_u32 v5, v6, 23, 0x3b800000
	v_lshlrev_b32_e32 v3, 20, v3
	v_or3_b32 v3, v4, v5, v3
.LBB57_184:
	s_or_b32 exec_lo, exec_lo, s2
.LBB57_185:
	s_mov_b32 s1, -1
.LBB57_186:
	s_branch .LBB57_221
.LBB57_187:
	s_cmp_gt_i32 s0, 22
	s_cbranch_scc0 .LBB57_197
; %bb.188:
	s_cmp_lt_i32 s0, 24
	s_cbranch_scc1 .LBB57_200
; %bb.189:
	s_cmp_gt_i32 s0, 24
	s_cbranch_scc0 .LBB57_201
; %bb.190:
	global_load_ubyte v4, v[1:2], off
	s_mov_b32 s1, 0
	s_mov_b32 s2, exec_lo
	s_waitcnt vmcnt(0)
	v_cmpx_lt_i16_e32 0x7f, v4
	s_xor_b32 s2, exec_lo, s2
	s_cbranch_execz .LBB57_213
; %bb.191:
	s_mov_b32 s1, -1
	s_mov_b32 s3, exec_lo
	v_cmpx_eq_u16_e32 0x80, v4
; %bb.192:
	s_xor_b32 s1, exec_lo, -1
; %bb.193:
	s_or_b32 exec_lo, exec_lo, s3
	s_and_b32 s1, s1, exec_lo
	s_or_saveexec_b32 s2, s2
	v_mov_b32_e32 v3, 0x7f800001
	s_xor_b32 exec_lo, exec_lo, s2
	s_cbranch_execnz .LBB57_214
.LBB57_194:
	s_or_b32 exec_lo, exec_lo, s2
	s_and_saveexec_b32 s2, s1
	s_cbranch_execz .LBB57_196
.LBB57_195:
	v_and_b32_e32 v3, 0xffff, v4
	v_lshlrev_b32_e32 v4, 24, v4
	v_and_b32_e32 v5, 3, v3
	v_bfe_u32 v9, v3, 2, 5
	v_and_b32_e32 v4, 0x80000000, v4
	v_ffbh_u32_e32 v6, v5
	v_cmp_eq_u32_e32 vcc_lo, 0, v9
	v_min_u32_e32 v6, 32, v6
	v_subrev_nc_u32_e32 v7, 29, v6
	v_sub_nc_u32_e32 v6, 30, v6
	v_lshlrev_b32_e32 v3, v7, v3
	v_cndmask_b32_e32 v6, v9, v6, vcc_lo
	v_and_b32_e32 v3, 3, v3
	v_cndmask_b32_e32 v3, v5, v3, vcc_lo
	v_lshl_add_u32 v5, v6, 23, 0x37800000
	v_lshlrev_b32_e32 v3, 21, v3
	v_or3_b32 v3, v4, v5, v3
.LBB57_196:
	s_or_b32 exec_lo, exec_lo, s2
	s_mov_b32 s1, 0
	s_branch .LBB57_202
.LBB57_197:
	s_mov_b32 s2, -1
                                        ; implicit-def: $vgpr3
	s_branch .LBB57_208
.LBB57_198:
	s_or_saveexec_b32 s2, s2
	v_mov_b32_e32 v3, 0x7f800001
	s_xor_b32 exec_lo, exec_lo, s2
	s_cbranch_execz .LBB57_182
.LBB57_199:
	v_cmp_ne_u16_e32 vcc_lo, 0, v4
	v_mov_b32_e32 v3, 0
	s_andn2_b32 s1, s1, exec_lo
	s_and_b32 s3, vcc_lo, exec_lo
	s_or_b32 s1, s1, s3
	s_or_b32 exec_lo, exec_lo, s2
	s_and_saveexec_b32 s2, s1
	s_cbranch_execnz .LBB57_183
	s_branch .LBB57_184
.LBB57_200:
	s_mov_b32 s1, -1
                                        ; implicit-def: $vgpr3
	s_branch .LBB57_205
.LBB57_201:
	s_mov_b32 s1, -1
                                        ; implicit-def: $vgpr3
.LBB57_202:
	s_and_b32 vcc_lo, exec_lo, s1
	s_cbranch_vccz .LBB57_204
; %bb.203:
	global_load_ubyte v3, v[1:2], off
	s_waitcnt vmcnt(0)
	v_lshlrev_b32_e32 v3, 24, v3
	v_and_b32_e32 v4, 0x7f000000, v3
	v_ffbh_u32_e32 v5, v4
	v_add_nc_u32_e32 v7, 0x1000000, v4
	v_cmp_ne_u32_e32 vcc_lo, 0, v4
	v_min_u32_e32 v5, 32, v5
	v_sub_nc_u32_e64 v5, v5, 4 clamp
	v_lshlrev_b32_e32 v6, v5, v4
	v_lshlrev_b32_e32 v5, 23, v5
	v_lshrrev_b32_e32 v6, 4, v6
	v_sub_nc_u32_e32 v5, v6, v5
	v_ashrrev_i32_e32 v6, 8, v7
	v_add_nc_u32_e32 v5, 0x3c000000, v5
	v_and_or_b32 v5, 0x7f800000, v6, v5
	v_cndmask_b32_e32 v4, 0, v5, vcc_lo
	v_and_or_b32 v3, 0x80000000, v3, v4
.LBB57_204:
	s_mov_b32 s1, 0
.LBB57_205:
	s_andn2_b32 vcc_lo, exec_lo, s1
	s_cbranch_vccnz .LBB57_207
; %bb.206:
	global_load_ubyte v3, v[1:2], off
	s_waitcnt vmcnt(0)
	v_lshlrev_b32_e32 v4, 25, v3
	v_lshlrev_b16 v3, 8, v3
	v_lshrrev_b32_e32 v5, 4, v4
	v_and_or_b32 v6, 0x7f00, v3, 0.5
	v_cmp_gt_u32_e32 vcc_lo, 0x8000000, v4
	v_bfe_i32 v3, v3, 0, 16
	v_or_b32_e32 v5, 0x70000000, v5
	v_add_f32_e32 v6, -0.5, v6
	v_mul_f32_e32 v5, 0x7800000, v5
	v_cndmask_b32_e32 v4, v5, v6, vcc_lo
	v_and_or_b32 v3, 0x80000000, v3, v4
.LBB57_207:
	s_mov_b32 s2, 0
	s_mov_b32 s1, -1
.LBB57_208:
	s_andn2_b32 vcc_lo, exec_lo, s2
	s_cbranch_vccnz .LBB57_221
; %bb.209:
	s_cmp_gt_i32 s0, 14
	s_cbranch_scc0 .LBB57_212
; %bb.210:
	s_cmp_eq_u32 s0, 15
	s_cbranch_scc0 .LBB57_215
; %bb.211:
	global_load_ushort v3, v[1:2], off
	s_mov_b32 s1, -1
	s_mov_b32 s37, 0
	s_waitcnt vmcnt(0)
	v_lshlrev_b32_e32 v3, 16, v3
	s_branch .LBB57_216
.LBB57_212:
	s_mov_b32 s2, -1
                                        ; implicit-def: $vgpr3
	s_branch .LBB57_217
.LBB57_213:
	s_or_saveexec_b32 s2, s2
	v_mov_b32_e32 v3, 0x7f800001
	s_xor_b32 exec_lo, exec_lo, s2
	s_cbranch_execz .LBB57_194
.LBB57_214:
	v_cmp_ne_u16_e32 vcc_lo, 0, v4
	v_mov_b32_e32 v3, 0
	s_andn2_b32 s1, s1, exec_lo
	s_and_b32 s3, vcc_lo, exec_lo
	s_or_b32 s1, s1, s3
	s_or_b32 exec_lo, exec_lo, s2
	s_and_saveexec_b32 s2, s1
	s_cbranch_execnz .LBB57_195
	s_branch .LBB57_196
.LBB57_215:
	s_mov_b32 s37, -1
                                        ; implicit-def: $vgpr3
.LBB57_216:
	s_mov_b32 s2, 0
.LBB57_217:
	s_and_b32 vcc_lo, exec_lo, s2
	s_cbranch_vccz .LBB57_221
; %bb.218:
	s_cmp_eq_u32 s0, 11
	s_cbranch_scc0 .LBB57_220
; %bb.219:
	global_load_ubyte v3, v[1:2], off
	s_mov_b32 s37, 0
	s_mov_b32 s1, -1
	s_waitcnt vmcnt(0)
	v_cmp_ne_u16_e32 vcc_lo, 0, v3
	v_cndmask_b32_e64 v3, 0, 1.0, vcc_lo
	s_branch .LBB57_221
.LBB57_220:
	s_mov_b32 s37, -1
                                        ; implicit-def: $vgpr3
.LBB57_221:
	s_branch .LBB57_24
.LBB57_222:
	s_cmp_lt_i32 s0, 5
	s_cbranch_scc1 .LBB57_227
; %bb.223:
	s_cmp_lt_i32 s0, 8
	s_cbranch_scc1 .LBB57_228
; %bb.224:
	;; [unrolled: 3-line block ×3, first 2 shown]
	s_cmp_gt_i32 s0, 9
	s_cbranch_scc0 .LBB57_230
; %bb.226:
	global_load_dwordx2 v[3:4], v[1:2], off
	s_mov_b32 s1, 0
	s_waitcnt vmcnt(0)
	v_cvt_f32_f64_e32 v3, v[3:4]
	s_branch .LBB57_231
.LBB57_227:
                                        ; implicit-def: $vgpr3
	s_branch .LBB57_249
.LBB57_228:
	s_mov_b32 s1, -1
                                        ; implicit-def: $vgpr3
	s_branch .LBB57_237
.LBB57_229:
	s_mov_b32 s1, -1
                                        ; implicit-def: $vgpr3
	s_branch .LBB57_234
.LBB57_230:
	s_mov_b32 s1, -1
                                        ; implicit-def: $vgpr3
.LBB57_231:
	s_andn2_b32 vcc_lo, exec_lo, s1
	s_cbranch_vccnz .LBB57_233
; %bb.232:
	global_load_dword v3, v[1:2], off
.LBB57_233:
	s_mov_b32 s1, 0
.LBB57_234:
	s_andn2_b32 vcc_lo, exec_lo, s1
	s_cbranch_vccnz .LBB57_236
; %bb.235:
	global_load_dword v3, v[1:2], off
	s_waitcnt vmcnt(0)
	v_cvt_f32_f16_e32 v3, v3
.LBB57_236:
	s_mov_b32 s1, 0
.LBB57_237:
	s_andn2_b32 vcc_lo, exec_lo, s1
	s_cbranch_vccnz .LBB57_248
; %bb.238:
	s_cmp_lt_i32 s0, 6
	s_cbranch_scc1 .LBB57_241
; %bb.239:
	s_cmp_gt_i32 s0, 6
	s_cbranch_scc0 .LBB57_242
; %bb.240:
	global_load_dwordx2 v[3:4], v[1:2], off
	s_mov_b32 s1, 0
	s_waitcnt vmcnt(0)
	v_cvt_f32_f64_e32 v3, v[3:4]
	s_branch .LBB57_243
.LBB57_241:
	s_mov_b32 s1, -1
                                        ; implicit-def: $vgpr3
	s_branch .LBB57_246
.LBB57_242:
	s_mov_b32 s1, -1
                                        ; implicit-def: $vgpr3
.LBB57_243:
	s_andn2_b32 vcc_lo, exec_lo, s1
	s_cbranch_vccnz .LBB57_245
; %bb.244:
	global_load_dword v3, v[1:2], off
.LBB57_245:
	s_mov_b32 s1, 0
.LBB57_246:
	s_andn2_b32 vcc_lo, exec_lo, s1
	s_cbranch_vccnz .LBB57_248
; %bb.247:
	global_load_ushort v3, v[1:2], off
	s_waitcnt vmcnt(0)
	v_cvt_f32_f16_e32 v3, v3
.LBB57_248:
	s_cbranch_execnz .LBB57_268
.LBB57_249:
	s_cmp_lt_i32 s0, 2
	s_cbranch_scc1 .LBB57_253
; %bb.250:
	s_cmp_lt_i32 s0, 3
	s_cbranch_scc1 .LBB57_254
; %bb.251:
	s_cmp_gt_i32 s0, 3
	s_cbranch_scc0 .LBB57_255
; %bb.252:
	global_load_dwordx2 v[3:4], v[1:2], off
	s_mov_b32 s1, 0
	s_waitcnt vmcnt(0)
	v_xor_b32_e32 v5, v3, v4
	v_ffbh_i32_e32 v6, v4
	v_ashrrev_i32_e32 v5, 31, v5
	v_add_nc_u32_e32 v6, -1, v6
	v_add_nc_u32_e32 v5, 32, v5
	v_min_u32_e32 v5, v6, v5
	v_lshlrev_b64 v[3:4], v5, v[3:4]
	v_min_u32_e32 v3, 1, v3
	v_or_b32_e32 v3, v4, v3
	v_sub_nc_u32_e32 v4, 32, v5
	v_cvt_f32_i32_e32 v3, v3
	v_ldexp_f32 v3, v3, v4
	s_branch .LBB57_256
.LBB57_253:
	s_mov_b32 s1, -1
                                        ; implicit-def: $vgpr3
	s_branch .LBB57_262
.LBB57_254:
	s_mov_b32 s1, -1
                                        ; implicit-def: $vgpr3
	s_branch .LBB57_259
.LBB57_255:
	s_mov_b32 s1, -1
                                        ; implicit-def: $vgpr3
.LBB57_256:
	s_andn2_b32 vcc_lo, exec_lo, s1
	s_cbranch_vccnz .LBB57_258
; %bb.257:
	global_load_dword v3, v[1:2], off
	s_waitcnt vmcnt(0)
	v_cvt_f32_i32_e32 v3, v3
.LBB57_258:
	s_mov_b32 s1, 0
.LBB57_259:
	s_andn2_b32 vcc_lo, exec_lo, s1
	s_cbranch_vccnz .LBB57_261
; %bb.260:
	global_load_sshort v3, v[1:2], off
	s_waitcnt vmcnt(0)
	v_cvt_f32_i32_e32 v3, v3
.LBB57_261:
	s_mov_b32 s1, 0
.LBB57_262:
	s_andn2_b32 vcc_lo, exec_lo, s1
	s_cbranch_vccnz .LBB57_268
; %bb.263:
	s_cmp_gt_i32 s0, 0
	s_mov_b32 s0, 0
	s_cbranch_scc0 .LBB57_265
; %bb.264:
	global_load_sbyte v3, v[1:2], off
	s_waitcnt vmcnt(0)
	v_cvt_f32_i32_e32 v3, v3
	s_branch .LBB57_266
.LBB57_265:
	s_mov_b32 s0, -1
                                        ; implicit-def: $vgpr3
.LBB57_266:
	s_andn2_b32 vcc_lo, exec_lo, s0
	s_cbranch_vccnz .LBB57_268
; %bb.267:
	global_load_ubyte v1, v[1:2], off
	s_waitcnt vmcnt(0)
	v_cvt_f32_ubyte0_e32 v3, v1
.LBB57_268:
	s_branch .LBB57_25
.LBB57_269:
	s_mov_b32 s0, 0
.LBB57_270:
	s_mov_b32 s1, 0
                                        ; implicit-def: $vgpr8
.LBB57_271:
	s_and_b32 s36, s0, exec_lo
	s_and_b32 s37, s37, exec_lo
	s_orn2_b32 s1, s1, exec_lo
.LBB57_272:
	s_or_b32 exec_lo, exec_lo, s38
	s_mov_b32 s2, 0
	s_mov_b32 s0, 0
                                        ; implicit-def: $vgpr1_vgpr2
                                        ; implicit-def: $vgpr0
                                        ; implicit-def: $vgpr4
	s_and_saveexec_b32 s38, s1
	s_cbranch_execz .LBB57_279
; %bb.273:
	s_mov_b32 s0, -1
	s_mov_b32 s39, s37
	s_mov_b32 s40, s36
	s_mov_b32 s41, exec_lo
	v_cmpx_gt_i32_e64 s33, v8
	s_cbranch_execz .LBB57_555
; %bb.274:
	s_andn2_b32 vcc_lo, exec_lo, s27
	s_cbranch_vccnz .LBB57_282
; %bb.275:
	s_andn2_b32 vcc_lo, exec_lo, s34
	s_cbranch_vccnz .LBB57_283
; %bb.276:
	s_add_i32 s40, s35, 1
	s_cmp_eq_u32 s25, 2
	s_cbranch_scc1 .LBB57_284
; %bb.277:
	v_mov_b32_e32 v2, 0
	v_mov_b32_e32 v0, 0
	;; [unrolled: 1-line block ×3, first 2 shown]
	s_and_b32 s39, s40, 28
	s_mov_b32 s42, 0
	s_mov_b64 s[0:1], s[6:7]
	s_mov_b64 s[2:3], s[22:23]
.LBB57_278:                             ; =>This Inner Loop Header: Depth=1
	s_clause 0x1
	s_load_dwordx8 s[44:51], s[0:1], 0x4
	s_load_dwordx4 s[60:63], s[0:1], 0x24
	s_load_dwordx8 s[52:59], s[2:3], 0x0
	s_add_u32 s0, s0, 48
	s_addc_u32 s1, s1, 0
	s_add_i32 s42, s42, 4
	s_add_u32 s2, s2, 32
	s_addc_u32 s3, s3, 0
	s_cmp_eq_u32 s39, s42
	s_waitcnt vmcnt(0) lgkmcnt(0)
	v_mul_hi_u32 v3, s45, v1
	v_add_nc_u32_e32 v3, v1, v3
	v_lshrrev_b32_e32 v3, s46, v3
	v_mul_hi_u32 v4, s48, v3
	v_mul_lo_u32 v6, v3, s44
	v_add_nc_u32_e32 v4, v3, v4
	v_sub_nc_u32_e32 v1, v1, v6
	v_lshrrev_b32_e32 v4, s49, v4
	v_mul_lo_u32 v6, v1, s52
	v_mul_lo_u32 v9, v1, s53
	v_mul_hi_u32 v5, s51, v4
	v_add_nc_u32_e32 v5, v4, v5
	v_lshrrev_b32_e32 v5, s60, v5
	v_mul_hi_u32 v7, s62, v5
	v_mul_lo_u32 v10, v5, s50
	v_add_nc_u32_e32 v1, v5, v7
	v_mul_lo_u32 v7, v4, s47
	v_sub_nc_u32_e32 v4, v4, v10
	v_lshrrev_b32_e32 v1, s63, v1
	v_mul_lo_u32 v10, v4, s56
	v_mul_lo_u32 v4, v4, s57
	v_sub_nc_u32_e32 v3, v3, v7
	v_mul_lo_u32 v11, v1, s61
	v_mul_lo_u32 v7, v3, s54
	;; [unrolled: 1-line block ×3, first 2 shown]
	v_sub_nc_u32_e32 v5, v5, v11
	v_add3_u32 v0, v6, v0, v7
	v_mul_lo_u32 v11, v5, s58
	v_mul_lo_u32 v5, v5, s59
	v_add3_u32 v2, v9, v2, v3
	v_add3_u32 v0, v10, v0, v11
	v_add3_u32 v2, v4, v2, v5
	s_cbranch_scc0 .LBB57_278
	s_branch .LBB57_285
.LBB57_279:
	s_or_b32 exec_lo, exec_lo, s38
	s_waitcnt lgkmcnt(0)
	s_mov_b32 s10, 0
	s_and_saveexec_b32 s1, s37
	s_cbranch_execnz .LBB57_939
.LBB57_280:
	s_or_b32 exec_lo, exec_lo, s1
	s_and_saveexec_b32 s1, s39
	s_xor_b32 s1, exec_lo, s1
	s_cbranch_execz .LBB57_940
.LBB57_281:
	global_load_ubyte v3, v[1:2], off
	s_or_b32 s0, s0, exec_lo
	s_waitcnt vmcnt(0)
	v_cmp_ne_u16_e32 vcc_lo, 0, v3
	v_cndmask_b32_e64 v4, 0, 1.0, vcc_lo
	s_or_b32 exec_lo, exec_lo, s1
	s_and_saveexec_b32 s1, s2
	s_cbranch_execz .LBB57_986
	s_branch .LBB57_941
.LBB57_282:
                                        ; implicit-def: $vgpr0
                                        ; implicit-def: $vgpr2
	s_andn2_b32 vcc_lo, exec_lo, s0
	s_cbranch_vccz .LBB57_289
	s_branch .LBB57_291
.LBB57_283:
	v_mov_b32_e32 v0, 0
	v_mov_b32_e32 v2, 0
	s_branch .LBB57_288
.LBB57_284:
	v_mov_b32_e32 v0, 0
	v_mov_b32_e32 v2, 0
	;; [unrolled: 1-line block ×3, first 2 shown]
	s_mov_b32 s39, 0
.LBB57_285:
	s_and_b32 s40, s40, 3
	s_cmp_eq_u32 s40, 0
	s_cbranch_scc1 .LBB57_288
; %bb.286:
	s_lshl_b32 s0, s39, 3
	s_mul_i32 s2, s39, 12
	s_add_u32 s0, s6, s0
	s_addc_u32 s1, s7, 0
	s_add_u32 s0, s0, 0xc4
	s_addc_u32 s1, s1, 0
	;; [unrolled: 2-line block ×3, first 2 shown]
	.p2align	6
.LBB57_287:                             ; =>This Inner Loop Header: Depth=1
	s_clause 0x1
	s_load_dwordx2 s[42:43], s[2:3], 0x4
	s_load_dword s39, s[2:3], 0xc
	s_load_dwordx2 s[44:45], s[0:1], 0x0
	s_add_u32 s2, s2, 12
	s_addc_u32 s3, s3, 0
	s_add_u32 s0, s0, 8
	s_addc_u32 s1, s1, 0
	s_add_i32 s40, s40, -1
	s_cmp_lg_u32 s40, 0
	s_waitcnt vmcnt(0) lgkmcnt(0)
	v_mul_hi_u32 v3, s43, v1
	v_add_nc_u32_e32 v3, v1, v3
	v_lshrrev_b32_e32 v4, s39, v3
	v_mul_lo_u32 v3, v4, s42
	v_sub_nc_u32_e32 v3, v1, v3
	v_mad_u64_u32 v[0:1], null, v3, s44, v[0:1]
	v_mad_u64_u32 v[2:3], null, v3, s45, v[2:3]
	v_mov_b32_e32 v1, v4
	s_cbranch_scc1 .LBB57_287
.LBB57_288:
	s_cbranch_execnz .LBB57_291
.LBB57_289:
	s_waitcnt lgkmcnt(0)
	v_mul_hi_u32 v0, s17, v8
	s_andn2_b32 vcc_lo, exec_lo, s31
	v_add_nc_u32_e32 v0, v8, v0
	v_lshrrev_b32_e32 v1, s18, v0
	v_mul_lo_u32 v0, v1, s16
	v_sub_nc_u32_e32 v2, v8, v0
	v_mul_lo_u32 v0, v2, s12
	v_mul_lo_u32 v2, v2, s13
	s_cbranch_vccnz .LBB57_291
; %bb.290:
	s_waitcnt vmcnt(0)
	v_mul_hi_u32 v3, s20, v1
	v_add_nc_u32_e32 v3, v1, v3
	v_lshrrev_b32_e32 v3, s21, v3
	v_mul_lo_u32 v3, v3, s19
	v_sub_nc_u32_e32 v3, v1, v3
	v_mad_u64_u32 v[0:1], null, v3, s14, v[0:1]
	v_mad_u64_u32 v[2:3], null, v3, s15, v[2:3]
.LBB57_291:
	s_waitcnt lgkmcnt(0)
	v_add_co_u32 v1, s0, s10, v2
	v_add_co_ci_u32_e64 v2, null, s11, 0, s0
	s_and_b32 s0, 0xffff, s30
	s_cmp_lt_i32 s0, 11
	s_cbranch_scc1 .LBB57_298
; %bb.292:
	s_cmp_gt_i32 s0, 25
	s_cbranch_scc0 .LBB57_313
; %bb.293:
	s_cmp_gt_i32 s0, 28
	s_cbranch_scc0 .LBB57_315
	;; [unrolled: 3-line block ×4, first 2 shown]
; %bb.296:
	s_cmp_eq_u32 s0, 46
	s_mov_b32 s2, 0
	s_cbranch_scc0 .LBB57_325
; %bb.297:
	global_load_dword v3, v[1:2], off
	s_mov_b32 s1, -1
	s_mov_b32 s39, 0
	s_waitcnt vmcnt(0)
	v_lshlrev_b32_e32 v3, 16, v3
	s_branch .LBB57_327
.LBB57_298:
	s_mov_b32 s1, 0
	s_mov_b32 s39, s37
                                        ; implicit-def: $vgpr3
	s_cbranch_execnz .LBB57_504
.LBB57_299:
	s_andn2_b32 vcc_lo, exec_lo, s1
	s_cbranch_vccnz .LBB57_552
.LBB57_300:
	v_mov_b32_e32 v1, 0
	v_mov_b32_e32 v2, 1.0
	s_mov_b32 s2, exec_lo
	s_waitcnt vmcnt(0)
	v_cmpx_gt_f32_e32 0.5, v3
	s_cbranch_execz .LBB57_306
; %bb.301:
	v_mul_f32_e32 v1, 0x40490fdb, v3
                                        ; implicit-def: $vgpr5
                                        ; implicit-def: $vgpr4
	s_mov_b32 s1, exec_lo
	v_and_b32_e32 v2, 0x7fffffff, v1
	v_cmpx_ngt_f32_e64 0x48000000, |v1|
	s_xor_b32 s3, exec_lo, s1
	s_cbranch_execz .LBB57_303
; %bb.302:
	s_mov_b32 s0, 0x7fffff
	v_mov_b32_e32 v6, 0
	v_and_or_b32 v7, v2, s0, 0x800000
	v_lshrrev_b32_e32 v13, 23, v2
	v_mad_u64_u32 v[4:5], null, 0xfe5163ab, v7, 0
	v_add_nc_u32_e32 v14, 0xffffff88, v13
	v_cmp_lt_u32_e32 vcc_lo, 63, v14
	v_mad_u64_u32 v[9:10], null, 0x3c439041, v7, v[5:6]
	v_cndmask_b32_e64 v15, 0, 0xffffffc0, vcc_lo
	v_mov_b32_e32 v5, v10
	v_add_nc_u32_e32 v15, v15, v14
	v_mad_u64_u32 v[10:11], null, 0xdb629599, v7, v[5:6]
	v_cmp_lt_u32_e64 s0, 31, v15
	v_cndmask_b32_e64 v16, 0, 0xffffffe0, s0
	v_mov_b32_e32 v5, v11
	v_cndmask_b32_e32 v4, v10, v4, vcc_lo
	v_mad_u64_u32 v[11:12], null, 0xf534ddc0, v7, v[5:6]
	v_mov_b32_e32 v5, v12
	v_cndmask_b32_e32 v9, v11, v9, vcc_lo
	v_mad_u64_u32 v[12:13], null, 0xfc2757d1, v7, v[5:6]
	v_cndmask_b32_e64 v4, v9, v4, s0
	v_mov_b32_e32 v5, v13
	v_mad_u64_u32 v[13:14], null, 0x4e441529, v7, v[5:6]
	v_mov_b32_e32 v5, v14
	v_add_nc_u32_e32 v14, v16, v15
	v_cndmask_b32_e32 v15, v13, v11, vcc_lo
	v_mad_u64_u32 v[5:6], null, 0xa2f9836e, v7, v[5:6]
	v_cmp_lt_u32_e64 s1, 31, v14
	v_cndmask_b32_e64 v7, 0, 0xffffffe0, s1
	v_cndmask_b32_e32 v5, v5, v12, vcc_lo
	v_cndmask_b32_e32 v6, v6, v13, vcc_lo
	;; [unrolled: 1-line block ×3, first 2 shown]
	v_add_nc_u32_e32 v7, v7, v14
	v_cndmask_b32_e64 v11, v5, v15, s0
	v_cndmask_b32_e64 v5, v6, v5, s0
	;; [unrolled: 1-line block ×4, first 2 shown]
	v_sub_nc_u32_e32 v13, 32, v7
	v_cmp_eq_u32_e32 vcc_lo, 0, v7
	v_cndmask_b32_e64 v5, v5, v11, s1
	v_cndmask_b32_e64 v11, v11, v6, s1
	;; [unrolled: 1-line block ×4, first 2 shown]
	v_alignbit_b32 v14, v5, v11, v13
	v_alignbit_b32 v10, v11, v6, v13
	;; [unrolled: 1-line block ×3, first 2 shown]
	v_cndmask_b32_e32 v5, v14, v5, vcc_lo
	v_cndmask_b32_e32 v7, v10, v11, vcc_lo
	;; [unrolled: 1-line block ×3, first 2 shown]
	v_bfe_u32 v9, v5, 29, 1
	v_alignbit_b32 v10, v5, v7, 30
	v_alignbit_b32 v7, v7, v6, 30
	;; [unrolled: 1-line block ×3, first 2 shown]
	v_sub_nc_u32_e32 v11, 0, v9
	v_xor_b32_e32 v10, v10, v11
	v_xor_b32_e32 v6, v7, v11
	;; [unrolled: 1-line block ×3, first 2 shown]
	v_lshrrev_b32_e32 v11, 29, v5
	v_lshrrev_b32_e32 v5, 30, v5
	v_ffbh_u32_e32 v12, v10
	v_add_nc_u32_e32 v5, v9, v5
	v_min_u32_e32 v12, 32, v12
	v_sub_nc_u32_e32 v7, 31, v12
	v_lshlrev_b32_e32 v13, 23, v12
	v_alignbit_b32 v10, v10, v6, v7
	v_alignbit_b32 v4, v6, v4, v7
	v_lshlrev_b32_e32 v6, 31, v11
	v_alignbit_b32 v7, v10, v4, 9
	v_or_b32_e32 v11, 0.5, v6
	v_lshrrev_b32_e32 v10, 9, v10
	v_or_b32_e32 v6, 0x33000000, v6
	v_ffbh_u32_e32 v14, v7
	v_sub_nc_u32_e32 v11, v11, v13
	v_min_u32_e32 v13, 32, v14
	v_or_b32_e32 v10, v10, v11
	v_not_b32_e32 v11, v13
	v_mul_f32_e32 v14, 0x3fc90fda, v10
	v_add_lshl_u32 v12, v13, v12, 23
	v_alignbit_b32 v4, v7, v4, v11
	v_fma_f32 v7, 0x3fc90fda, v10, -v14
	v_sub_nc_u32_e32 v6, v6, v12
	v_lshrrev_b32_e32 v4, 9, v4
	v_fmamk_f32 v7, v10, 0x33a22168, v7
	v_or_b32_e32 v4, v6, v4
	v_fmac_f32_e32 v7, 0x3fc90fda, v4
	v_add_f32_e32 v4, v14, v7
.LBB57_303:
	s_andn2_saveexec_b32 s0, s3
; %bb.304:
	v_mul_f32_e64 v4, 0x3f22f983, |v1|
	v_rndne_f32_e32 v5, v4
	v_fma_f32 v4, 0xbfc90fda, v5, |v1|
	v_fmamk_f32 v4, v5, 0xb3a22168, v4
	v_fmamk_f32 v4, v5, 0xa7c234c4, v4
	v_cvt_i32_f32_e32 v5, v5
; %bb.305:
	s_or_b32 exec_lo, exec_lo, s0
	v_mul_f32_e32 v6, v4, v4
	s_mov_b32 s0, 0xb94c1982
	s_mov_b32 s1, 0x37d75334
	v_and_b32_e32 v10, 1, v5
	v_lshlrev_b32_e32 v5, 30, v5
	v_fmaak_f32 v7, s0, v6, 0x3c0881c4
	v_fmaak_f32 v9, s1, v6, 0xbab64f3b
	v_xor_b32_e32 v2, v2, v1
	v_cmp_eq_u32_e32 vcc_lo, 0, v10
	v_and_b32_e32 v5, 0x80000000, v5
	v_fmaak_f32 v7, v6, v7, 0xbe2aaa9d
	v_fmaak_f32 v9, v6, v9, 0x3d2aabf7
	v_sub_f32_e32 v3, 1.0, v3
	v_mul_f32_e32 v7, v6, v7
	v_fmaak_f32 v9, v6, v9, 0xbf000004
	v_fmac_f32_e32 v4, v4, v7
	v_fma_f32 v6, v6, v9, 1.0
	v_cndmask_b32_e32 v4, v6, v4, vcc_lo
	v_cmp_class_f32_e64 vcc_lo, v1, 0x1f8
	v_xor3_b32 v2, v2, v5, v4
	v_cndmask_b32_e32 v1, 0x7fc00000, v2, vcc_lo
	v_mul_f32_e32 v1, v1, v1
	v_div_scale_f32 v2, null, v1, v1, 0xc11de9e7
	v_div_scale_f32 v6, vcc_lo, 0xc11de9e7, v1, 0xc11de9e7
	v_rcp_f32_e32 v4, v2
	v_fma_f32 v5, -v2, v4, 1.0
	v_fmac_f32_e32 v4, v5, v4
	v_mul_f32_e32 v5, v6, v4
	v_fma_f32 v7, -v2, v5, v6
	v_fmac_f32_e32 v5, v7, v4
	v_fma_f32 v2, -v2, v5, v6
	v_div_fmas_f32 v2, v2, v4, v5
	v_div_fixup_f32 v1, v2, v1, 0xc11de9e7
	v_mov_b32_e32 v2, -1.0
	v_add_f32_e32 v1, 0, v1
.LBB57_306:
	s_or_b32 exec_lo, exec_lo, s2
	v_add_f32_e32 v4, 1.0, v3
	v_mul_f32_e32 v3, v3, v3
	v_mul_f32_e32 v5, v4, v4
	v_add_f32_e32 v4, 1.0, v4
	v_div_scale_f32 v6, null, v3, v3, 1.0
	v_div_scale_f32 v9, vcc_lo, 1.0, v3, 1.0
	v_mul_f32_e32 v10, v4, v4
	v_div_scale_f32 v7, null, v5, v5, 1.0
	v_rcp_f32_e32 v11, v6
	v_div_scale_f32 v14, s0, 1.0, v5, 1.0
	v_div_scale_f32 v13, null, v10, v10, 1.0
	v_rcp_f32_e32 v12, v7
	v_add_f32_e32 v4, 1.0, v4
	v_div_scale_f32 v15, s1, 1.0, v10, 1.0
	v_rcp_f32_e32 v16, v13
	v_fma_f32 v18, -v6, v11, 1.0
	v_mul_f32_e32 v17, v4, v4
	v_add_f32_e32 v4, 1.0, v4
	v_fma_f32 v19, -v7, v12, 1.0
	v_fmac_f32_e32 v11, v18, v11
	v_mul_f32_e32 v21, v4, v4
	v_add_f32_e32 v4, 1.0, v4
	v_fma_f32 v18, -v13, v16, 1.0
	v_fmac_f32_e32 v12, v19, v12
	v_mul_f32_e32 v22, v9, v11
	v_div_scale_f32 v20, null, v17, v17, 1.0
	v_fmac_f32_e32 v16, v18, v16
	v_mul_f32_e32 v23, v14, v12
	v_fma_f32 v24, -v6, v22, v9
	v_add_f32_e32 v27, 1.0, v4
	v_rcp_f32_e32 v19, v20
	v_mul_f32_e32 v26, v15, v16
	v_fma_f32 v25, -v7, v23, v14
	v_fmac_f32_e32 v22, v24, v11
	v_mul_f32_e32 v4, v4, v4
	v_div_scale_f32 v18, null, v21, v21, 1.0
	v_fma_f32 v24, -v13, v26, v15
	v_fmac_f32_e32 v23, v25, v12
	v_fma_f32 v6, -v6, v22, v9
	v_mul_f32_e32 v9, v27, v27
	v_rcp_f32_e32 v25, v18
	v_fmac_f32_e32 v26, v24, v16
	v_fma_f32 v7, -v7, v23, v14
	v_div_fmas_f32 v6, v6, v11, v22
	s_mov_b32 vcc_lo, s0
	v_fma_f32 v28, -v20, v19, 1.0
	v_fma_f32 v11, -v13, v26, v15
	v_div_fmas_f32 v7, v7, v12, v23
	s_mov_b32 vcc_lo, s1
	v_div_scale_f32 v12, null, v4, v4, 1.0
	v_div_fmas_f32 v11, v11, v16, v26
	v_div_scale_f32 v13, null, v9, v9, 1.0
	v_add_f32_e32 v16, v27, v27
	v_rcp_f32_e32 v15, v12
	v_fmac_f32_e32 v19, v28, v19
	v_rcp_f32_e32 v23, v13
	v_div_scale_f32 v14, vcc_lo, 1.0, v17, 1.0
	v_div_scale_f32 v26, null, v16, v16, 1.0
	v_fma_f32 v22, -v18, v25, 1.0
	v_mul_f32_e32 v24, v14, v19
	v_div_fixup_f32 v3, v6, v3, 1.0
	v_rcp_f32_e32 v29, v26
	v_fma_f32 v28, -v12, v15, 1.0
	v_fmac_f32_e32 v25, v22, v25
	v_div_scale_f32 v22, s0, 1.0, v21, 1.0
	v_fma_f32 v31, -v13, v23, 1.0
	v_fma_f32 v30, -v20, v24, v14
	v_fmac_f32_e32 v15, v28, v15
	v_div_scale_f32 v28, s1, 1.0, v4, 1.0
	v_mul_f32_e32 v32, v22, v25
	v_fmac_f32_e32 v23, v31, v23
	v_div_scale_f32 v31, s2, 1.0, v9, 1.0
	v_fma_f32 v33, -v26, v29, 1.0
	v_fmac_f32_e32 v24, v30, v19
	v_mul_f32_e32 v34, v28, v15
	v_fma_f32 v30, -v18, v32, v22
	v_mul_f32_e32 v35, v31, v23
	v_fmac_f32_e32 v29, v33, v29
	v_div_scale_f32 v33, s3, 1.0, v16, 1.0
	v_fma_f32 v14, -v20, v24, v14
	v_fma_f32 v20, -v12, v34, v28
	v_fmac_f32_e32 v32, v30, v25
	v_fma_f32 v30, -v13, v35, v31
	v_mul_f32_e32 v36, v33, v29
	v_div_fmas_f32 v14, v14, v19, v24
	v_fmac_f32_e32 v34, v20, v15
	v_fma_f32 v18, -v18, v32, v22
	v_fmac_f32_e32 v35, v30, v23
	v_fma_f32 v19, -v26, v36, v33
	s_mov_b32 vcc_lo, s0
	v_fma_f32 v12, -v12, v34, v28
	v_div_fmas_f32 v18, v18, v25, v32
	v_fma_f32 v13, -v13, v35, v31
	v_fmac_f32_e32 v36, v19, v29
	s_mov_b32 vcc_lo, s1
	s_mov_b32 s0, 0xbcc30c31
	v_div_fmas_f32 v12, v12, v15, v34
	s_mov_b32 vcc_lo, s2
	v_fma_f32 v15, -v26, v36, v33
	v_div_fmas_f32 v13, v13, v23, v35
	s_mov_b32 vcc_lo, s3
	v_add_f32_e32 v1, v1, v3
	v_div_fixup_f32 v3, v7, v5, 1.0
	v_div_fmas_f32 v15, v15, v29, v36
	v_div_fixup_f32 v9, v13, v9, 1.0
	s_and_b32 s1, s29, 0xff
	v_add_f32_e32 v1, v1, v3
	v_div_fixup_f32 v13, v15, v16, 1.0
	v_fmaak_f32 v15, s0, v9, 0x3d088889
	v_div_fixup_f32 v3, v11, v10, 1.0
	v_add_co_u32 v0, s0, s8, v0
	v_add_f32_e32 v13, 1.0, v13
	v_fma_f32 v15, -v9, v15, 0x3e2aaaab
	v_add_f32_e32 v1, v1, v3
	v_div_fixup_f32 v3, v14, v17, 1.0
	s_cmp_lt_i32 s1, 11
	v_fmac_f32_e32 v13, v9, v15
	v_add_f32_e32 v1, v1, v3
	v_div_fixup_f32 v3, v18, v21, 1.0
	v_div_scale_f32 v9, null, v27, v27, v13
	v_div_scale_f32 v5, vcc_lo, v13, v27, v13
	v_add_f32_e32 v1, v1, v3
	v_rcp_f32_e32 v15, v9
	v_div_fixup_f32 v3, v12, v4, 1.0
	v_add_f32_e32 v1, v1, v3
	v_fma_f32 v6, -v9, v15, 1.0
	v_fmac_f32_e32 v15, v6, v15
	v_mul_f32_e32 v6, v5, v15
	v_fma_f32 v7, -v9, v6, v5
	v_fmac_f32_e32 v6, v7, v15
	v_fma_f32 v5, -v9, v6, v5
	v_div_fmas_f32 v4, v5, v15, v6
	v_div_fixup_f32 v3, v4, v27, v13
	v_add_f32_e32 v3, v1, v3
	v_add_co_ci_u32_e64 v1, null, s9, 0, s0
	v_mul_f32_e32 v2, v2, v3
	s_cbranch_scc1 .LBB57_314
; %bb.307:
	s_and_b32 s2, 0xffff, s1
	s_cmp_gt_i32 s2, 25
	s_cbranch_scc0 .LBB57_316
; %bb.308:
	s_cmp_gt_i32 s2, 28
	s_cbranch_scc0 .LBB57_318
; %bb.309:
	;; [unrolled: 3-line block ×4, first 2 shown]
	s_mov_b32 s40, 0
	s_mov_b32 s0, -1
	s_cmp_eq_u32 s2, 46
	s_mov_b32 s3, 0
	s_cbranch_scc0 .LBB57_331
; %bb.312:
	v_bfe_u32 v3, v2, 16, 1
	v_cmp_o_f32_e32 vcc_lo, v2, v2
	v_mov_b32_e32 v4, 0x7fc0
	s_mov_b32 s3, -1
	s_mov_b32 s0, 0
	v_add3_u32 v3, v2, v3, 0x7fff
	v_cndmask_b32_sdwa v3, v4, v3, vcc_lo dst_sel:DWORD dst_unused:UNUSED_PAD src0_sel:DWORD src1_sel:WORD_1
	global_store_dword v[0:1], v3, off
	s_branch .LBB57_331
.LBB57_313:
	s_mov_b32 s2, -1
	s_mov_b32 s1, 0
	s_mov_b32 s39, s37
                                        ; implicit-def: $vgpr3
	s_branch .LBB57_468
.LBB57_314:
	s_mov_b32 s2, -1
	s_mov_b32 s3, 0
	s_mov_b32 s0, s36
	s_branch .LBB57_400
.LBB57_315:
	s_mov_b32 s2, -1
	s_mov_b32 s1, 0
	s_mov_b32 s39, s37
                                        ; implicit-def: $vgpr3
	s_branch .LBB57_449
.LBB57_316:
	s_mov_b32 s40, -1
	s_mov_b32 s3, 0
	s_mov_b32 s0, s36
	s_branch .LBB57_358
.LBB57_317:
	s_mov_b32 s2, -1
	s_mov_b32 s1, 0
	s_mov_b32 s39, s37
                                        ; implicit-def: $vgpr3
	s_branch .LBB57_444
.LBB57_318:
	s_mov_b32 s40, -1
	s_mov_b32 s3, 0
	s_mov_b32 s0, s36
	s_branch .LBB57_341
.LBB57_319:
	s_andn2_saveexec_b32 s40, s40
	s_cbranch_execz .LBB57_74
.LBB57_320:
	v_add_f32_e64 v3, 0x46000000, |v2|
	s_andn2_b32 s36, s36, exec_lo
	v_and_b32_e32 v3, 0xff, v3
	v_cmp_ne_u32_e32 vcc_lo, 0, v3
	s_and_b32 s41, vcc_lo, exec_lo
	s_or_b32 s36, s36, s41
	s_or_b32 exec_lo, exec_lo, s40
	v_mov_b32_e32 v4, 0
	s_and_saveexec_b32 s40, s36
	s_cbranch_execnz .LBB57_75
	s_branch .LBB57_76
.LBB57_321:
	s_mov_b32 s2, -1
	s_mov_b32 s1, 0
	s_mov_b32 s39, s37
	s_branch .LBB57_326
.LBB57_322:
	s_mov_b32 s40, -1
	s_mov_b32 s3, 0
	s_mov_b32 s0, s36
	s_branch .LBB57_337
.LBB57_323:
	s_andn2_saveexec_b32 s40, s40
	s_cbranch_execz .LBB57_87
.LBB57_324:
	v_add_f32_e64 v3, 0x42800000, |v2|
	s_andn2_b32 s36, s36, exec_lo
	v_and_b32_e32 v3, 0xff, v3
	v_cmp_ne_u32_e32 vcc_lo, 0, v3
	s_and_b32 s41, vcc_lo, exec_lo
	s_or_b32 s36, s36, s41
	s_or_b32 exec_lo, exec_lo, s40
	v_mov_b32_e32 v4, 0
	s_and_saveexec_b32 s40, s36
	s_cbranch_execnz .LBB57_88
	s_branch .LBB57_89
.LBB57_325:
	s_mov_b32 s39, -1
	s_mov_b32 s1, 0
.LBB57_326:
                                        ; implicit-def: $vgpr3
.LBB57_327:
	s_and_b32 vcc_lo, exec_lo, s2
	s_cbranch_vccz .LBB57_443
; %bb.328:
	s_cmp_eq_u32 s0, 44
	s_cbranch_scc0 .LBB57_442
; %bb.329:
	global_load_ubyte v3, v[1:2], off
	s_mov_b32 s39, 0
	s_mov_b32 s1, -1
	s_waitcnt vmcnt(0)
	v_lshlrev_b32_e32 v4, 23, v3
	v_cmp_ne_u32_e32 vcc_lo, 0xff, v3
	v_cndmask_b32_e32 v4, 0x7f800001, v4, vcc_lo
	v_cmp_ne_u32_e32 vcc_lo, 0, v3
	v_cndmask_b32_e32 v3, 0x400000, v4, vcc_lo
	s_branch .LBB57_443
.LBB57_330:
	s_mov_b32 s40, -1
	s_mov_b32 s3, 0
	s_mov_b32 s0, s36
.LBB57_331:
	s_and_b32 vcc_lo, exec_lo, s40
	s_cbranch_vccz .LBB57_336
; %bb.332:
	s_cmp_eq_u32 s2, 44
	s_mov_b32 s0, -1
	s_cbranch_scc0 .LBB57_336
; %bb.333:
	v_bfe_u32 v4, v2, 23, 8
	v_mov_b32_e32 v3, 0xff
	s_mov_b32 s3, exec_lo
	v_cmpx_ne_u32_e32 0xff, v4
	s_cbranch_execz .LBB57_335
; %bb.334:
	v_and_b32_e32 v3, 0x400000, v2
	v_and_or_b32 v4, 0x3fffff, v2, v4
	v_cmp_ne_u32_e32 vcc_lo, 0, v3
	v_cmp_ne_u32_e64 s0, 0, v4
	v_lshrrev_b32_e32 v3, 23, v2
	s_and_b32 s0, vcc_lo, s0
	v_cndmask_b32_e64 v4, 0, 1, s0
	v_add_nc_u32_e32 v3, v3, v4
.LBB57_335:
	s_or_b32 exec_lo, exec_lo, s3
	s_mov_b32 s3, -1
	s_mov_b32 s0, 0
	global_store_byte v[0:1], v3, off
.LBB57_336:
	s_mov_b32 s40, 0
.LBB57_337:
	s_and_b32 vcc_lo, exec_lo, s40
	s_cbranch_vccz .LBB57_340
; %bb.338:
	s_cmp_eq_u32 s2, 29
	s_mov_b32 s0, -1
	s_cbranch_scc0 .LBB57_340
; %bb.339:
	v_trunc_f32_e32 v3, v2
	s_mov_b32 s3, -1
	s_mov_b32 s0, 0
	s_mov_b32 s40, 0
	v_mul_f32_e32 v4, 0x2f800000, v3
	v_floor_f32_e32 v4, v4
	v_fmamk_f32 v3, v4, 0xcf800000, v3
	v_cvt_u32_f32_e32 v4, v4
	v_cvt_u32_f32_e32 v3, v3
	global_store_dwordx2 v[0:1], v[3:4], off
	s_branch .LBB57_341
.LBB57_340:
	s_mov_b32 s40, 0
.LBB57_341:
	s_and_b32 vcc_lo, exec_lo, s40
	s_cbranch_vccz .LBB57_357
; %bb.342:
	s_cmp_lt_i32 s2, 27
	s_mov_b32 s3, -1
	s_cbranch_scc1 .LBB57_348
; %bb.343:
	v_cvt_u32_f32_e32 v3, v2
	s_cmp_gt_i32 s2, 27
	s_cbranch_scc0 .LBB57_345
; %bb.344:
	s_mov_b32 s3, 0
	global_store_dword v[0:1], v3, off
.LBB57_345:
	s_andn2_b32 vcc_lo, exec_lo, s3
	s_cbranch_vccnz .LBB57_347
; %bb.346:
	global_store_short v[0:1], v3, off
.LBB57_347:
	s_mov_b32 s3, 0
.LBB57_348:
	s_andn2_b32 vcc_lo, exec_lo, s3
	s_cbranch_vccnz .LBB57_356
; %bb.349:
	v_and_b32_e32 v3, 0x7fffffff, v2
	v_mov_b32_e32 v4, 0x80
	s_mov_b32 s3, exec_lo
	v_cmpx_gt_u32_e32 0x43800000, v3
	s_cbranch_execz .LBB57_355
; %bb.350:
	v_cmp_lt_u32_e32 vcc_lo, 0x3bffffff, v3
	s_mov_b32 s40, 0
                                        ; implicit-def: $vgpr3
	s_and_saveexec_b32 s42, vcc_lo
	s_xor_b32 s42, exec_lo, s42
	s_cbranch_execz .LBB57_583
; %bb.351:
	v_bfe_u32 v3, v2, 20, 1
	s_mov_b32 s40, exec_lo
	v_add3_u32 v3, v2, v3, 0x487ffff
	v_lshrrev_b32_e32 v3, 20, v3
	s_andn2_saveexec_b32 s42, s42
	s_cbranch_execnz .LBB57_584
.LBB57_352:
	s_or_b32 exec_lo, exec_lo, s42
	v_mov_b32_e32 v4, 0
	s_and_saveexec_b32 s42, s40
.LBB57_353:
	v_lshrrev_b32_e32 v4, 24, v2
	v_and_or_b32 v4, 0x80, v4, v3
.LBB57_354:
	s_or_b32 exec_lo, exec_lo, s42
.LBB57_355:
	s_or_b32 exec_lo, exec_lo, s3
	global_store_byte v[0:1], v4, off
.LBB57_356:
	s_mov_b32 s3, -1
.LBB57_357:
	s_mov_b32 s40, 0
.LBB57_358:
	s_and_b32 vcc_lo, exec_lo, s40
	s_cbranch_vccz .LBB57_399
; %bb.359:
	s_cmp_gt_i32 s2, 22
	s_mov_b32 s40, -1
	s_cbranch_scc0 .LBB57_391
; %bb.360:
	s_cmp_lt_i32 s2, 24
	s_mov_b32 s3, -1
	s_cbranch_scc1 .LBB57_380
; %bb.361:
	s_cmp_gt_i32 s2, 24
	s_cbranch_scc0 .LBB57_369
; %bb.362:
	v_and_b32_e32 v3, 0x7fffffff, v2
	v_mov_b32_e32 v4, 0x80
	s_mov_b32 s3, exec_lo
	v_cmpx_gt_u32_e32 0x47800000, v3
	s_cbranch_execz .LBB57_368
; %bb.363:
	v_cmp_lt_u32_e32 vcc_lo, 0x37ffffff, v3
	s_mov_b32 s40, 0
                                        ; implicit-def: $vgpr3
	s_and_saveexec_b32 s42, vcc_lo
	s_xor_b32 s42, exec_lo, s42
	s_cbranch_execz .LBB57_586
; %bb.364:
	v_bfe_u32 v3, v2, 21, 1
	s_mov_b32 s40, exec_lo
	v_add3_u32 v3, v2, v3, 0x88fffff
	v_lshrrev_b32_e32 v3, 21, v3
	s_andn2_saveexec_b32 s42, s42
	s_cbranch_execnz .LBB57_587
.LBB57_365:
	s_or_b32 exec_lo, exec_lo, s42
	v_mov_b32_e32 v4, 0
	s_and_saveexec_b32 s42, s40
.LBB57_366:
	v_lshrrev_b32_e32 v4, 24, v2
	v_and_or_b32 v4, 0x80, v4, v3
.LBB57_367:
	s_or_b32 exec_lo, exec_lo, s42
.LBB57_368:
	s_or_b32 exec_lo, exec_lo, s3
	s_mov_b32 s3, 0
	global_store_byte v[0:1], v4, off
.LBB57_369:
	s_and_b32 vcc_lo, exec_lo, s3
	s_cbranch_vccz .LBB57_379
; %bb.370:
	v_and_b32_e32 v4, 0x7fffffff, v2
	s_mov_b32 s3, exec_lo
                                        ; implicit-def: $vgpr3
	v_cmpx_gt_u32_e32 0x43f00000, v4
	s_xor_b32 s3, exec_lo, s3
	s_cbranch_execz .LBB57_376
; %bb.371:
	s_mov_b32 s40, exec_lo
                                        ; implicit-def: $vgpr3
	v_cmpx_lt_u32_e32 0x3c7fffff, v4
	s_xor_b32 s40, exec_lo, s40
; %bb.372:
	v_bfe_u32 v3, v2, 20, 1
	v_add3_u32 v3, v2, v3, 0x407ffff
	v_and_b32_e32 v4, 0xff00000, v3
	v_lshrrev_b32_e32 v3, 20, v3
	v_cmp_ne_u32_e32 vcc_lo, 0x7f00000, v4
	v_cndmask_b32_e32 v3, 0x7e, v3, vcc_lo
; %bb.373:
	s_andn2_saveexec_b32 s40, s40
; %bb.374:
	v_add_f32_e64 v3, 0x46800000, |v2|
; %bb.375:
	s_or_b32 exec_lo, exec_lo, s40
                                        ; implicit-def: $vgpr4
.LBB57_376:
	s_andn2_saveexec_b32 s3, s3
; %bb.377:
	v_mov_b32_e32 v3, 0x7f
	v_cmp_lt_u32_e32 vcc_lo, 0x7f800000, v4
	v_cndmask_b32_e32 v3, 0x7e, v3, vcc_lo
; %bb.378:
	s_or_b32 exec_lo, exec_lo, s3
	v_lshrrev_b32_e32 v4, 24, v2
	v_and_or_b32 v3, 0x80, v4, v3
	global_store_byte v[0:1], v3, off
.LBB57_379:
	s_mov_b32 s3, 0
.LBB57_380:
	s_andn2_b32 vcc_lo, exec_lo, s3
	s_cbranch_vccnz .LBB57_390
; %bb.381:
	v_and_b32_e32 v4, 0x7fffffff, v2
	s_mov_b32 s3, exec_lo
                                        ; implicit-def: $vgpr3
	v_cmpx_gt_u32_e32 0x47800000, v4
	s_xor_b32 s3, exec_lo, s3
	s_cbranch_execz .LBB57_387
; %bb.382:
	s_mov_b32 s40, exec_lo
                                        ; implicit-def: $vgpr3
	v_cmpx_lt_u32_e32 0x387fffff, v4
	s_xor_b32 s40, exec_lo, s40
; %bb.383:
	v_bfe_u32 v3, v2, 21, 1
	v_add3_u32 v3, v2, v3, 0x80fffff
	v_lshrrev_b32_e32 v3, 21, v3
; %bb.384:
	s_andn2_saveexec_b32 s40, s40
; %bb.385:
	v_add_f32_e64 v3, 0x43000000, |v2|
; %bb.386:
	s_or_b32 exec_lo, exec_lo, s40
                                        ; implicit-def: $vgpr4
.LBB57_387:
	s_andn2_saveexec_b32 s3, s3
; %bb.388:
	v_mov_b32_e32 v3, 0x7f
	v_cmp_lt_u32_e32 vcc_lo, 0x7f800000, v4
	v_cndmask_b32_e32 v3, 0x7c, v3, vcc_lo
; %bb.389:
	s_or_b32 exec_lo, exec_lo, s3
	v_lshrrev_b32_e32 v4, 24, v2
	v_and_or_b32 v3, 0x80, v4, v3
	global_store_byte v[0:1], v3, off
.LBB57_390:
	s_mov_b32 s40, 0
	s_mov_b32 s3, -1
.LBB57_391:
	s_andn2_b32 vcc_lo, exec_lo, s40
	s_cbranch_vccnz .LBB57_399
; %bb.392:
	s_cmp_gt_i32 s2, 14
	s_mov_b32 s40, -1
	s_cbranch_scc0 .LBB57_396
; %bb.393:
	s_cmp_eq_u32 s2, 15
	s_mov_b32 s0, -1
	s_cbranch_scc0 .LBB57_395
; %bb.394:
	v_bfe_u32 v3, v2, 16, 1
	v_cmp_o_f32_e32 vcc_lo, v2, v2
	v_mov_b32_e32 v4, 0x7fc0
	s_mov_b32 s3, -1
	s_mov_b32 s0, 0
	v_add3_u32 v3, v2, v3, 0x7fff
	v_cndmask_b32_sdwa v3, v4, v3, vcc_lo dst_sel:DWORD dst_unused:UNUSED_PAD src0_sel:DWORD src1_sel:WORD_1
	global_store_short v[0:1], v3, off
.LBB57_395:
	s_mov_b32 s40, 0
.LBB57_396:
	s_and_b32 vcc_lo, exec_lo, s40
	s_cbranch_vccz .LBB57_399
; %bb.397:
	s_cmp_eq_u32 s2, 11
	s_mov_b32 s0, -1
	s_cbranch_scc0 .LBB57_399
; %bb.398:
	v_cmp_neq_f32_e32 vcc_lo, 0, v2
	s_mov_b32 s0, 0
	s_mov_b32 s3, -1
	v_cndmask_b32_e64 v3, 0, 1, vcc_lo
	global_store_byte v[0:1], v3, off
.LBB57_399:
	s_mov_b32 s2, 0
.LBB57_400:
	s_and_b32 vcc_lo, exec_lo, s2
	s_cbranch_vccz .LBB57_439
; %bb.401:
	s_and_b32 s1, 0xffff, s1
	s_mov_b32 s2, -1
	s_cmp_lt_i32 s1, 5
	s_cbranch_scc1 .LBB57_422
; %bb.402:
	s_cmp_lt_i32 s1, 8
	s_cbranch_scc1 .LBB57_412
; %bb.403:
	;; [unrolled: 3-line block ×3, first 2 shown]
	s_cmp_gt_i32 s1, 9
	s_cbranch_scc0 .LBB57_406
; %bb.405:
	v_cvt_f64_f32_e32 v[3:4], v2
	v_mov_b32_e32 v5, 0
	s_mov_b32 s2, 0
	v_mov_b32_e32 v6, v5
	global_store_dwordx4 v[0:1], v[3:6], off
.LBB57_406:
	s_andn2_b32 vcc_lo, exec_lo, s2
	s_cbranch_vccnz .LBB57_408
; %bb.407:
	v_mov_b32_e32 v3, 0
	global_store_dwordx2 v[0:1], v[2:3], off
.LBB57_408:
	s_mov_b32 s2, 0
.LBB57_409:
	s_andn2_b32 vcc_lo, exec_lo, s2
	s_cbranch_vccnz .LBB57_411
; %bb.410:
	v_cvt_f16_f32_e32 v3, v2
	v_and_b32_e32 v3, 0xffff, v3
	global_store_dword v[0:1], v3, off
.LBB57_411:
	s_mov_b32 s2, 0
.LBB57_412:
	s_andn2_b32 vcc_lo, exec_lo, s2
	s_cbranch_vccnz .LBB57_421
; %bb.413:
	s_cmp_lt_i32 s1, 6
	s_mov_b32 s2, -1
	s_cbranch_scc1 .LBB57_419
; %bb.414:
	s_cmp_gt_i32 s1, 6
	s_cbranch_scc0 .LBB57_416
; %bb.415:
	v_cvt_f64_f32_e32 v[3:4], v2
	s_mov_b32 s2, 0
	global_store_dwordx2 v[0:1], v[3:4], off
.LBB57_416:
	s_andn2_b32 vcc_lo, exec_lo, s2
	s_cbranch_vccnz .LBB57_418
; %bb.417:
	global_store_dword v[0:1], v2, off
.LBB57_418:
	s_mov_b32 s2, 0
.LBB57_419:
	s_andn2_b32 vcc_lo, exec_lo, s2
	s_cbranch_vccnz .LBB57_421
; %bb.420:
	v_cvt_f16_f32_e32 v3, v2
	global_store_short v[0:1], v3, off
.LBB57_421:
	s_mov_b32 s2, 0
.LBB57_422:
	s_andn2_b32 vcc_lo, exec_lo, s2
	s_cbranch_vccnz .LBB57_438
; %bb.423:
	s_cmp_lt_i32 s1, 2
	s_mov_b32 s2, -1
	s_cbranch_scc1 .LBB57_433
; %bb.424:
	s_cmp_lt_i32 s1, 3
	s_cbranch_scc1 .LBB57_430
; %bb.425:
	s_cmp_gt_i32 s1, 3
	s_cbranch_scc0 .LBB57_427
; %bb.426:
	v_trunc_f32_e32 v3, v2
	s_mov_b32 s2, 0
	v_mul_f32_e64 v4, 0x2f800000, |v3|
	v_ashrrev_i32_e32 v6, 31, v3
	v_floor_f32_e32 v4, v4
	v_fma_f32 v5, 0xcf800000, v4, |v3|
	v_cvt_u32_f32_e32 v4, v4
	v_cvt_u32_f32_e32 v3, v5
	v_xor_b32_e32 v4, v4, v6
	v_xor_b32_e32 v3, v3, v6
	v_sub_co_u32 v3, vcc_lo, v3, v6
	v_sub_co_ci_u32_e64 v4, null, v4, v6, vcc_lo
	global_store_dwordx2 v[0:1], v[3:4], off
.LBB57_427:
	s_andn2_b32 vcc_lo, exec_lo, s2
	s_cbranch_vccnz .LBB57_429
; %bb.428:
	v_cvt_i32_f32_e32 v3, v2
	global_store_dword v[0:1], v3, off
.LBB57_429:
	s_mov_b32 s2, 0
.LBB57_430:
	s_andn2_b32 vcc_lo, exec_lo, s2
	s_cbranch_vccnz .LBB57_432
; %bb.431:
	v_cvt_i32_f32_e32 v3, v2
	global_store_short v[0:1], v3, off
.LBB57_432:
	s_mov_b32 s2, 0
.LBB57_433:
	s_andn2_b32 vcc_lo, exec_lo, s2
	s_cbranch_vccnz .LBB57_438
; %bb.434:
	s_cmp_gt_i32 s1, 0
	s_mov_b32 s1, -1
	s_cbranch_scc0 .LBB57_436
; %bb.435:
	v_cvt_i32_f32_e32 v3, v2
	s_mov_b32 s1, 0
	global_store_byte v[0:1], v3, off
.LBB57_436:
	s_andn2_b32 vcc_lo, exec_lo, s1
	s_cbranch_vccnz .LBB57_438
; %bb.437:
	v_trunc_f32_e32 v2, v2
	v_mul_f32_e64 v3, 0x2f800000, |v2|
	v_floor_f32_e32 v3, v3
	v_fma_f32 v3, 0xcf800000, v3, |v2|
	v_ashrrev_i32_e32 v2, 31, v2
	v_cvt_u32_f32_e32 v3, v3
	v_xor_b32_e32 v3, v3, v2
	v_sub_nc_u32_e32 v2, v3, v2
	global_store_byte v[0:1], v2, off
.LBB57_438:
	s_mov_b32 s3, -1
.LBB57_439:
	s_andn2_b32 vcc_lo, exec_lo, s3
	s_cbranch_vccnz .LBB57_441
; %bb.440:
	v_add_nc_u32_e32 v8, 0x80, v8
	s_mov_b32 s1, -1
	s_branch .LBB57_554
.LBB57_441:
	s_mov_b32 s1, 0
	s_branch .LBB57_553
.LBB57_442:
	s_mov_b32 s39, -1
                                        ; implicit-def: $vgpr3
.LBB57_443:
	s_mov_b32 s2, 0
.LBB57_444:
	s_and_b32 vcc_lo, exec_lo, s2
	s_cbranch_vccz .LBB57_448
; %bb.445:
	s_cmp_eq_u32 s0, 29
	s_cbranch_scc0 .LBB57_447
; %bb.446:
	global_load_dwordx2 v[3:4], v[1:2], off
	s_mov_b32 s1, -1
	s_mov_b32 s39, 0
	s_mov_b32 s2, 0
	s_waitcnt vmcnt(0)
	v_ffbh_u32_e32 v5, v4
	v_min_u32_e32 v5, 32, v5
	v_lshlrev_b64 v[3:4], v5, v[3:4]
	v_min_u32_e32 v3, 1, v3
	v_or_b32_e32 v3, v4, v3
	v_sub_nc_u32_e32 v4, 32, v5
	v_cvt_f32_u32_e32 v3, v3
	v_ldexp_f32 v3, v3, v4
	s_branch .LBB57_449
.LBB57_447:
	s_mov_b32 s39, -1
                                        ; implicit-def: $vgpr3
.LBB57_448:
	s_mov_b32 s2, 0
.LBB57_449:
	s_and_b32 vcc_lo, exec_lo, s2
	s_cbranch_vccz .LBB57_467
; %bb.450:
	s_cmp_lt_i32 s0, 27
	s_cbranch_scc1 .LBB57_453
; %bb.451:
	s_cmp_gt_i32 s0, 27
	s_cbranch_scc0 .LBB57_454
; %bb.452:
	global_load_dword v3, v[1:2], off
	s_mov_b32 s1, 0
	s_waitcnt vmcnt(0)
	v_cvt_f32_u32_e32 v3, v3
	s_branch .LBB57_455
.LBB57_453:
	s_mov_b32 s1, -1
                                        ; implicit-def: $vgpr3
	s_branch .LBB57_458
.LBB57_454:
	s_mov_b32 s1, -1
                                        ; implicit-def: $vgpr3
.LBB57_455:
	s_andn2_b32 vcc_lo, exec_lo, s1
	s_cbranch_vccnz .LBB57_457
; %bb.456:
	global_load_ushort v3, v[1:2], off
	s_waitcnt vmcnt(0)
	v_cvt_f32_u32_e32 v3, v3
.LBB57_457:
	s_mov_b32 s1, 0
.LBB57_458:
	s_andn2_b32 vcc_lo, exec_lo, s1
	s_cbranch_vccnz .LBB57_466
; %bb.459:
	global_load_ubyte v4, v[1:2], off
	s_mov_b32 s1, 0
	s_mov_b32 s2, exec_lo
	s_waitcnt vmcnt(0)
	v_cmpx_lt_i16_e32 0x7f, v4
	s_xor_b32 s2, exec_lo, s2
	s_cbranch_execz .LBB57_480
; %bb.460:
	s_mov_b32 s1, -1
	s_mov_b32 s3, exec_lo
	v_cmpx_eq_u16_e32 0x80, v4
; %bb.461:
	s_xor_b32 s1, exec_lo, -1
; %bb.462:
	s_or_b32 exec_lo, exec_lo, s3
	s_and_b32 s1, s1, exec_lo
	s_or_saveexec_b32 s2, s2
	v_mov_b32_e32 v3, 0x7f800001
	s_xor_b32 exec_lo, exec_lo, s2
	s_cbranch_execnz .LBB57_481
.LBB57_463:
	s_or_b32 exec_lo, exec_lo, s2
	s_and_saveexec_b32 s2, s1
	s_cbranch_execz .LBB57_465
.LBB57_464:
	v_and_b32_e32 v3, 0xffff, v4
	v_lshlrev_b32_e32 v4, 24, v4
	v_and_b32_e32 v5, 7, v3
	v_bfe_u32 v9, v3, 3, 4
	v_and_b32_e32 v4, 0x80000000, v4
	v_ffbh_u32_e32 v6, v5
	v_cmp_eq_u32_e32 vcc_lo, 0, v9
	v_min_u32_e32 v6, 32, v6
	v_subrev_nc_u32_e32 v7, 28, v6
	v_sub_nc_u32_e32 v6, 29, v6
	v_lshlrev_b32_e32 v3, v7, v3
	v_cndmask_b32_e32 v6, v9, v6, vcc_lo
	v_and_b32_e32 v3, 7, v3
	v_cndmask_b32_e32 v3, v5, v3, vcc_lo
	v_lshl_add_u32 v5, v6, 23, 0x3b800000
	v_lshlrev_b32_e32 v3, 20, v3
	v_or3_b32 v3, v4, v5, v3
.LBB57_465:
	s_or_b32 exec_lo, exec_lo, s2
.LBB57_466:
	s_mov_b32 s1, -1
.LBB57_467:
	s_mov_b32 s2, 0
.LBB57_468:
	s_and_b32 vcc_lo, exec_lo, s2
	s_cbranch_vccz .LBB57_503
; %bb.469:
	s_cmp_gt_i32 s0, 22
	s_cbranch_scc0 .LBB57_479
; %bb.470:
	s_cmp_lt_i32 s0, 24
	s_cbranch_scc1 .LBB57_482
; %bb.471:
	s_cmp_gt_i32 s0, 24
	s_cbranch_scc0 .LBB57_483
; %bb.472:
	global_load_ubyte v4, v[1:2], off
	s_mov_b32 s1, 0
	s_mov_b32 s2, exec_lo
	s_waitcnt vmcnt(0)
	v_cmpx_lt_i16_e32 0x7f, v4
	s_xor_b32 s2, exec_lo, s2
	s_cbranch_execz .LBB57_495
; %bb.473:
	s_mov_b32 s1, -1
	s_mov_b32 s3, exec_lo
	v_cmpx_eq_u16_e32 0x80, v4
; %bb.474:
	s_xor_b32 s1, exec_lo, -1
; %bb.475:
	s_or_b32 exec_lo, exec_lo, s3
	s_and_b32 s1, s1, exec_lo
	s_or_saveexec_b32 s2, s2
	v_mov_b32_e32 v3, 0x7f800001
	s_xor_b32 exec_lo, exec_lo, s2
	s_cbranch_execnz .LBB57_496
.LBB57_476:
	s_or_b32 exec_lo, exec_lo, s2
	s_and_saveexec_b32 s2, s1
	s_cbranch_execz .LBB57_478
.LBB57_477:
	v_and_b32_e32 v3, 0xffff, v4
	v_lshlrev_b32_e32 v4, 24, v4
	v_and_b32_e32 v5, 3, v3
	v_bfe_u32 v9, v3, 2, 5
	v_and_b32_e32 v4, 0x80000000, v4
	v_ffbh_u32_e32 v6, v5
	v_cmp_eq_u32_e32 vcc_lo, 0, v9
	v_min_u32_e32 v6, 32, v6
	v_subrev_nc_u32_e32 v7, 29, v6
	v_sub_nc_u32_e32 v6, 30, v6
	v_lshlrev_b32_e32 v3, v7, v3
	v_cndmask_b32_e32 v6, v9, v6, vcc_lo
	v_and_b32_e32 v3, 3, v3
	v_cndmask_b32_e32 v3, v5, v3, vcc_lo
	v_lshl_add_u32 v5, v6, 23, 0x37800000
	v_lshlrev_b32_e32 v3, 21, v3
	v_or3_b32 v3, v4, v5, v3
.LBB57_478:
	s_or_b32 exec_lo, exec_lo, s2
	s_mov_b32 s1, 0
	s_branch .LBB57_484
.LBB57_479:
	s_mov_b32 s2, -1
                                        ; implicit-def: $vgpr3
	s_branch .LBB57_490
.LBB57_480:
	s_or_saveexec_b32 s2, s2
	v_mov_b32_e32 v3, 0x7f800001
	s_xor_b32 exec_lo, exec_lo, s2
	s_cbranch_execz .LBB57_463
.LBB57_481:
	v_cmp_ne_u16_e32 vcc_lo, 0, v4
	v_mov_b32_e32 v3, 0
	s_andn2_b32 s1, s1, exec_lo
	s_and_b32 s3, vcc_lo, exec_lo
	s_or_b32 s1, s1, s3
	s_or_b32 exec_lo, exec_lo, s2
	s_and_saveexec_b32 s2, s1
	s_cbranch_execnz .LBB57_464
	s_branch .LBB57_465
.LBB57_482:
	s_mov_b32 s1, -1
                                        ; implicit-def: $vgpr3
	s_branch .LBB57_487
.LBB57_483:
	s_mov_b32 s1, -1
                                        ; implicit-def: $vgpr3
.LBB57_484:
	s_and_b32 vcc_lo, exec_lo, s1
	s_cbranch_vccz .LBB57_486
; %bb.485:
	global_load_ubyte v3, v[1:2], off
	s_waitcnt vmcnt(0)
	v_lshlrev_b32_e32 v3, 24, v3
	v_and_b32_e32 v4, 0x7f000000, v3
	v_ffbh_u32_e32 v5, v4
	v_add_nc_u32_e32 v7, 0x1000000, v4
	v_cmp_ne_u32_e32 vcc_lo, 0, v4
	v_min_u32_e32 v5, 32, v5
	v_sub_nc_u32_e64 v5, v5, 4 clamp
	v_lshlrev_b32_e32 v6, v5, v4
	v_lshlrev_b32_e32 v5, 23, v5
	v_lshrrev_b32_e32 v6, 4, v6
	v_sub_nc_u32_e32 v5, v6, v5
	v_ashrrev_i32_e32 v6, 8, v7
	v_add_nc_u32_e32 v5, 0x3c000000, v5
	v_and_or_b32 v5, 0x7f800000, v6, v5
	v_cndmask_b32_e32 v4, 0, v5, vcc_lo
	v_and_or_b32 v3, 0x80000000, v3, v4
.LBB57_486:
	s_mov_b32 s1, 0
.LBB57_487:
	s_andn2_b32 vcc_lo, exec_lo, s1
	s_cbranch_vccnz .LBB57_489
; %bb.488:
	global_load_ubyte v3, v[1:2], off
	s_waitcnt vmcnt(0)
	v_lshlrev_b32_e32 v4, 25, v3
	v_lshlrev_b16 v3, 8, v3
	v_lshrrev_b32_e32 v5, 4, v4
	v_and_or_b32 v6, 0x7f00, v3, 0.5
	v_cmp_gt_u32_e32 vcc_lo, 0x8000000, v4
	v_bfe_i32 v3, v3, 0, 16
	v_or_b32_e32 v5, 0x70000000, v5
	v_add_f32_e32 v6, -0.5, v6
	v_mul_f32_e32 v5, 0x7800000, v5
	v_cndmask_b32_e32 v4, v5, v6, vcc_lo
	v_and_or_b32 v3, 0x80000000, v3, v4
.LBB57_489:
	s_mov_b32 s2, 0
	s_mov_b32 s1, -1
.LBB57_490:
	s_andn2_b32 vcc_lo, exec_lo, s2
	s_cbranch_vccnz .LBB57_503
; %bb.491:
	s_cmp_gt_i32 s0, 14
	s_cbranch_scc0 .LBB57_494
; %bb.492:
	s_cmp_eq_u32 s0, 15
	s_cbranch_scc0 .LBB57_497
; %bb.493:
	global_load_ushort v3, v[1:2], off
	s_mov_b32 s1, -1
	s_mov_b32 s39, 0
	s_waitcnt vmcnt(0)
	v_lshlrev_b32_e32 v3, 16, v3
	s_branch .LBB57_498
.LBB57_494:
	s_mov_b32 s2, -1
                                        ; implicit-def: $vgpr3
	s_branch .LBB57_499
.LBB57_495:
	s_or_saveexec_b32 s2, s2
	v_mov_b32_e32 v3, 0x7f800001
	s_xor_b32 exec_lo, exec_lo, s2
	s_cbranch_execz .LBB57_476
.LBB57_496:
	v_cmp_ne_u16_e32 vcc_lo, 0, v4
	v_mov_b32_e32 v3, 0
	s_andn2_b32 s1, s1, exec_lo
	s_and_b32 s3, vcc_lo, exec_lo
	s_or_b32 s1, s1, s3
	s_or_b32 exec_lo, exec_lo, s2
	s_and_saveexec_b32 s2, s1
	s_cbranch_execnz .LBB57_477
	s_branch .LBB57_478
.LBB57_497:
	s_mov_b32 s39, -1
                                        ; implicit-def: $vgpr3
.LBB57_498:
	s_mov_b32 s2, 0
.LBB57_499:
	s_and_b32 vcc_lo, exec_lo, s2
	s_cbranch_vccz .LBB57_503
; %bb.500:
	s_cmp_eq_u32 s0, 11
	s_cbranch_scc0 .LBB57_502
; %bb.501:
	global_load_ubyte v3, v[1:2], off
	s_mov_b32 s39, 0
	s_mov_b32 s1, -1
	s_waitcnt vmcnt(0)
	v_cmp_ne_u16_e32 vcc_lo, 0, v3
	v_cndmask_b32_e64 v3, 0, 1.0, vcc_lo
	s_branch .LBB57_503
.LBB57_502:
	s_mov_b32 s39, -1
                                        ; implicit-def: $vgpr3
.LBB57_503:
	s_branch .LBB57_299
.LBB57_504:
	s_cmp_lt_i32 s0, 5
	s_cbranch_scc1 .LBB57_509
; %bb.505:
	s_cmp_lt_i32 s0, 8
	s_cbranch_scc1 .LBB57_510
; %bb.506:
	;; [unrolled: 3-line block ×3, first 2 shown]
	s_cmp_gt_i32 s0, 9
	s_cbranch_scc0 .LBB57_512
; %bb.508:
	global_load_dwordx2 v[3:4], v[1:2], off
	s_mov_b32 s1, 0
	s_waitcnt vmcnt(0)
	v_cvt_f32_f64_e32 v3, v[3:4]
	s_branch .LBB57_513
.LBB57_509:
	s_mov_b32 s1, -1
                                        ; implicit-def: $vgpr3
	s_branch .LBB57_531
.LBB57_510:
	s_mov_b32 s1, -1
                                        ; implicit-def: $vgpr3
	s_branch .LBB57_519
.LBB57_511:
	s_mov_b32 s1, -1
                                        ; implicit-def: $vgpr3
	s_branch .LBB57_516
.LBB57_512:
	s_mov_b32 s1, -1
                                        ; implicit-def: $vgpr3
.LBB57_513:
	s_andn2_b32 vcc_lo, exec_lo, s1
	s_cbranch_vccnz .LBB57_515
; %bb.514:
	global_load_dword v3, v[1:2], off
.LBB57_515:
	s_mov_b32 s1, 0
.LBB57_516:
	s_andn2_b32 vcc_lo, exec_lo, s1
	s_cbranch_vccnz .LBB57_518
; %bb.517:
	global_load_dword v3, v[1:2], off
	s_waitcnt vmcnt(0)
	v_cvt_f32_f16_e32 v3, v3
.LBB57_518:
	s_mov_b32 s1, 0
.LBB57_519:
	s_andn2_b32 vcc_lo, exec_lo, s1
	s_cbranch_vccnz .LBB57_530
; %bb.520:
	s_cmp_lt_i32 s0, 6
	s_cbranch_scc1 .LBB57_523
; %bb.521:
	s_cmp_gt_i32 s0, 6
	s_cbranch_scc0 .LBB57_524
; %bb.522:
	global_load_dwordx2 v[3:4], v[1:2], off
	s_mov_b32 s1, 0
	s_waitcnt vmcnt(0)
	v_cvt_f32_f64_e32 v3, v[3:4]
	s_branch .LBB57_525
.LBB57_523:
	s_mov_b32 s1, -1
                                        ; implicit-def: $vgpr3
	s_branch .LBB57_528
.LBB57_524:
	s_mov_b32 s1, -1
                                        ; implicit-def: $vgpr3
.LBB57_525:
	s_andn2_b32 vcc_lo, exec_lo, s1
	s_cbranch_vccnz .LBB57_527
; %bb.526:
	global_load_dword v3, v[1:2], off
.LBB57_527:
	s_mov_b32 s1, 0
.LBB57_528:
	s_andn2_b32 vcc_lo, exec_lo, s1
	s_cbranch_vccnz .LBB57_530
; %bb.529:
	global_load_ushort v3, v[1:2], off
	s_waitcnt vmcnt(0)
	v_cvt_f32_f16_e32 v3, v3
.LBB57_530:
	s_mov_b32 s1, 0
.LBB57_531:
	s_andn2_b32 vcc_lo, exec_lo, s1
	s_cbranch_vccnz .LBB57_551
; %bb.532:
	s_cmp_lt_i32 s0, 2
	s_cbranch_scc1 .LBB57_536
; %bb.533:
	s_cmp_lt_i32 s0, 3
	s_cbranch_scc1 .LBB57_537
; %bb.534:
	s_cmp_gt_i32 s0, 3
	s_cbranch_scc0 .LBB57_538
; %bb.535:
	global_load_dwordx2 v[3:4], v[1:2], off
	s_mov_b32 s1, 0
	s_waitcnt vmcnt(0)
	v_xor_b32_e32 v5, v3, v4
	v_ffbh_i32_e32 v6, v4
	v_ashrrev_i32_e32 v5, 31, v5
	v_add_nc_u32_e32 v6, -1, v6
	v_add_nc_u32_e32 v5, 32, v5
	v_min_u32_e32 v5, v6, v5
	v_lshlrev_b64 v[3:4], v5, v[3:4]
	v_min_u32_e32 v3, 1, v3
	v_or_b32_e32 v3, v4, v3
	v_sub_nc_u32_e32 v4, 32, v5
	v_cvt_f32_i32_e32 v3, v3
	v_ldexp_f32 v3, v3, v4
	s_branch .LBB57_539
.LBB57_536:
	s_mov_b32 s1, -1
                                        ; implicit-def: $vgpr3
	s_branch .LBB57_545
.LBB57_537:
	s_mov_b32 s1, -1
                                        ; implicit-def: $vgpr3
	s_branch .LBB57_542
.LBB57_538:
	s_mov_b32 s1, -1
                                        ; implicit-def: $vgpr3
.LBB57_539:
	s_andn2_b32 vcc_lo, exec_lo, s1
	s_cbranch_vccnz .LBB57_541
; %bb.540:
	global_load_dword v3, v[1:2], off
	s_waitcnt vmcnt(0)
	v_cvt_f32_i32_e32 v3, v3
.LBB57_541:
	s_mov_b32 s1, 0
.LBB57_542:
	s_andn2_b32 vcc_lo, exec_lo, s1
	s_cbranch_vccnz .LBB57_544
; %bb.543:
	global_load_sshort v3, v[1:2], off
	s_waitcnt vmcnt(0)
	v_cvt_f32_i32_e32 v3, v3
.LBB57_544:
	s_mov_b32 s1, 0
.LBB57_545:
	s_andn2_b32 vcc_lo, exec_lo, s1
	s_cbranch_vccnz .LBB57_551
; %bb.546:
	s_cmp_gt_i32 s0, 0
	s_mov_b32 s0, 0
	s_cbranch_scc0 .LBB57_548
; %bb.547:
	global_load_sbyte v3, v[1:2], off
	s_waitcnt vmcnt(0)
	v_cvt_f32_i32_e32 v3, v3
	s_branch .LBB57_549
.LBB57_548:
	s_mov_b32 s0, -1
                                        ; implicit-def: $vgpr3
.LBB57_549:
	s_andn2_b32 vcc_lo, exec_lo, s0
	s_cbranch_vccnz .LBB57_551
; %bb.550:
	global_load_ubyte v1, v[1:2], off
	s_waitcnt vmcnt(0)
	v_cvt_f32_ubyte0_e32 v3, v1
.LBB57_551:
	s_branch .LBB57_300
.LBB57_552:
	s_mov_b32 s1, 0
	s_mov_b32 s0, s36
.LBB57_553:
                                        ; implicit-def: $vgpr8
.LBB57_554:
	s_andn2_b32 s2, s36, exec_lo
	s_and_b32 s0, s0, exec_lo
	s_andn2_b32 s3, s37, exec_lo
	s_and_b32 s39, s39, exec_lo
	s_or_b32 s40, s2, s0
	s_or_b32 s39, s3, s39
	s_orn2_b32 s0, s1, exec_lo
.LBB57_555:
	s_or_b32 exec_lo, exec_lo, s41
	s_mov_b32 s1, 0
	s_mov_b32 s2, 0
	;; [unrolled: 1-line block ×3, first 2 shown]
                                        ; implicit-def: $vgpr1_vgpr2
                                        ; implicit-def: $vgpr0
                                        ; implicit-def: $vgpr4
	s_and_saveexec_b32 s41, s0
	s_cbranch_execz .LBB57_938
; %bb.556:
	s_mov_b32 s3, -1
	s_mov_b32 s43, s39
	s_mov_b32 s44, s40
	s_mov_b32 s42, exec_lo
	v_cmpx_gt_i32_e64 s33, v8
	s_cbranch_execz .LBB57_837
; %bb.557:
	s_andn2_b32 vcc_lo, exec_lo, s27
	s_cbranch_vccnz .LBB57_562
; %bb.558:
	s_andn2_b32 vcc_lo, exec_lo, s34
	s_cbranch_vccnz .LBB57_563
; %bb.559:
	s_add_i32 s44, s35, 1
	s_cmp_eq_u32 s25, 2
	s_cbranch_scc1 .LBB57_564
; %bb.560:
	v_mov_b32_e32 v2, 0
	v_mov_b32_e32 v0, 0
	;; [unrolled: 1-line block ×3, first 2 shown]
	s_and_b32 s43, s44, 28
	s_mov_b32 s45, 0
	s_mov_b64 s[0:1], s[6:7]
	s_mov_b64 s[2:3], s[22:23]
.LBB57_561:                             ; =>This Inner Loop Header: Depth=1
	s_clause 0x1
	s_load_dwordx8 s[48:55], s[0:1], 0x4
	s_load_dwordx4 s[64:67], s[0:1], 0x24
	s_load_dwordx8 s[56:63], s[2:3], 0x0
	s_add_u32 s0, s0, 48
	s_addc_u32 s1, s1, 0
	s_add_i32 s45, s45, 4
	s_add_u32 s2, s2, 32
	s_addc_u32 s3, s3, 0
	s_cmp_eq_u32 s43, s45
	s_waitcnt vmcnt(0) lgkmcnt(0)
	v_mul_hi_u32 v3, s49, v1
	v_add_nc_u32_e32 v3, v1, v3
	v_lshrrev_b32_e32 v3, s50, v3
	v_mul_hi_u32 v4, s52, v3
	v_mul_lo_u32 v6, v3, s48
	v_add_nc_u32_e32 v4, v3, v4
	v_sub_nc_u32_e32 v1, v1, v6
	v_lshrrev_b32_e32 v4, s53, v4
	v_mul_lo_u32 v6, v1, s56
	v_mul_lo_u32 v9, v1, s57
	v_mul_hi_u32 v5, s55, v4
	v_add_nc_u32_e32 v5, v4, v5
	v_lshrrev_b32_e32 v5, s64, v5
	v_mul_hi_u32 v7, s66, v5
	v_mul_lo_u32 v10, v5, s54
	v_add_nc_u32_e32 v1, v5, v7
	v_mul_lo_u32 v7, v4, s51
	v_sub_nc_u32_e32 v4, v4, v10
	v_lshrrev_b32_e32 v1, s67, v1
	v_mul_lo_u32 v10, v4, s60
	v_mul_lo_u32 v4, v4, s61
	v_sub_nc_u32_e32 v3, v3, v7
	v_mul_lo_u32 v11, v1, s65
	v_mul_lo_u32 v7, v3, s58
	;; [unrolled: 1-line block ×3, first 2 shown]
	v_sub_nc_u32_e32 v5, v5, v11
	v_add3_u32 v0, v6, v0, v7
	v_mul_lo_u32 v11, v5, s62
	v_mul_lo_u32 v5, v5, s63
	v_add3_u32 v2, v9, v2, v3
	v_add3_u32 v0, v10, v0, v11
	;; [unrolled: 1-line block ×3, first 2 shown]
	s_cbranch_scc0 .LBB57_561
	s_branch .LBB57_565
.LBB57_562:
	s_mov_b32 s0, -1
                                        ; implicit-def: $vgpr0
                                        ; implicit-def: $vgpr2
	s_branch .LBB57_569
.LBB57_563:
	v_mov_b32_e32 v0, 0
	v_mov_b32_e32 v2, 0
	s_branch .LBB57_568
.LBB57_564:
	v_mov_b32_e32 v0, 0
	v_mov_b32_e32 v2, 0
	;; [unrolled: 1-line block ×3, first 2 shown]
	s_mov_b32 s43, 0
.LBB57_565:
	s_and_b32 s44, s44, 3
	s_cmp_eq_u32 s44, 0
	s_cbranch_scc1 .LBB57_568
; %bb.566:
	s_lshl_b32 s0, s43, 3
	s_mul_i32 s2, s43, 12
	s_add_u32 s0, s6, s0
	s_addc_u32 s1, s7, 0
	s_add_u32 s0, s0, 0xc4
	s_addc_u32 s1, s1, 0
	;; [unrolled: 2-line block ×3, first 2 shown]
	.p2align	6
.LBB57_567:                             ; =>This Inner Loop Header: Depth=1
	s_clause 0x1
	s_load_dwordx2 s[46:47], s[2:3], 0x4
	s_load_dword s43, s[2:3], 0xc
	s_load_dwordx2 s[48:49], s[0:1], 0x0
	s_add_u32 s2, s2, 12
	s_addc_u32 s3, s3, 0
	s_add_u32 s0, s0, 8
	s_addc_u32 s1, s1, 0
	s_add_i32 s44, s44, -1
	s_cmp_lg_u32 s44, 0
	s_waitcnt vmcnt(0) lgkmcnt(0)
	v_mul_hi_u32 v3, s47, v1
	v_add_nc_u32_e32 v3, v1, v3
	v_lshrrev_b32_e32 v4, s43, v3
	v_mul_lo_u32 v3, v4, s46
	v_sub_nc_u32_e32 v3, v1, v3
	v_mad_u64_u32 v[0:1], null, v3, s48, v[0:1]
	v_mad_u64_u32 v[2:3], null, v3, s49, v[2:3]
	v_mov_b32_e32 v1, v4
	s_cbranch_scc1 .LBB57_567
.LBB57_568:
	s_mov_b32 s0, 0
.LBB57_569:
	s_andn2_b32 vcc_lo, exec_lo, s0
	s_cbranch_vccnz .LBB57_572
; %bb.570:
	s_waitcnt lgkmcnt(0)
	v_mul_hi_u32 v0, s17, v8
	s_andn2_b32 vcc_lo, exec_lo, s31
	v_add_nc_u32_e32 v0, v8, v0
	v_lshrrev_b32_e32 v1, s18, v0
	v_mul_lo_u32 v0, v1, s16
	v_sub_nc_u32_e32 v2, v8, v0
	v_mul_lo_u32 v0, v2, s12
	v_mul_lo_u32 v2, v2, s13
	s_cbranch_vccnz .LBB57_572
; %bb.571:
	s_waitcnt vmcnt(0)
	v_mul_hi_u32 v3, s20, v1
	v_add_nc_u32_e32 v3, v1, v3
	v_lshrrev_b32_e32 v3, s21, v3
	v_mul_lo_u32 v3, v3, s19
	v_sub_nc_u32_e32 v3, v1, v3
	v_mad_u64_u32 v[0:1], null, v3, s14, v[0:1]
	v_mad_u64_u32 v[2:3], null, v3, s15, v[2:3]
.LBB57_572:
	s_waitcnt lgkmcnt(0)
	v_add_co_u32 v1, s0, s10, v2
	v_add_co_ci_u32_e64 v2, null, s11, 0, s0
	s_and_b32 s0, 0xffff, s30
	s_cmp_lt_i32 s0, 11
	s_cbranch_scc1 .LBB57_579
; %bb.573:
	s_cmp_gt_i32 s0, 25
	s_cbranch_scc0 .LBB57_580
; %bb.574:
	s_cmp_gt_i32 s0, 28
	s_cbranch_scc0 .LBB57_581
	;; [unrolled: 3-line block ×4, first 2 shown]
; %bb.577:
	s_cmp_eq_u32 s0, 46
	s_mov_b32 s2, 0
	s_cbranch_scc0 .LBB57_588
; %bb.578:
	global_load_dword v3, v[1:2], off
	s_mov_b32 s1, -1
	s_mov_b32 s43, 0
	s_waitcnt vmcnt(0)
	v_lshlrev_b32_e32 v3, 16, v3
	s_branch .LBB57_590
.LBB57_579:
	s_mov_b32 s2, -1
	s_mov_b32 s1, 0
	s_mov_b32 s43, s39
                                        ; implicit-def: $vgpr3
	s_branch .LBB57_655
.LBB57_580:
	s_mov_b32 s2, -1
	s_mov_b32 s1, 0
	s_mov_b32 s43, s39
                                        ; implicit-def: $vgpr3
	s_branch .LBB57_619
.LBB57_581:
	s_mov_b32 s2, -1
	s_mov_b32 s1, 0
	s_mov_b32 s43, s39
                                        ; implicit-def: $vgpr3
	s_branch .LBB57_600
.LBB57_582:
	s_mov_b32 s2, -1
	s_mov_b32 s1, 0
	s_mov_b32 s43, s39
                                        ; implicit-def: $vgpr3
	s_branch .LBB57_595
.LBB57_583:
	s_andn2_saveexec_b32 s42, s42
	s_cbranch_execz .LBB57_352
.LBB57_584:
	v_add_f32_e64 v3, 0x46000000, |v2|
	s_andn2_b32 s40, s40, exec_lo
	v_and_b32_e32 v3, 0xff, v3
	v_cmp_ne_u32_e32 vcc_lo, 0, v3
	s_and_b32 s43, vcc_lo, exec_lo
	s_or_b32 s40, s40, s43
	s_or_b32 exec_lo, exec_lo, s42
	v_mov_b32_e32 v4, 0
	s_and_saveexec_b32 s42, s40
	s_cbranch_execnz .LBB57_353
	s_branch .LBB57_354
.LBB57_585:
	s_mov_b32 s2, -1
	s_mov_b32 s1, 0
	s_mov_b32 s43, s39
	s_branch .LBB57_589
.LBB57_586:
	s_andn2_saveexec_b32 s42, s42
	s_cbranch_execz .LBB57_365
.LBB57_587:
	v_add_f32_e64 v3, 0x42800000, |v2|
	s_andn2_b32 s40, s40, exec_lo
	v_and_b32_e32 v3, 0xff, v3
	v_cmp_ne_u32_e32 vcc_lo, 0, v3
	s_and_b32 s43, vcc_lo, exec_lo
	s_or_b32 s40, s40, s43
	s_or_b32 exec_lo, exec_lo, s42
	v_mov_b32_e32 v4, 0
	s_and_saveexec_b32 s42, s40
	s_cbranch_execnz .LBB57_366
	s_branch .LBB57_367
.LBB57_588:
	s_mov_b32 s43, -1
	s_mov_b32 s1, 0
.LBB57_589:
                                        ; implicit-def: $vgpr3
.LBB57_590:
	s_and_b32 vcc_lo, exec_lo, s2
	s_cbranch_vccz .LBB57_594
; %bb.591:
	s_cmp_eq_u32 s0, 44
	s_cbranch_scc0 .LBB57_593
; %bb.592:
	global_load_ubyte v3, v[1:2], off
	s_mov_b32 s43, 0
	s_mov_b32 s1, -1
	s_waitcnt vmcnt(0)
	v_lshlrev_b32_e32 v4, 23, v3
	v_cmp_ne_u32_e32 vcc_lo, 0xff, v3
	v_cndmask_b32_e32 v4, 0x7f800001, v4, vcc_lo
	v_cmp_ne_u32_e32 vcc_lo, 0, v3
	v_cndmask_b32_e32 v3, 0x400000, v4, vcc_lo
	s_branch .LBB57_594
.LBB57_593:
	s_mov_b32 s43, -1
                                        ; implicit-def: $vgpr3
.LBB57_594:
	s_mov_b32 s2, 0
.LBB57_595:
	s_and_b32 vcc_lo, exec_lo, s2
	s_cbranch_vccz .LBB57_599
; %bb.596:
	s_cmp_eq_u32 s0, 29
	s_cbranch_scc0 .LBB57_598
; %bb.597:
	global_load_dwordx2 v[3:4], v[1:2], off
	s_mov_b32 s1, -1
	s_mov_b32 s43, 0
	s_mov_b32 s2, 0
	s_waitcnt vmcnt(0)
	v_ffbh_u32_e32 v5, v4
	v_min_u32_e32 v5, 32, v5
	v_lshlrev_b64 v[3:4], v5, v[3:4]
	v_min_u32_e32 v3, 1, v3
	v_or_b32_e32 v3, v4, v3
	v_sub_nc_u32_e32 v4, 32, v5
	v_cvt_f32_u32_e32 v3, v3
	v_ldexp_f32 v3, v3, v4
	s_branch .LBB57_600
.LBB57_598:
	s_mov_b32 s43, -1
                                        ; implicit-def: $vgpr3
.LBB57_599:
	s_mov_b32 s2, 0
.LBB57_600:
	s_and_b32 vcc_lo, exec_lo, s2
	s_cbranch_vccz .LBB57_618
; %bb.601:
	s_cmp_lt_i32 s0, 27
	s_cbranch_scc1 .LBB57_604
; %bb.602:
	s_cmp_gt_i32 s0, 27
	s_cbranch_scc0 .LBB57_605
; %bb.603:
	global_load_dword v3, v[1:2], off
	s_mov_b32 s1, 0
	s_waitcnt vmcnt(0)
	v_cvt_f32_u32_e32 v3, v3
	s_branch .LBB57_606
.LBB57_604:
	s_mov_b32 s1, -1
                                        ; implicit-def: $vgpr3
	s_branch .LBB57_609
.LBB57_605:
	s_mov_b32 s1, -1
                                        ; implicit-def: $vgpr3
.LBB57_606:
	s_andn2_b32 vcc_lo, exec_lo, s1
	s_cbranch_vccnz .LBB57_608
; %bb.607:
	global_load_ushort v3, v[1:2], off
	s_waitcnt vmcnt(0)
	v_cvt_f32_u32_e32 v3, v3
.LBB57_608:
	s_mov_b32 s1, 0
.LBB57_609:
	s_andn2_b32 vcc_lo, exec_lo, s1
	s_cbranch_vccnz .LBB57_617
; %bb.610:
	global_load_ubyte v4, v[1:2], off
	s_mov_b32 s1, 0
	s_mov_b32 s2, exec_lo
	s_waitcnt vmcnt(0)
	v_cmpx_lt_i16_e32 0x7f, v4
	s_xor_b32 s2, exec_lo, s2
	s_cbranch_execz .LBB57_631
; %bb.611:
	s_mov_b32 s1, -1
	s_mov_b32 s3, exec_lo
	v_cmpx_eq_u16_e32 0x80, v4
; %bb.612:
	s_xor_b32 s1, exec_lo, -1
; %bb.613:
	s_or_b32 exec_lo, exec_lo, s3
	s_and_b32 s1, s1, exec_lo
	s_or_saveexec_b32 s2, s2
	v_mov_b32_e32 v3, 0x7f800001
	s_xor_b32 exec_lo, exec_lo, s2
	s_cbranch_execnz .LBB57_632
.LBB57_614:
	s_or_b32 exec_lo, exec_lo, s2
	s_and_saveexec_b32 s2, s1
	s_cbranch_execz .LBB57_616
.LBB57_615:
	v_and_b32_e32 v3, 0xffff, v4
	v_lshlrev_b32_e32 v4, 24, v4
	v_and_b32_e32 v5, 7, v3
	v_bfe_u32 v9, v3, 3, 4
	v_and_b32_e32 v4, 0x80000000, v4
	v_ffbh_u32_e32 v6, v5
	v_cmp_eq_u32_e32 vcc_lo, 0, v9
	v_min_u32_e32 v6, 32, v6
	v_subrev_nc_u32_e32 v7, 28, v6
	v_sub_nc_u32_e32 v6, 29, v6
	v_lshlrev_b32_e32 v3, v7, v3
	v_cndmask_b32_e32 v6, v9, v6, vcc_lo
	v_and_b32_e32 v3, 7, v3
	v_cndmask_b32_e32 v3, v5, v3, vcc_lo
	v_lshl_add_u32 v5, v6, 23, 0x3b800000
	v_lshlrev_b32_e32 v3, 20, v3
	v_or3_b32 v3, v4, v5, v3
.LBB57_616:
	s_or_b32 exec_lo, exec_lo, s2
.LBB57_617:
	s_mov_b32 s1, -1
.LBB57_618:
	s_mov_b32 s2, 0
.LBB57_619:
	s_and_b32 vcc_lo, exec_lo, s2
	s_cbranch_vccz .LBB57_654
; %bb.620:
	s_cmp_gt_i32 s0, 22
	s_cbranch_scc0 .LBB57_630
; %bb.621:
	s_cmp_lt_i32 s0, 24
	s_cbranch_scc1 .LBB57_633
; %bb.622:
	s_cmp_gt_i32 s0, 24
	s_cbranch_scc0 .LBB57_634
; %bb.623:
	global_load_ubyte v4, v[1:2], off
	s_mov_b32 s1, 0
	s_mov_b32 s2, exec_lo
	s_waitcnt vmcnt(0)
	v_cmpx_lt_i16_e32 0x7f, v4
	s_xor_b32 s2, exec_lo, s2
	s_cbranch_execz .LBB57_646
; %bb.624:
	s_mov_b32 s1, -1
	s_mov_b32 s3, exec_lo
	v_cmpx_eq_u16_e32 0x80, v4
; %bb.625:
	s_xor_b32 s1, exec_lo, -1
; %bb.626:
	s_or_b32 exec_lo, exec_lo, s3
	s_and_b32 s1, s1, exec_lo
	s_or_saveexec_b32 s2, s2
	v_mov_b32_e32 v3, 0x7f800001
	s_xor_b32 exec_lo, exec_lo, s2
	s_cbranch_execnz .LBB57_647
.LBB57_627:
	s_or_b32 exec_lo, exec_lo, s2
	s_and_saveexec_b32 s2, s1
	s_cbranch_execz .LBB57_629
.LBB57_628:
	v_and_b32_e32 v3, 0xffff, v4
	v_lshlrev_b32_e32 v4, 24, v4
	v_and_b32_e32 v5, 3, v3
	v_bfe_u32 v9, v3, 2, 5
	v_and_b32_e32 v4, 0x80000000, v4
	v_ffbh_u32_e32 v6, v5
	v_cmp_eq_u32_e32 vcc_lo, 0, v9
	v_min_u32_e32 v6, 32, v6
	v_subrev_nc_u32_e32 v7, 29, v6
	v_sub_nc_u32_e32 v6, 30, v6
	v_lshlrev_b32_e32 v3, v7, v3
	v_cndmask_b32_e32 v6, v9, v6, vcc_lo
	v_and_b32_e32 v3, 3, v3
	v_cndmask_b32_e32 v3, v5, v3, vcc_lo
	v_lshl_add_u32 v5, v6, 23, 0x37800000
	v_lshlrev_b32_e32 v3, 21, v3
	v_or3_b32 v3, v4, v5, v3
.LBB57_629:
	s_or_b32 exec_lo, exec_lo, s2
	s_mov_b32 s1, 0
	s_branch .LBB57_635
.LBB57_630:
	s_mov_b32 s2, -1
                                        ; implicit-def: $vgpr3
	s_branch .LBB57_641
.LBB57_631:
	s_or_saveexec_b32 s2, s2
	v_mov_b32_e32 v3, 0x7f800001
	s_xor_b32 exec_lo, exec_lo, s2
	s_cbranch_execz .LBB57_614
.LBB57_632:
	v_cmp_ne_u16_e32 vcc_lo, 0, v4
	v_mov_b32_e32 v3, 0
	s_andn2_b32 s1, s1, exec_lo
	s_and_b32 s3, vcc_lo, exec_lo
	s_or_b32 s1, s1, s3
	s_or_b32 exec_lo, exec_lo, s2
	s_and_saveexec_b32 s2, s1
	s_cbranch_execnz .LBB57_615
	s_branch .LBB57_616
.LBB57_633:
	s_mov_b32 s1, -1
                                        ; implicit-def: $vgpr3
	s_branch .LBB57_638
.LBB57_634:
	s_mov_b32 s1, -1
                                        ; implicit-def: $vgpr3
.LBB57_635:
	s_and_b32 vcc_lo, exec_lo, s1
	s_cbranch_vccz .LBB57_637
; %bb.636:
	global_load_ubyte v3, v[1:2], off
	s_waitcnt vmcnt(0)
	v_lshlrev_b32_e32 v3, 24, v3
	v_and_b32_e32 v4, 0x7f000000, v3
	v_ffbh_u32_e32 v5, v4
	v_add_nc_u32_e32 v7, 0x1000000, v4
	v_cmp_ne_u32_e32 vcc_lo, 0, v4
	v_min_u32_e32 v5, 32, v5
	v_sub_nc_u32_e64 v5, v5, 4 clamp
	v_lshlrev_b32_e32 v6, v5, v4
	v_lshlrev_b32_e32 v5, 23, v5
	v_lshrrev_b32_e32 v6, 4, v6
	v_sub_nc_u32_e32 v5, v6, v5
	v_ashrrev_i32_e32 v6, 8, v7
	v_add_nc_u32_e32 v5, 0x3c000000, v5
	v_and_or_b32 v5, 0x7f800000, v6, v5
	v_cndmask_b32_e32 v4, 0, v5, vcc_lo
	v_and_or_b32 v3, 0x80000000, v3, v4
.LBB57_637:
	s_mov_b32 s1, 0
.LBB57_638:
	s_andn2_b32 vcc_lo, exec_lo, s1
	s_cbranch_vccnz .LBB57_640
; %bb.639:
	global_load_ubyte v3, v[1:2], off
	s_waitcnt vmcnt(0)
	v_lshlrev_b32_e32 v4, 25, v3
	v_lshlrev_b16 v3, 8, v3
	v_lshrrev_b32_e32 v5, 4, v4
	v_and_or_b32 v6, 0x7f00, v3, 0.5
	v_cmp_gt_u32_e32 vcc_lo, 0x8000000, v4
	v_bfe_i32 v3, v3, 0, 16
	v_or_b32_e32 v5, 0x70000000, v5
	v_add_f32_e32 v6, -0.5, v6
	v_mul_f32_e32 v5, 0x7800000, v5
	v_cndmask_b32_e32 v4, v5, v6, vcc_lo
	v_and_or_b32 v3, 0x80000000, v3, v4
.LBB57_640:
	s_mov_b32 s2, 0
	s_mov_b32 s1, -1
.LBB57_641:
	s_andn2_b32 vcc_lo, exec_lo, s2
	s_cbranch_vccnz .LBB57_654
; %bb.642:
	s_cmp_gt_i32 s0, 14
	s_cbranch_scc0 .LBB57_645
; %bb.643:
	s_cmp_eq_u32 s0, 15
	s_cbranch_scc0 .LBB57_648
; %bb.644:
	global_load_ushort v3, v[1:2], off
	s_mov_b32 s1, -1
	s_mov_b32 s43, 0
	s_waitcnt vmcnt(0)
	v_lshlrev_b32_e32 v3, 16, v3
	s_branch .LBB57_649
.LBB57_645:
	s_mov_b32 s2, -1
                                        ; implicit-def: $vgpr3
	s_branch .LBB57_650
.LBB57_646:
	s_or_saveexec_b32 s2, s2
	v_mov_b32_e32 v3, 0x7f800001
	s_xor_b32 exec_lo, exec_lo, s2
	s_cbranch_execz .LBB57_627
.LBB57_647:
	v_cmp_ne_u16_e32 vcc_lo, 0, v4
	v_mov_b32_e32 v3, 0
	s_andn2_b32 s1, s1, exec_lo
	s_and_b32 s3, vcc_lo, exec_lo
	s_or_b32 s1, s1, s3
	s_or_b32 exec_lo, exec_lo, s2
	s_and_saveexec_b32 s2, s1
	s_cbranch_execnz .LBB57_628
	s_branch .LBB57_629
.LBB57_648:
	s_mov_b32 s43, -1
                                        ; implicit-def: $vgpr3
.LBB57_649:
	s_mov_b32 s2, 0
.LBB57_650:
	s_and_b32 vcc_lo, exec_lo, s2
	s_cbranch_vccz .LBB57_654
; %bb.651:
	s_cmp_eq_u32 s0, 11
	s_cbranch_scc0 .LBB57_653
; %bb.652:
	global_load_ubyte v3, v[1:2], off
	s_mov_b32 s43, 0
	s_mov_b32 s1, -1
	s_waitcnt vmcnt(0)
	v_cmp_ne_u16_e32 vcc_lo, 0, v3
	v_cndmask_b32_e64 v3, 0, 1.0, vcc_lo
	s_branch .LBB57_654
.LBB57_653:
	s_mov_b32 s43, -1
                                        ; implicit-def: $vgpr3
.LBB57_654:
	s_mov_b32 s2, 0
.LBB57_655:
	s_and_b32 vcc_lo, exec_lo, s2
	s_cbranch_vccz .LBB57_704
; %bb.656:
	s_cmp_lt_i32 s0, 5
	s_cbranch_scc1 .LBB57_661
; %bb.657:
	s_cmp_lt_i32 s0, 8
	s_cbranch_scc1 .LBB57_662
	;; [unrolled: 3-line block ×3, first 2 shown]
; %bb.659:
	s_cmp_gt_i32 s0, 9
	s_cbranch_scc0 .LBB57_664
; %bb.660:
	global_load_dwordx2 v[3:4], v[1:2], off
	s_mov_b32 s1, 0
	s_waitcnt vmcnt(0)
	v_cvt_f32_f64_e32 v3, v[3:4]
	s_branch .LBB57_665
.LBB57_661:
	s_mov_b32 s1, -1
                                        ; implicit-def: $vgpr3
	s_branch .LBB57_683
.LBB57_662:
	s_mov_b32 s1, -1
                                        ; implicit-def: $vgpr3
	s_branch .LBB57_671
.LBB57_663:
	s_mov_b32 s1, -1
                                        ; implicit-def: $vgpr3
	s_branch .LBB57_668
.LBB57_664:
	s_mov_b32 s1, -1
                                        ; implicit-def: $vgpr3
.LBB57_665:
	s_andn2_b32 vcc_lo, exec_lo, s1
	s_cbranch_vccnz .LBB57_667
; %bb.666:
	global_load_dword v3, v[1:2], off
.LBB57_667:
	s_mov_b32 s1, 0
.LBB57_668:
	s_andn2_b32 vcc_lo, exec_lo, s1
	s_cbranch_vccnz .LBB57_670
; %bb.669:
	global_load_dword v3, v[1:2], off
	s_waitcnt vmcnt(0)
	v_cvt_f32_f16_e32 v3, v3
.LBB57_670:
	s_mov_b32 s1, 0
.LBB57_671:
	s_andn2_b32 vcc_lo, exec_lo, s1
	s_cbranch_vccnz .LBB57_682
; %bb.672:
	s_cmp_lt_i32 s0, 6
	s_cbranch_scc1 .LBB57_675
; %bb.673:
	s_cmp_gt_i32 s0, 6
	s_cbranch_scc0 .LBB57_676
; %bb.674:
	global_load_dwordx2 v[3:4], v[1:2], off
	s_mov_b32 s1, 0
	s_waitcnt vmcnt(0)
	v_cvt_f32_f64_e32 v3, v[3:4]
	s_branch .LBB57_677
.LBB57_675:
	s_mov_b32 s1, -1
                                        ; implicit-def: $vgpr3
	s_branch .LBB57_680
.LBB57_676:
	s_mov_b32 s1, -1
                                        ; implicit-def: $vgpr3
.LBB57_677:
	s_andn2_b32 vcc_lo, exec_lo, s1
	s_cbranch_vccnz .LBB57_679
; %bb.678:
	global_load_dword v3, v[1:2], off
.LBB57_679:
	s_mov_b32 s1, 0
.LBB57_680:
	s_andn2_b32 vcc_lo, exec_lo, s1
	s_cbranch_vccnz .LBB57_682
; %bb.681:
	global_load_ushort v3, v[1:2], off
	s_waitcnt vmcnt(0)
	v_cvt_f32_f16_e32 v3, v3
.LBB57_682:
	s_mov_b32 s1, 0
.LBB57_683:
	s_andn2_b32 vcc_lo, exec_lo, s1
	s_cbranch_vccnz .LBB57_703
; %bb.684:
	s_cmp_lt_i32 s0, 2
	s_cbranch_scc1 .LBB57_688
; %bb.685:
	s_cmp_lt_i32 s0, 3
	s_cbranch_scc1 .LBB57_689
; %bb.686:
	s_cmp_gt_i32 s0, 3
	s_cbranch_scc0 .LBB57_690
; %bb.687:
	global_load_dwordx2 v[3:4], v[1:2], off
	s_mov_b32 s1, 0
	s_waitcnt vmcnt(0)
	v_xor_b32_e32 v5, v3, v4
	v_ffbh_i32_e32 v6, v4
	v_ashrrev_i32_e32 v5, 31, v5
	v_add_nc_u32_e32 v6, -1, v6
	v_add_nc_u32_e32 v5, 32, v5
	v_min_u32_e32 v5, v6, v5
	v_lshlrev_b64 v[3:4], v5, v[3:4]
	v_min_u32_e32 v3, 1, v3
	v_or_b32_e32 v3, v4, v3
	v_sub_nc_u32_e32 v4, 32, v5
	v_cvt_f32_i32_e32 v3, v3
	v_ldexp_f32 v3, v3, v4
	s_branch .LBB57_691
.LBB57_688:
	s_mov_b32 s1, -1
                                        ; implicit-def: $vgpr3
	s_branch .LBB57_697
.LBB57_689:
	s_mov_b32 s1, -1
                                        ; implicit-def: $vgpr3
	s_branch .LBB57_694
.LBB57_690:
	s_mov_b32 s1, -1
                                        ; implicit-def: $vgpr3
.LBB57_691:
	s_andn2_b32 vcc_lo, exec_lo, s1
	s_cbranch_vccnz .LBB57_693
; %bb.692:
	global_load_dword v3, v[1:2], off
	s_waitcnt vmcnt(0)
	v_cvt_f32_i32_e32 v3, v3
.LBB57_693:
	s_mov_b32 s1, 0
.LBB57_694:
	s_andn2_b32 vcc_lo, exec_lo, s1
	s_cbranch_vccnz .LBB57_696
; %bb.695:
	global_load_sshort v3, v[1:2], off
	s_waitcnt vmcnt(0)
	v_cvt_f32_i32_e32 v3, v3
.LBB57_696:
	s_mov_b32 s1, 0
.LBB57_697:
	s_andn2_b32 vcc_lo, exec_lo, s1
	s_cbranch_vccnz .LBB57_703
; %bb.698:
	s_cmp_gt_i32 s0, 0
	s_mov_b32 s0, 0
	s_cbranch_scc0 .LBB57_700
; %bb.699:
	global_load_sbyte v3, v[1:2], off
	s_waitcnt vmcnt(0)
	v_cvt_f32_i32_e32 v3, v3
	s_branch .LBB57_701
.LBB57_700:
	s_mov_b32 s0, -1
                                        ; implicit-def: $vgpr3
.LBB57_701:
	s_andn2_b32 vcc_lo, exec_lo, s0
	s_cbranch_vccnz .LBB57_703
; %bb.702:
	global_load_ubyte v1, v[1:2], off
	s_waitcnt vmcnt(0)
	v_cvt_f32_ubyte0_e32 v3, v1
.LBB57_703:
	s_mov_b32 s1, -1
.LBB57_704:
	s_andn2_b32 vcc_lo, exec_lo, s1
	s_cbranch_vccnz .LBB57_718
; %bb.705:
	v_mov_b32_e32 v1, 0
	v_mov_b32_e32 v2, 1.0
	s_mov_b32 s2, exec_lo
	s_waitcnt vmcnt(0)
	v_cmpx_gt_f32_e32 0.5, v3
	s_cbranch_execz .LBB57_711
; %bb.706:
	v_mul_f32_e32 v1, 0x40490fdb, v3
                                        ; implicit-def: $vgpr5
                                        ; implicit-def: $vgpr4
	s_mov_b32 s1, exec_lo
	v_and_b32_e32 v2, 0x7fffffff, v1
	v_cmpx_ngt_f32_e64 0x48000000, |v1|
	s_xor_b32 s3, exec_lo, s1
	s_cbranch_execz .LBB57_708
; %bb.707:
	s_mov_b32 s0, 0x7fffff
	v_mov_b32_e32 v6, 0
	v_and_or_b32 v7, v2, s0, 0x800000
	v_lshrrev_b32_e32 v13, 23, v2
	v_mad_u64_u32 v[4:5], null, 0xfe5163ab, v7, 0
	v_add_nc_u32_e32 v14, 0xffffff88, v13
	v_cmp_lt_u32_e32 vcc_lo, 63, v14
	v_mad_u64_u32 v[9:10], null, 0x3c439041, v7, v[5:6]
	v_cndmask_b32_e64 v15, 0, 0xffffffc0, vcc_lo
	v_mov_b32_e32 v5, v10
	v_add_nc_u32_e32 v15, v15, v14
	v_mad_u64_u32 v[10:11], null, 0xdb629599, v7, v[5:6]
	v_cmp_lt_u32_e64 s0, 31, v15
	v_cndmask_b32_e64 v16, 0, 0xffffffe0, s0
	v_mov_b32_e32 v5, v11
	v_cndmask_b32_e32 v4, v10, v4, vcc_lo
	v_mad_u64_u32 v[11:12], null, 0xf534ddc0, v7, v[5:6]
	v_mov_b32_e32 v5, v12
	v_cndmask_b32_e32 v9, v11, v9, vcc_lo
	v_mad_u64_u32 v[12:13], null, 0xfc2757d1, v7, v[5:6]
	v_cndmask_b32_e64 v4, v9, v4, s0
	v_mov_b32_e32 v5, v13
	v_mad_u64_u32 v[13:14], null, 0x4e441529, v7, v[5:6]
	v_mov_b32_e32 v5, v14
	v_add_nc_u32_e32 v14, v16, v15
	v_cndmask_b32_e32 v15, v13, v11, vcc_lo
	v_mad_u64_u32 v[5:6], null, 0xa2f9836e, v7, v[5:6]
	v_cmp_lt_u32_e64 s1, 31, v14
	v_cndmask_b32_e64 v7, 0, 0xffffffe0, s1
	v_cndmask_b32_e32 v5, v5, v12, vcc_lo
	v_cndmask_b32_e32 v6, v6, v13, vcc_lo
	;; [unrolled: 1-line block ×3, first 2 shown]
	v_add_nc_u32_e32 v7, v7, v14
	v_cndmask_b32_e64 v11, v5, v15, s0
	v_cndmask_b32_e64 v5, v6, v5, s0
	;; [unrolled: 1-line block ×4, first 2 shown]
	v_sub_nc_u32_e32 v13, 32, v7
	v_cmp_eq_u32_e32 vcc_lo, 0, v7
	v_cndmask_b32_e64 v5, v5, v11, s1
	v_cndmask_b32_e64 v11, v11, v6, s1
	;; [unrolled: 1-line block ×4, first 2 shown]
	v_alignbit_b32 v14, v5, v11, v13
	v_alignbit_b32 v10, v11, v6, v13
	;; [unrolled: 1-line block ×3, first 2 shown]
	v_cndmask_b32_e32 v5, v14, v5, vcc_lo
	v_cndmask_b32_e32 v7, v10, v11, vcc_lo
	;; [unrolled: 1-line block ×3, first 2 shown]
	v_bfe_u32 v9, v5, 29, 1
	v_alignbit_b32 v10, v5, v7, 30
	v_alignbit_b32 v7, v7, v6, 30
	;; [unrolled: 1-line block ×3, first 2 shown]
	v_sub_nc_u32_e32 v11, 0, v9
	v_xor_b32_e32 v10, v10, v11
	v_xor_b32_e32 v6, v7, v11
	;; [unrolled: 1-line block ×3, first 2 shown]
	v_lshrrev_b32_e32 v11, 29, v5
	v_lshrrev_b32_e32 v5, 30, v5
	v_ffbh_u32_e32 v12, v10
	v_add_nc_u32_e32 v5, v9, v5
	v_min_u32_e32 v12, 32, v12
	v_sub_nc_u32_e32 v7, 31, v12
	v_lshlrev_b32_e32 v13, 23, v12
	v_alignbit_b32 v10, v10, v6, v7
	v_alignbit_b32 v4, v6, v4, v7
	v_lshlrev_b32_e32 v6, 31, v11
	v_alignbit_b32 v7, v10, v4, 9
	v_or_b32_e32 v11, 0.5, v6
	v_lshrrev_b32_e32 v10, 9, v10
	v_or_b32_e32 v6, 0x33000000, v6
	v_ffbh_u32_e32 v14, v7
	v_sub_nc_u32_e32 v11, v11, v13
	v_min_u32_e32 v13, 32, v14
	v_or_b32_e32 v10, v10, v11
	v_not_b32_e32 v11, v13
	v_mul_f32_e32 v14, 0x3fc90fda, v10
	v_add_lshl_u32 v12, v13, v12, 23
	v_alignbit_b32 v4, v7, v4, v11
	v_fma_f32 v7, 0x3fc90fda, v10, -v14
	v_sub_nc_u32_e32 v6, v6, v12
	v_lshrrev_b32_e32 v4, 9, v4
	v_fmamk_f32 v7, v10, 0x33a22168, v7
	v_or_b32_e32 v4, v6, v4
	v_fmac_f32_e32 v7, 0x3fc90fda, v4
	v_add_f32_e32 v4, v14, v7
.LBB57_708:
	s_andn2_saveexec_b32 s0, s3
; %bb.709:
	v_mul_f32_e64 v4, 0x3f22f983, |v1|
	v_rndne_f32_e32 v5, v4
	v_fma_f32 v4, 0xbfc90fda, v5, |v1|
	v_fmamk_f32 v4, v5, 0xb3a22168, v4
	v_fmamk_f32 v4, v5, 0xa7c234c4, v4
	v_cvt_i32_f32_e32 v5, v5
; %bb.710:
	s_or_b32 exec_lo, exec_lo, s0
	v_mul_f32_e32 v6, v4, v4
	s_mov_b32 s0, 0xb94c1982
	s_mov_b32 s1, 0x37d75334
	v_and_b32_e32 v10, 1, v5
	v_lshlrev_b32_e32 v5, 30, v5
	v_fmaak_f32 v7, s0, v6, 0x3c0881c4
	v_fmaak_f32 v9, s1, v6, 0xbab64f3b
	v_xor_b32_e32 v2, v2, v1
	v_cmp_eq_u32_e32 vcc_lo, 0, v10
	v_and_b32_e32 v5, 0x80000000, v5
	v_fmaak_f32 v7, v6, v7, 0xbe2aaa9d
	v_fmaak_f32 v9, v6, v9, 0x3d2aabf7
	v_sub_f32_e32 v3, 1.0, v3
	v_mul_f32_e32 v7, v6, v7
	v_fmaak_f32 v9, v6, v9, 0xbf000004
	v_fmac_f32_e32 v4, v4, v7
	v_fma_f32 v6, v6, v9, 1.0
	v_cndmask_b32_e32 v4, v6, v4, vcc_lo
	v_cmp_class_f32_e64 vcc_lo, v1, 0x1f8
	v_xor3_b32 v2, v2, v5, v4
	v_cndmask_b32_e32 v1, 0x7fc00000, v2, vcc_lo
	v_mul_f32_e32 v1, v1, v1
	v_div_scale_f32 v2, null, v1, v1, 0xc11de9e7
	v_div_scale_f32 v6, vcc_lo, 0xc11de9e7, v1, 0xc11de9e7
	v_rcp_f32_e32 v4, v2
	v_fma_f32 v5, -v2, v4, 1.0
	v_fmac_f32_e32 v4, v5, v4
	v_mul_f32_e32 v5, v6, v4
	v_fma_f32 v7, -v2, v5, v6
	v_fmac_f32_e32 v5, v7, v4
	v_fma_f32 v2, -v2, v5, v6
	v_div_fmas_f32 v2, v2, v4, v5
	v_div_fixup_f32 v1, v2, v1, 0xc11de9e7
	v_mov_b32_e32 v2, -1.0
	v_add_f32_e32 v1, 0, v1
.LBB57_711:
	s_or_b32 exec_lo, exec_lo, s2
	v_add_f32_e32 v4, 1.0, v3
	v_mul_f32_e32 v3, v3, v3
	v_mul_f32_e32 v5, v4, v4
	v_add_f32_e32 v4, 1.0, v4
	v_div_scale_f32 v6, null, v3, v3, 1.0
	v_div_scale_f32 v9, vcc_lo, 1.0, v3, 1.0
	v_mul_f32_e32 v10, v4, v4
	v_div_scale_f32 v7, null, v5, v5, 1.0
	v_rcp_f32_e32 v11, v6
	v_div_scale_f32 v14, s0, 1.0, v5, 1.0
	v_div_scale_f32 v13, null, v10, v10, 1.0
	v_rcp_f32_e32 v12, v7
	v_add_f32_e32 v4, 1.0, v4
	v_div_scale_f32 v15, s1, 1.0, v10, 1.0
	v_rcp_f32_e32 v16, v13
	v_fma_f32 v18, -v6, v11, 1.0
	v_mul_f32_e32 v17, v4, v4
	v_add_f32_e32 v4, 1.0, v4
	v_fma_f32 v19, -v7, v12, 1.0
	v_fmac_f32_e32 v11, v18, v11
	v_mul_f32_e32 v21, v4, v4
	v_add_f32_e32 v4, 1.0, v4
	v_fma_f32 v18, -v13, v16, 1.0
	v_fmac_f32_e32 v12, v19, v12
	v_mul_f32_e32 v22, v9, v11
	v_div_scale_f32 v20, null, v17, v17, 1.0
	v_fmac_f32_e32 v16, v18, v16
	v_mul_f32_e32 v23, v14, v12
	v_fma_f32 v24, -v6, v22, v9
	v_add_f32_e32 v27, 1.0, v4
	v_rcp_f32_e32 v19, v20
	v_mul_f32_e32 v26, v15, v16
	v_fma_f32 v25, -v7, v23, v14
	v_fmac_f32_e32 v22, v24, v11
	v_mul_f32_e32 v4, v4, v4
	v_div_scale_f32 v18, null, v21, v21, 1.0
	v_fma_f32 v24, -v13, v26, v15
	v_fmac_f32_e32 v23, v25, v12
	v_fma_f32 v6, -v6, v22, v9
	v_mul_f32_e32 v9, v27, v27
	v_rcp_f32_e32 v25, v18
	v_fmac_f32_e32 v26, v24, v16
	v_fma_f32 v7, -v7, v23, v14
	v_div_fmas_f32 v6, v6, v11, v22
	s_mov_b32 vcc_lo, s0
	v_fma_f32 v28, -v20, v19, 1.0
	v_fma_f32 v11, -v13, v26, v15
	v_div_fmas_f32 v7, v7, v12, v23
	s_mov_b32 vcc_lo, s1
	v_div_scale_f32 v12, null, v4, v4, 1.0
	v_div_fmas_f32 v11, v11, v16, v26
	v_div_scale_f32 v13, null, v9, v9, 1.0
	v_add_f32_e32 v16, v27, v27
	v_rcp_f32_e32 v15, v12
	v_fmac_f32_e32 v19, v28, v19
	v_rcp_f32_e32 v23, v13
	v_div_scale_f32 v14, vcc_lo, 1.0, v17, 1.0
	v_div_scale_f32 v26, null, v16, v16, 1.0
	v_fma_f32 v22, -v18, v25, 1.0
	v_mul_f32_e32 v24, v14, v19
	v_div_fixup_f32 v3, v6, v3, 1.0
	v_rcp_f32_e32 v29, v26
	v_fma_f32 v28, -v12, v15, 1.0
	v_fmac_f32_e32 v25, v22, v25
	v_div_scale_f32 v22, s0, 1.0, v21, 1.0
	v_fma_f32 v31, -v13, v23, 1.0
	v_fma_f32 v30, -v20, v24, v14
	v_fmac_f32_e32 v15, v28, v15
	v_div_scale_f32 v28, s1, 1.0, v4, 1.0
	v_mul_f32_e32 v32, v22, v25
	v_fmac_f32_e32 v23, v31, v23
	v_div_scale_f32 v31, s2, 1.0, v9, 1.0
	v_fma_f32 v33, -v26, v29, 1.0
	v_fmac_f32_e32 v24, v30, v19
	v_mul_f32_e32 v34, v28, v15
	v_fma_f32 v30, -v18, v32, v22
	v_mul_f32_e32 v35, v31, v23
	v_fmac_f32_e32 v29, v33, v29
	v_div_scale_f32 v33, s3, 1.0, v16, 1.0
	v_fma_f32 v14, -v20, v24, v14
	v_fma_f32 v20, -v12, v34, v28
	v_fmac_f32_e32 v32, v30, v25
	v_fma_f32 v30, -v13, v35, v31
	v_mul_f32_e32 v36, v33, v29
	v_div_fmas_f32 v14, v14, v19, v24
	v_fmac_f32_e32 v34, v20, v15
	v_fma_f32 v18, -v18, v32, v22
	v_fmac_f32_e32 v35, v30, v23
	v_fma_f32 v19, -v26, v36, v33
	s_mov_b32 vcc_lo, s0
	v_fma_f32 v12, -v12, v34, v28
	v_div_fmas_f32 v18, v18, v25, v32
	v_fma_f32 v13, -v13, v35, v31
	v_fmac_f32_e32 v36, v19, v29
	s_mov_b32 vcc_lo, s1
	s_mov_b32 s0, 0xbcc30c31
	v_div_fmas_f32 v12, v12, v15, v34
	s_mov_b32 vcc_lo, s2
	v_fma_f32 v15, -v26, v36, v33
	v_div_fmas_f32 v13, v13, v23, v35
	s_mov_b32 vcc_lo, s3
	v_add_f32_e32 v1, v1, v3
	v_div_fixup_f32 v3, v7, v5, 1.0
	v_div_fmas_f32 v15, v15, v29, v36
	v_div_fixup_f32 v9, v13, v9, 1.0
	s_and_b32 s1, s29, 0xff
	v_add_f32_e32 v1, v1, v3
	v_div_fixup_f32 v13, v15, v16, 1.0
	v_fmaak_f32 v15, s0, v9, 0x3d088889
	v_div_fixup_f32 v3, v11, v10, 1.0
	v_add_co_u32 v0, s0, s8, v0
	v_add_f32_e32 v13, 1.0, v13
	v_fma_f32 v15, -v9, v15, 0x3e2aaaab
	v_add_f32_e32 v1, v1, v3
	v_div_fixup_f32 v3, v14, v17, 1.0
	s_cmp_lt_i32 s1, 11
	v_fmac_f32_e32 v13, v9, v15
	v_add_f32_e32 v1, v1, v3
	v_div_fixup_f32 v3, v18, v21, 1.0
	v_div_scale_f32 v9, null, v27, v27, v13
	v_div_scale_f32 v5, vcc_lo, v13, v27, v13
	v_add_f32_e32 v1, v1, v3
	v_rcp_f32_e32 v15, v9
	v_div_fixup_f32 v3, v12, v4, 1.0
	v_add_f32_e32 v1, v1, v3
	v_fma_f32 v6, -v9, v15, 1.0
	v_fmac_f32_e32 v15, v6, v15
	v_mul_f32_e32 v6, v5, v15
	v_fma_f32 v7, -v9, v6, v5
	v_fmac_f32_e32 v6, v7, v15
	v_fma_f32 v5, -v9, v6, v5
	v_div_fmas_f32 v4, v5, v15, v6
	v_div_fixup_f32 v3, v4, v27, v13
	v_add_f32_e32 v3, v1, v3
	v_add_co_ci_u32_e64 v1, null, s9, 0, s0
	v_mul_f32_e32 v2, v2, v3
	s_cbranch_scc1 .LBB57_719
; %bb.712:
	s_and_b32 s2, 0xffff, s1
	s_cmp_gt_i32 s2, 25
	s_cbranch_scc0 .LBB57_720
; %bb.713:
	s_cmp_gt_i32 s2, 28
	s_cbranch_scc0 .LBB57_721
; %bb.714:
	;; [unrolled: 3-line block ×4, first 2 shown]
	s_mov_b32 s44, 0
	s_mov_b32 s0, -1
	s_cmp_eq_u32 s2, 46
	s_mov_b32 s3, 0
	s_cbranch_scc0 .LBB57_724
; %bb.717:
	v_bfe_u32 v3, v2, 16, 1
	v_cmp_o_f32_e32 vcc_lo, v2, v2
	v_mov_b32_e32 v4, 0x7fc0
	s_mov_b32 s3, -1
	s_mov_b32 s0, 0
	v_add3_u32 v3, v2, v3, 0x7fff
	v_cndmask_b32_sdwa v3, v4, v3, vcc_lo dst_sel:DWORD dst_unused:UNUSED_PAD src0_sel:DWORD src1_sel:WORD_1
	global_store_dword v[0:1], v3, off
	s_branch .LBB57_724
.LBB57_718:
	s_mov_b32 s1, 0
	s_mov_b32 s0, s40
	s_branch .LBB57_835
.LBB57_719:
	s_mov_b32 s2, -1
	s_mov_b32 s3, 0
	s_mov_b32 s0, s40
	s_branch .LBB57_793
.LBB57_720:
	s_mov_b32 s44, -1
	s_mov_b32 s3, 0
	s_mov_b32 s0, s40
	s_branch .LBB57_751
.LBB57_721:
	s_mov_b32 s44, -1
	s_mov_b32 s3, 0
	s_mov_b32 s0, s40
	s_branch .LBB57_734
.LBB57_722:
	s_mov_b32 s44, -1
	s_mov_b32 s3, 0
	s_mov_b32 s0, s40
	s_branch .LBB57_730
.LBB57_723:
	s_mov_b32 s44, -1
	s_mov_b32 s3, 0
	s_mov_b32 s0, s40
.LBB57_724:
	s_and_b32 vcc_lo, exec_lo, s44
	s_cbranch_vccz .LBB57_729
; %bb.725:
	s_cmp_eq_u32 s2, 44
	s_mov_b32 s0, -1
	s_cbranch_scc0 .LBB57_729
; %bb.726:
	v_bfe_u32 v4, v2, 23, 8
	v_mov_b32_e32 v3, 0xff
	s_mov_b32 s3, exec_lo
	v_cmpx_ne_u32_e32 0xff, v4
	s_cbranch_execz .LBB57_728
; %bb.727:
	v_and_b32_e32 v3, 0x400000, v2
	v_and_or_b32 v4, 0x3fffff, v2, v4
	v_cmp_ne_u32_e32 vcc_lo, 0, v3
	v_cmp_ne_u32_e64 s0, 0, v4
	v_lshrrev_b32_e32 v3, 23, v2
	s_and_b32 s0, vcc_lo, s0
	v_cndmask_b32_e64 v4, 0, 1, s0
	v_add_nc_u32_e32 v3, v3, v4
.LBB57_728:
	s_or_b32 exec_lo, exec_lo, s3
	s_mov_b32 s3, -1
	s_mov_b32 s0, 0
	global_store_byte v[0:1], v3, off
.LBB57_729:
	s_mov_b32 s44, 0
.LBB57_730:
	s_and_b32 vcc_lo, exec_lo, s44
	s_cbranch_vccz .LBB57_733
; %bb.731:
	s_cmp_eq_u32 s2, 29
	s_mov_b32 s0, -1
	s_cbranch_scc0 .LBB57_733
; %bb.732:
	v_trunc_f32_e32 v3, v2
	s_mov_b32 s3, -1
	s_mov_b32 s0, 0
	s_mov_b32 s44, 0
	v_mul_f32_e32 v4, 0x2f800000, v3
	v_floor_f32_e32 v4, v4
	v_fmamk_f32 v3, v4, 0xcf800000, v3
	v_cvt_u32_f32_e32 v4, v4
	v_cvt_u32_f32_e32 v3, v3
	global_store_dwordx2 v[0:1], v[3:4], off
	s_branch .LBB57_734
.LBB57_733:
	s_mov_b32 s44, 0
.LBB57_734:
	s_and_b32 vcc_lo, exec_lo, s44
	s_cbranch_vccz .LBB57_750
; %bb.735:
	s_cmp_lt_i32 s2, 27
	s_mov_b32 s3, -1
	s_cbranch_scc1 .LBB57_741
; %bb.736:
	v_cvt_u32_f32_e32 v3, v2
	s_cmp_gt_i32 s2, 27
	s_cbranch_scc0 .LBB57_738
; %bb.737:
	s_mov_b32 s3, 0
	global_store_dword v[0:1], v3, off
.LBB57_738:
	s_andn2_b32 vcc_lo, exec_lo, s3
	s_cbranch_vccnz .LBB57_740
; %bb.739:
	global_store_short v[0:1], v3, off
.LBB57_740:
	s_mov_b32 s3, 0
.LBB57_741:
	s_andn2_b32 vcc_lo, exec_lo, s3
	s_cbranch_vccnz .LBB57_749
; %bb.742:
	v_and_b32_e32 v3, 0x7fffffff, v2
	v_mov_b32_e32 v4, 0x80
	s_mov_b32 s3, exec_lo
	v_cmpx_gt_u32_e32 0x43800000, v3
	s_cbranch_execz .LBB57_748
; %bb.743:
	v_cmp_lt_u32_e32 vcc_lo, 0x3bffffff, v3
	s_mov_b32 s44, 0
                                        ; implicit-def: $vgpr3
	s_and_saveexec_b32 s45, vcc_lo
	s_xor_b32 s45, exec_lo, s45
	s_cbranch_execz .LBB57_865
; %bb.744:
	v_bfe_u32 v3, v2, 20, 1
	s_mov_b32 s44, exec_lo
	v_add3_u32 v3, v2, v3, 0x487ffff
	v_lshrrev_b32_e32 v3, 20, v3
	s_andn2_saveexec_b32 s45, s45
	s_cbranch_execnz .LBB57_866
.LBB57_745:
	s_or_b32 exec_lo, exec_lo, s45
	v_mov_b32_e32 v4, 0
	s_and_saveexec_b32 s45, s44
.LBB57_746:
	v_lshrrev_b32_e32 v4, 24, v2
	v_and_or_b32 v4, 0x80, v4, v3
.LBB57_747:
	s_or_b32 exec_lo, exec_lo, s45
.LBB57_748:
	s_or_b32 exec_lo, exec_lo, s3
	global_store_byte v[0:1], v4, off
.LBB57_749:
	s_mov_b32 s3, -1
.LBB57_750:
	s_mov_b32 s44, 0
.LBB57_751:
	s_and_b32 vcc_lo, exec_lo, s44
	s_cbranch_vccz .LBB57_792
; %bb.752:
	s_cmp_gt_i32 s2, 22
	s_mov_b32 s44, -1
	s_cbranch_scc0 .LBB57_784
; %bb.753:
	s_cmp_lt_i32 s2, 24
	s_mov_b32 s3, -1
	s_cbranch_scc1 .LBB57_773
; %bb.754:
	s_cmp_gt_i32 s2, 24
	s_cbranch_scc0 .LBB57_762
; %bb.755:
	v_and_b32_e32 v3, 0x7fffffff, v2
	v_mov_b32_e32 v4, 0x80
	s_mov_b32 s3, exec_lo
	v_cmpx_gt_u32_e32 0x47800000, v3
	s_cbranch_execz .LBB57_761
; %bb.756:
	v_cmp_lt_u32_e32 vcc_lo, 0x37ffffff, v3
	s_mov_b32 s44, 0
                                        ; implicit-def: $vgpr3
	s_and_saveexec_b32 s45, vcc_lo
	s_xor_b32 s45, exec_lo, s45
	s_cbranch_execz .LBB57_868
; %bb.757:
	v_bfe_u32 v3, v2, 21, 1
	s_mov_b32 s44, exec_lo
	v_add3_u32 v3, v2, v3, 0x88fffff
	v_lshrrev_b32_e32 v3, 21, v3
	s_andn2_saveexec_b32 s45, s45
	s_cbranch_execnz .LBB57_869
.LBB57_758:
	s_or_b32 exec_lo, exec_lo, s45
	v_mov_b32_e32 v4, 0
	s_and_saveexec_b32 s45, s44
.LBB57_759:
	v_lshrrev_b32_e32 v4, 24, v2
	v_and_or_b32 v4, 0x80, v4, v3
.LBB57_760:
	s_or_b32 exec_lo, exec_lo, s45
.LBB57_761:
	s_or_b32 exec_lo, exec_lo, s3
	s_mov_b32 s3, 0
	global_store_byte v[0:1], v4, off
.LBB57_762:
	s_and_b32 vcc_lo, exec_lo, s3
	s_cbranch_vccz .LBB57_772
; %bb.763:
	v_and_b32_e32 v4, 0x7fffffff, v2
	s_mov_b32 s3, exec_lo
                                        ; implicit-def: $vgpr3
	v_cmpx_gt_u32_e32 0x43f00000, v4
	s_xor_b32 s3, exec_lo, s3
	s_cbranch_execz .LBB57_769
; %bb.764:
	s_mov_b32 s44, exec_lo
                                        ; implicit-def: $vgpr3
	v_cmpx_lt_u32_e32 0x3c7fffff, v4
	s_xor_b32 s44, exec_lo, s44
; %bb.765:
	v_bfe_u32 v3, v2, 20, 1
	v_add3_u32 v3, v2, v3, 0x407ffff
	v_and_b32_e32 v4, 0xff00000, v3
	v_lshrrev_b32_e32 v3, 20, v3
	v_cmp_ne_u32_e32 vcc_lo, 0x7f00000, v4
	v_cndmask_b32_e32 v3, 0x7e, v3, vcc_lo
; %bb.766:
	s_andn2_saveexec_b32 s44, s44
; %bb.767:
	v_add_f32_e64 v3, 0x46800000, |v2|
; %bb.768:
	s_or_b32 exec_lo, exec_lo, s44
                                        ; implicit-def: $vgpr4
.LBB57_769:
	s_andn2_saveexec_b32 s3, s3
; %bb.770:
	v_mov_b32_e32 v3, 0x7f
	v_cmp_lt_u32_e32 vcc_lo, 0x7f800000, v4
	v_cndmask_b32_e32 v3, 0x7e, v3, vcc_lo
; %bb.771:
	s_or_b32 exec_lo, exec_lo, s3
	v_lshrrev_b32_e32 v4, 24, v2
	v_and_or_b32 v3, 0x80, v4, v3
	global_store_byte v[0:1], v3, off
.LBB57_772:
	s_mov_b32 s3, 0
.LBB57_773:
	s_andn2_b32 vcc_lo, exec_lo, s3
	s_cbranch_vccnz .LBB57_783
; %bb.774:
	v_and_b32_e32 v4, 0x7fffffff, v2
	s_mov_b32 s3, exec_lo
                                        ; implicit-def: $vgpr3
	v_cmpx_gt_u32_e32 0x47800000, v4
	s_xor_b32 s3, exec_lo, s3
	s_cbranch_execz .LBB57_780
; %bb.775:
	s_mov_b32 s44, exec_lo
                                        ; implicit-def: $vgpr3
	v_cmpx_lt_u32_e32 0x387fffff, v4
	s_xor_b32 s44, exec_lo, s44
; %bb.776:
	v_bfe_u32 v3, v2, 21, 1
	v_add3_u32 v3, v2, v3, 0x80fffff
	v_lshrrev_b32_e32 v3, 21, v3
; %bb.777:
	s_andn2_saveexec_b32 s44, s44
; %bb.778:
	v_add_f32_e64 v3, 0x43000000, |v2|
; %bb.779:
	s_or_b32 exec_lo, exec_lo, s44
                                        ; implicit-def: $vgpr4
.LBB57_780:
	s_andn2_saveexec_b32 s3, s3
; %bb.781:
	v_mov_b32_e32 v3, 0x7f
	v_cmp_lt_u32_e32 vcc_lo, 0x7f800000, v4
	v_cndmask_b32_e32 v3, 0x7c, v3, vcc_lo
; %bb.782:
	s_or_b32 exec_lo, exec_lo, s3
	v_lshrrev_b32_e32 v4, 24, v2
	v_and_or_b32 v3, 0x80, v4, v3
	global_store_byte v[0:1], v3, off
.LBB57_783:
	s_mov_b32 s44, 0
	s_mov_b32 s3, -1
.LBB57_784:
	s_andn2_b32 vcc_lo, exec_lo, s44
	s_cbranch_vccnz .LBB57_792
; %bb.785:
	s_cmp_gt_i32 s2, 14
	s_mov_b32 s44, -1
	s_cbranch_scc0 .LBB57_789
; %bb.786:
	s_cmp_eq_u32 s2, 15
	s_mov_b32 s0, -1
	s_cbranch_scc0 .LBB57_788
; %bb.787:
	v_bfe_u32 v3, v2, 16, 1
	v_cmp_o_f32_e32 vcc_lo, v2, v2
	v_mov_b32_e32 v4, 0x7fc0
	s_mov_b32 s3, -1
	s_mov_b32 s0, 0
	v_add3_u32 v3, v2, v3, 0x7fff
	v_cndmask_b32_sdwa v3, v4, v3, vcc_lo dst_sel:DWORD dst_unused:UNUSED_PAD src0_sel:DWORD src1_sel:WORD_1
	global_store_short v[0:1], v3, off
.LBB57_788:
	s_mov_b32 s44, 0
.LBB57_789:
	s_and_b32 vcc_lo, exec_lo, s44
	s_cbranch_vccz .LBB57_792
; %bb.790:
	s_cmp_eq_u32 s2, 11
	s_mov_b32 s0, -1
	s_cbranch_scc0 .LBB57_792
; %bb.791:
	v_cmp_neq_f32_e32 vcc_lo, 0, v2
	s_mov_b32 s0, 0
	s_mov_b32 s3, -1
	v_cndmask_b32_e64 v3, 0, 1, vcc_lo
	global_store_byte v[0:1], v3, off
.LBB57_792:
	s_mov_b32 s2, 0
.LBB57_793:
	s_and_b32 vcc_lo, exec_lo, s2
	s_cbranch_vccz .LBB57_832
; %bb.794:
	s_and_b32 s1, 0xffff, s1
	s_mov_b32 s2, -1
	s_cmp_lt_i32 s1, 5
	s_cbranch_scc1 .LBB57_815
; %bb.795:
	s_cmp_lt_i32 s1, 8
	s_cbranch_scc1 .LBB57_805
; %bb.796:
	;; [unrolled: 3-line block ×3, first 2 shown]
	s_cmp_gt_i32 s1, 9
	s_cbranch_scc0 .LBB57_799
; %bb.798:
	v_cvt_f64_f32_e32 v[3:4], v2
	v_mov_b32_e32 v5, 0
	s_mov_b32 s2, 0
	v_mov_b32_e32 v6, v5
	global_store_dwordx4 v[0:1], v[3:6], off
.LBB57_799:
	s_andn2_b32 vcc_lo, exec_lo, s2
	s_cbranch_vccnz .LBB57_801
; %bb.800:
	v_mov_b32_e32 v3, 0
	global_store_dwordx2 v[0:1], v[2:3], off
.LBB57_801:
	s_mov_b32 s2, 0
.LBB57_802:
	s_andn2_b32 vcc_lo, exec_lo, s2
	s_cbranch_vccnz .LBB57_804
; %bb.803:
	v_cvt_f16_f32_e32 v3, v2
	v_and_b32_e32 v3, 0xffff, v3
	global_store_dword v[0:1], v3, off
.LBB57_804:
	s_mov_b32 s2, 0
.LBB57_805:
	s_andn2_b32 vcc_lo, exec_lo, s2
	s_cbranch_vccnz .LBB57_814
; %bb.806:
	s_cmp_lt_i32 s1, 6
	s_mov_b32 s2, -1
	s_cbranch_scc1 .LBB57_812
; %bb.807:
	s_cmp_gt_i32 s1, 6
	s_cbranch_scc0 .LBB57_809
; %bb.808:
	v_cvt_f64_f32_e32 v[3:4], v2
	s_mov_b32 s2, 0
	global_store_dwordx2 v[0:1], v[3:4], off
.LBB57_809:
	s_andn2_b32 vcc_lo, exec_lo, s2
	s_cbranch_vccnz .LBB57_811
; %bb.810:
	global_store_dword v[0:1], v2, off
.LBB57_811:
	s_mov_b32 s2, 0
.LBB57_812:
	s_andn2_b32 vcc_lo, exec_lo, s2
	s_cbranch_vccnz .LBB57_814
; %bb.813:
	v_cvt_f16_f32_e32 v3, v2
	global_store_short v[0:1], v3, off
.LBB57_814:
	s_mov_b32 s2, 0
.LBB57_815:
	s_andn2_b32 vcc_lo, exec_lo, s2
	s_cbranch_vccnz .LBB57_831
; %bb.816:
	s_cmp_lt_i32 s1, 2
	s_mov_b32 s2, -1
	s_cbranch_scc1 .LBB57_826
; %bb.817:
	s_cmp_lt_i32 s1, 3
	s_cbranch_scc1 .LBB57_823
; %bb.818:
	s_cmp_gt_i32 s1, 3
	s_cbranch_scc0 .LBB57_820
; %bb.819:
	v_trunc_f32_e32 v3, v2
	s_mov_b32 s2, 0
	v_mul_f32_e64 v4, 0x2f800000, |v3|
	v_ashrrev_i32_e32 v6, 31, v3
	v_floor_f32_e32 v4, v4
	v_fma_f32 v5, 0xcf800000, v4, |v3|
	v_cvt_u32_f32_e32 v4, v4
	v_cvt_u32_f32_e32 v3, v5
	v_xor_b32_e32 v4, v4, v6
	v_xor_b32_e32 v3, v3, v6
	v_sub_co_u32 v3, vcc_lo, v3, v6
	v_sub_co_ci_u32_e64 v4, null, v4, v6, vcc_lo
	global_store_dwordx2 v[0:1], v[3:4], off
.LBB57_820:
	s_andn2_b32 vcc_lo, exec_lo, s2
	s_cbranch_vccnz .LBB57_822
; %bb.821:
	v_cvt_i32_f32_e32 v3, v2
	global_store_dword v[0:1], v3, off
.LBB57_822:
	s_mov_b32 s2, 0
.LBB57_823:
	s_andn2_b32 vcc_lo, exec_lo, s2
	s_cbranch_vccnz .LBB57_825
; %bb.824:
	v_cvt_i32_f32_e32 v3, v2
	global_store_short v[0:1], v3, off
.LBB57_825:
	s_mov_b32 s2, 0
.LBB57_826:
	s_andn2_b32 vcc_lo, exec_lo, s2
	s_cbranch_vccnz .LBB57_831
; %bb.827:
	s_cmp_gt_i32 s1, 0
	s_mov_b32 s1, -1
	s_cbranch_scc0 .LBB57_829
; %bb.828:
	v_cvt_i32_f32_e32 v3, v2
	s_mov_b32 s1, 0
	global_store_byte v[0:1], v3, off
.LBB57_829:
	s_andn2_b32 vcc_lo, exec_lo, s1
	s_cbranch_vccnz .LBB57_831
; %bb.830:
	v_trunc_f32_e32 v2, v2
	v_mul_f32_e64 v3, 0x2f800000, |v2|
	v_floor_f32_e32 v3, v3
	v_fma_f32 v3, 0xcf800000, v3, |v2|
	v_ashrrev_i32_e32 v2, 31, v2
	v_cvt_u32_f32_e32 v3, v3
	v_xor_b32_e32 v3, v3, v2
	v_sub_nc_u32_e32 v2, v3, v2
	global_store_byte v[0:1], v2, off
.LBB57_831:
	s_mov_b32 s3, -1
.LBB57_832:
	s_andn2_b32 vcc_lo, exec_lo, s3
	s_cbranch_vccnz .LBB57_834
; %bb.833:
	v_add_nc_u32_e32 v8, 0x80, v8
	s_mov_b32 s1, -1
	s_branch .LBB57_836
.LBB57_834:
	s_mov_b32 s1, 0
.LBB57_835:
                                        ; implicit-def: $vgpr8
.LBB57_836:
	s_andn2_b32 s2, s40, exec_lo
	s_and_b32 s0, s0, exec_lo
	s_andn2_b32 s3, s39, exec_lo
	s_and_b32 s43, s43, exec_lo
	s_or_b32 s44, s2, s0
	s_or_b32 s43, s3, s43
	s_orn2_b32 s3, s1, exec_lo
.LBB57_837:
	s_or_b32 exec_lo, exec_lo, s42
	s_mov_b32 s0, 0
	s_mov_b32 s1, 0
	;; [unrolled: 1-line block ×3, first 2 shown]
                                        ; implicit-def: $vgpr1_vgpr2
                                        ; implicit-def: $vgpr0
                                        ; implicit-def: $vgpr4
	s_and_saveexec_b32 s42, s3
	s_cbranch_execz .LBB57_937
; %bb.838:
	v_cmp_gt_i32_e32 vcc_lo, s33, v8
	s_mov_b32 s45, s43
	s_mov_b32 s3, 0
	;; [unrolled: 1-line block ×3, first 2 shown]
                                        ; implicit-def: $vgpr1_vgpr2
                                        ; implicit-def: $vgpr0
                                        ; implicit-def: $vgpr4
	s_and_saveexec_b32 s33, vcc_lo
	s_cbranch_execz .LBB57_936
; %bb.839:
	s_andn2_b32 vcc_lo, exec_lo, s27
	s_cbranch_vccnz .LBB57_844
; %bb.840:
	s_andn2_b32 vcc_lo, exec_lo, s34
	s_cbranch_vccnz .LBB57_845
; %bb.841:
	s_add_i32 s35, s35, 1
	s_cmp_eq_u32 s25, 2
	s_cbranch_scc1 .LBB57_846
; %bb.842:
	v_mov_b32_e32 v2, 0
	v_mov_b32_e32 v0, 0
	;; [unrolled: 1-line block ×3, first 2 shown]
	s_and_b32 s2, s35, 28
	s_mov_b64 s[0:1], s[6:7]
.LBB57_843:                             ; =>This Inner Loop Header: Depth=1
	s_clause 0x1
	s_load_dwordx8 s[48:55], s[0:1], 0x4
	s_load_dwordx4 s[64:67], s[0:1], 0x24
	s_load_dwordx8 s[56:63], s[22:23], 0x0
	s_add_u32 s0, s0, 48
	s_addc_u32 s1, s1, 0
	s_add_i32 s3, s3, 4
	s_add_u32 s22, s22, 32
	s_addc_u32 s23, s23, 0
	s_cmp_eq_u32 s2, s3
	s_waitcnt vmcnt(0) lgkmcnt(0)
	v_mul_hi_u32 v3, s49, v1
	v_add_nc_u32_e32 v3, v1, v3
	v_lshrrev_b32_e32 v3, s50, v3
	v_mul_hi_u32 v4, s52, v3
	v_mul_lo_u32 v6, v3, s48
	v_add_nc_u32_e32 v4, v3, v4
	v_sub_nc_u32_e32 v1, v1, v6
	v_lshrrev_b32_e32 v4, s53, v4
	v_mul_lo_u32 v6, v1, s56
	v_mul_lo_u32 v9, v1, s57
	v_mul_hi_u32 v5, s55, v4
	v_add_nc_u32_e32 v5, v4, v5
	v_lshrrev_b32_e32 v5, s64, v5
	v_mul_hi_u32 v7, s66, v5
	v_mul_lo_u32 v10, v5, s54
	v_add_nc_u32_e32 v1, v5, v7
	v_mul_lo_u32 v7, v4, s51
	v_sub_nc_u32_e32 v4, v4, v10
	v_lshrrev_b32_e32 v1, s67, v1
	v_mul_lo_u32 v10, v4, s60
	v_mul_lo_u32 v4, v4, s61
	v_sub_nc_u32_e32 v3, v3, v7
	v_mul_lo_u32 v11, v1, s65
	v_mul_lo_u32 v7, v3, s58
	;; [unrolled: 1-line block ×3, first 2 shown]
	v_sub_nc_u32_e32 v5, v5, v11
	v_add3_u32 v0, v6, v0, v7
	v_mul_lo_u32 v11, v5, s62
	v_mul_lo_u32 v5, v5, s63
	v_add3_u32 v2, v9, v2, v3
	v_add3_u32 v0, v10, v0, v11
	;; [unrolled: 1-line block ×3, first 2 shown]
	s_cbranch_scc0 .LBB57_843
	s_branch .LBB57_847
.LBB57_844:
	s_mov_b32 s0, -1
                                        ; implicit-def: $vgpr0
                                        ; implicit-def: $vgpr2
	s_branch .LBB57_851
.LBB57_845:
	v_mov_b32_e32 v0, 0
	v_mov_b32_e32 v2, 0
	s_branch .LBB57_850
.LBB57_846:
	v_mov_b32_e32 v0, 0
	v_mov_b32_e32 v2, 0
	;; [unrolled: 1-line block ×3, first 2 shown]
.LBB57_847:
	s_and_b32 s22, s35, 3
	s_cmp_eq_u32 s22, 0
	s_cbranch_scc1 .LBB57_850
; %bb.848:
	s_lshl_b32 s0, s2, 3
	s_mul_i32 s2, s2, 12
	s_add_u32 s0, s6, s0
	s_addc_u32 s1, s7, 0
	s_add_u32 s0, s0, 0xc4
	s_addc_u32 s1, s1, 0
	;; [unrolled: 2-line block ×3, first 2 shown]
.LBB57_849:                             ; =>This Inner Loop Header: Depth=1
	s_clause 0x1
	s_load_dwordx2 s[34:35], s[2:3], 0x4
	s_load_dword s23, s[2:3], 0xc
	s_load_dwordx2 s[46:47], s[0:1], 0x0
	s_add_u32 s2, s2, 12
	s_addc_u32 s3, s3, 0
	s_add_u32 s0, s0, 8
	s_addc_u32 s1, s1, 0
	s_add_i32 s22, s22, -1
	s_cmp_lg_u32 s22, 0
	s_waitcnt vmcnt(0) lgkmcnt(0)
	v_mul_hi_u32 v3, s35, v1
	v_add_nc_u32_e32 v3, v1, v3
	v_lshrrev_b32_e32 v4, s23, v3
	v_mul_lo_u32 v3, v4, s34
	v_sub_nc_u32_e32 v3, v1, v3
	v_mad_u64_u32 v[0:1], null, v3, s46, v[0:1]
	v_mad_u64_u32 v[2:3], null, v3, s47, v[2:3]
	v_mov_b32_e32 v1, v4
	s_cbranch_scc1 .LBB57_849
.LBB57_850:
	s_mov_b32 s0, 0
.LBB57_851:
	s_andn2_b32 vcc_lo, exec_lo, s0
	s_cbranch_vccnz .LBB57_854
; %bb.852:
	s_waitcnt lgkmcnt(0)
	v_mul_hi_u32 v0, s17, v8
	s_andn2_b32 vcc_lo, exec_lo, s31
	v_add_nc_u32_e32 v0, v8, v0
	v_lshrrev_b32_e32 v1, s18, v0
	v_mul_lo_u32 v0, v1, s16
	v_sub_nc_u32_e32 v2, v8, v0
	v_mul_lo_u32 v0, v2, s12
	v_mul_lo_u32 v2, v2, s13
	s_cbranch_vccnz .LBB57_854
; %bb.853:
	s_waitcnt vmcnt(0)
	v_mul_hi_u32 v3, s20, v1
	v_add_nc_u32_e32 v3, v1, v3
	v_lshrrev_b32_e32 v3, s21, v3
	v_mul_lo_u32 v3, v3, s19
	v_sub_nc_u32_e32 v3, v1, v3
	v_mad_u64_u32 v[0:1], null, v3, s14, v[0:1]
	v_mad_u64_u32 v[2:3], null, v3, s15, v[2:3]
.LBB57_854:
	s_waitcnt lgkmcnt(0)
	v_add_co_u32 v1, s0, s10, v2
	v_add_co_ci_u32_e64 v2, null, s11, 0, s0
	s_and_b32 s0, 0xffff, s30
	s_cmp_lt_i32 s0, 11
	s_cbranch_scc1 .LBB57_861
; %bb.855:
	s_cmp_gt_i32 s0, 25
	s_mov_b32 s2, 0
	s_cbranch_scc0 .LBB57_862
; %bb.856:
	s_cmp_gt_i32 s0, 28
	s_cbranch_scc0 .LBB57_863
; %bb.857:
	s_cmp_gt_i32 s0, 43
	;; [unrolled: 3-line block ×3, first 2 shown]
	s_cbranch_scc0 .LBB57_867
; %bb.859:
	s_cmp_eq_u32 s0, 46
	s_mov_b32 s10, 0
	s_cbranch_scc0 .LBB57_870
; %bb.860:
	global_load_dword v3, v[1:2], off
	s_mov_b32 s1, 0
	s_mov_b32 s3, -1
	s_waitcnt vmcnt(0)
	v_lshlrev_b32_e32 v4, 16, v3
	s_branch .LBB57_872
.LBB57_861:
	s_mov_b32 s0, -1
	s_mov_b32 s3, 0
	s_mov_b32 s2, 0
	;; [unrolled: 1-line block ×3, first 2 shown]
                                        ; implicit-def: $vgpr4
	s_branch .LBB57_935
.LBB57_862:
	s_mov_b32 s10, -1
	s_mov_b32 s3, 0
	s_mov_b32 s1, s43
                                        ; implicit-def: $vgpr4
	s_branch .LBB57_901
.LBB57_863:
	s_mov_b32 s10, -1
	s_mov_b32 s3, 0
	s_mov_b32 s1, s43
                                        ; implicit-def: $vgpr4
	s_branch .LBB57_882
.LBB57_864:
	s_mov_b32 s10, -1
	s_mov_b32 s3, 0
	s_mov_b32 s1, s43
                                        ; implicit-def: $vgpr4
	s_branch .LBB57_877
.LBB57_865:
	s_andn2_saveexec_b32 s45, s45
	s_cbranch_execz .LBB57_745
.LBB57_866:
	v_add_f32_e64 v3, 0x46000000, |v2|
	s_andn2_b32 s44, s44, exec_lo
	v_and_b32_e32 v3, 0xff, v3
	v_cmp_ne_u32_e32 vcc_lo, 0, v3
	s_and_b32 s46, vcc_lo, exec_lo
	s_or_b32 s44, s44, s46
	s_or_b32 exec_lo, exec_lo, s45
	v_mov_b32_e32 v4, 0
	s_and_saveexec_b32 s45, s44
	s_cbranch_execnz .LBB57_746
	s_branch .LBB57_747
.LBB57_867:
	s_mov_b32 s10, -1
	s_mov_b32 s3, 0
	s_mov_b32 s1, s43
	s_branch .LBB57_871
.LBB57_868:
	s_andn2_saveexec_b32 s45, s45
	s_cbranch_execz .LBB57_758
.LBB57_869:
	v_add_f32_e64 v3, 0x42800000, |v2|
	s_andn2_b32 s44, s44, exec_lo
	v_and_b32_e32 v3, 0xff, v3
	v_cmp_ne_u32_e32 vcc_lo, 0, v3
	s_and_b32 s46, vcc_lo, exec_lo
	s_or_b32 s44, s44, s46
	s_or_b32 exec_lo, exec_lo, s45
	v_mov_b32_e32 v4, 0
	s_and_saveexec_b32 s45, s44
	s_cbranch_execnz .LBB57_759
	s_branch .LBB57_760
.LBB57_870:
	s_mov_b32 s1, -1
	s_mov_b32 s3, 0
.LBB57_871:
                                        ; implicit-def: $vgpr4
.LBB57_872:
	s_and_b32 vcc_lo, exec_lo, s10
	s_cbranch_vccz .LBB57_876
; %bb.873:
	s_cmp_eq_u32 s0, 44
	s_cbranch_scc0 .LBB57_875
; %bb.874:
	global_load_ubyte v3, v[1:2], off
	s_mov_b32 s1, 0
	s_mov_b32 s3, -1
	s_waitcnt vmcnt(0)
	v_lshlrev_b32_e32 v4, 23, v3
	v_cmp_ne_u32_e32 vcc_lo, 0xff, v3
	v_cndmask_b32_e32 v4, 0x7f800001, v4, vcc_lo
	v_cmp_ne_u32_e32 vcc_lo, 0, v3
	v_cndmask_b32_e32 v4, 0x400000, v4, vcc_lo
	s_branch .LBB57_876
.LBB57_875:
	s_mov_b32 s1, -1
                                        ; implicit-def: $vgpr4
.LBB57_876:
	s_mov_b32 s10, 0
.LBB57_877:
	s_and_b32 vcc_lo, exec_lo, s10
	s_cbranch_vccz .LBB57_881
; %bb.878:
	s_cmp_eq_u32 s0, 29
	s_cbranch_scc0 .LBB57_880
; %bb.879:
	global_load_dwordx2 v[3:4], v[1:2], off
	s_mov_b32 s1, 0
	s_mov_b32 s3, -1
	s_mov_b32 s10, 0
	s_waitcnt vmcnt(0)
	v_ffbh_u32_e32 v5, v4
	v_min_u32_e32 v5, 32, v5
	v_lshlrev_b64 v[3:4], v5, v[3:4]
	v_min_u32_e32 v3, 1, v3
	v_or_b32_e32 v3, v4, v3
	v_sub_nc_u32_e32 v4, 32, v5
	v_cvt_f32_u32_e32 v3, v3
	v_ldexp_f32 v4, v3, v4
	s_branch .LBB57_882
.LBB57_880:
	s_mov_b32 s1, -1
                                        ; implicit-def: $vgpr4
.LBB57_881:
	s_mov_b32 s10, 0
.LBB57_882:
	s_and_b32 vcc_lo, exec_lo, s10
	s_cbranch_vccz .LBB57_900
; %bb.883:
	s_cmp_lt_i32 s0, 27
	s_cbranch_scc1 .LBB57_886
; %bb.884:
	s_cmp_gt_i32 s0, 27
	s_cbranch_scc0 .LBB57_887
; %bb.885:
	global_load_dword v3, v[1:2], off
	s_mov_b32 s3, 0
	s_waitcnt vmcnt(0)
	v_cvt_f32_u32_e32 v4, v3
	s_branch .LBB57_888
.LBB57_886:
	s_mov_b32 s3, -1
                                        ; implicit-def: $vgpr4
	s_branch .LBB57_891
.LBB57_887:
	s_mov_b32 s3, -1
                                        ; implicit-def: $vgpr4
.LBB57_888:
	s_andn2_b32 vcc_lo, exec_lo, s3
	s_cbranch_vccnz .LBB57_890
; %bb.889:
	global_load_ushort v3, v[1:2], off
	s_waitcnt vmcnt(0)
	v_cvt_f32_u32_e32 v4, v3
.LBB57_890:
	s_mov_b32 s3, 0
.LBB57_891:
	s_andn2_b32 vcc_lo, exec_lo, s3
	s_cbranch_vccnz .LBB57_899
; %bb.892:
	global_load_ubyte v3, v[1:2], off
	s_mov_b32 s3, 0
	s_mov_b32 s10, exec_lo
	s_waitcnt vmcnt(0)
	v_cmpx_lt_i16_e32 0x7f, v3
	s_xor_b32 s10, exec_lo, s10
	s_cbranch_execz .LBB57_913
; %bb.893:
	s_mov_b32 s3, -1
	s_mov_b32 s11, exec_lo
	v_cmpx_eq_u16_e32 0x80, v3
; %bb.894:
	s_xor_b32 s3, exec_lo, -1
; %bb.895:
	s_or_b32 exec_lo, exec_lo, s11
	s_and_b32 s3, s3, exec_lo
	s_or_saveexec_b32 s10, s10
	v_mov_b32_e32 v4, 0x7f800001
	s_xor_b32 exec_lo, exec_lo, s10
	s_cbranch_execnz .LBB57_914
.LBB57_896:
	s_or_b32 exec_lo, exec_lo, s10
	s_and_saveexec_b32 s10, s3
	s_cbranch_execz .LBB57_898
.LBB57_897:
	v_and_b32_e32 v4, 0xffff, v3
	v_lshlrev_b32_e32 v3, 24, v3
	v_and_b32_e32 v5, 7, v4
	v_bfe_u32 v8, v4, 3, 4
	v_and_b32_e32 v3, 0x80000000, v3
	v_ffbh_u32_e32 v6, v5
	v_cmp_eq_u32_e32 vcc_lo, 0, v8
	v_min_u32_e32 v6, 32, v6
	v_subrev_nc_u32_e32 v7, 28, v6
	v_sub_nc_u32_e32 v6, 29, v6
	v_lshlrev_b32_e32 v4, v7, v4
	v_cndmask_b32_e32 v6, v8, v6, vcc_lo
	v_and_b32_e32 v4, 7, v4
	v_cndmask_b32_e32 v4, v5, v4, vcc_lo
	v_lshl_add_u32 v5, v6, 23, 0x3b800000
	v_lshlrev_b32_e32 v4, 20, v4
	v_or3_b32 v4, v3, v5, v4
.LBB57_898:
	s_or_b32 exec_lo, exec_lo, s10
.LBB57_899:
	s_mov_b32 s3, -1
.LBB57_900:
	s_mov_b32 s10, 0
.LBB57_901:
	s_and_b32 vcc_lo, exec_lo, s10
	s_cbranch_vccz .LBB57_934
; %bb.902:
	s_cmp_gt_i32 s0, 22
	s_cbranch_scc0 .LBB57_912
; %bb.903:
	s_cmp_lt_i32 s0, 24
	s_cbranch_scc1 .LBB57_915
; %bb.904:
	s_cmp_gt_i32 s0, 24
	s_cbranch_scc0 .LBB57_916
; %bb.905:
	global_load_ubyte v3, v[1:2], off
	s_mov_b32 s3, exec_lo
	s_waitcnt vmcnt(0)
	v_cmpx_lt_i16_e32 0x7f, v3
	s_xor_b32 s3, exec_lo, s3
	s_cbranch_execz .LBB57_928
; %bb.906:
	s_mov_b32 s2, -1
	s_mov_b32 s10, exec_lo
	v_cmpx_eq_u16_e32 0x80, v3
; %bb.907:
	s_xor_b32 s2, exec_lo, -1
; %bb.908:
	s_or_b32 exec_lo, exec_lo, s10
	s_and_b32 s2, s2, exec_lo
	s_or_saveexec_b32 s3, s3
	v_mov_b32_e32 v4, 0x7f800001
	s_xor_b32 exec_lo, exec_lo, s3
	s_cbranch_execnz .LBB57_929
.LBB57_909:
	s_or_b32 exec_lo, exec_lo, s3
	s_and_saveexec_b32 s3, s2
	s_cbranch_execz .LBB57_911
.LBB57_910:
	v_and_b32_e32 v4, 0xffff, v3
	v_lshlrev_b32_e32 v3, 24, v3
	v_and_b32_e32 v5, 3, v4
	v_bfe_u32 v8, v4, 2, 5
	v_and_b32_e32 v3, 0x80000000, v3
	v_ffbh_u32_e32 v6, v5
	v_cmp_eq_u32_e32 vcc_lo, 0, v8
	v_min_u32_e32 v6, 32, v6
	v_subrev_nc_u32_e32 v7, 29, v6
	v_sub_nc_u32_e32 v6, 30, v6
	v_lshlrev_b32_e32 v4, v7, v4
	v_cndmask_b32_e32 v6, v8, v6, vcc_lo
	v_and_b32_e32 v4, 3, v4
	v_cndmask_b32_e32 v4, v5, v4, vcc_lo
	v_lshl_add_u32 v5, v6, 23, 0x37800000
	v_lshlrev_b32_e32 v4, 21, v4
	v_or3_b32 v4, v3, v5, v4
.LBB57_911:
	s_or_b32 exec_lo, exec_lo, s3
	s_mov_b32 s2, 0
	s_branch .LBB57_917
.LBB57_912:
	s_mov_b32 s2, -1
                                        ; implicit-def: $vgpr4
	s_branch .LBB57_923
.LBB57_913:
	s_or_saveexec_b32 s10, s10
	v_mov_b32_e32 v4, 0x7f800001
	s_xor_b32 exec_lo, exec_lo, s10
	s_cbranch_execz .LBB57_896
.LBB57_914:
	v_cmp_ne_u16_e32 vcc_lo, 0, v3
	v_mov_b32_e32 v4, 0
	s_andn2_b32 s3, s3, exec_lo
	s_and_b32 s11, vcc_lo, exec_lo
	s_or_b32 s3, s3, s11
	s_or_b32 exec_lo, exec_lo, s10
	s_and_saveexec_b32 s10, s3
	s_cbranch_execnz .LBB57_897
	s_branch .LBB57_898
.LBB57_915:
	s_mov_b32 s2, -1
                                        ; implicit-def: $vgpr4
	s_branch .LBB57_920
.LBB57_916:
	s_mov_b32 s2, -1
                                        ; implicit-def: $vgpr4
.LBB57_917:
	s_and_b32 vcc_lo, exec_lo, s2
	s_cbranch_vccz .LBB57_919
; %bb.918:
	global_load_ubyte v3, v[1:2], off
	s_waitcnt vmcnt(0)
	v_lshlrev_b32_e32 v3, 24, v3
	v_and_b32_e32 v4, 0x7f000000, v3
	v_ffbh_u32_e32 v5, v4
	v_add_nc_u32_e32 v7, 0x1000000, v4
	v_cmp_ne_u32_e32 vcc_lo, 0, v4
	v_min_u32_e32 v5, 32, v5
	v_sub_nc_u32_e64 v5, v5, 4 clamp
	v_lshlrev_b32_e32 v6, v5, v4
	v_lshlrev_b32_e32 v5, 23, v5
	v_lshrrev_b32_e32 v6, 4, v6
	v_sub_nc_u32_e32 v5, v6, v5
	v_ashrrev_i32_e32 v6, 8, v7
	v_add_nc_u32_e32 v5, 0x3c000000, v5
	v_and_or_b32 v5, 0x7f800000, v6, v5
	v_cndmask_b32_e32 v4, 0, v5, vcc_lo
	v_and_or_b32 v4, 0x80000000, v3, v4
.LBB57_919:
	s_mov_b32 s2, 0
.LBB57_920:
	s_andn2_b32 vcc_lo, exec_lo, s2
	s_cbranch_vccnz .LBB57_922
; %bb.921:
	global_load_ubyte v3, v[1:2], off
	s_waitcnt vmcnt(0)
	v_lshlrev_b32_e32 v4, 25, v3
	v_lshlrev_b16 v3, 8, v3
	v_lshrrev_b32_e32 v5, 4, v4
	v_and_or_b32 v6, 0x7f00, v3, 0.5
	v_cmp_gt_u32_e32 vcc_lo, 0x8000000, v4
	v_bfe_i32 v3, v3, 0, 16
	v_or_b32_e32 v5, 0x70000000, v5
	v_add_f32_e32 v6, -0.5, v6
	v_mul_f32_e32 v5, 0x7800000, v5
	v_cndmask_b32_e32 v4, v5, v6, vcc_lo
	v_and_or_b32 v4, 0x80000000, v3, v4
.LBB57_922:
	s_mov_b32 s2, 0
	s_mov_b32 s3, -1
.LBB57_923:
	s_andn2_b32 vcc_lo, exec_lo, s2
	s_mov_b32 s2, 0
	s_cbranch_vccnz .LBB57_934
; %bb.924:
	s_cmp_gt_i32 s0, 14
	s_cbranch_scc0 .LBB57_927
; %bb.925:
	s_cmp_eq_u32 s0, 15
	s_cbranch_scc0 .LBB57_930
; %bb.926:
	global_load_ushort v3, v[1:2], off
	s_mov_b32 s1, 0
	s_mov_b32 s3, -1
	s_waitcnt vmcnt(0)
	v_lshlrev_b32_e32 v4, 16, v3
	s_branch .LBB57_932
.LBB57_927:
	s_mov_b32 s2, -1
	s_branch .LBB57_931
.LBB57_928:
	s_or_saveexec_b32 s3, s3
	v_mov_b32_e32 v4, 0x7f800001
	s_xor_b32 exec_lo, exec_lo, s3
	s_cbranch_execz .LBB57_909
.LBB57_929:
	v_cmp_ne_u16_e32 vcc_lo, 0, v3
	v_mov_b32_e32 v4, 0
	s_andn2_b32 s2, s2, exec_lo
	s_and_b32 s10, vcc_lo, exec_lo
	s_or_b32 s2, s2, s10
	s_or_b32 exec_lo, exec_lo, s3
	s_and_saveexec_b32 s3, s2
	s_cbranch_execnz .LBB57_910
	s_branch .LBB57_911
.LBB57_930:
	s_mov_b32 s1, -1
.LBB57_931:
                                        ; implicit-def: $vgpr4
.LBB57_932:
	s_and_b32 vcc_lo, exec_lo, s2
	s_mov_b32 s2, 0
	s_cbranch_vccz .LBB57_934
; %bb.933:
	s_cmp_lg_u32 s0, 11
	s_mov_b32 s2, -1
	s_cselect_b32 s0, -1, 0
	s_andn2_b32 s1, s1, exec_lo
	s_and_b32 s0, s0, exec_lo
	s_or_b32 s1, s1, s0
.LBB57_934:
	s_mov_b32 s0, 0
.LBB57_935:
	s_andn2_b32 s10, s43, exec_lo
	s_and_b32 s1, s1, exec_lo
	s_and_b32 s46, s3, exec_lo
	;; [unrolled: 1-line block ×4, first 2 shown]
	s_or_b32 s45, s10, s1
.LBB57_936:
	s_or_b32 exec_lo, exec_lo, s33
	s_and_b32 s1, s3, exec_lo
	s_andn2_b32 s3, s43, exec_lo
	s_waitcnt lgkmcnt(0)
	s_and_b32 s10, s45, exec_lo
	s_and_b32 s2, s46, exec_lo
	;; [unrolled: 1-line block ×3, first 2 shown]
	s_or_b32 s43, s3, s10
.LBB57_937:
	s_or_b32 exec_lo, exec_lo, s42
	s_andn2_b32 s3, s40, exec_lo
	s_waitcnt lgkmcnt(0)
	s_and_b32 s10, s44, exec_lo
	s_and_b32 s11, s43, exec_lo
	s_or_b32 s40, s3, s10
	s_andn2_b32 s10, s39, exec_lo
	s_and_b32 s3, s2, exec_lo
	s_and_b32 s2, s1, exec_lo
	;; [unrolled: 1-line block ×3, first 2 shown]
	s_or_b32 s39, s10, s11
.LBB57_938:
	s_or_b32 exec_lo, exec_lo, s41
	s_andn2_b32 s0, s36, exec_lo
	s_waitcnt lgkmcnt(0)
	s_and_b32 s10, s40, exec_lo
	s_and_b32 s2, s2, exec_lo
	s_or_b32 s36, s0, s10
	s_and_b32 s0, s3, exec_lo
	s_andn2_b32 s3, s37, exec_lo
	s_and_b32 s10, s39, exec_lo
	s_and_b32 s39, s1, exec_lo
	s_or_b32 s37, s3, s10
	s_or_b32 exec_lo, exec_lo, s38
	s_mov_b32 s10, 0
	s_and_saveexec_b32 s1, s37
	s_cbranch_execz .LBB57_280
.LBB57_939:
	s_mov_b32 s10, exec_lo
	s_andn2_b32 s39, s39, exec_lo
	s_trap 2
	s_or_b32 exec_lo, exec_lo, s1
	s_and_saveexec_b32 s1, s39
	s_xor_b32 s1, exec_lo, s1
	s_cbranch_execnz .LBB57_281
.LBB57_940:
	s_or_b32 exec_lo, exec_lo, s1
	s_and_saveexec_b32 s1, s2
	s_cbranch_execz .LBB57_986
.LBB57_941:
	s_sext_i32_i16 s2, s30
	s_cmp_lt_i32 s2, 5
	s_cbranch_scc1 .LBB57_946
; %bb.942:
	s_cmp_lt_i32 s2, 8
	s_cbranch_scc1 .LBB57_947
; %bb.943:
	;; [unrolled: 3-line block ×3, first 2 shown]
	s_cmp_gt_i32 s2, 9
	s_cbranch_scc0 .LBB57_949
; %bb.945:
	global_load_dwordx2 v[3:4], v[1:2], off
	s_mov_b32 s2, 0
	s_waitcnt vmcnt(0)
	v_cvt_f32_f64_e32 v4, v[3:4]
	s_branch .LBB57_950
.LBB57_946:
                                        ; implicit-def: $vgpr4
	s_branch .LBB57_967
.LBB57_947:
                                        ; implicit-def: $vgpr4
	s_branch .LBB57_956
.LBB57_948:
	s_mov_b32 s2, -1
                                        ; implicit-def: $vgpr4
	s_branch .LBB57_953
.LBB57_949:
	s_mov_b32 s2, -1
                                        ; implicit-def: $vgpr4
.LBB57_950:
	s_andn2_b32 vcc_lo, exec_lo, s2
	s_cbranch_vccnz .LBB57_952
; %bb.951:
	global_load_dword v4, v[1:2], off
.LBB57_952:
	s_mov_b32 s2, 0
.LBB57_953:
	s_andn2_b32 vcc_lo, exec_lo, s2
	s_cbranch_vccnz .LBB57_955
; %bb.954:
	global_load_dword v3, v[1:2], off
	s_waitcnt vmcnt(0)
	v_cvt_f32_f16_e32 v4, v3
.LBB57_955:
	s_cbranch_execnz .LBB57_966
.LBB57_956:
	s_sext_i32_i16 s2, s30
	s_cmp_lt_i32 s2, 6
	s_cbranch_scc1 .LBB57_959
; %bb.957:
	s_cmp_gt_i32 s2, 6
	s_cbranch_scc0 .LBB57_960
; %bb.958:
	global_load_dwordx2 v[3:4], v[1:2], off
	s_mov_b32 s2, 0
	s_waitcnt vmcnt(0)
	v_cvt_f32_f64_e32 v4, v[3:4]
	s_branch .LBB57_961
.LBB57_959:
	s_mov_b32 s2, -1
                                        ; implicit-def: $vgpr4
	s_branch .LBB57_964
.LBB57_960:
	s_mov_b32 s2, -1
                                        ; implicit-def: $vgpr4
.LBB57_961:
	s_andn2_b32 vcc_lo, exec_lo, s2
	s_cbranch_vccnz .LBB57_963
; %bb.962:
	global_load_dword v4, v[1:2], off
.LBB57_963:
	s_mov_b32 s2, 0
.LBB57_964:
	s_andn2_b32 vcc_lo, exec_lo, s2
	s_cbranch_vccnz .LBB57_966
; %bb.965:
	global_load_ushort v3, v[1:2], off
	s_waitcnt vmcnt(0)
	v_cvt_f32_f16_e32 v4, v3
.LBB57_966:
	s_cbranch_execnz .LBB57_985
.LBB57_967:
	s_sext_i32_i16 s2, s30
	s_cmp_lt_i32 s2, 2
	s_cbranch_scc1 .LBB57_971
; %bb.968:
	s_cmp_lt_i32 s2, 3
	s_cbranch_scc1 .LBB57_972
; %bb.969:
	s_cmp_gt_i32 s2, 3
	s_cbranch_scc0 .LBB57_973
; %bb.970:
	global_load_dwordx2 v[3:4], v[1:2], off
	s_mov_b32 s2, 0
	s_waitcnt vmcnt(0)
	v_xor_b32_e32 v5, v3, v4
	v_ffbh_i32_e32 v6, v4
	v_ashrrev_i32_e32 v5, 31, v5
	v_add_nc_u32_e32 v6, -1, v6
	v_add_nc_u32_e32 v5, 32, v5
	v_min_u32_e32 v5, v6, v5
	v_lshlrev_b64 v[3:4], v5, v[3:4]
	v_min_u32_e32 v3, 1, v3
	v_or_b32_e32 v3, v4, v3
	v_sub_nc_u32_e32 v4, 32, v5
	v_cvt_f32_i32_e32 v3, v3
	v_ldexp_f32 v4, v3, v4
	s_branch .LBB57_974
.LBB57_971:
                                        ; implicit-def: $vgpr4
	s_branch .LBB57_980
.LBB57_972:
	s_mov_b32 s2, -1
                                        ; implicit-def: $vgpr4
	s_branch .LBB57_977
.LBB57_973:
	s_mov_b32 s2, -1
                                        ; implicit-def: $vgpr4
.LBB57_974:
	s_andn2_b32 vcc_lo, exec_lo, s2
	s_cbranch_vccnz .LBB57_976
; %bb.975:
	global_load_dword v3, v[1:2], off
	s_waitcnt vmcnt(0)
	v_cvt_f32_i32_e32 v4, v3
.LBB57_976:
	s_mov_b32 s2, 0
.LBB57_977:
	s_andn2_b32 vcc_lo, exec_lo, s2
	s_cbranch_vccnz .LBB57_979
; %bb.978:
	global_load_sshort v3, v[1:2], off
	s_waitcnt vmcnt(0)
	v_cvt_f32_i32_e32 v4, v3
.LBB57_979:
	s_cbranch_execnz .LBB57_985
.LBB57_980:
	s_sext_i32_i16 s2, s30
	s_cmp_gt_i32 s2, 0
	s_mov_b32 s2, 0
	s_cbranch_scc0 .LBB57_982
; %bb.981:
	global_load_sbyte v3, v[1:2], off
	s_waitcnt vmcnt(0)
	v_cvt_f32_i32_e32 v4, v3
	s_branch .LBB57_983
.LBB57_982:
	s_mov_b32 s2, -1
                                        ; implicit-def: $vgpr4
.LBB57_983:
	s_andn2_b32 vcc_lo, exec_lo, s2
	s_cbranch_vccnz .LBB57_985
; %bb.984:
	global_load_ubyte v1, v[1:2], off
	s_waitcnt vmcnt(0)
	v_cvt_f32_ubyte0_e32 v4, v1
.LBB57_985:
	s_or_b32 s0, s0, exec_lo
.LBB57_986:
	s_or_b32 exec_lo, exec_lo, s1
	s_mov_b32 s3, 0
	s_mov_b32 s2, 0
                                        ; implicit-def: $sgpr1
                                        ; implicit-def: $vgpr1_vgpr2
                                        ; implicit-def: $vgpr3
	s_and_saveexec_b32 s11, s0
	s_cbranch_execz .LBB57_1000
; %bb.987:
	v_mov_b32_e32 v1, 0
	s_waitcnt vmcnt(0)
	v_mov_b32_e32 v3, 1.0
	s_mov_b32 s2, exec_lo
	v_cmpx_gt_f32_e32 0.5, v4
	s_cbranch_execz .LBB57_993
; %bb.988:
	v_mul_f32_e32 v1, 0x40490fdb, v4
                                        ; implicit-def: $vgpr5
                                        ; implicit-def: $vgpr3
	s_mov_b32 s1, exec_lo
	v_and_b32_e32 v2, 0x7fffffff, v1
	v_cmpx_ngt_f32_e64 0x48000000, |v1|
	s_xor_b32 s3, exec_lo, s1
	s_cbranch_execz .LBB57_990
; %bb.989:
	s_mov_b32 s0, 0x7fffff
	v_mov_b32_e32 v7, 0
	v_and_or_b32 v3, v2, s0, 0x800000
	v_lshrrev_b32_e32 v12, 23, v2
	v_mad_u64_u32 v[5:6], null, 0xfe5163ab, v3, 0
	v_add_nc_u32_e32 v13, 0xffffff88, v12
	v_cmp_lt_u32_e32 vcc_lo, 63, v13
	v_mad_u64_u32 v[8:9], null, 0x3c439041, v3, v[6:7]
	v_cndmask_b32_e64 v14, 0, 0xffffffc0, vcc_lo
	v_mov_b32_e32 v6, v9
	v_add_nc_u32_e32 v14, v14, v13
	v_mad_u64_u32 v[9:10], null, 0xdb629599, v3, v[6:7]
	v_cmp_lt_u32_e64 s0, 31, v14
	v_cndmask_b32_e64 v15, 0, 0xffffffe0, s0
	v_mov_b32_e32 v6, v10
	v_cndmask_b32_e32 v5, v9, v5, vcc_lo
	v_mad_u64_u32 v[10:11], null, 0xf534ddc0, v3, v[6:7]
	v_mov_b32_e32 v6, v11
	v_cndmask_b32_e32 v8, v10, v8, vcc_lo
	v_mad_u64_u32 v[11:12], null, 0xfc2757d1, v3, v[6:7]
	v_cndmask_b32_e64 v5, v8, v5, s0
	v_mov_b32_e32 v6, v12
	v_mad_u64_u32 v[12:13], null, 0x4e441529, v3, v[6:7]
	v_mov_b32_e32 v6, v13
	v_add_nc_u32_e32 v13, v15, v14
	v_cndmask_b32_e32 v14, v12, v10, vcc_lo
	v_mad_u64_u32 v[6:7], null, 0xa2f9836e, v3, v[6:7]
	v_cmp_lt_u32_e64 s1, 31, v13
	v_cndmask_b32_e64 v3, 0, 0xffffffe0, s1
	v_cndmask_b32_e32 v6, v6, v11, vcc_lo
	v_cndmask_b32_e32 v7, v7, v12, vcc_lo
	;; [unrolled: 1-line block ×3, first 2 shown]
	v_add_nc_u32_e32 v3, v3, v13
	v_cndmask_b32_e64 v10, v6, v14, s0
	v_cndmask_b32_e64 v6, v7, v6, s0
	;; [unrolled: 1-line block ×4, first 2 shown]
	v_sub_nc_u32_e32 v12, 32, v3
	v_cmp_eq_u32_e32 vcc_lo, 0, v3
	v_cndmask_b32_e64 v6, v6, v10, s1
	v_cndmask_b32_e64 v10, v10, v7, s1
	;; [unrolled: 1-line block ×4, first 2 shown]
	v_alignbit_b32 v13, v6, v10, v12
	v_alignbit_b32 v9, v10, v7, v12
	;; [unrolled: 1-line block ×3, first 2 shown]
	v_cndmask_b32_e32 v3, v13, v6, vcc_lo
	v_cndmask_b32_e32 v6, v9, v10, vcc_lo
	;; [unrolled: 1-line block ×3, first 2 shown]
	v_bfe_u32 v8, v3, 29, 1
	v_alignbit_b32 v9, v3, v6, 30
	v_alignbit_b32 v6, v6, v7, 30
	;; [unrolled: 1-line block ×3, first 2 shown]
	v_sub_nc_u32_e32 v10, 0, v8
	v_xor_b32_e32 v9, v9, v10
	v_xor_b32_e32 v6, v6, v10
	;; [unrolled: 1-line block ×3, first 2 shown]
	v_lshrrev_b32_e32 v10, 29, v3
	v_ffbh_u32_e32 v11, v9
	v_min_u32_e32 v11, 32, v11
	v_sub_nc_u32_e32 v7, 31, v11
	v_lshlrev_b32_e32 v12, 23, v11
	v_alignbit_b32 v9, v9, v6, v7
	v_alignbit_b32 v5, v6, v5, v7
	v_lshlrev_b32_e32 v6, 31, v10
	v_alignbit_b32 v7, v9, v5, 9
	v_or_b32_e32 v10, 0.5, v6
	v_lshrrev_b32_e32 v9, 9, v9
	v_or_b32_e32 v6, 0x33000000, v6
	v_ffbh_u32_e32 v13, v7
	v_sub_nc_u32_e32 v10, v10, v12
	v_min_u32_e32 v12, 32, v13
	v_or_b32_e32 v9, v9, v10
	v_not_b32_e32 v10, v12
	v_mul_f32_e32 v13, 0x3fc90fda, v9
	v_add_lshl_u32 v11, v12, v11, 23
	v_alignbit_b32 v5, v7, v5, v10
	v_fma_f32 v7, 0x3fc90fda, v9, -v13
	v_sub_nc_u32_e32 v6, v6, v11
	v_lshrrev_b32_e32 v5, 9, v5
	v_fmamk_f32 v7, v9, 0x33a22168, v7
	v_or_b32_e32 v5, v6, v5
	v_fmac_f32_e32 v7, 0x3fc90fda, v5
	v_lshrrev_b32_e32 v5, 30, v3
	v_add_f32_e32 v3, v13, v7
	v_add_nc_u32_e32 v5, v8, v5
.LBB57_990:
	s_andn2_saveexec_b32 s0, s3
; %bb.991:
	v_mul_f32_e64 v3, 0x3f22f983, |v1|
	v_rndne_f32_e32 v5, v3
	v_fma_f32 v3, 0xbfc90fda, v5, |v1|
	v_fmamk_f32 v3, v5, 0xb3a22168, v3
	v_fmamk_f32 v3, v5, 0xa7c234c4, v3
	v_cvt_i32_f32_e32 v5, v5
; %bb.992:
	s_or_b32 exec_lo, exec_lo, s0
	v_mul_f32_e32 v6, v3, v3
	s_mov_b32 s0, 0xb94c1982
	s_mov_b32 s1, 0x37d75334
	v_and_b32_e32 v9, 1, v5
	v_lshlrev_b32_e32 v5, 30, v5
	v_fmaak_f32 v7, s0, v6, 0x3c0881c4
	v_fmaak_f32 v8, s1, v6, 0xbab64f3b
	v_xor_b32_e32 v2, v2, v1
	v_cmp_eq_u32_e32 vcc_lo, 0, v9
	v_and_b32_e32 v5, 0x80000000, v5
	v_fmaak_f32 v7, v6, v7, 0xbe2aaa9d
	v_fmaak_f32 v8, v6, v8, 0x3d2aabf7
	v_sub_f32_e32 v4, 1.0, v4
	v_mul_f32_e32 v7, v6, v7
	v_fmaak_f32 v8, v6, v8, 0xbf000004
	v_fmac_f32_e32 v3, v3, v7
	v_fma_f32 v6, v6, v8, 1.0
	v_cndmask_b32_e32 v3, v6, v3, vcc_lo
	v_cmp_class_f32_e64 vcc_lo, v1, 0x1f8
	v_xor3_b32 v2, v2, v5, v3
	v_cndmask_b32_e32 v1, 0x7fc00000, v2, vcc_lo
	v_mul_f32_e32 v1, v1, v1
	v_div_scale_f32 v2, null, v1, v1, 0xc11de9e7
	v_div_scale_f32 v6, vcc_lo, 0xc11de9e7, v1, 0xc11de9e7
	v_rcp_f32_e32 v3, v2
	v_fma_f32 v5, -v2, v3, 1.0
	v_fmac_f32_e32 v3, v5, v3
	v_mul_f32_e32 v5, v6, v3
	v_fma_f32 v7, -v2, v5, v6
	v_fmac_f32_e32 v5, v7, v3
	v_fma_f32 v2, -v2, v5, v6
	v_div_fmas_f32 v2, v2, v3, v5
	v_mov_b32_e32 v3, -1.0
	v_div_fixup_f32 v1, v2, v1, 0xc11de9e7
	v_add_f32_e32 v1, 0, v1
.LBB57_993:
	s_or_b32 exec_lo, exec_lo, s2
	v_add_f32_e32 v2, 1.0, v4
	v_mul_f32_e32 v4, v4, v4
	v_mul_f32_e32 v5, v2, v2
	v_add_f32_e32 v2, 1.0, v2
	v_div_scale_f32 v6, null, v4, v4, 1.0
	v_div_scale_f32 v8, vcc_lo, 1.0, v4, 1.0
	v_mul_f32_e32 v9, v2, v2
	v_div_scale_f32 v7, null, v5, v5, 1.0
	v_rcp_f32_e32 v10, v6
	v_div_scale_f32 v13, s0, 1.0, v5, 1.0
	v_div_scale_f32 v12, null, v9, v9, 1.0
	v_rcp_f32_e32 v11, v7
	v_add_f32_e32 v2, 1.0, v2
	v_div_scale_f32 v14, s1, 1.0, v9, 1.0
	v_rcp_f32_e32 v15, v12
	v_fma_f32 v17, -v6, v10, 1.0
	v_mul_f32_e32 v16, v2, v2
	v_add_f32_e32 v2, 1.0, v2
	v_fma_f32 v18, -v7, v11, 1.0
	v_fmac_f32_e32 v10, v17, v10
	v_mul_f32_e32 v20, v2, v2
	v_add_f32_e32 v2, 1.0, v2
	v_fma_f32 v17, -v12, v15, 1.0
	v_fmac_f32_e32 v11, v18, v11
	v_mul_f32_e32 v21, v8, v10
	v_div_scale_f32 v19, null, v16, v16, 1.0
	v_fmac_f32_e32 v15, v17, v15
	v_mul_f32_e32 v22, v13, v11
	v_fma_f32 v23, -v6, v21, v8
	v_add_f32_e32 v26, 1.0, v2
	v_rcp_f32_e32 v18, v19
	v_mul_f32_e32 v25, v14, v15
	v_fma_f32 v24, -v7, v22, v13
	v_fmac_f32_e32 v21, v23, v10
	v_mul_f32_e32 v2, v2, v2
	v_div_scale_f32 v17, null, v20, v20, 1.0
	v_fma_f32 v23, -v12, v25, v14
	v_fmac_f32_e32 v22, v24, v11
	v_fma_f32 v6, -v6, v21, v8
	v_mul_f32_e32 v8, v26, v26
	v_rcp_f32_e32 v24, v17
	v_fmac_f32_e32 v25, v23, v15
	v_fma_f32 v7, -v7, v22, v13
	v_div_fmas_f32 v6, v6, v10, v21
	s_mov_b32 vcc_lo, s0
	v_fma_f32 v27, -v19, v18, 1.0
	v_fma_f32 v10, -v12, v25, v14
	v_div_fmas_f32 v7, v7, v11, v22
	s_mov_b32 vcc_lo, s1
	v_div_scale_f32 v11, null, v2, v2, 1.0
	v_div_fmas_f32 v10, v10, v15, v25
	v_div_scale_f32 v12, null, v8, v8, 1.0
	v_add_f32_e32 v15, v26, v26
	v_rcp_f32_e32 v14, v11
	v_fmac_f32_e32 v18, v27, v18
	v_rcp_f32_e32 v22, v12
	v_div_scale_f32 v13, vcc_lo, 1.0, v16, 1.0
	v_div_scale_f32 v25, null, v15, v15, 1.0
	v_fma_f32 v21, -v17, v24, 1.0
	v_mul_f32_e32 v23, v13, v18
	v_div_fixup_f32 v4, v6, v4, 1.0
	v_rcp_f32_e32 v28, v25
	v_fma_f32 v27, -v11, v14, 1.0
	v_fmac_f32_e32 v24, v21, v24
	v_div_scale_f32 v21, s0, 1.0, v20, 1.0
	v_fma_f32 v30, -v12, v22, 1.0
	v_fma_f32 v29, -v19, v23, v13
	v_fmac_f32_e32 v14, v27, v14
	v_div_scale_f32 v27, s1, 1.0, v2, 1.0
	v_mul_f32_e32 v31, v21, v24
	v_fmac_f32_e32 v22, v30, v22
	v_div_scale_f32 v30, s2, 1.0, v8, 1.0
	v_fma_f32 v32, -v25, v28, 1.0
	v_fmac_f32_e32 v23, v29, v18
	v_mul_f32_e32 v33, v27, v14
	v_fma_f32 v29, -v17, v31, v21
	v_mul_f32_e32 v34, v30, v22
	v_fmac_f32_e32 v28, v32, v28
	v_div_scale_f32 v32, s3, 1.0, v15, 1.0
	v_fma_f32 v13, -v19, v23, v13
	v_fma_f32 v19, -v11, v33, v27
	v_fmac_f32_e32 v31, v29, v24
	v_fma_f32 v29, -v12, v34, v30
	v_mul_f32_e32 v35, v32, v28
	v_div_fmas_f32 v13, v13, v18, v23
	v_fmac_f32_e32 v33, v19, v14
	v_fma_f32 v17, -v17, v31, v21
	v_fmac_f32_e32 v34, v29, v22
	v_fma_f32 v18, -v25, v35, v32
	s_mov_b32 vcc_lo, s0
	v_fma_f32 v11, -v11, v33, v27
	v_div_fmas_f32 v17, v17, v24, v31
	v_fma_f32 v12, -v12, v34, v30
	v_fmac_f32_e32 v35, v18, v28
	s_mov_b32 vcc_lo, s1
	s_mov_b32 s0, 0xbcc30c31
	v_div_fmas_f32 v11, v11, v14, v33
	s_mov_b32 vcc_lo, s2
	v_fma_f32 v14, -v25, v35, v32
	v_div_fmas_f32 v12, v12, v22, v34
	s_mov_b32 vcc_lo, s3
	v_add_f32_e32 v1, v1, v4
	v_div_fixup_f32 v4, v7, v5, 1.0
	v_div_fmas_f32 v14, v14, v28, v35
	v_div_fixup_f32 v8, v12, v8, 1.0
	v_div_fixup_f32 v2, v11, v2, 1.0
	s_and_b32 s1, s29, 0xff
	v_add_f32_e32 v1, v1, v4
	v_div_fixup_f32 v12, v14, v15, 1.0
	v_fmaak_f32 v14, s0, v8, 0x3d088889
	v_div_fixup_f32 v4, v10, v9, 1.0
	s_cmp_lt_i32 s1, 11
	v_add_f32_e32 v12, 1.0, v12
	v_fma_f32 v14, -v8, v14, 0x3e2aaaab
	v_add_f32_e32 v1, v1, v4
	v_div_fixup_f32 v4, v13, v16, 1.0
	v_fmac_f32_e32 v12, v8, v14
	v_add_f32_e32 v1, v1, v4
	v_div_fixup_f32 v4, v17, v20, 1.0
	v_div_scale_f32 v8, null, v26, v26, v12
	v_div_scale_f32 v5, vcc_lo, v12, v26, v12
	v_add_f32_e32 v1, v1, v4
	v_rcp_f32_e32 v14, v8
	v_add_f32_e32 v1, v1, v2
	v_fma_f32 v6, -v8, v14, 1.0
	v_fmac_f32_e32 v14, v6, v14
	v_mul_f32_e32 v6, v5, v14
	v_fma_f32 v7, -v8, v6, v5
	v_fmac_f32_e32 v6, v7, v14
	v_fma_f32 v5, -v8, v6, v5
	v_div_fmas_f32 v4, v5, v14, v6
	v_div_fixup_f32 v2, v4, v26, v12
	v_add_f32_e32 v4, v1, v2
	v_add_co_u32 v1, s0, s8, v0
	v_add_co_ci_u32_e64 v2, null, s9, 0, s0
	v_mul_f32_e32 v3, v3, v4
	s_cbranch_scc1 .LBB57_1003
; %bb.994:
	s_and_b32 s2, 0xffff, s1
	s_mov_b32 s3, -1
	s_cmp_gt_i32 s2, 25
	s_mov_b32 s0, s36
	s_cbranch_scc0 .LBB57_1031
; %bb.995:
	s_cmp_gt_i32 s2, 28
	s_mov_b32 s0, s36
	s_cbranch_scc0 .LBB57_1015
; %bb.996:
	;; [unrolled: 4-line block ×4, first 2 shown]
	s_cmp_eq_u32 s2, 46
	s_mov_b32 s0, -1
	s_cbranch_scc0 .LBB57_1004
; %bb.999:
	v_bfe_u32 v0, v3, 16, 1
	v_cmp_o_f32_e32 vcc_lo, v3, v3
	v_mov_b32_e32 v4, 0x7fc0
	s_mov_b32 s0, 0
	s_mov_b32 s3, 0
	v_add3_u32 v0, v3, v0, 0x7fff
	v_cndmask_b32_sdwa v0, v4, v0, vcc_lo dst_sel:DWORD dst_unused:UNUSED_PAD src0_sel:DWORD src1_sel:WORD_1
	global_store_dword v[1:2], v0, off
	s_branch .LBB57_1005
.LBB57_1000:
	s_or_b32 exec_lo, exec_lo, s11
	s_and_saveexec_b32 s0, s36
	s_cbranch_execnz .LBB57_1073
.LBB57_1001:
	s_or_b32 exec_lo, exec_lo, s0
	s_and_saveexec_b32 s0, s3
	s_xor_b32 s0, exec_lo, s0
	s_cbranch_execz .LBB57_1074
.LBB57_1002:
	s_waitcnt vmcnt(0)
	v_cmp_neq_f32_e32 vcc_lo, 0, v3
	v_cndmask_b32_e64 v0, 0, 1, vcc_lo
	global_store_byte v[1:2], v0, off
	s_or_b32 exec_lo, exec_lo, s0
	s_and_saveexec_b32 s0, s2
	s_xor_b32 s0, exec_lo, s0
	s_cbranch_execz .LBB57_1112
	s_branch .LBB57_1075
.LBB57_1003:
	s_mov_b32 s8, 0
	s_mov_b32 s3, -1
	s_mov_b32 s0, s36
	s_branch .LBB57_1072
.LBB57_1004:
	s_mov_b32 s3, 0
.LBB57_1005:
	s_and_b32 vcc_lo, exec_lo, s3
	s_cbranch_vccz .LBB57_1010
; %bb.1006:
	s_cmp_eq_u32 s2, 44
	s_mov_b32 s0, -1
	s_cbranch_scc0 .LBB57_1010
; %bb.1007:
	v_bfe_u32 v4, v3, 23, 8
	v_mov_b32_e32 v0, 0xff
	s_mov_b32 s3, exec_lo
	v_cmpx_ne_u32_e32 0xff, v4
	s_cbranch_execz .LBB57_1009
; %bb.1008:
	v_and_b32_e32 v0, 0x400000, v3
	v_and_or_b32 v4, 0x3fffff, v3, v4
	v_cmp_ne_u32_e32 vcc_lo, 0, v0
	v_cmp_ne_u32_e64 s0, 0, v4
	v_lshrrev_b32_e32 v0, 23, v3
	s_and_b32 s0, vcc_lo, s0
	v_cndmask_b32_e64 v4, 0, 1, s0
	v_add_nc_u32_e32 v0, v0, v4
.LBB57_1009:
	s_or_b32 exec_lo, exec_lo, s3
	s_mov_b32 s0, 0
	global_store_byte v[1:2], v0, off
.LBB57_1010:
	s_mov_b32 s3, 0
.LBB57_1011:
	s_and_b32 vcc_lo, exec_lo, s3
	s_cbranch_vccz .LBB57_1014
; %bb.1012:
	s_cmp_eq_u32 s2, 29
	s_mov_b32 s0, -1
	s_cbranch_scc0 .LBB57_1014
; %bb.1013:
	v_trunc_f32_e32 v0, v3
	s_mov_b32 s0, 0
	s_mov_b32 s3, 0
	v_mul_f32_e32 v4, 0x2f800000, v0
	v_floor_f32_e32 v4, v4
	v_fmamk_f32 v0, v4, 0xcf800000, v0
	v_cvt_u32_f32_e32 v5, v4
	v_cvt_u32_f32_e32 v4, v0
	global_store_dwordx2 v[1:2], v[4:5], off
	s_branch .LBB57_1015
.LBB57_1014:
	s_mov_b32 s3, 0
.LBB57_1015:
	s_and_b32 vcc_lo, exec_lo, s3
	s_cbranch_vccz .LBB57_1030
; %bb.1016:
	s_cmp_lt_i32 s2, 27
	s_mov_b32 s3, -1
	s_cbranch_scc1 .LBB57_1022
; %bb.1017:
	s_cmp_gt_i32 s2, 27
	s_cbranch_scc0 .LBB57_1019
; %bb.1018:
	v_cvt_u32_f32_e32 v0, v3
	s_mov_b32 s3, 0
	global_store_dword v[1:2], v0, off
.LBB57_1019:
	s_andn2_b32 vcc_lo, exec_lo, s3
	s_cbranch_vccnz .LBB57_1021
; %bb.1020:
	v_cvt_u32_f32_e32 v0, v3
	global_store_short v[1:2], v0, off
.LBB57_1021:
	s_mov_b32 s3, 0
.LBB57_1022:
	s_andn2_b32 vcc_lo, exec_lo, s3
	s_cbranch_vccnz .LBB57_1030
; %bb.1023:
	v_and_b32_e32 v0, 0x7fffffff, v3
	v_mov_b32_e32 v4, 0x80
	s_mov_b32 s3, exec_lo
	v_cmpx_gt_u32_e32 0x43800000, v0
	s_cbranch_execz .LBB57_1029
; %bb.1024:
	v_cmp_lt_u32_e32 vcc_lo, 0x3bffffff, v0
	s_mov_b32 s8, 0
                                        ; implicit-def: $vgpr0
	s_and_saveexec_b32 s9, vcc_lo
	s_xor_b32 s9, exec_lo, s9
	s_cbranch_execz .LBB57_1183
; %bb.1025:
	v_bfe_u32 v0, v3, 20, 1
	s_mov_b32 s8, exec_lo
	v_add3_u32 v0, v3, v0, 0x487ffff
	v_lshrrev_b32_e32 v0, 20, v0
	s_andn2_saveexec_b32 s9, s9
	s_cbranch_execnz .LBB57_1184
.LBB57_1026:
	s_or_b32 exec_lo, exec_lo, s9
	v_mov_b32_e32 v4, 0
	s_and_saveexec_b32 s9, s8
.LBB57_1027:
	v_lshrrev_b32_e32 v4, 24, v3
	v_and_or_b32 v4, 0x80, v4, v0
.LBB57_1028:
	s_or_b32 exec_lo, exec_lo, s9
.LBB57_1029:
	s_or_b32 exec_lo, exec_lo, s3
	global_store_byte v[1:2], v4, off
.LBB57_1030:
	s_mov_b32 s3, 0
.LBB57_1031:
	s_and_b32 vcc_lo, exec_lo, s3
	s_mov_b32 s3, 0
	s_cbranch_vccz .LBB57_1071
; %bb.1032:
	s_cmp_gt_i32 s2, 22
	s_mov_b32 s8, -1
	s_cbranch_scc0 .LBB57_1064
; %bb.1033:
	s_cmp_lt_i32 s2, 24
	s_cbranch_scc1 .LBB57_1053
; %bb.1034:
	s_cmp_gt_i32 s2, 24
	s_cbranch_scc0 .LBB57_1042
; %bb.1035:
	v_and_b32_e32 v0, 0x7fffffff, v3
	v_mov_b32_e32 v4, 0x80
	s_mov_b32 s8, exec_lo
	v_cmpx_gt_u32_e32 0x47800000, v0
	s_cbranch_execz .LBB57_1041
; %bb.1036:
	v_cmp_lt_u32_e32 vcc_lo, 0x37ffffff, v0
	s_mov_b32 s9, 0
                                        ; implicit-def: $vgpr0
	s_and_saveexec_b32 s12, vcc_lo
	s_xor_b32 s12, exec_lo, s12
	s_cbranch_execz .LBB57_1315
; %bb.1037:
	v_bfe_u32 v0, v3, 21, 1
	s_mov_b32 s9, exec_lo
	v_add3_u32 v0, v3, v0, 0x88fffff
	v_lshrrev_b32_e32 v0, 21, v0
	s_andn2_saveexec_b32 s12, s12
	s_cbranch_execnz .LBB57_1316
.LBB57_1038:
	s_or_b32 exec_lo, exec_lo, s12
	v_mov_b32_e32 v4, 0
	s_and_saveexec_b32 s12, s9
.LBB57_1039:
	v_lshrrev_b32_e32 v4, 24, v3
	v_and_or_b32 v4, 0x80, v4, v0
.LBB57_1040:
	s_or_b32 exec_lo, exec_lo, s12
.LBB57_1041:
	s_or_b32 exec_lo, exec_lo, s8
	s_mov_b32 s8, 0
	global_store_byte v[1:2], v4, off
.LBB57_1042:
	s_and_b32 vcc_lo, exec_lo, s8
	s_cbranch_vccz .LBB57_1052
; %bb.1043:
	v_and_b32_e32 v4, 0x7fffffff, v3
	s_mov_b32 s8, exec_lo
                                        ; implicit-def: $vgpr0
	v_cmpx_gt_u32_e32 0x43f00000, v4
	s_xor_b32 s8, exec_lo, s8
	s_cbranch_execz .LBB57_1049
; %bb.1044:
	s_mov_b32 s9, exec_lo
                                        ; implicit-def: $vgpr0
	v_cmpx_lt_u32_e32 0x3c7fffff, v4
	s_xor_b32 s9, exec_lo, s9
; %bb.1045:
	v_bfe_u32 v0, v3, 20, 1
	v_add3_u32 v0, v3, v0, 0x407ffff
	v_and_b32_e32 v4, 0xff00000, v0
	v_lshrrev_b32_e32 v0, 20, v0
	v_cmp_ne_u32_e32 vcc_lo, 0x7f00000, v4
	v_cndmask_b32_e32 v0, 0x7e, v0, vcc_lo
; %bb.1046:
	s_andn2_saveexec_b32 s9, s9
; %bb.1047:
	v_add_f32_e64 v0, 0x46800000, |v3|
; %bb.1048:
	s_or_b32 exec_lo, exec_lo, s9
                                        ; implicit-def: $vgpr4
.LBB57_1049:
	s_andn2_saveexec_b32 s8, s8
; %bb.1050:
	v_mov_b32_e32 v0, 0x7f
	v_cmp_lt_u32_e32 vcc_lo, 0x7f800000, v4
	v_cndmask_b32_e32 v0, 0x7e, v0, vcc_lo
; %bb.1051:
	s_or_b32 exec_lo, exec_lo, s8
	v_lshrrev_b32_e32 v4, 24, v3
	v_and_or_b32 v0, 0x80, v4, v0
	global_store_byte v[1:2], v0, off
.LBB57_1052:
	s_mov_b32 s8, 0
.LBB57_1053:
	s_andn2_b32 vcc_lo, exec_lo, s8
	s_cbranch_vccnz .LBB57_1063
; %bb.1054:
	v_and_b32_e32 v4, 0x7fffffff, v3
	s_mov_b32 s8, exec_lo
                                        ; implicit-def: $vgpr0
	v_cmpx_gt_u32_e32 0x47800000, v4
	s_xor_b32 s8, exec_lo, s8
	s_cbranch_execz .LBB57_1060
; %bb.1055:
	s_mov_b32 s9, exec_lo
                                        ; implicit-def: $vgpr0
	v_cmpx_lt_u32_e32 0x387fffff, v4
	s_xor_b32 s9, exec_lo, s9
; %bb.1056:
	v_bfe_u32 v0, v3, 21, 1
	v_add3_u32 v0, v3, v0, 0x80fffff
	v_lshrrev_b32_e32 v0, 21, v0
; %bb.1057:
	s_andn2_saveexec_b32 s9, s9
; %bb.1058:
	v_add_f32_e64 v0, 0x43000000, |v3|
; %bb.1059:
	s_or_b32 exec_lo, exec_lo, s9
                                        ; implicit-def: $vgpr4
.LBB57_1060:
	s_andn2_saveexec_b32 s8, s8
; %bb.1061:
	v_mov_b32_e32 v0, 0x7f
	v_cmp_lt_u32_e32 vcc_lo, 0x7f800000, v4
	v_cndmask_b32_e32 v0, 0x7c, v0, vcc_lo
; %bb.1062:
	s_or_b32 exec_lo, exec_lo, s8
	v_lshrrev_b32_e32 v4, 24, v3
	v_and_or_b32 v0, 0x80, v4, v0
	global_store_byte v[1:2], v0, off
.LBB57_1063:
	s_mov_b32 s8, 0
.LBB57_1064:
	s_andn2_b32 vcc_lo, exec_lo, s8
	s_mov_b32 s8, 0
	s_cbranch_vccnz .LBB57_1072
; %bb.1065:
	s_cmp_gt_i32 s2, 14
	s_mov_b32 s8, -1
	s_cbranch_scc0 .LBB57_1069
; %bb.1066:
	s_cmp_eq_u32 s2, 15
	s_mov_b32 s0, -1
	s_cbranch_scc0 .LBB57_1068
; %bb.1067:
	v_bfe_u32 v0, v3, 16, 1
	v_cmp_o_f32_e32 vcc_lo, v3, v3
	v_mov_b32_e32 v4, 0x7fc0
	s_mov_b32 s0, 0
	v_add3_u32 v0, v3, v0, 0x7fff
	v_cndmask_b32_sdwa v0, v4, v0, vcc_lo dst_sel:DWORD dst_unused:UNUSED_PAD src0_sel:DWORD src1_sel:WORD_1
	global_store_short v[1:2], v0, off
.LBB57_1068:
	s_mov_b32 s8, 0
.LBB57_1069:
	s_and_b32 vcc_lo, exec_lo, s8
	s_mov_b32 s8, 0
	s_cbranch_vccz .LBB57_1072
; %bb.1070:
	s_cmp_lg_u32 s2, 11
	s_mov_b32 s8, -1
	s_cselect_b32 s2, -1, 0
	s_andn2_b32 s0, s0, exec_lo
	s_and_b32 s2, s2, exec_lo
	s_or_b32 s0, s0, s2
	s_branch .LBB57_1072
.LBB57_1071:
	s_mov_b32 s8, 0
.LBB57_1072:
	s_andn2_b32 s9, s36, exec_lo
	s_and_b32 s0, s0, exec_lo
	s_and_b32 s2, s3, exec_lo
	;; [unrolled: 1-line block ×3, first 2 shown]
	s_or_b32 s36, s9, s0
	s_or_b32 exec_lo, exec_lo, s11
	s_and_saveexec_b32 s0, s36
	s_cbranch_execz .LBB57_1001
.LBB57_1073:
	s_or_b32 s10, s10, exec_lo
	s_andn2_b32 s3, s3, exec_lo
	s_trap 2
	s_or_b32 exec_lo, exec_lo, s0
	s_and_saveexec_b32 s0, s3
	s_xor_b32 s0, exec_lo, s0
	s_cbranch_execnz .LBB57_1002
.LBB57_1074:
	s_or_b32 exec_lo, exec_lo, s0
	s_and_saveexec_b32 s0, s2
	s_xor_b32 s0, exec_lo, s0
	s_cbranch_execz .LBB57_1112
.LBB57_1075:
	s_sext_i32_i16 s3, s1
	s_mov_b32 s2, -1
	s_cmp_lt_i32 s3, 5
	s_cbranch_scc1 .LBB57_1096
; %bb.1076:
	s_cmp_lt_i32 s3, 8
	s_cbranch_scc1 .LBB57_1086
; %bb.1077:
	;; [unrolled: 3-line block ×3, first 2 shown]
	s_cmp_gt_i32 s3, 9
	s_cbranch_scc0 .LBB57_1080
; %bb.1079:
	s_waitcnt vmcnt(0)
	v_cvt_f64_f32_e32 v[4:5], v3
	v_mov_b32_e32 v6, 0
	s_mov_b32 s2, 0
	v_mov_b32_e32 v7, v6
	global_store_dwordx4 v[1:2], v[4:7], off
.LBB57_1080:
	s_andn2_b32 vcc_lo, exec_lo, s2
	s_cbranch_vccnz .LBB57_1082
; %bb.1081:
	s_waitcnt vmcnt(0)
	v_mov_b32_e32 v4, 0
	global_store_dwordx2 v[1:2], v[3:4], off
.LBB57_1082:
	s_mov_b32 s2, 0
.LBB57_1083:
	s_andn2_b32 vcc_lo, exec_lo, s2
	s_cbranch_vccnz .LBB57_1085
; %bb.1084:
	s_waitcnt vmcnt(0)
	v_cvt_f16_f32_e32 v0, v3
	v_and_b32_e32 v0, 0xffff, v0
	global_store_dword v[1:2], v0, off
.LBB57_1085:
	s_mov_b32 s2, 0
.LBB57_1086:
	s_andn2_b32 vcc_lo, exec_lo, s2
	s_cbranch_vccnz .LBB57_1095
; %bb.1087:
	s_sext_i32_i16 s3, s1
	s_mov_b32 s2, -1
	s_cmp_lt_i32 s3, 6
	s_cbranch_scc1 .LBB57_1093
; %bb.1088:
	s_cmp_gt_i32 s3, 6
	s_cbranch_scc0 .LBB57_1090
; %bb.1089:
	s_waitcnt vmcnt(0)
	v_cvt_f64_f32_e32 v[4:5], v3
	s_mov_b32 s2, 0
	global_store_dwordx2 v[1:2], v[4:5], off
.LBB57_1090:
	s_andn2_b32 vcc_lo, exec_lo, s2
	s_cbranch_vccnz .LBB57_1092
; %bb.1091:
	s_waitcnt vmcnt(0)
	global_store_dword v[1:2], v3, off
.LBB57_1092:
	s_mov_b32 s2, 0
.LBB57_1093:
	s_andn2_b32 vcc_lo, exec_lo, s2
	s_cbranch_vccnz .LBB57_1095
; %bb.1094:
	s_waitcnt vmcnt(0)
	v_cvt_f16_f32_e32 v0, v3
	global_store_short v[1:2], v0, off
.LBB57_1095:
	s_mov_b32 s2, 0
.LBB57_1096:
	s_andn2_b32 vcc_lo, exec_lo, s2
	s_cbranch_vccnz .LBB57_1112
; %bb.1097:
	s_sext_i32_i16 s3, s1
	s_mov_b32 s2, -1
	s_cmp_lt_i32 s3, 2
	s_cbranch_scc1 .LBB57_1107
; %bb.1098:
	s_cmp_lt_i32 s3, 3
	s_cbranch_scc1 .LBB57_1104
; %bb.1099:
	s_cmp_gt_i32 s3, 3
	s_cbranch_scc0 .LBB57_1101
; %bb.1100:
	s_waitcnt vmcnt(0)
	v_trunc_f32_e32 v0, v3
	s_mov_b32 s2, 0
	v_mul_f32_e64 v4, 0x2f800000, |v0|
	v_floor_f32_e32 v4, v4
	v_fma_f32 v5, 0xcf800000, v4, |v0|
	v_ashrrev_i32_e32 v0, 31, v0
	v_cvt_u32_f32_e32 v4, v4
	v_cvt_u32_f32_e32 v5, v5
	v_xor_b32_e32 v6, v4, v0
	v_xor_b32_e32 v5, v5, v0
	v_sub_co_u32 v4, vcc_lo, v5, v0
	v_sub_co_ci_u32_e64 v5, null, v6, v0, vcc_lo
	global_store_dwordx2 v[1:2], v[4:5], off
.LBB57_1101:
	s_andn2_b32 vcc_lo, exec_lo, s2
	s_cbranch_vccnz .LBB57_1103
; %bb.1102:
	s_waitcnt vmcnt(0)
	v_cvt_i32_f32_e32 v0, v3
	global_store_dword v[1:2], v0, off
.LBB57_1103:
	s_mov_b32 s2, 0
.LBB57_1104:
	s_andn2_b32 vcc_lo, exec_lo, s2
	s_cbranch_vccnz .LBB57_1106
; %bb.1105:
	s_waitcnt vmcnt(0)
	v_cvt_i32_f32_e32 v0, v3
	global_store_short v[1:2], v0, off
.LBB57_1106:
	s_mov_b32 s2, 0
.LBB57_1107:
	s_andn2_b32 vcc_lo, exec_lo, s2
	s_cbranch_vccnz .LBB57_1112
; %bb.1108:
	s_sext_i32_i16 s1, s1
	s_cmp_gt_i32 s1, 0
	s_mov_b32 s1, -1
	s_cbranch_scc0 .LBB57_1110
; %bb.1109:
	s_waitcnt vmcnt(0)
	v_cvt_i32_f32_e32 v0, v3
	s_mov_b32 s1, 0
	global_store_byte v[1:2], v0, off
.LBB57_1110:
	s_andn2_b32 vcc_lo, exec_lo, s1
	s_cbranch_vccnz .LBB57_1112
; %bb.1111:
	s_waitcnt vmcnt(0)
	v_trunc_f32_e32 v0, v3
	v_mul_f32_e64 v3, 0x2f800000, |v0|
	v_floor_f32_e32 v3, v3
	v_fma_f32 v3, 0xcf800000, v3, |v0|
	v_ashrrev_i32_e32 v0, 31, v0
	v_cvt_u32_f32_e32 v3, v3
	v_xor_b32_e32 v3, v3, v0
	v_sub_nc_u32_e32 v0, v3, v0
	global_store_byte v[1:2], v0, off
.LBB57_1112:
	s_or_b32 exec_lo, exec_lo, s0
	s_and_b32 s12, s10, exec_lo
                                        ; implicit-def: $vgpr15
                                        ; implicit-def: $vgpr8
.LBB57_1113:
	s_or_saveexec_b32 s13, s28
	s_mov_b32 s0, 0
                                        ; implicit-def: $vgpr0_vgpr1
                                        ; implicit-def: $sgpr10
                                        ; implicit-def: $vgpr2
	s_xor_b32 exec_lo, exec_lo, s13
	s_cbranch_execz .LBB57_2145
; %bb.1114:
	v_cndmask_b32_e64 v0, 0, 1, s27
	s_andn2_b32 vcc_lo, exec_lo, s27
	s_cbranch_vccnz .LBB57_1120
; %bb.1115:
	s_cmp_lg_u32 s24, 0
	s_mov_b32 s8, 0
	s_cbranch_scc0 .LBB57_1121
; %bb.1116:
	s_min_u32 s10, s25, 15
	s_add_i32 s10, s10, 1
	s_cmp_eq_u32 s25, 2
	s_cbranch_scc1 .LBB57_1122
; %bb.1117:
	v_mov_b32_e32 v13, 0
	v_mov_b32_e32 v6, 0
	;; [unrolled: 1-line block ×3, first 2 shown]
	s_and_b32 s9, s10, 28
	s_add_u32 s0, s6, 0xc4
	s_addc_u32 s1, s7, 0
	s_mov_b32 s11, 0
	s_mov_b64 s[2:3], s[6:7]
.LBB57_1118:                            ; =>This Inner Loop Header: Depth=1
	s_clause 0x1
	s_load_dwordx8 s[16:23], s[2:3], 0x4
	s_load_dwordx4 s[28:31], s[2:3], 0x24
	s_load_dwordx8 s[36:43], s[0:1], 0x0
	s_add_u32 s2, s2, 48
	s_addc_u32 s3, s3, 0
	s_add_i32 s11, s11, 4
	s_add_u32 s0, s0, 32
	s_addc_u32 s1, s1, 0
	s_cmp_lg_u32 s9, s11
	s_waitcnt lgkmcnt(0)
	v_mul_hi_u32 v2, s17, v1
	v_add_nc_u32_e32 v2, v1, v2
	v_lshrrev_b32_e32 v2, s18, v2
	s_waitcnt vmcnt(0)
	v_mul_hi_u32 v3, s20, v2
	v_mul_lo_u32 v5, v2, s16
	v_add_nc_u32_e32 v3, v2, v3
	v_sub_nc_u32_e32 v1, v1, v5
	v_lshrrev_b32_e32 v3, s21, v3
	v_mul_lo_u32 v5, v1, s36
	v_mul_lo_u32 v9, v1, s37
	v_mul_hi_u32 v4, s23, v3
	v_add_nc_u32_e32 v4, v3, v4
	v_lshrrev_b32_e32 v4, s28, v4
	v_mul_hi_u32 v7, s30, v4
	v_mul_lo_u32 v10, v4, s22
	v_add_nc_u32_e32 v1, v4, v7
	v_mul_lo_u32 v7, v3, s19
	v_sub_nc_u32_e32 v3, v3, v10
	v_lshrrev_b32_e32 v1, s31, v1
	v_mul_lo_u32 v10, v3, s40
	v_mul_lo_u32 v3, v3, s41
	v_sub_nc_u32_e32 v2, v2, v7
	v_mul_lo_u32 v11, v1, s29
	v_mul_lo_u32 v7, v2, s38
	v_mul_lo_u32 v2, v2, s39
	v_sub_nc_u32_e32 v4, v4, v11
	v_add3_u32 v5, v5, v6, v7
	v_mul_lo_u32 v11, v4, s42
	v_mul_lo_u32 v4, v4, s43
	v_add3_u32 v2, v9, v13, v2
	v_add3_u32 v6, v10, v5, v11
	;; [unrolled: 1-line block ×3, first 2 shown]
	s_cbranch_scc1 .LBB57_1118
; %bb.1119:
	s_and_b32 s10, s10, 3
	s_cmp_eq_u32 s10, 0
	s_cbranch_scc0 .LBB57_1123
	s_branch .LBB57_1125
.LBB57_1120:
	s_mov_b32 s8, -1
                                        ; implicit-def: $vgpr6
                                        ; implicit-def: $vgpr13
	s_branch .LBB57_1125
.LBB57_1121:
	v_mov_b32_e32 v6, 0
	v_mov_b32_e32 v13, 0
	s_branch .LBB57_1125
.LBB57_1122:
	v_mov_b32_e32 v6, 0
	v_mov_b32_e32 v13, 0
	;; [unrolled: 1-line block ×3, first 2 shown]
	s_mov_b32 s9, 0
	s_and_b32 s10, s10, 3
	s_cmp_eq_u32 s10, 0
	s_cbranch_scc1 .LBB57_1125
.LBB57_1123:
	s_lshl_b32 s0, s9, 3
	s_mul_i32 s2, s9, 12
	s_add_u32 s0, s6, s0
	s_addc_u32 s1, s7, 0
	s_add_u32 s0, s0, 0xc4
	s_addc_u32 s1, s1, 0
	;; [unrolled: 2-line block ×3, first 2 shown]
	.p2align	6
.LBB57_1124:                            ; =>This Inner Loop Header: Depth=1
	s_clause 0x1
	s_load_dwordx2 s[14:15], s[2:3], 0x4
	s_load_dword s9, s[2:3], 0xc
	s_load_dwordx2 s[16:17], s[0:1], 0x0
	s_add_u32 s2, s2, 12
	s_addc_u32 s3, s3, 0
	s_add_u32 s0, s0, 8
	s_addc_u32 s1, s1, 0
	s_add_i32 s10, s10, -1
	s_cmp_lg_u32 s10, 0
	s_waitcnt lgkmcnt(0)
	v_mul_hi_u32 v2, s15, v1
	v_add_nc_u32_e32 v2, v1, v2
	v_lshrrev_b32_e32 v2, s9, v2
	s_waitcnt vmcnt(0)
	v_mul_lo_u32 v3, v2, s14
	v_sub_nc_u32_e32 v1, v1, v3
	v_mad_u64_u32 v[6:7], null, v1, s16, v[6:7]
	v_mad_u64_u32 v[13:14], null, v1, s17, v[13:14]
	v_mov_b32_e32 v1, v2
	s_cbranch_scc1 .LBB57_1124
.LBB57_1125:
	s_andn2_b32 vcc_lo, exec_lo, s8
	s_cbranch_vccnz .LBB57_1128
; %bb.1126:
	s_clause 0x1
	s_load_dwordx4 s[0:3], s[6:7], 0x4
	s_load_dwordx2 s[8:9], s[6:7], 0xc4
	s_cmp_lt_u32 s24, 2
	s_waitcnt lgkmcnt(0)
	v_mul_hi_u32 v1, s1, v8
	v_add_nc_u32_e32 v1, v8, v1
	v_lshrrev_b32_e32 v1, s2, v1
	v_mul_lo_u32 v2, v1, s0
	v_sub_nc_u32_e32 v2, v8, v2
	v_mul_lo_u32 v6, v2, s8
	v_mul_lo_u32 v13, v2, s9
	s_cbranch_scc1 .LBB57_1128
; %bb.1127:
	s_clause 0x1
	s_load_dwordx4 s[0:3], s[6:7], 0x10
	s_load_dwordx2 s[8:9], s[6:7], 0xcc
	s_waitcnt lgkmcnt(0)
	v_mul_hi_u32 v2, s1, v1
	v_add_nc_u32_e32 v2, v1, v2
	v_lshrrev_b32_e32 v2, s2, v2
	v_mul_lo_u32 v2, v2, s0
	v_sub_nc_u32_e32 v1, v1, v2
	v_mad_u64_u32 v[6:7], null, v1, s8, v[6:7]
	v_mad_u64_u32 v[13:14], null, v1, s9, v[13:14]
.LBB57_1128:
	v_cmp_ne_u32_e32 vcc_lo, 1, v0
	v_add_nc_u32_e32 v1, 0x80, v8
	s_cbranch_vccnz .LBB57_1134
; %bb.1129:
	s_cmp_lg_u32 s24, 0
	s_mov_b32 s8, 0
	s_cbranch_scc0 .LBB57_1135
; %bb.1130:
	s_min_u32 s10, s25, 15
	s_add_i32 s10, s10, 1
	s_cmp_eq_u32 s25, 2
	s_cbranch_scc1 .LBB57_1136
; %bb.1131:
	v_mov_b32_e32 v11, 0
	s_waitcnt vmcnt(0)
	v_mov_b32_e32 v4, 0
	v_mov_b32_e32 v2, v1
	s_and_b32 s9, s10, 28
	s_add_u32 s0, s6, 0xc4
	s_addc_u32 s1, s7, 0
	s_mov_b32 s11, 0
	s_mov_b64 s[2:3], s[6:7]
.LBB57_1132:                            ; =>This Inner Loop Header: Depth=1
	s_clause 0x1
	s_load_dwordx8 s[16:23], s[2:3], 0x4
	s_load_dwordx4 s[28:31], s[2:3], 0x24
	s_load_dwordx8 s[36:43], s[0:1], 0x0
	s_add_u32 s2, s2, 48
	s_addc_u32 s3, s3, 0
	s_add_i32 s11, s11, 4
	s_add_u32 s0, s0, 32
	s_addc_u32 s1, s1, 0
	s_cmp_lg_u32 s9, s11
	s_waitcnt lgkmcnt(0)
	v_mul_hi_u32 v3, s17, v2
	v_add_nc_u32_e32 v3, v2, v3
	v_lshrrev_b32_e32 v3, s18, v3
	v_mul_hi_u32 v5, s20, v3
	v_mul_lo_u32 v9, v3, s16
	v_add_nc_u32_e32 v5, v3, v5
	v_sub_nc_u32_e32 v2, v2, v9
	v_lshrrev_b32_e32 v5, s21, v5
	v_mul_lo_u32 v9, v2, s36
	v_mul_lo_u32 v12, v2, s37
	v_mul_hi_u32 v7, s23, v5
	v_add_nc_u32_e32 v7, v5, v7
	v_lshrrev_b32_e32 v7, s28, v7
	v_mul_hi_u32 v10, s30, v7
	v_mul_lo_u32 v14, v7, s22
	v_add_nc_u32_e32 v2, v7, v10
	v_mul_lo_u32 v10, v5, s19
	v_sub_nc_u32_e32 v5, v5, v14
	v_lshrrev_b32_e32 v2, s31, v2
	v_mul_lo_u32 v14, v5, s40
	v_mul_lo_u32 v5, v5, s41
	v_sub_nc_u32_e32 v3, v3, v10
	v_mul_lo_u32 v16, v2, s29
	v_mul_lo_u32 v10, v3, s38
	v_mul_lo_u32 v3, v3, s39
	v_sub_nc_u32_e32 v7, v7, v16
	v_add3_u32 v4, v9, v4, v10
	v_mul_lo_u32 v16, v7, s42
	v_mul_lo_u32 v7, v7, s43
	v_add3_u32 v3, v12, v11, v3
	v_add3_u32 v4, v14, v4, v16
	;; [unrolled: 1-line block ×3, first 2 shown]
	s_cbranch_scc1 .LBB57_1132
; %bb.1133:
	s_and_b32 s10, s10, 3
	s_cmp_eq_u32 s10, 0
	s_cbranch_scc0 .LBB57_1137
	s_branch .LBB57_1139
.LBB57_1134:
	s_mov_b32 s8, -1
                                        ; implicit-def: $vgpr4
                                        ; implicit-def: $vgpr11
	s_branch .LBB57_1139
.LBB57_1135:
	s_waitcnt vmcnt(0)
	v_mov_b32_e32 v4, 0
	v_mov_b32_e32 v11, 0
	s_branch .LBB57_1139
.LBB57_1136:
	s_waitcnt vmcnt(0)
	v_mov_b32_e32 v4, 0
	v_mov_b32_e32 v11, 0
	;; [unrolled: 1-line block ×3, first 2 shown]
	s_mov_b32 s9, 0
	s_and_b32 s10, s10, 3
	s_cmp_eq_u32 s10, 0
	s_cbranch_scc1 .LBB57_1139
.LBB57_1137:
	s_lshl_b32 s0, s9, 3
	s_mul_i32 s2, s9, 12
	s_add_u32 s0, s6, s0
	s_addc_u32 s1, s7, 0
	s_add_u32 s0, s0, 0xc4
	s_addc_u32 s1, s1, 0
	;; [unrolled: 2-line block ×3, first 2 shown]
	.p2align	6
.LBB57_1138:                            ; =>This Inner Loop Header: Depth=1
	s_clause 0x1
	s_load_dwordx2 s[14:15], s[2:3], 0x4
	s_load_dword s9, s[2:3], 0xc
	s_load_dwordx2 s[16:17], s[0:1], 0x0
	s_add_u32 s2, s2, 12
	s_addc_u32 s3, s3, 0
	s_add_u32 s0, s0, 8
	s_addc_u32 s1, s1, 0
	s_add_i32 s10, s10, -1
	s_cmp_lg_u32 s10, 0
	s_waitcnt lgkmcnt(0)
	v_mul_hi_u32 v3, s15, v2
	v_add_nc_u32_e32 v3, v2, v3
	v_lshrrev_b32_e32 v3, s9, v3
	v_mul_lo_u32 v5, v3, s14
	v_sub_nc_u32_e32 v2, v2, v5
	v_mad_u64_u32 v[4:5], null, v2, s16, v[4:5]
	v_mad_u64_u32 v[11:12], null, v2, s17, v[11:12]
	v_mov_b32_e32 v2, v3
	s_cbranch_scc1 .LBB57_1138
.LBB57_1139:
	s_andn2_b32 vcc_lo, exec_lo, s8
	s_cbranch_vccnz .LBB57_1142
; %bb.1140:
	s_clause 0x1
	s_load_dwordx4 s[0:3], s[6:7], 0x4
	s_load_dwordx2 s[8:9], s[6:7], 0xc4
	s_cmp_lt_u32 s24, 2
	s_waitcnt lgkmcnt(0)
	v_mul_hi_u32 v2, s1, v1
	v_add_nc_u32_e32 v2, v1, v2
	v_lshrrev_b32_e32 v2, s2, v2
	s_waitcnt vmcnt(0)
	v_mul_lo_u32 v3, v2, s0
	v_sub_nc_u32_e32 v1, v1, v3
	v_mul_lo_u32 v4, v1, s8
	v_mul_lo_u32 v11, v1, s9
	s_cbranch_scc1 .LBB57_1142
; %bb.1141:
	s_clause 0x1
	s_load_dwordx4 s[0:3], s[6:7], 0x10
	s_load_dwordx2 s[8:9], s[6:7], 0xcc
	s_waitcnt lgkmcnt(0)
	v_mul_hi_u32 v1, s1, v2
	v_add_nc_u32_e32 v1, v2, v1
	v_lshrrev_b32_e32 v1, s2, v1
	v_mul_lo_u32 v1, v1, s0
	v_sub_nc_u32_e32 v1, v2, v1
	v_mad_u64_u32 v[4:5], null, v1, s8, v[4:5]
	v_mad_u64_u32 v[11:12], null, v1, s9, v[11:12]
.LBB57_1142:
	v_cmp_ne_u32_e32 vcc_lo, 1, v0
	v_add_nc_u32_e32 v1, 0x100, v8
	s_cbranch_vccnz .LBB57_1148
; %bb.1143:
	s_cmp_lg_u32 s24, 0
	s_mov_b32 s8, 0
	s_cbranch_scc0 .LBB57_1149
; %bb.1144:
	s_min_u32 s10, s25, 15
	s_add_i32 s10, s10, 1
	s_cmp_eq_u32 s25, 2
	s_cbranch_scc1 .LBB57_1150
; %bb.1145:
	v_mov_b32_e32 v9, 0
	v_mov_b32_e32 v2, 0
	s_waitcnt vmcnt(0)
	v_mov_b32_e32 v3, v1
	s_and_b32 s9, s10, 28
	s_add_u32 s0, s6, 0xc4
	s_addc_u32 s1, s7, 0
	s_mov_b32 s11, 0
	s_mov_b64 s[2:3], s[6:7]
.LBB57_1146:                            ; =>This Inner Loop Header: Depth=1
	s_clause 0x1
	s_load_dwordx8 s[16:23], s[2:3], 0x4
	s_load_dwordx4 s[28:31], s[2:3], 0x24
	s_load_dwordx8 s[36:43], s[0:1], 0x0
	s_add_u32 s2, s2, 48
	s_addc_u32 s3, s3, 0
	s_add_i32 s11, s11, 4
	s_add_u32 s0, s0, 32
	s_addc_u32 s1, s1, 0
	s_cmp_lg_u32 s9, s11
	s_waitcnt lgkmcnt(0)
	v_mul_hi_u32 v5, s17, v3
	v_add_nc_u32_e32 v5, v3, v5
	v_lshrrev_b32_e32 v5, s18, v5
	v_mul_hi_u32 v7, s20, v5
	v_mul_lo_u32 v10, v5, s16
	v_add_nc_u32_e32 v7, v5, v7
	v_sub_nc_u32_e32 v3, v3, v10
	v_lshrrev_b32_e32 v7, s21, v7
	v_mul_lo_u32 v10, v3, s36
	v_mul_lo_u32 v14, v3, s37
	v_mul_hi_u32 v8, s23, v7
	v_add_nc_u32_e32 v8, v7, v8
	v_lshrrev_b32_e32 v8, s28, v8
	v_mul_hi_u32 v12, s30, v8
	v_mul_lo_u32 v16, v8, s22
	v_add_nc_u32_e32 v3, v8, v12
	v_mul_lo_u32 v12, v7, s19
	v_sub_nc_u32_e32 v7, v7, v16
	v_lshrrev_b32_e32 v3, s31, v3
	v_mul_lo_u32 v16, v7, s40
	v_mul_lo_u32 v7, v7, s41
	v_sub_nc_u32_e32 v5, v5, v12
	v_mul_lo_u32 v17, v3, s29
	v_mul_lo_u32 v12, v5, s38
	;; [unrolled: 1-line block ×3, first 2 shown]
	v_sub_nc_u32_e32 v8, v8, v17
	v_add3_u32 v2, v10, v2, v12
	v_mul_lo_u32 v17, v8, s42
	v_mul_lo_u32 v8, v8, s43
	v_add3_u32 v5, v14, v9, v5
	v_add3_u32 v2, v16, v2, v17
	;; [unrolled: 1-line block ×3, first 2 shown]
	s_cbranch_scc1 .LBB57_1146
; %bb.1147:
	s_and_b32 s10, s10, 3
	s_cmp_eq_u32 s10, 0
	s_cbranch_scc0 .LBB57_1151
	s_branch .LBB57_1153
.LBB57_1148:
	s_mov_b32 s8, -1
                                        ; implicit-def: $vgpr2
                                        ; implicit-def: $vgpr9
	s_branch .LBB57_1153
.LBB57_1149:
	v_mov_b32_e32 v2, 0
	v_mov_b32_e32 v9, 0
	s_branch .LBB57_1153
.LBB57_1150:
	v_mov_b32_e32 v2, 0
	v_mov_b32_e32 v9, 0
	s_waitcnt vmcnt(0)
	v_mov_b32_e32 v3, v1
	s_mov_b32 s9, 0
	s_and_b32 s10, s10, 3
	s_cmp_eq_u32 s10, 0
	s_cbranch_scc1 .LBB57_1153
.LBB57_1151:
	s_lshl_b32 s0, s9, 3
	s_mul_i32 s2, s9, 12
	s_add_u32 s0, s6, s0
	s_addc_u32 s1, s7, 0
	s_add_u32 s0, s0, 0xc4
	s_addc_u32 s1, s1, 0
	;; [unrolled: 2-line block ×3, first 2 shown]
	.p2align	6
.LBB57_1152:                            ; =>This Inner Loop Header: Depth=1
	s_clause 0x1
	s_load_dwordx2 s[14:15], s[2:3], 0x4
	s_load_dword s9, s[2:3], 0xc
	s_load_dwordx2 s[16:17], s[0:1], 0x0
	s_add_u32 s2, s2, 12
	s_addc_u32 s3, s3, 0
	s_add_u32 s0, s0, 8
	s_addc_u32 s1, s1, 0
	s_add_i32 s10, s10, -1
	s_cmp_lg_u32 s10, 0
	s_waitcnt lgkmcnt(0)
	v_mul_hi_u32 v5, s15, v3
	v_add_nc_u32_e32 v5, v3, v5
	v_lshrrev_b32_e32 v5, s9, v5
	v_mul_lo_u32 v7, v5, s14
	v_sub_nc_u32_e32 v7, v3, v7
	v_mad_u64_u32 v[2:3], null, v7, s16, v[2:3]
	v_mad_u64_u32 v[9:10], null, v7, s17, v[9:10]
	v_mov_b32_e32 v3, v5
	s_cbranch_scc1 .LBB57_1152
.LBB57_1153:
	s_andn2_b32 vcc_lo, exec_lo, s8
	s_cbranch_vccnz .LBB57_1156
; %bb.1154:
	s_clause 0x1
	s_load_dwordx4 s[0:3], s[6:7], 0x4
	s_load_dwordx2 s[8:9], s[6:7], 0xc4
	s_cmp_lt_u32 s24, 2
	s_waitcnt lgkmcnt(0)
	v_mul_hi_u32 v2, s1, v1
	v_add_nc_u32_e32 v2, v1, v2
	s_waitcnt vmcnt(0)
	v_lshrrev_b32_e32 v3, s2, v2
	v_mul_lo_u32 v2, v3, s0
	v_sub_nc_u32_e32 v1, v1, v2
	v_mul_lo_u32 v2, v1, s8
	v_mul_lo_u32 v9, v1, s9
	s_cbranch_scc1 .LBB57_1156
; %bb.1155:
	s_clause 0x1
	s_load_dwordx4 s[0:3], s[6:7], 0x10
	s_load_dwordx2 s[8:9], s[6:7], 0xcc
	s_waitcnt lgkmcnt(0)
	v_mul_hi_u32 v1, s1, v3
	v_add_nc_u32_e32 v1, v3, v1
	v_lshrrev_b32_e32 v1, s2, v1
	v_mul_lo_u32 v1, v1, s0
	v_sub_nc_u32_e32 v1, v3, v1
	v_mad_u64_u32 v[2:3], null, v1, s8, v[2:3]
	v_mad_u64_u32 v[9:10], null, v1, s9, v[9:10]
.LBB57_1156:
	v_cmp_ne_u32_e32 vcc_lo, 1, v0
	s_cbranch_vccnz .LBB57_1162
; %bb.1157:
	s_cmp_lg_u32 s24, 0
	s_mov_b32 s8, 0
	s_cbranch_scc0 .LBB57_1163
; %bb.1158:
	s_min_u32 s10, s25, 15
	s_add_i32 s10, s10, 1
	s_cmp_eq_u32 s25, 2
	s_cbranch_scc1 .LBB57_1164
; %bb.1159:
	v_mov_b32_e32 v7, 0
	v_mov_b32_e32 v0, 0
	;; [unrolled: 1-line block ×3, first 2 shown]
	s_and_b32 s9, s10, 28
	s_add_u32 s0, s6, 0xc4
	s_addc_u32 s1, s7, 0
	s_mov_b32 s11, 0
	s_mov_b64 s[2:3], s[6:7]
.LBB57_1160:                            ; =>This Inner Loop Header: Depth=1
	s_clause 0x1
	s_load_dwordx8 s[16:23], s[2:3], 0x4
	s_load_dwordx4 s[28:31], s[2:3], 0x24
	s_load_dwordx8 s[36:43], s[0:1], 0x0
	s_add_u32 s2, s2, 48
	s_addc_u32 s3, s3, 0
	s_add_i32 s11, s11, 4
	s_add_u32 s0, s0, 32
	s_addc_u32 s1, s1, 0
	s_cmp_lg_u32 s9, s11
	s_waitcnt vmcnt(0) lgkmcnt(0)
	v_mul_hi_u32 v3, s17, v1
	v_add_nc_u32_e32 v3, v1, v3
	v_lshrrev_b32_e32 v3, s18, v3
	v_mul_hi_u32 v5, s20, v3
	v_mul_lo_u32 v10, v3, s16
	v_add_nc_u32_e32 v5, v3, v5
	v_sub_nc_u32_e32 v1, v1, v10
	v_lshrrev_b32_e32 v5, s21, v5
	v_mul_lo_u32 v10, v1, s36
	v_mul_lo_u32 v14, v1, s37
	v_mul_hi_u32 v8, s23, v5
	v_add_nc_u32_e32 v8, v5, v8
	v_lshrrev_b32_e32 v8, s28, v8
	v_mul_hi_u32 v12, s30, v8
	v_mul_lo_u32 v16, v8, s22
	v_add_nc_u32_e32 v1, v8, v12
	v_mul_lo_u32 v12, v5, s19
	v_sub_nc_u32_e32 v5, v5, v16
	v_lshrrev_b32_e32 v1, s31, v1
	v_mul_lo_u32 v16, v5, s40
	v_mul_lo_u32 v5, v5, s41
	v_sub_nc_u32_e32 v3, v3, v12
	v_mul_lo_u32 v17, v1, s29
	v_mul_lo_u32 v12, v3, s38
	v_mul_lo_u32 v3, v3, s39
	v_sub_nc_u32_e32 v8, v8, v17
	v_add3_u32 v0, v10, v0, v12
	v_mul_lo_u32 v17, v8, s42
	v_mul_lo_u32 v8, v8, s43
	v_add3_u32 v3, v14, v7, v3
	v_add3_u32 v0, v16, v0, v17
	;; [unrolled: 1-line block ×3, first 2 shown]
	s_cbranch_scc1 .LBB57_1160
; %bb.1161:
	s_and_b32 s10, s10, 3
	s_cmp_eq_u32 s10, 0
	s_cbranch_scc0 .LBB57_1165
	s_branch .LBB57_1167
.LBB57_1162:
	s_mov_b32 s8, -1
                                        ; implicit-def: $vgpr0
                                        ; implicit-def: $vgpr7
	s_branch .LBB57_1167
.LBB57_1163:
	v_mov_b32_e32 v0, 0
	v_mov_b32_e32 v7, 0
	s_branch .LBB57_1167
.LBB57_1164:
	v_mov_b32_e32 v0, 0
	v_mov_b32_e32 v7, 0
	;; [unrolled: 1-line block ×3, first 2 shown]
	s_mov_b32 s9, 0
	s_and_b32 s10, s10, 3
	s_cmp_eq_u32 s10, 0
	s_cbranch_scc1 .LBB57_1167
.LBB57_1165:
	s_lshl_b32 s0, s9, 3
	s_mul_i32 s2, s9, 12
	s_add_u32 s0, s6, s0
	s_addc_u32 s1, s7, 0
	s_add_u32 s0, s0, 0xc4
	s_addc_u32 s1, s1, 0
	;; [unrolled: 2-line block ×3, first 2 shown]
	.p2align	6
.LBB57_1166:                            ; =>This Inner Loop Header: Depth=1
	s_clause 0x1
	s_load_dwordx2 s[14:15], s[2:3], 0x4
	s_load_dword s9, s[2:3], 0xc
	s_load_dwordx2 s[16:17], s[0:1], 0x0
	s_add_u32 s2, s2, 12
	s_addc_u32 s3, s3, 0
	s_add_u32 s0, s0, 8
	s_addc_u32 s1, s1, 0
	s_add_i32 s10, s10, -1
	s_cmp_lg_u32 s10, 0
	s_waitcnt vmcnt(0) lgkmcnt(0)
	v_mul_hi_u32 v3, s15, v1
	v_add_nc_u32_e32 v3, v1, v3
	v_lshrrev_b32_e32 v3, s9, v3
	v_mul_lo_u32 v5, v3, s14
	v_sub_nc_u32_e32 v5, v1, v5
	v_mad_u64_u32 v[0:1], null, v5, s16, v[0:1]
	v_mad_u64_u32 v[7:8], null, v5, s17, v[7:8]
	v_mov_b32_e32 v1, v3
	s_cbranch_scc1 .LBB57_1166
.LBB57_1167:
	s_andn2_b32 vcc_lo, exec_lo, s8
	s_cbranch_vccnz .LBB57_1170
; %bb.1168:
	s_clause 0x1
	s_load_dwordx4 s[0:3], s[6:7], 0x4
	s_load_dwordx2 s[8:9], s[6:7], 0xc4
	s_cmp_lt_u32 s24, 2
	s_waitcnt lgkmcnt(0)
	v_mul_hi_u32 v0, s1, v15
	v_add_nc_u32_e32 v0, v15, v0
	v_lshrrev_b32_e32 v1, s2, v0
	v_mul_lo_u32 v0, v1, s0
	s_waitcnt vmcnt(0)
	v_sub_nc_u32_e32 v3, v15, v0
	v_mul_lo_u32 v0, v3, s8
	v_mul_lo_u32 v7, v3, s9
	s_cbranch_scc1 .LBB57_1170
; %bb.1169:
	s_clause 0x1
	s_load_dwordx4 s[0:3], s[6:7], 0x10
	s_load_dwordx2 s[8:9], s[6:7], 0xcc
	s_waitcnt lgkmcnt(0)
	v_mul_hi_u32 v3, s1, v1
	v_add_nc_u32_e32 v3, v1, v3
	v_lshrrev_b32_e32 v3, s2, v3
	v_mul_lo_u32 v3, v3, s0
	v_sub_nc_u32_e32 v3, v1, v3
	v_mad_u64_u32 v[0:1], null, v3, s8, v[0:1]
	v_mad_u64_u32 v[7:8], null, v3, s9, v[7:8]
.LBB57_1170:
	s_clause 0x1
	s_load_dwordx4 s[8:11], s[6:7], 0x148
	s_load_dword s5, s[4:5], 0x160
	s_waitcnt lgkmcnt(0)
	v_add_co_u32 v12, s0, s10, v13
	v_add_co_ci_u32_e64 v13, null, s11, 0, s0
	s_bfe_u32 s0, s5, 0x80010
	s_cmp_lt_i32 s0, 11
	s_cbranch_scc1 .LBB57_1177
; %bb.1171:
	s_and_b32 s1, 0xffff, s0
	s_mov_b32 s3, 0
	s_cmp_gt_i32 s1, 25
	s_cbranch_scc0 .LBB57_1179
; %bb.1172:
	s_cmp_gt_i32 s1, 28
	s_cbranch_scc0 .LBB57_1180
; %bb.1173:
	;; [unrolled: 3-line block ×4, first 2 shown]
	s_cmp_eq_u32 s1, 46
	s_mov_b32 s4, 0
	s_cbranch_scc0 .LBB57_1185
; %bb.1176:
	global_load_dword v1, v[12:13], off
	s_mov_b32 s2, 0
	s_mov_b32 s6, -1
	s_waitcnt vmcnt(0)
	v_lshlrev_b32_e32 v1, 16, v1
	s_branch .LBB57_1187
.LBB57_1177:
	s_mov_b32 s6, 0
	s_mov_b32 s4, s12
                                        ; implicit-def: $vgpr1
	s_cbranch_execnz .LBB57_1250
.LBB57_1178:
	s_andn2_b32 vcc_lo, exec_lo, s6
	s_cbranch_vccz .LBB57_1295
	s_branch .LBB57_2143
.LBB57_1179:
	s_mov_b32 s6, 0
	s_mov_b32 s2, 0
                                        ; implicit-def: $vgpr1
	s_cbranch_execnz .LBB57_1215
	s_branch .LBB57_1246
.LBB57_1180:
	s_mov_b32 s4, -1
	s_mov_b32 s6, 0
	s_mov_b32 s2, 0
                                        ; implicit-def: $vgpr1
	s_branch .LBB57_1196
.LBB57_1181:
	s_mov_b32 s6, 0
	s_mov_b32 s2, 0
                                        ; implicit-def: $vgpr1
	s_cbranch_execnz .LBB57_1192
	s_branch .LBB57_1195
.LBB57_1182:
	s_mov_b32 s4, -1
	s_mov_b32 s6, 0
	s_mov_b32 s2, 0
	s_branch .LBB57_1186
.LBB57_1183:
	s_andn2_saveexec_b32 s9, s9
	s_cbranch_execz .LBB57_1026
.LBB57_1184:
	v_add_f32_e64 v0, 0x46000000, |v3|
	s_andn2_b32 s8, s8, exec_lo
	v_and_b32_e32 v0, 0xff, v0
	v_cmp_ne_u32_e32 vcc_lo, 0, v0
	s_and_b32 s12, vcc_lo, exec_lo
	s_or_b32 s8, s8, s12
	s_or_b32 exec_lo, exec_lo, s9
	v_mov_b32_e32 v4, 0
	s_and_saveexec_b32 s9, s8
	s_cbranch_execnz .LBB57_1027
	s_branch .LBB57_1028
.LBB57_1185:
	s_mov_b32 s2, -1
	s_mov_b32 s6, 0
.LBB57_1186:
                                        ; implicit-def: $vgpr1
.LBB57_1187:
	s_and_b32 vcc_lo, exec_lo, s4
	s_cbranch_vccz .LBB57_1190
; %bb.1188:
	s_cmp_eq_u32 s1, 44
	s_cbranch_scc0 .LBB57_1191
; %bb.1189:
	global_load_ubyte v1, v[12:13], off
	s_mov_b32 s2, 0
	s_mov_b32 s6, -1
	s_waitcnt vmcnt(0)
	v_lshlrev_b32_e32 v3, 23, v1
	v_cmp_ne_u32_e32 vcc_lo, 0xff, v1
	v_cndmask_b32_e32 v3, 0x7f800001, v3, vcc_lo
	v_cmp_ne_u32_e32 vcc_lo, 0, v1
	v_cndmask_b32_e32 v1, 0x400000, v3, vcc_lo
.LBB57_1190:
	s_branch .LBB57_1195
.LBB57_1191:
	s_mov_b32 s2, -1
                                        ; implicit-def: $vgpr1
	s_branch .LBB57_1195
.LBB57_1192:
	s_cmp_eq_u32 s1, 29
	s_cbranch_scc0 .LBB57_1194
; %bb.1193:
	global_load_dwordx2 v[14:15], v[12:13], off
	s_mov_b32 s2, 0
	s_mov_b32 s6, -1
	s_mov_b32 s4, 0
	s_waitcnt vmcnt(0)
	v_ffbh_u32_e32 v1, v15
	v_min_u32_e32 v1, 32, v1
	v_lshlrev_b64 v[14:15], v1, v[14:15]
	v_sub_nc_u32_e32 v1, 32, v1
	v_min_u32_e32 v3, 1, v14
	v_or_b32_e32 v3, v15, v3
	v_cvt_f32_u32_e32 v3, v3
	v_ldexp_f32 v1, v3, v1
	s_branch .LBB57_1196
.LBB57_1194:
	s_mov_b32 s2, -1
                                        ; implicit-def: $vgpr1
.LBB57_1195:
	s_mov_b32 s4, 0
.LBB57_1196:
	s_and_b32 vcc_lo, exec_lo, s4
	s_cbranch_vccz .LBB57_1214
; %bb.1197:
	s_cmp_lt_i32 s1, 27
	s_cbranch_scc1 .LBB57_1200
; %bb.1198:
	s_cmp_gt_i32 s1, 27
	s_cbranch_scc0 .LBB57_1201
; %bb.1199:
	global_load_dword v1, v[12:13], off
	s_mov_b32 s4, 0
	s_waitcnt vmcnt(0)
	v_cvt_f32_u32_e32 v1, v1
	s_branch .LBB57_1202
.LBB57_1200:
	s_mov_b32 s4, -1
                                        ; implicit-def: $vgpr1
	s_branch .LBB57_1205
.LBB57_1201:
	s_mov_b32 s4, -1
                                        ; implicit-def: $vgpr1
.LBB57_1202:
	s_andn2_b32 vcc_lo, exec_lo, s4
	s_cbranch_vccnz .LBB57_1204
; %bb.1203:
	global_load_ushort v1, v[12:13], off
	s_waitcnt vmcnt(0)
	v_cvt_f32_u32_e32 v1, v1
.LBB57_1204:
	s_mov_b32 s4, 0
.LBB57_1205:
	s_andn2_b32 vcc_lo, exec_lo, s4
	s_cbranch_vccnz .LBB57_1213
; %bb.1206:
	global_load_ubyte v3, v[12:13], off
	s_mov_b32 s4, 0
	s_mov_b32 s6, exec_lo
	s_waitcnt vmcnt(0)
	v_cmpx_lt_i16_e32 0x7f, v3
	s_xor_b32 s6, exec_lo, s6
	s_cbranch_execz .LBB57_1226
; %bb.1207:
	s_mov_b32 s4, -1
	s_mov_b32 s7, exec_lo
	v_cmpx_eq_u16_e32 0x80, v3
; %bb.1208:
	s_xor_b32 s4, exec_lo, -1
; %bb.1209:
	s_or_b32 exec_lo, exec_lo, s7
	s_and_b32 s4, s4, exec_lo
	s_or_saveexec_b32 s6, s6
	v_mov_b32_e32 v1, 0x7f800001
	s_xor_b32 exec_lo, exec_lo, s6
	s_cbranch_execnz .LBB57_1227
.LBB57_1210:
	s_or_b32 exec_lo, exec_lo, s6
	s_and_saveexec_b32 s6, s4
	s_cbranch_execz .LBB57_1212
.LBB57_1211:
	v_and_b32_e32 v1, 0xffff, v3
	v_lshlrev_b32_e32 v3, 24, v3
	v_and_b32_e32 v5, 7, v1
	v_bfe_u32 v14, v1, 3, 4
	v_and_b32_e32 v3, 0x80000000, v3
	v_ffbh_u32_e32 v8, v5
	v_cmp_eq_u32_e32 vcc_lo, 0, v14
	v_min_u32_e32 v8, 32, v8
	v_subrev_nc_u32_e32 v10, 28, v8
	v_sub_nc_u32_e32 v8, 29, v8
	v_lshlrev_b32_e32 v1, v10, v1
	v_cndmask_b32_e32 v8, v14, v8, vcc_lo
	v_and_b32_e32 v1, 7, v1
	v_cndmask_b32_e32 v1, v5, v1, vcc_lo
	v_lshl_add_u32 v5, v8, 23, 0x3b800000
	v_lshlrev_b32_e32 v1, 20, v1
	v_or3_b32 v1, v3, v5, v1
.LBB57_1212:
	s_or_b32 exec_lo, exec_lo, s6
.LBB57_1213:
	s_mov_b32 s6, -1
.LBB57_1214:
	s_branch .LBB57_1246
.LBB57_1215:
	s_cmp_gt_i32 s1, 22
	s_cbranch_scc0 .LBB57_1225
; %bb.1216:
	s_cmp_lt_i32 s1, 24
	s_cbranch_scc1 .LBB57_1228
; %bb.1217:
	s_cmp_gt_i32 s1, 24
	s_cbranch_scc0 .LBB57_1229
; %bb.1218:
	global_load_ubyte v3, v[12:13], off
	s_mov_b32 s4, exec_lo
	s_waitcnt vmcnt(0)
	v_cmpx_lt_i16_e32 0x7f, v3
	s_xor_b32 s4, exec_lo, s4
	s_cbranch_execz .LBB57_1240
; %bb.1219:
	s_mov_b32 s3, -1
	s_mov_b32 s6, exec_lo
	v_cmpx_eq_u16_e32 0x80, v3
; %bb.1220:
	s_xor_b32 s3, exec_lo, -1
; %bb.1221:
	s_or_b32 exec_lo, exec_lo, s6
	s_and_b32 s3, s3, exec_lo
	s_or_saveexec_b32 s4, s4
	v_mov_b32_e32 v1, 0x7f800001
	s_xor_b32 exec_lo, exec_lo, s4
	s_cbranch_execnz .LBB57_1241
.LBB57_1222:
	s_or_b32 exec_lo, exec_lo, s4
	s_and_saveexec_b32 s4, s3
	s_cbranch_execz .LBB57_1224
.LBB57_1223:
	v_and_b32_e32 v1, 0xffff, v3
	v_lshlrev_b32_e32 v3, 24, v3
	v_and_b32_e32 v5, 3, v1
	v_bfe_u32 v14, v1, 2, 5
	v_and_b32_e32 v3, 0x80000000, v3
	v_ffbh_u32_e32 v8, v5
	v_cmp_eq_u32_e32 vcc_lo, 0, v14
	v_min_u32_e32 v8, 32, v8
	v_subrev_nc_u32_e32 v10, 29, v8
	v_sub_nc_u32_e32 v8, 30, v8
	v_lshlrev_b32_e32 v1, v10, v1
	v_cndmask_b32_e32 v8, v14, v8, vcc_lo
	v_and_b32_e32 v1, 3, v1
	v_cndmask_b32_e32 v1, v5, v1, vcc_lo
	v_lshl_add_u32 v5, v8, 23, 0x37800000
	v_lshlrev_b32_e32 v1, 21, v1
	v_or3_b32 v1, v3, v5, v1
.LBB57_1224:
	s_or_b32 exec_lo, exec_lo, s4
	s_mov_b32 s3, 0
	s_branch .LBB57_1230
.LBB57_1225:
                                        ; implicit-def: $vgpr1
	s_mov_b32 s3, 0
	s_branch .LBB57_1236
.LBB57_1226:
	s_or_saveexec_b32 s6, s6
	v_mov_b32_e32 v1, 0x7f800001
	s_xor_b32 exec_lo, exec_lo, s6
	s_cbranch_execz .LBB57_1210
.LBB57_1227:
	v_cmp_ne_u16_e32 vcc_lo, 0, v3
	v_mov_b32_e32 v1, 0
	s_andn2_b32 s4, s4, exec_lo
	s_and_b32 s7, vcc_lo, exec_lo
	s_or_b32 s4, s4, s7
	s_or_b32 exec_lo, exec_lo, s6
	s_and_saveexec_b32 s6, s4
	s_cbranch_execnz .LBB57_1211
	s_branch .LBB57_1212
.LBB57_1228:
	s_mov_b32 s3, -1
                                        ; implicit-def: $vgpr1
	s_branch .LBB57_1233
.LBB57_1229:
	s_mov_b32 s3, -1
                                        ; implicit-def: $vgpr1
.LBB57_1230:
	s_and_b32 vcc_lo, exec_lo, s3
	s_cbranch_vccz .LBB57_1232
; %bb.1231:
	global_load_ubyte v1, v[12:13], off
	s_waitcnt vmcnt(0)
	v_lshlrev_b32_e32 v1, 24, v1
	v_and_b32_e32 v3, 0x7f000000, v1
	v_ffbh_u32_e32 v5, v3
	v_add_nc_u32_e32 v10, 0x1000000, v3
	v_cmp_ne_u32_e32 vcc_lo, 0, v3
	v_min_u32_e32 v5, 32, v5
	v_sub_nc_u32_e64 v5, v5, 4 clamp
	v_lshlrev_b32_e32 v8, v5, v3
	v_lshlrev_b32_e32 v5, 23, v5
	v_lshrrev_b32_e32 v8, 4, v8
	v_sub_nc_u32_e32 v5, v8, v5
	v_ashrrev_i32_e32 v8, 8, v10
	v_add_nc_u32_e32 v5, 0x3c000000, v5
	v_and_or_b32 v5, 0x7f800000, v8, v5
	v_cndmask_b32_e32 v3, 0, v5, vcc_lo
	v_and_or_b32 v1, 0x80000000, v1, v3
.LBB57_1232:
	s_mov_b32 s3, 0
.LBB57_1233:
	s_andn2_b32 vcc_lo, exec_lo, s3
	s_cbranch_vccnz .LBB57_1235
; %bb.1234:
	global_load_ubyte v1, v[12:13], off
	s_waitcnt vmcnt(0)
	v_lshlrev_b32_e32 v3, 25, v1
	v_lshlrev_b16 v1, 8, v1
	v_lshrrev_b32_e32 v5, 4, v3
	v_and_or_b32 v8, 0x7f00, v1, 0.5
	v_cmp_gt_u32_e32 vcc_lo, 0x8000000, v3
	v_bfe_i32 v1, v1, 0, 16
	v_or_b32_e32 v5, 0x70000000, v5
	v_add_f32_e32 v8, -0.5, v8
	v_mul_f32_e32 v5, 0x7800000, v5
	v_cndmask_b32_e32 v3, v5, v8, vcc_lo
	v_and_or_b32 v1, 0x80000000, v1, v3
.LBB57_1235:
	s_mov_b32 s6, -1
	s_mov_b32 s3, 0
	s_cbranch_execnz .LBB57_1246
.LBB57_1236:
	s_cmp_gt_i32 s1, 14
	s_cbranch_scc0 .LBB57_1239
; %bb.1237:
	s_cmp_eq_u32 s1, 15
	s_cbranch_scc0 .LBB57_1242
; %bb.1238:
	global_load_ushort v1, v[12:13], off
	s_mov_b32 s2, 0
	s_mov_b32 s6, -1
	s_waitcnt vmcnt(0)
	v_lshlrev_b32_e32 v1, 16, v1
	s_branch .LBB57_1244
.LBB57_1239:
	s_mov_b32 s3, -1
	s_branch .LBB57_1243
.LBB57_1240:
	s_or_saveexec_b32 s4, s4
	v_mov_b32_e32 v1, 0x7f800001
	s_xor_b32 exec_lo, exec_lo, s4
	s_cbranch_execz .LBB57_1222
.LBB57_1241:
	v_cmp_ne_u16_e32 vcc_lo, 0, v3
	v_mov_b32_e32 v1, 0
	s_andn2_b32 s3, s3, exec_lo
	s_and_b32 s6, vcc_lo, exec_lo
	s_or_b32 s3, s3, s6
	s_or_b32 exec_lo, exec_lo, s4
	s_and_saveexec_b32 s4, s3
	s_cbranch_execnz .LBB57_1223
	s_branch .LBB57_1224
.LBB57_1242:
	s_mov_b32 s2, -1
.LBB57_1243:
                                        ; implicit-def: $vgpr1
.LBB57_1244:
	s_and_b32 vcc_lo, exec_lo, s3
	s_mov_b32 s3, 0
	s_cbranch_vccz .LBB57_1246
; %bb.1245:
	s_cmp_lg_u32 s1, 11
	s_mov_b32 s3, -1
	s_cselect_b32 s2, -1, 0
.LBB57_1246:
	s_and_b32 vcc_lo, exec_lo, s2
	s_mov_b32 s4, s12
	s_cbranch_vccnz .LBB57_1313
; %bb.1247:
	s_andn2_b32 vcc_lo, exec_lo, s3
	s_cbranch_vccnz .LBB57_1249
.LBB57_1248:
	global_load_ubyte v1, v[12:13], off
	s_mov_b32 s6, -1
	s_waitcnt vmcnt(0)
	v_cmp_ne_u16_e32 vcc_lo, 0, v1
	v_cndmask_b32_e64 v1, 0, 1.0, vcc_lo
.LBB57_1249:
	s_branch .LBB57_1178
.LBB57_1250:
	s_and_b32 s0, 0xffff, s0
	s_cmp_lt_i32 s0, 5
	s_cbranch_scc1 .LBB57_1255
; %bb.1251:
	s_cmp_lt_i32 s0, 8
	s_cbranch_scc1 .LBB57_1256
; %bb.1252:
	;; [unrolled: 3-line block ×3, first 2 shown]
	s_cmp_gt_i32 s0, 9
	s_cbranch_scc0 .LBB57_1258
; %bb.1254:
	global_load_dwordx2 v[14:15], v[12:13], off
	s_mov_b32 s1, 0
	s_waitcnt vmcnt(0)
	v_cvt_f32_f64_e32 v1, v[14:15]
	s_branch .LBB57_1259
.LBB57_1255:
                                        ; implicit-def: $vgpr1
	s_branch .LBB57_1276
.LBB57_1256:
                                        ; implicit-def: $vgpr1
	s_branch .LBB57_1265
.LBB57_1257:
	s_mov_b32 s1, -1
                                        ; implicit-def: $vgpr1
	s_branch .LBB57_1262
.LBB57_1258:
	s_mov_b32 s1, -1
                                        ; implicit-def: $vgpr1
.LBB57_1259:
	s_andn2_b32 vcc_lo, exec_lo, s1
	s_cbranch_vccnz .LBB57_1261
; %bb.1260:
	global_load_dword v1, v[12:13], off
.LBB57_1261:
	s_mov_b32 s1, 0
.LBB57_1262:
	s_andn2_b32 vcc_lo, exec_lo, s1
	s_cbranch_vccnz .LBB57_1264
; %bb.1263:
	global_load_dword v1, v[12:13], off
	s_waitcnt vmcnt(0)
	v_cvt_f32_f16_e32 v1, v1
.LBB57_1264:
	s_cbranch_execnz .LBB57_1275
.LBB57_1265:
	s_cmp_lt_i32 s0, 6
	s_cbranch_scc1 .LBB57_1268
; %bb.1266:
	s_cmp_gt_i32 s0, 6
	s_cbranch_scc0 .LBB57_1269
; %bb.1267:
	global_load_dwordx2 v[14:15], v[12:13], off
	s_mov_b32 s1, 0
	s_waitcnt vmcnt(0)
	v_cvt_f32_f64_e32 v1, v[14:15]
	s_branch .LBB57_1270
.LBB57_1268:
	s_mov_b32 s1, -1
                                        ; implicit-def: $vgpr1
	s_branch .LBB57_1273
.LBB57_1269:
	s_mov_b32 s1, -1
                                        ; implicit-def: $vgpr1
.LBB57_1270:
	s_andn2_b32 vcc_lo, exec_lo, s1
	s_cbranch_vccnz .LBB57_1272
; %bb.1271:
	global_load_dword v1, v[12:13], off
.LBB57_1272:
	s_mov_b32 s1, 0
.LBB57_1273:
	s_andn2_b32 vcc_lo, exec_lo, s1
	s_cbranch_vccnz .LBB57_1275
; %bb.1274:
	global_load_ushort v1, v[12:13], off
	s_waitcnt vmcnt(0)
	v_cvt_f32_f16_e32 v1, v1
.LBB57_1275:
	s_cbranch_execnz .LBB57_1294
.LBB57_1276:
	s_cmp_lt_i32 s0, 2
	s_cbranch_scc1 .LBB57_1280
; %bb.1277:
	s_cmp_lt_i32 s0, 3
	s_cbranch_scc1 .LBB57_1281
; %bb.1278:
	s_cmp_gt_i32 s0, 3
	s_cbranch_scc0 .LBB57_1282
; %bb.1279:
	global_load_dwordx2 v[14:15], v[12:13], off
	s_mov_b32 s1, 0
	s_waitcnt vmcnt(0)
	v_xor_b32_e32 v1, v14, v15
	v_ffbh_i32_e32 v3, v15
	v_ashrrev_i32_e32 v1, 31, v1
	v_add_nc_u32_e32 v3, -1, v3
	v_add_nc_u32_e32 v1, 32, v1
	v_min_u32_e32 v1, v3, v1
	v_lshlrev_b64 v[14:15], v1, v[14:15]
	v_sub_nc_u32_e32 v1, 32, v1
	v_min_u32_e32 v3, 1, v14
	v_or_b32_e32 v3, v15, v3
	v_cvt_f32_i32_e32 v3, v3
	v_ldexp_f32 v1, v3, v1
	s_branch .LBB57_1283
.LBB57_1280:
                                        ; implicit-def: $vgpr1
	s_branch .LBB57_1289
.LBB57_1281:
	s_mov_b32 s1, -1
                                        ; implicit-def: $vgpr1
	s_branch .LBB57_1286
.LBB57_1282:
	s_mov_b32 s1, -1
                                        ; implicit-def: $vgpr1
.LBB57_1283:
	s_andn2_b32 vcc_lo, exec_lo, s1
	s_cbranch_vccnz .LBB57_1285
; %bb.1284:
	global_load_dword v1, v[12:13], off
	s_waitcnt vmcnt(0)
	v_cvt_f32_i32_e32 v1, v1
.LBB57_1285:
	s_mov_b32 s1, 0
.LBB57_1286:
	s_andn2_b32 vcc_lo, exec_lo, s1
	s_cbranch_vccnz .LBB57_1288
; %bb.1287:
	global_load_sshort v1, v[12:13], off
	s_waitcnt vmcnt(0)
	v_cvt_f32_i32_e32 v1, v1
.LBB57_1288:
	s_cbranch_execnz .LBB57_1294
.LBB57_1289:
	s_cmp_gt_i32 s0, 0
	s_mov_b32 s0, 0
	s_cbranch_scc0 .LBB57_1291
; %bb.1290:
	global_load_sbyte v1, v[12:13], off
	s_waitcnt vmcnt(0)
	v_cvt_f32_i32_e32 v1, v1
	s_branch .LBB57_1292
.LBB57_1291:
	s_mov_b32 s0, -1
                                        ; implicit-def: $vgpr1
.LBB57_1292:
	s_andn2_b32 vcc_lo, exec_lo, s0
	s_cbranch_vccnz .LBB57_1294
; %bb.1293:
	global_load_ubyte v1, v[12:13], off
	s_waitcnt vmcnt(0)
	v_cvt_f32_ubyte0_e32 v1, v1
.LBB57_1294:
.LBB57_1295:
	v_mov_b32_e32 v12, 0
	v_mov_b32_e32 v5, 1.0
	s_mov_b32 s2, exec_lo
	s_waitcnt vmcnt(0)
	v_cmpx_gt_f32_e32 0.5, v1
	s_cbranch_execz .LBB57_1301
; %bb.1296:
	v_mul_f32_e32 v3, 0x40490fdb, v1
                                        ; implicit-def: $vgpr10
                                        ; implicit-def: $vgpr8
	s_mov_b32 s1, exec_lo
	v_and_b32_e32 v5, 0x7fffffff, v3
	v_cmpx_ngt_f32_e64 0x48000000, |v3|
	s_xor_b32 s3, exec_lo, s1
	s_cbranch_execz .LBB57_1298
; %bb.1297:
	s_mov_b32 s0, 0x7fffff
	v_mov_b32_e32 v14, 0
	v_and_or_b32 v8, v5, s0, 0x800000
	v_lshrrev_b32_e32 v10, 23, v5
	v_mad_u64_u32 v[12:13], null, 0xfe5163ab, v8, 0
	v_add_nc_u32_e32 v10, 0xffffff88, v10
	v_cmp_lt_u32_e32 vcc_lo, 63, v10
	v_mad_u64_u32 v[15:16], null, 0x3c439041, v8, v[13:14]
	v_cndmask_b32_e64 v20, 0, 0xffffffc0, vcc_lo
	v_mov_b32_e32 v13, v16
	v_add_nc_u32_e32 v10, v20, v10
	v_mad_u64_u32 v[16:17], null, 0xdb629599, v8, v[13:14]
	v_cmp_lt_u32_e64 s0, 31, v10
	v_cndmask_b32_e64 v21, 0, 0xffffffe0, s0
	v_mov_b32_e32 v13, v17
	v_cndmask_b32_e32 v12, v16, v12, vcc_lo
	v_add_nc_u32_e32 v10, v21, v10
	v_mad_u64_u32 v[17:18], null, 0xf534ddc0, v8, v[13:14]
	v_cmp_lt_u32_e64 s1, 31, v10
	v_mov_b32_e32 v13, v18
	v_mad_u64_u32 v[18:19], null, 0xfc2757d1, v8, v[13:14]
	v_mov_b32_e32 v13, v19
	v_mad_u64_u32 v[19:20], null, 0x4e441529, v8, v[13:14]
	v_mov_b32_e32 v13, v20
	v_cndmask_b32_e32 v20, v19, v17, vcc_lo
	v_mad_u64_u32 v[13:14], null, 0xa2f9836e, v8, v[13:14]
	v_cndmask_b32_e64 v8, 0, 0xffffffe0, s1
	v_add_nc_u32_e32 v8, v8, v10
	v_cndmask_b32_e32 v13, v13, v18, vcc_lo
	v_cndmask_b32_e32 v14, v14, v19, vcc_lo
	;; [unrolled: 1-line block ×4, first 2 shown]
	v_sub_nc_u32_e32 v17, 32, v8
	v_cndmask_b32_e64 v15, v13, v20, s0
	v_cndmask_b32_e64 v13, v14, v13, s0
	;; [unrolled: 1-line block ×4, first 2 shown]
	v_cmp_eq_u32_e32 vcc_lo, 0, v8
	v_cndmask_b32_e64 v10, v10, v12, s0
	v_cndmask_b32_e64 v13, v13, v15, s1
	;; [unrolled: 1-line block ×5, first 2 shown]
	v_alignbit_b32 v19, v13, v15, v17
	v_alignbit_b32 v16, v15, v14, v17
	;; [unrolled: 1-line block ×3, first 2 shown]
	v_cndmask_b32_e32 v8, v19, v13, vcc_lo
	v_cndmask_b32_e32 v12, v16, v15, vcc_lo
	;; [unrolled: 1-line block ×3, first 2 shown]
	v_bfe_u32 v13, v8, 29, 1
	v_alignbit_b32 v15, v8, v12, 30
	v_alignbit_b32 v12, v12, v14, 30
	;; [unrolled: 1-line block ×3, first 2 shown]
	v_sub_nc_u32_e32 v16, 0, v13
	v_xor_b32_e32 v15, v15, v16
	v_xor_b32_e32 v12, v12, v16
	;; [unrolled: 1-line block ×3, first 2 shown]
	v_lshrrev_b32_e32 v16, 29, v8
	v_ffbh_u32_e32 v17, v15
	v_min_u32_e32 v17, 32, v17
	v_sub_nc_u32_e32 v14, 31, v17
	v_lshlrev_b32_e32 v18, 23, v17
	v_alignbit_b32 v15, v15, v12, v14
	v_alignbit_b32 v10, v12, v10, v14
	v_lshlrev_b32_e32 v12, 31, v16
	v_alignbit_b32 v14, v15, v10, 9
	v_or_b32_e32 v16, 0.5, v12
	v_lshrrev_b32_e32 v15, 9, v15
	v_or_b32_e32 v12, 0x33000000, v12
	v_ffbh_u32_e32 v19, v14
	v_sub_nc_u32_e32 v16, v16, v18
	v_min_u32_e32 v18, 32, v19
	v_or_b32_e32 v15, v15, v16
	v_not_b32_e32 v16, v18
	v_mul_f32_e32 v19, 0x3fc90fda, v15
	v_add_lshl_u32 v17, v18, v17, 23
	v_alignbit_b32 v10, v14, v10, v16
	v_fma_f32 v14, 0x3fc90fda, v15, -v19
	v_sub_nc_u32_e32 v12, v12, v17
	v_lshrrev_b32_e32 v10, 9, v10
	v_fmamk_f32 v14, v15, 0x33a22168, v14
	v_or_b32_e32 v10, v12, v10
	v_fmac_f32_e32 v14, 0x3fc90fda, v10
	v_lshrrev_b32_e32 v10, 30, v8
	v_add_f32_e32 v8, v19, v14
	v_add_nc_u32_e32 v10, v13, v10
.LBB57_1298:
	s_andn2_saveexec_b32 s0, s3
; %bb.1299:
	v_mul_f32_e64 v8, 0x3f22f983, |v3|
	v_rndne_f32_e32 v10, v8
	v_fma_f32 v8, 0xbfc90fda, v10, |v3|
	v_fmamk_f32 v8, v10, 0xb3a22168, v8
	v_fmamk_f32 v8, v10, 0xa7c234c4, v8
	v_cvt_i32_f32_e32 v10, v10
; %bb.1300:
	s_or_b32 exec_lo, exec_lo, s0
	v_mul_f32_e32 v12, v8, v8
	s_mov_b32 s0, 0xb94c1982
	s_mov_b32 s1, 0x37d75334
	v_and_b32_e32 v15, 1, v10
	v_lshlrev_b32_e32 v10, 30, v10
	v_fmaak_f32 v13, s0, v12, 0x3c0881c4
	v_fmaak_f32 v14, s1, v12, 0xbab64f3b
	v_xor_b32_e32 v5, v5, v3
	v_cmp_eq_u32_e32 vcc_lo, 0, v15
	v_and_b32_e32 v10, 0x80000000, v10
	v_fmaak_f32 v13, v12, v13, 0xbe2aaa9d
	v_fmaak_f32 v14, v12, v14, 0x3d2aabf7
	v_sub_f32_e32 v1, 1.0, v1
	v_mul_f32_e32 v13, v12, v13
	v_fmaak_f32 v14, v12, v14, 0xbf000004
	v_fmac_f32_e32 v8, v8, v13
	v_fma_f32 v12, v12, v14, 1.0
	v_cndmask_b32_e32 v8, v12, v8, vcc_lo
	v_cmp_class_f32_e64 vcc_lo, v3, 0x1f8
	v_xor3_b32 v5, v5, v10, v8
	v_cndmask_b32_e32 v3, 0x7fc00000, v5, vcc_lo
	v_mul_f32_e32 v3, v3, v3
	v_div_scale_f32 v5, null, v3, v3, 0xc11de9e7
	v_div_scale_f32 v12, vcc_lo, 0xc11de9e7, v3, 0xc11de9e7
	v_rcp_f32_e32 v8, v5
	v_fma_f32 v10, -v5, v8, 1.0
	v_fmac_f32_e32 v8, v10, v8
	v_mul_f32_e32 v10, v12, v8
	v_fma_f32 v13, -v5, v10, v12
	v_fmac_f32_e32 v10, v13, v8
	v_fma_f32 v5, -v5, v10, v12
	v_div_fmas_f32 v5, v5, v8, v10
	v_div_fixup_f32 v3, v5, v3, 0xc11de9e7
	v_mov_b32_e32 v5, -1.0
	v_add_f32_e32 v12, 0, v3
.LBB57_1301:
	s_or_b32 exec_lo, exec_lo, s2
	v_add_co_u32 v10, s1, s10, v11
	s_lshr_b32 s0, s5, 16
	v_add_co_ci_u32_e64 v11, null, s11, 0, s1
	s_and_b32 s2, s0, 0xff
	s_cmp_lt_i32 s2, 11
	s_cbranch_scc1 .LBB57_1308
; %bb.1302:
	s_and_b32 s0, 0xffff, s2
	s_mov_b32 s3, 0
	s_cmp_gt_i32 s0, 25
	s_cbranch_scc0 .LBB57_1310
; %bb.1303:
	s_cmp_gt_i32 s0, 28
	s_cbranch_scc0 .LBB57_1311
; %bb.1304:
	;; [unrolled: 3-line block ×4, first 2 shown]
	s_cmp_eq_u32 s0, 46
	s_mov_b32 s7, 0
	s_cbranch_scc0 .LBB57_1317
; %bb.1307:
	global_load_dword v3, v[10:11], off
	s_mov_b32 s1, 0
	s_mov_b32 s6, -1
	s_waitcnt vmcnt(0)
	v_lshlrev_b32_e32 v3, 16, v3
	s_branch .LBB57_1319
.LBB57_1308:
	s_mov_b32 s6, 0
                                        ; implicit-def: $vgpr3
	s_cbranch_execnz .LBB57_1384
.LBB57_1309:
	s_andn2_b32 vcc_lo, exec_lo, s6
	s_cbranch_vccnz .LBB57_2143
	s_branch .LBB57_1431
.LBB57_1310:
	s_mov_b32 s6, 0
	s_mov_b32 s1, 0
                                        ; implicit-def: $vgpr3
	s_cbranch_execnz .LBB57_1348
	s_branch .LBB57_1380
.LBB57_1311:
	s_mov_b32 s7, -1
	s_mov_b32 s6, 0
	s_mov_b32 s1, 0
                                        ; implicit-def: $vgpr3
	s_branch .LBB57_1329
.LBB57_1312:
	s_mov_b32 s7, -1
	s_mov_b32 s6, 0
	s_mov_b32 s1, 0
                                        ; implicit-def: $vgpr3
	s_branch .LBB57_1324
.LBB57_1313:
	s_or_b32 s4, s12, exec_lo
	s_trap 2
	s_cbranch_execz .LBB57_1248
	s_branch .LBB57_1249
.LBB57_1314:
	s_mov_b32 s7, -1
	s_mov_b32 s6, 0
	s_mov_b32 s1, 0
	s_branch .LBB57_1318
.LBB57_1315:
	s_andn2_saveexec_b32 s12, s12
	s_cbranch_execz .LBB57_1038
.LBB57_1316:
	v_add_f32_e64 v0, 0x42800000, |v3|
	s_andn2_b32 s9, s9, exec_lo
	v_and_b32_e32 v0, 0xff, v0
	v_cmp_ne_u32_e32 vcc_lo, 0, v0
	s_and_b32 s13, vcc_lo, exec_lo
	s_or_b32 s9, s9, s13
	s_or_b32 exec_lo, exec_lo, s12
	v_mov_b32_e32 v4, 0
	s_and_saveexec_b32 s12, s9
	s_cbranch_execnz .LBB57_1039
	s_branch .LBB57_1040
.LBB57_1317:
	s_mov_b32 s1, -1
	s_mov_b32 s6, 0
.LBB57_1318:
                                        ; implicit-def: $vgpr3
.LBB57_1319:
	s_and_b32 vcc_lo, exec_lo, s7
	s_cbranch_vccz .LBB57_1323
; %bb.1320:
	s_cmp_eq_u32 s0, 44
	s_cbranch_scc0 .LBB57_1322
; %bb.1321:
	global_load_ubyte v3, v[10:11], off
	s_mov_b32 s1, 0
	s_mov_b32 s6, -1
	s_waitcnt vmcnt(0)
	v_lshlrev_b32_e32 v8, 23, v3
	v_cmp_ne_u32_e32 vcc_lo, 0xff, v3
	v_cndmask_b32_e32 v8, 0x7f800001, v8, vcc_lo
	v_cmp_ne_u32_e32 vcc_lo, 0, v3
	v_cndmask_b32_e32 v3, 0x400000, v8, vcc_lo
	s_branch .LBB57_1323
.LBB57_1322:
	s_mov_b32 s1, -1
                                        ; implicit-def: $vgpr3
.LBB57_1323:
	s_mov_b32 s7, 0
.LBB57_1324:
	s_and_b32 vcc_lo, exec_lo, s7
	s_cbranch_vccz .LBB57_1328
; %bb.1325:
	s_cmp_eq_u32 s0, 29
	s_cbranch_scc0 .LBB57_1327
; %bb.1326:
	global_load_dwordx2 v[13:14], v[10:11], off
	s_mov_b32 s1, 0
	s_mov_b32 s6, -1
	s_mov_b32 s7, 0
	s_waitcnt vmcnt(0)
	v_ffbh_u32_e32 v3, v14
	v_min_u32_e32 v3, 32, v3
	v_lshlrev_b64 v[13:14], v3, v[13:14]
	v_sub_nc_u32_e32 v3, 32, v3
	v_min_u32_e32 v8, 1, v13
	v_or_b32_e32 v8, v14, v8
	v_cvt_f32_u32_e32 v8, v8
	v_ldexp_f32 v3, v8, v3
	s_branch .LBB57_1329
.LBB57_1327:
	s_mov_b32 s1, -1
                                        ; implicit-def: $vgpr3
.LBB57_1328:
	s_mov_b32 s7, 0
.LBB57_1329:
	s_and_b32 vcc_lo, exec_lo, s7
	s_cbranch_vccz .LBB57_1347
; %bb.1330:
	s_cmp_lt_i32 s0, 27
	s_cbranch_scc1 .LBB57_1333
; %bb.1331:
	s_cmp_gt_i32 s0, 27
	s_cbranch_scc0 .LBB57_1334
; %bb.1332:
	global_load_dword v3, v[10:11], off
	s_mov_b32 s6, 0
	s_waitcnt vmcnt(0)
	v_cvt_f32_u32_e32 v3, v3
	s_branch .LBB57_1335
.LBB57_1333:
	s_mov_b32 s6, -1
                                        ; implicit-def: $vgpr3
	s_branch .LBB57_1338
.LBB57_1334:
	s_mov_b32 s6, -1
                                        ; implicit-def: $vgpr3
.LBB57_1335:
	s_andn2_b32 vcc_lo, exec_lo, s6
	s_cbranch_vccnz .LBB57_1337
; %bb.1336:
	global_load_ushort v3, v[10:11], off
	s_waitcnt vmcnt(0)
	v_cvt_f32_u32_e32 v3, v3
.LBB57_1337:
	s_mov_b32 s6, 0
.LBB57_1338:
	s_andn2_b32 vcc_lo, exec_lo, s6
	s_cbranch_vccnz .LBB57_1346
; %bb.1339:
	global_load_ubyte v8, v[10:11], off
	s_mov_b32 s6, 0
	s_mov_b32 s7, exec_lo
	s_waitcnt vmcnt(0)
	v_cmpx_lt_i16_e32 0x7f, v8
	s_xor_b32 s7, exec_lo, s7
	s_cbranch_execz .LBB57_1359
; %bb.1340:
	s_mov_b32 s6, -1
	s_mov_b32 s14, exec_lo
	v_cmpx_eq_u16_e32 0x80, v8
; %bb.1341:
	s_xor_b32 s6, exec_lo, -1
; %bb.1342:
	s_or_b32 exec_lo, exec_lo, s14
	s_and_b32 s6, s6, exec_lo
	s_or_saveexec_b32 s7, s7
	v_mov_b32_e32 v3, 0x7f800001
	s_xor_b32 exec_lo, exec_lo, s7
	s_cbranch_execnz .LBB57_1360
.LBB57_1343:
	s_or_b32 exec_lo, exec_lo, s7
	s_and_saveexec_b32 s7, s6
	s_cbranch_execz .LBB57_1345
.LBB57_1344:
	v_and_b32_e32 v3, 0xffff, v8
	v_lshlrev_b32_e32 v8, 24, v8
	v_and_b32_e32 v13, 7, v3
	v_bfe_u32 v16, v3, 3, 4
	v_and_b32_e32 v8, 0x80000000, v8
	v_ffbh_u32_e32 v14, v13
	v_cmp_eq_u32_e32 vcc_lo, 0, v16
	v_min_u32_e32 v14, 32, v14
	v_subrev_nc_u32_e32 v15, 28, v14
	v_sub_nc_u32_e32 v14, 29, v14
	v_lshlrev_b32_e32 v3, v15, v3
	v_cndmask_b32_e32 v14, v16, v14, vcc_lo
	v_and_b32_e32 v3, 7, v3
	v_cndmask_b32_e32 v3, v13, v3, vcc_lo
	v_lshl_add_u32 v13, v14, 23, 0x3b800000
	v_lshlrev_b32_e32 v3, 20, v3
	v_or3_b32 v3, v8, v13, v3
.LBB57_1345:
	s_or_b32 exec_lo, exec_lo, s7
.LBB57_1346:
	s_mov_b32 s6, -1
.LBB57_1347:
	s_branch .LBB57_1380
.LBB57_1348:
	s_cmp_gt_i32 s0, 22
	s_cbranch_scc0 .LBB57_1358
; %bb.1349:
	s_cmp_lt_i32 s0, 24
	s_cbranch_scc1 .LBB57_1361
; %bb.1350:
	s_cmp_gt_i32 s0, 24
	s_cbranch_scc0 .LBB57_1362
; %bb.1351:
	global_load_ubyte v8, v[10:11], off
	s_mov_b32 s6, exec_lo
	s_waitcnt vmcnt(0)
	v_cmpx_lt_i16_e32 0x7f, v8
	s_xor_b32 s6, exec_lo, s6
	s_cbranch_execz .LBB57_1374
; %bb.1352:
	s_mov_b32 s3, -1
	s_mov_b32 s7, exec_lo
	v_cmpx_eq_u16_e32 0x80, v8
; %bb.1353:
	s_xor_b32 s3, exec_lo, -1
; %bb.1354:
	s_or_b32 exec_lo, exec_lo, s7
	s_and_b32 s3, s3, exec_lo
	s_or_saveexec_b32 s6, s6
	v_mov_b32_e32 v3, 0x7f800001
	s_xor_b32 exec_lo, exec_lo, s6
	s_cbranch_execnz .LBB57_1375
.LBB57_1355:
	s_or_b32 exec_lo, exec_lo, s6
	s_and_saveexec_b32 s6, s3
	s_cbranch_execz .LBB57_1357
.LBB57_1356:
	v_and_b32_e32 v3, 0xffff, v8
	v_lshlrev_b32_e32 v8, 24, v8
	v_and_b32_e32 v13, 3, v3
	v_bfe_u32 v16, v3, 2, 5
	v_and_b32_e32 v8, 0x80000000, v8
	v_ffbh_u32_e32 v14, v13
	v_cmp_eq_u32_e32 vcc_lo, 0, v16
	v_min_u32_e32 v14, 32, v14
	v_subrev_nc_u32_e32 v15, 29, v14
	v_sub_nc_u32_e32 v14, 30, v14
	v_lshlrev_b32_e32 v3, v15, v3
	v_cndmask_b32_e32 v14, v16, v14, vcc_lo
	v_and_b32_e32 v3, 3, v3
	v_cndmask_b32_e32 v3, v13, v3, vcc_lo
	v_lshl_add_u32 v13, v14, 23, 0x37800000
	v_lshlrev_b32_e32 v3, 21, v3
	v_or3_b32 v3, v8, v13, v3
.LBB57_1357:
	s_or_b32 exec_lo, exec_lo, s6
	s_mov_b32 s3, 0
	s_branch .LBB57_1363
.LBB57_1358:
	s_mov_b32 s3, -1
                                        ; implicit-def: $vgpr3
	s_branch .LBB57_1369
.LBB57_1359:
	s_or_saveexec_b32 s7, s7
	v_mov_b32_e32 v3, 0x7f800001
	s_xor_b32 exec_lo, exec_lo, s7
	s_cbranch_execz .LBB57_1343
.LBB57_1360:
	v_cmp_ne_u16_e32 vcc_lo, 0, v8
	v_mov_b32_e32 v3, 0
	s_andn2_b32 s6, s6, exec_lo
	s_and_b32 s14, vcc_lo, exec_lo
	s_or_b32 s6, s6, s14
	s_or_b32 exec_lo, exec_lo, s7
	s_and_saveexec_b32 s7, s6
	s_cbranch_execnz .LBB57_1344
	s_branch .LBB57_1345
.LBB57_1361:
	s_mov_b32 s3, -1
                                        ; implicit-def: $vgpr3
	s_branch .LBB57_1366
.LBB57_1362:
	s_mov_b32 s3, -1
                                        ; implicit-def: $vgpr3
.LBB57_1363:
	s_and_b32 vcc_lo, exec_lo, s3
	s_cbranch_vccz .LBB57_1365
; %bb.1364:
	global_load_ubyte v3, v[10:11], off
	s_waitcnt vmcnt(0)
	v_lshlrev_b32_e32 v3, 24, v3
	v_and_b32_e32 v8, 0x7f000000, v3
	v_ffbh_u32_e32 v13, v8
	v_add_nc_u32_e32 v15, 0x1000000, v8
	v_cmp_ne_u32_e32 vcc_lo, 0, v8
	v_min_u32_e32 v13, 32, v13
	v_sub_nc_u32_e64 v13, v13, 4 clamp
	v_lshlrev_b32_e32 v14, v13, v8
	v_lshlrev_b32_e32 v13, 23, v13
	v_lshrrev_b32_e32 v14, 4, v14
	v_sub_nc_u32_e32 v13, v14, v13
	v_ashrrev_i32_e32 v14, 8, v15
	v_add_nc_u32_e32 v13, 0x3c000000, v13
	v_and_or_b32 v13, 0x7f800000, v14, v13
	v_cndmask_b32_e32 v8, 0, v13, vcc_lo
	v_and_or_b32 v3, 0x80000000, v3, v8
.LBB57_1365:
	s_mov_b32 s3, 0
.LBB57_1366:
	s_andn2_b32 vcc_lo, exec_lo, s3
	s_cbranch_vccnz .LBB57_1368
; %bb.1367:
	global_load_ubyte v3, v[10:11], off
	s_waitcnt vmcnt(0)
	v_lshlrev_b32_e32 v8, 25, v3
	v_lshlrev_b16 v3, 8, v3
	v_lshrrev_b32_e32 v13, 4, v8
	v_and_or_b32 v14, 0x7f00, v3, 0.5
	v_cmp_gt_u32_e32 vcc_lo, 0x8000000, v8
	v_bfe_i32 v3, v3, 0, 16
	v_or_b32_e32 v13, 0x70000000, v13
	v_add_f32_e32 v14, -0.5, v14
	v_mul_f32_e32 v13, 0x7800000, v13
	v_cndmask_b32_e32 v8, v13, v14, vcc_lo
	v_and_or_b32 v3, 0x80000000, v3, v8
.LBB57_1368:
	s_mov_b32 s3, 0
	s_mov_b32 s6, -1
.LBB57_1369:
	s_andn2_b32 vcc_lo, exec_lo, s3
	s_mov_b32 s3, 0
	s_cbranch_vccnz .LBB57_1380
; %bb.1370:
	s_cmp_gt_i32 s0, 14
	s_cbranch_scc0 .LBB57_1373
; %bb.1371:
	s_cmp_eq_u32 s0, 15
	s_cbranch_scc0 .LBB57_1376
; %bb.1372:
	global_load_ushort v3, v[10:11], off
	s_mov_b32 s1, 0
	s_mov_b32 s6, -1
	s_waitcnt vmcnt(0)
	v_lshlrev_b32_e32 v3, 16, v3
	s_branch .LBB57_1378
.LBB57_1373:
	s_mov_b32 s3, -1
	s_branch .LBB57_1377
.LBB57_1374:
	s_or_saveexec_b32 s6, s6
	v_mov_b32_e32 v3, 0x7f800001
	s_xor_b32 exec_lo, exec_lo, s6
	s_cbranch_execz .LBB57_1355
.LBB57_1375:
	v_cmp_ne_u16_e32 vcc_lo, 0, v8
	v_mov_b32_e32 v3, 0
	s_andn2_b32 s3, s3, exec_lo
	s_and_b32 s7, vcc_lo, exec_lo
	s_or_b32 s3, s3, s7
	s_or_b32 exec_lo, exec_lo, s6
	s_and_saveexec_b32 s6, s3
	s_cbranch_execnz .LBB57_1356
	s_branch .LBB57_1357
.LBB57_1376:
	s_mov_b32 s1, -1
.LBB57_1377:
                                        ; implicit-def: $vgpr3
.LBB57_1378:
	s_and_b32 vcc_lo, exec_lo, s3
	s_mov_b32 s3, 0
	s_cbranch_vccz .LBB57_1380
; %bb.1379:
	s_cmp_lg_u32 s0, 11
	s_mov_b32 s3, -1
	s_cselect_b32 s1, -1, 0
.LBB57_1380:
	s_and_b32 vcc_lo, exec_lo, s1
	s_cbranch_vccnz .LBB57_1449
; %bb.1381:
	s_andn2_b32 vcc_lo, exec_lo, s3
	s_cbranch_vccnz .LBB57_1383
.LBB57_1382:
	global_load_ubyte v3, v[10:11], off
	s_mov_b32 s6, -1
	s_waitcnt vmcnt(0)
	v_cmp_ne_u16_e32 vcc_lo, 0, v3
	v_cndmask_b32_e64 v3, 0, 1.0, vcc_lo
.LBB57_1383:
	s_branch .LBB57_1309
.LBB57_1384:
	s_and_b32 s0, 0xffff, s2
	s_cmp_lt_i32 s0, 5
	s_cbranch_scc1 .LBB57_1389
; %bb.1385:
	s_cmp_lt_i32 s0, 8
	s_cbranch_scc1 .LBB57_1390
; %bb.1386:
	;; [unrolled: 3-line block ×3, first 2 shown]
	s_cmp_gt_i32 s0, 9
	s_cbranch_scc0 .LBB57_1392
; %bb.1388:
	global_load_dwordx2 v[13:14], v[10:11], off
	s_mov_b32 s1, 0
	s_waitcnt vmcnt(0)
	v_cvt_f32_f64_e32 v3, v[13:14]
	s_branch .LBB57_1393
.LBB57_1389:
                                        ; implicit-def: $vgpr3
	s_branch .LBB57_1411
.LBB57_1390:
	s_mov_b32 s1, -1
                                        ; implicit-def: $vgpr3
	s_branch .LBB57_1399
.LBB57_1391:
	s_mov_b32 s1, -1
                                        ; implicit-def: $vgpr3
	s_branch .LBB57_1396
.LBB57_1392:
	s_mov_b32 s1, -1
                                        ; implicit-def: $vgpr3
.LBB57_1393:
	s_andn2_b32 vcc_lo, exec_lo, s1
	s_cbranch_vccnz .LBB57_1395
; %bb.1394:
	global_load_dword v3, v[10:11], off
.LBB57_1395:
	s_mov_b32 s1, 0
.LBB57_1396:
	s_andn2_b32 vcc_lo, exec_lo, s1
	s_cbranch_vccnz .LBB57_1398
; %bb.1397:
	global_load_dword v3, v[10:11], off
	s_waitcnt vmcnt(0)
	v_cvt_f32_f16_e32 v3, v3
.LBB57_1398:
	s_mov_b32 s1, 0
.LBB57_1399:
	s_andn2_b32 vcc_lo, exec_lo, s1
	s_cbranch_vccnz .LBB57_1410
; %bb.1400:
	s_cmp_lt_i32 s0, 6
	s_cbranch_scc1 .LBB57_1403
; %bb.1401:
	s_cmp_gt_i32 s0, 6
	s_cbranch_scc0 .LBB57_1404
; %bb.1402:
	global_load_dwordx2 v[13:14], v[10:11], off
	s_mov_b32 s1, 0
	s_waitcnt vmcnt(0)
	v_cvt_f32_f64_e32 v3, v[13:14]
	s_branch .LBB57_1405
.LBB57_1403:
	s_mov_b32 s1, -1
                                        ; implicit-def: $vgpr3
	s_branch .LBB57_1408
.LBB57_1404:
	s_mov_b32 s1, -1
                                        ; implicit-def: $vgpr3
.LBB57_1405:
	s_andn2_b32 vcc_lo, exec_lo, s1
	s_cbranch_vccnz .LBB57_1407
; %bb.1406:
	global_load_dword v3, v[10:11], off
.LBB57_1407:
	s_mov_b32 s1, 0
.LBB57_1408:
	s_andn2_b32 vcc_lo, exec_lo, s1
	s_cbranch_vccnz .LBB57_1410
; %bb.1409:
	global_load_ushort v3, v[10:11], off
	s_waitcnt vmcnt(0)
	v_cvt_f32_f16_e32 v3, v3
.LBB57_1410:
	s_cbranch_execnz .LBB57_1430
.LBB57_1411:
	s_cmp_lt_i32 s0, 2
	s_cbranch_scc1 .LBB57_1415
; %bb.1412:
	s_cmp_lt_i32 s0, 3
	s_cbranch_scc1 .LBB57_1416
; %bb.1413:
	s_cmp_gt_i32 s0, 3
	s_cbranch_scc0 .LBB57_1417
; %bb.1414:
	global_load_dwordx2 v[13:14], v[10:11], off
	s_mov_b32 s1, 0
	s_waitcnt vmcnt(0)
	v_xor_b32_e32 v3, v13, v14
	v_ffbh_i32_e32 v8, v14
	v_ashrrev_i32_e32 v3, 31, v3
	v_add_nc_u32_e32 v8, -1, v8
	v_add_nc_u32_e32 v3, 32, v3
	v_min_u32_e32 v3, v8, v3
	v_lshlrev_b64 v[13:14], v3, v[13:14]
	v_sub_nc_u32_e32 v3, 32, v3
	v_min_u32_e32 v8, 1, v13
	v_or_b32_e32 v8, v14, v8
	v_cvt_f32_i32_e32 v8, v8
	v_ldexp_f32 v3, v8, v3
	s_branch .LBB57_1418
.LBB57_1415:
	s_mov_b32 s1, -1
                                        ; implicit-def: $vgpr3
	s_branch .LBB57_1424
.LBB57_1416:
	s_mov_b32 s1, -1
                                        ; implicit-def: $vgpr3
	s_branch .LBB57_1421
.LBB57_1417:
	s_mov_b32 s1, -1
                                        ; implicit-def: $vgpr3
.LBB57_1418:
	s_andn2_b32 vcc_lo, exec_lo, s1
	s_cbranch_vccnz .LBB57_1420
; %bb.1419:
	global_load_dword v3, v[10:11], off
	s_waitcnt vmcnt(0)
	v_cvt_f32_i32_e32 v3, v3
.LBB57_1420:
	s_mov_b32 s1, 0
.LBB57_1421:
	s_andn2_b32 vcc_lo, exec_lo, s1
	s_cbranch_vccnz .LBB57_1423
; %bb.1422:
	global_load_sshort v3, v[10:11], off
	s_waitcnt vmcnt(0)
	v_cvt_f32_i32_e32 v3, v3
.LBB57_1423:
	s_mov_b32 s1, 0
.LBB57_1424:
	s_andn2_b32 vcc_lo, exec_lo, s1
	s_cbranch_vccnz .LBB57_1430
; %bb.1425:
	s_cmp_gt_i32 s0, 0
	s_mov_b32 s0, 0
	s_cbranch_scc0 .LBB57_1427
; %bb.1426:
	global_load_sbyte v3, v[10:11], off
	s_waitcnt vmcnt(0)
	v_cvt_f32_i32_e32 v3, v3
	s_branch .LBB57_1428
.LBB57_1427:
	s_mov_b32 s0, -1
                                        ; implicit-def: $vgpr3
.LBB57_1428:
	s_andn2_b32 vcc_lo, exec_lo, s0
	s_cbranch_vccnz .LBB57_1430
; %bb.1429:
	global_load_ubyte v3, v[10:11], off
	s_waitcnt vmcnt(0)
	v_cvt_f32_ubyte0_e32 v3, v3
.LBB57_1430:
.LBB57_1431:
	v_mov_b32_e32 v14, 0
	v_mov_b32_e32 v11, 1.0
	s_mov_b32 s3, exec_lo
	s_waitcnt vmcnt(0)
	v_cmpx_gt_f32_e32 0.5, v3
	s_cbranch_execz .LBB57_1437
; %bb.1432:
	v_mul_f32_e32 v8, 0x40490fdb, v3
                                        ; implicit-def: $vgpr13
                                        ; implicit-def: $vgpr11
	s_mov_b32 s1, exec_lo
	v_and_b32_e32 v10, 0x7fffffff, v8
	v_cmpx_ngt_f32_e64 0x48000000, |v8|
	s_xor_b32 s6, exec_lo, s1
	s_cbranch_execz .LBB57_1434
; %bb.1433:
	s_mov_b32 s0, 0x7fffff
	v_mov_b32_e32 v15, 0
	v_and_or_b32 v11, v10, s0, 0x800000
	v_lshrrev_b32_e32 v20, 23, v10
	v_mad_u64_u32 v[13:14], null, 0xfe5163ab, v11, 0
	v_add_nc_u32_e32 v21, 0xffffff88, v20
	v_cmp_lt_u32_e32 vcc_lo, 63, v21
	v_mad_u64_u32 v[16:17], null, 0x3c439041, v11, v[14:15]
	v_cndmask_b32_e64 v22, 0, 0xffffffc0, vcc_lo
	v_mov_b32_e32 v14, v17
	v_add_nc_u32_e32 v22, v22, v21
	v_mad_u64_u32 v[17:18], null, 0xdb629599, v11, v[14:15]
	v_cmp_lt_u32_e64 s0, 31, v22
	v_cndmask_b32_e64 v23, 0, 0xffffffe0, s0
	v_mov_b32_e32 v14, v18
	v_cndmask_b32_e32 v13, v17, v13, vcc_lo
	v_mad_u64_u32 v[18:19], null, 0xf534ddc0, v11, v[14:15]
	v_mov_b32_e32 v14, v19
	v_cndmask_b32_e32 v16, v18, v16, vcc_lo
	v_mad_u64_u32 v[19:20], null, 0xfc2757d1, v11, v[14:15]
	v_cndmask_b32_e64 v13, v16, v13, s0
	v_mov_b32_e32 v14, v20
	v_mad_u64_u32 v[20:21], null, 0x4e441529, v11, v[14:15]
	v_mov_b32_e32 v14, v21
	v_add_nc_u32_e32 v21, v23, v22
	v_cndmask_b32_e32 v22, v20, v18, vcc_lo
	v_mad_u64_u32 v[14:15], null, 0xa2f9836e, v11, v[14:15]
	v_cmp_lt_u32_e64 s1, 31, v21
	v_cndmask_b32_e64 v11, 0, 0xffffffe0, s1
	v_cndmask_b32_e32 v14, v14, v19, vcc_lo
	v_cndmask_b32_e32 v15, v15, v20, vcc_lo
	;; [unrolled: 1-line block ×3, first 2 shown]
	v_add_nc_u32_e32 v11, v11, v21
	v_cndmask_b32_e64 v18, v14, v22, s0
	v_cndmask_b32_e64 v14, v15, v14, s0
	v_cndmask_b32_e64 v15, v22, v19, s0
	v_cndmask_b32_e64 v19, v19, v16, s0
	v_sub_nc_u32_e32 v20, 32, v11
	v_cmp_eq_u32_e32 vcc_lo, 0, v11
	v_cndmask_b32_e64 v14, v14, v18, s1
	v_cndmask_b32_e64 v18, v18, v15, s1
	;; [unrolled: 1-line block ×4, first 2 shown]
	v_alignbit_b32 v21, v14, v18, v20
	v_alignbit_b32 v17, v18, v15, v20
	;; [unrolled: 1-line block ×3, first 2 shown]
	v_cndmask_b32_e32 v11, v21, v14, vcc_lo
	v_cndmask_b32_e32 v14, v17, v18, vcc_lo
	;; [unrolled: 1-line block ×3, first 2 shown]
	v_bfe_u32 v16, v11, 29, 1
	v_alignbit_b32 v17, v11, v14, 30
	v_alignbit_b32 v14, v14, v15, 30
	;; [unrolled: 1-line block ×3, first 2 shown]
	v_sub_nc_u32_e32 v18, 0, v16
	v_xor_b32_e32 v17, v17, v18
	v_xor_b32_e32 v14, v14, v18
	;; [unrolled: 1-line block ×3, first 2 shown]
	v_lshrrev_b32_e32 v18, 29, v11
	v_ffbh_u32_e32 v19, v17
	v_min_u32_e32 v19, 32, v19
	v_sub_nc_u32_e32 v15, 31, v19
	v_lshlrev_b32_e32 v20, 23, v19
	v_alignbit_b32 v17, v17, v14, v15
	v_alignbit_b32 v13, v14, v13, v15
	v_lshlrev_b32_e32 v14, 31, v18
	v_alignbit_b32 v15, v17, v13, 9
	v_or_b32_e32 v18, 0.5, v14
	v_lshrrev_b32_e32 v17, 9, v17
	v_or_b32_e32 v14, 0x33000000, v14
	v_ffbh_u32_e32 v21, v15
	v_sub_nc_u32_e32 v18, v18, v20
	v_min_u32_e32 v20, 32, v21
	v_or_b32_e32 v17, v17, v18
	v_not_b32_e32 v18, v20
	v_mul_f32_e32 v21, 0x3fc90fda, v17
	v_add_lshl_u32 v19, v20, v19, 23
	v_alignbit_b32 v13, v15, v13, v18
	v_fma_f32 v15, 0x3fc90fda, v17, -v21
	v_sub_nc_u32_e32 v14, v14, v19
	v_lshrrev_b32_e32 v13, 9, v13
	v_fmamk_f32 v15, v17, 0x33a22168, v15
	v_or_b32_e32 v13, v14, v13
	v_fmac_f32_e32 v15, 0x3fc90fda, v13
	v_lshrrev_b32_e32 v13, 30, v11
	v_add_f32_e32 v11, v21, v15
	v_add_nc_u32_e32 v13, v16, v13
.LBB57_1434:
	s_andn2_saveexec_b32 s0, s6
; %bb.1435:
	v_mul_f32_e64 v11, 0x3f22f983, |v8|
	v_rndne_f32_e32 v13, v11
	v_fma_f32 v11, 0xbfc90fda, v13, |v8|
	v_fmamk_f32 v11, v13, 0xb3a22168, v11
	v_fmamk_f32 v11, v13, 0xa7c234c4, v11
	v_cvt_i32_f32_e32 v13, v13
; %bb.1436:
	s_or_b32 exec_lo, exec_lo, s0
	v_mul_f32_e32 v14, v11, v11
	s_mov_b32 s0, 0xb94c1982
	s_mov_b32 s1, 0x37d75334
	v_and_b32_e32 v17, 1, v13
	v_lshlrev_b32_e32 v13, 30, v13
	v_fmaak_f32 v15, s0, v14, 0x3c0881c4
	v_fmaak_f32 v16, s1, v14, 0xbab64f3b
	v_xor_b32_e32 v10, v10, v8
	v_cmp_eq_u32_e32 vcc_lo, 0, v17
	v_and_b32_e32 v13, 0x80000000, v13
	v_fmaak_f32 v15, v14, v15, 0xbe2aaa9d
	v_fmaak_f32 v16, v14, v16, 0x3d2aabf7
	v_sub_f32_e32 v3, 1.0, v3
	v_mul_f32_e32 v15, v14, v15
	v_fmaak_f32 v16, v14, v16, 0xbf000004
	v_fmac_f32_e32 v11, v11, v15
	v_fma_f32 v14, v14, v16, 1.0
	v_cndmask_b32_e32 v11, v14, v11, vcc_lo
	v_cmp_class_f32_e64 vcc_lo, v8, 0x1f8
	v_xor3_b32 v10, v10, v13, v11
	v_cndmask_b32_e32 v8, 0x7fc00000, v10, vcc_lo
	v_mul_f32_e32 v8, v8, v8
	v_div_scale_f32 v10, null, v8, v8, 0xc11de9e7
	v_div_scale_f32 v14, vcc_lo, 0xc11de9e7, v8, 0xc11de9e7
	v_rcp_f32_e32 v11, v10
	v_fma_f32 v13, -v10, v11, 1.0
	v_fmac_f32_e32 v11, v13, v11
	v_mul_f32_e32 v13, v14, v11
	v_fma_f32 v15, -v10, v13, v14
	v_fmac_f32_e32 v13, v15, v11
	v_fma_f32 v10, -v10, v13, v14
	v_div_fmas_f32 v10, v10, v11, v13
	v_mov_b32_e32 v11, -1.0
	v_div_fixup_f32 v8, v10, v8, 0xc11de9e7
	v_add_f32_e32 v14, 0, v8
.LBB57_1437:
	s_or_b32 exec_lo, exec_lo, s3
	v_add_co_u32 v8, s0, s10, v9
	v_add_co_ci_u32_e64 v9, null, s11, 0, s0
	s_cmp_lt_i32 s2, 11
	s_cbranch_scc1 .LBB57_1444
; %bb.1438:
	s_and_b32 s0, 0xffff, s2
	s_mov_b32 s3, 0
	s_cmp_gt_i32 s0, 25
	s_cbranch_scc0 .LBB57_1446
; %bb.1439:
	s_cmp_gt_i32 s0, 28
	s_cbranch_scc0 .LBB57_1447
; %bb.1440:
	;; [unrolled: 3-line block ×4, first 2 shown]
	s_cmp_eq_u32 s0, 46
	s_mov_b32 s7, 0
	s_cbranch_scc0 .LBB57_1451
; %bb.1443:
	global_load_dword v10, v[8:9], off
	s_mov_b32 s1, 0
	s_mov_b32 s6, -1
	s_waitcnt vmcnt(0)
	v_lshlrev_b32_e32 v10, 16, v10
	s_branch .LBB57_1453
.LBB57_1444:
	s_mov_b32 s6, 0
                                        ; implicit-def: $vgpr10
	s_cbranch_execnz .LBB57_1519
.LBB57_1445:
	s_andn2_b32 vcc_lo, exec_lo, s6
	s_cbranch_vccnz .LBB57_2143
	s_branch .LBB57_1567
.LBB57_1446:
	s_mov_b32 s7, -1
	s_mov_b32 s6, 0
	s_mov_b32 s1, 0
                                        ; implicit-def: $vgpr10
	s_branch .LBB57_1482
.LBB57_1447:
	s_mov_b32 s7, -1
	s_mov_b32 s6, 0
	s_mov_b32 s1, 0
                                        ; implicit-def: $vgpr10
	s_branch .LBB57_1463
.LBB57_1448:
	s_mov_b32 s7, -1
	s_mov_b32 s6, 0
	s_mov_b32 s1, 0
                                        ; implicit-def: $vgpr10
	s_branch .LBB57_1458
.LBB57_1449:
	s_or_b32 s4, s4, exec_lo
	s_trap 2
	s_cbranch_execz .LBB57_1382
	s_branch .LBB57_1383
.LBB57_1450:
	s_mov_b32 s7, -1
	s_mov_b32 s6, 0
	s_mov_b32 s1, 0
	s_branch .LBB57_1452
.LBB57_1451:
	s_mov_b32 s1, -1
	s_mov_b32 s6, 0
.LBB57_1452:
                                        ; implicit-def: $vgpr10
.LBB57_1453:
	s_and_b32 vcc_lo, exec_lo, s7
	s_cbranch_vccz .LBB57_1457
; %bb.1454:
	s_cmp_eq_u32 s0, 44
	s_cbranch_scc0 .LBB57_1456
; %bb.1455:
	global_load_ubyte v10, v[8:9], off
	s_mov_b32 s1, 0
	s_mov_b32 s6, -1
	s_waitcnt vmcnt(0)
	v_lshlrev_b32_e32 v13, 23, v10
	v_cmp_ne_u32_e32 vcc_lo, 0xff, v10
	v_cndmask_b32_e32 v13, 0x7f800001, v13, vcc_lo
	v_cmp_ne_u32_e32 vcc_lo, 0, v10
	v_cndmask_b32_e32 v10, 0x400000, v13, vcc_lo
	s_branch .LBB57_1457
.LBB57_1456:
	s_mov_b32 s1, -1
                                        ; implicit-def: $vgpr10
.LBB57_1457:
	s_mov_b32 s7, 0
.LBB57_1458:
	s_and_b32 vcc_lo, exec_lo, s7
	s_cbranch_vccz .LBB57_1462
; %bb.1459:
	s_cmp_eq_u32 s0, 29
	s_cbranch_scc0 .LBB57_1461
; %bb.1460:
	global_load_dwordx2 v[15:16], v[8:9], off
	s_mov_b32 s1, 0
	s_mov_b32 s6, -1
	s_mov_b32 s7, 0
	s_waitcnt vmcnt(0)
	v_ffbh_u32_e32 v10, v16
	v_min_u32_e32 v10, 32, v10
	v_lshlrev_b64 v[15:16], v10, v[15:16]
	v_sub_nc_u32_e32 v10, 32, v10
	v_min_u32_e32 v13, 1, v15
	v_or_b32_e32 v13, v16, v13
	v_cvt_f32_u32_e32 v13, v13
	v_ldexp_f32 v10, v13, v10
	s_branch .LBB57_1463
.LBB57_1461:
	s_mov_b32 s1, -1
                                        ; implicit-def: $vgpr10
.LBB57_1462:
	s_mov_b32 s7, 0
.LBB57_1463:
	s_and_b32 vcc_lo, exec_lo, s7
	s_cbranch_vccz .LBB57_1481
; %bb.1464:
	s_cmp_lt_i32 s0, 27
	s_cbranch_scc1 .LBB57_1467
; %bb.1465:
	s_cmp_gt_i32 s0, 27
	s_cbranch_scc0 .LBB57_1468
; %bb.1466:
	global_load_dword v10, v[8:9], off
	s_mov_b32 s6, 0
	s_waitcnt vmcnt(0)
	v_cvt_f32_u32_e32 v10, v10
	s_branch .LBB57_1469
.LBB57_1467:
	s_mov_b32 s6, -1
                                        ; implicit-def: $vgpr10
	s_branch .LBB57_1472
.LBB57_1468:
	s_mov_b32 s6, -1
                                        ; implicit-def: $vgpr10
.LBB57_1469:
	s_andn2_b32 vcc_lo, exec_lo, s6
	s_cbranch_vccnz .LBB57_1471
; %bb.1470:
	global_load_ushort v10, v[8:9], off
	s_waitcnt vmcnt(0)
	v_cvt_f32_u32_e32 v10, v10
.LBB57_1471:
	s_mov_b32 s6, 0
.LBB57_1472:
	s_andn2_b32 vcc_lo, exec_lo, s6
	s_cbranch_vccnz .LBB57_1480
; %bb.1473:
	global_load_ubyte v13, v[8:9], off
	s_mov_b32 s6, 0
	s_mov_b32 s7, exec_lo
	s_waitcnt vmcnt(0)
	v_cmpx_lt_i16_e32 0x7f, v13
	s_xor_b32 s7, exec_lo, s7
	s_cbranch_execz .LBB57_1494
; %bb.1474:
	s_mov_b32 s6, -1
	s_mov_b32 s14, exec_lo
	v_cmpx_eq_u16_e32 0x80, v13
; %bb.1475:
	s_xor_b32 s6, exec_lo, -1
; %bb.1476:
	s_or_b32 exec_lo, exec_lo, s14
	s_and_b32 s6, s6, exec_lo
	s_or_saveexec_b32 s7, s7
	v_mov_b32_e32 v10, 0x7f800001
	s_xor_b32 exec_lo, exec_lo, s7
	s_cbranch_execnz .LBB57_1495
.LBB57_1477:
	s_or_b32 exec_lo, exec_lo, s7
	s_and_saveexec_b32 s7, s6
	s_cbranch_execz .LBB57_1479
.LBB57_1478:
	v_and_b32_e32 v10, 0xffff, v13
	v_lshlrev_b32_e32 v13, 24, v13
	v_and_b32_e32 v15, 7, v10
	v_bfe_u32 v18, v10, 3, 4
	v_and_b32_e32 v13, 0x80000000, v13
	v_ffbh_u32_e32 v16, v15
	v_cmp_eq_u32_e32 vcc_lo, 0, v18
	v_min_u32_e32 v16, 32, v16
	v_subrev_nc_u32_e32 v17, 28, v16
	v_sub_nc_u32_e32 v16, 29, v16
	v_lshlrev_b32_e32 v10, v17, v10
	v_cndmask_b32_e32 v16, v18, v16, vcc_lo
	v_and_b32_e32 v10, 7, v10
	v_cndmask_b32_e32 v10, v15, v10, vcc_lo
	v_lshl_add_u32 v15, v16, 23, 0x3b800000
	v_lshlrev_b32_e32 v10, 20, v10
	v_or3_b32 v10, v13, v15, v10
.LBB57_1479:
	s_or_b32 exec_lo, exec_lo, s7
.LBB57_1480:
	s_mov_b32 s6, -1
.LBB57_1481:
	s_mov_b32 s7, 0
.LBB57_1482:
	s_and_b32 vcc_lo, exec_lo, s7
	s_cbranch_vccz .LBB57_1515
; %bb.1483:
	s_cmp_gt_i32 s0, 22
	s_cbranch_scc0 .LBB57_1493
; %bb.1484:
	s_cmp_lt_i32 s0, 24
	s_cbranch_scc1 .LBB57_1496
; %bb.1485:
	s_cmp_gt_i32 s0, 24
	s_cbranch_scc0 .LBB57_1497
; %bb.1486:
	global_load_ubyte v13, v[8:9], off
	s_mov_b32 s6, exec_lo
	s_waitcnt vmcnt(0)
	v_cmpx_lt_i16_e32 0x7f, v13
	s_xor_b32 s6, exec_lo, s6
	s_cbranch_execz .LBB57_1509
; %bb.1487:
	s_mov_b32 s3, -1
	s_mov_b32 s7, exec_lo
	v_cmpx_eq_u16_e32 0x80, v13
; %bb.1488:
	s_xor_b32 s3, exec_lo, -1
; %bb.1489:
	s_or_b32 exec_lo, exec_lo, s7
	s_and_b32 s3, s3, exec_lo
	s_or_saveexec_b32 s6, s6
	v_mov_b32_e32 v10, 0x7f800001
	s_xor_b32 exec_lo, exec_lo, s6
	s_cbranch_execnz .LBB57_1510
.LBB57_1490:
	s_or_b32 exec_lo, exec_lo, s6
	s_and_saveexec_b32 s6, s3
	s_cbranch_execz .LBB57_1492
.LBB57_1491:
	v_and_b32_e32 v10, 0xffff, v13
	v_lshlrev_b32_e32 v13, 24, v13
	v_and_b32_e32 v15, 3, v10
	v_bfe_u32 v18, v10, 2, 5
	v_and_b32_e32 v13, 0x80000000, v13
	v_ffbh_u32_e32 v16, v15
	v_cmp_eq_u32_e32 vcc_lo, 0, v18
	v_min_u32_e32 v16, 32, v16
	v_subrev_nc_u32_e32 v17, 29, v16
	v_sub_nc_u32_e32 v16, 30, v16
	v_lshlrev_b32_e32 v10, v17, v10
	v_cndmask_b32_e32 v16, v18, v16, vcc_lo
	v_and_b32_e32 v10, 3, v10
	v_cndmask_b32_e32 v10, v15, v10, vcc_lo
	v_lshl_add_u32 v15, v16, 23, 0x37800000
	v_lshlrev_b32_e32 v10, 21, v10
	v_or3_b32 v10, v13, v15, v10
.LBB57_1492:
	s_or_b32 exec_lo, exec_lo, s6
	s_mov_b32 s3, 0
	s_branch .LBB57_1498
.LBB57_1493:
	s_mov_b32 s3, -1
                                        ; implicit-def: $vgpr10
	s_branch .LBB57_1504
.LBB57_1494:
	s_or_saveexec_b32 s7, s7
	v_mov_b32_e32 v10, 0x7f800001
	s_xor_b32 exec_lo, exec_lo, s7
	s_cbranch_execz .LBB57_1477
.LBB57_1495:
	v_cmp_ne_u16_e32 vcc_lo, 0, v13
	v_mov_b32_e32 v10, 0
	s_andn2_b32 s6, s6, exec_lo
	s_and_b32 s14, vcc_lo, exec_lo
	s_or_b32 s6, s6, s14
	s_or_b32 exec_lo, exec_lo, s7
	s_and_saveexec_b32 s7, s6
	s_cbranch_execnz .LBB57_1478
	s_branch .LBB57_1479
.LBB57_1496:
	s_mov_b32 s3, -1
                                        ; implicit-def: $vgpr10
	s_branch .LBB57_1501
.LBB57_1497:
	s_mov_b32 s3, -1
                                        ; implicit-def: $vgpr10
.LBB57_1498:
	s_and_b32 vcc_lo, exec_lo, s3
	s_cbranch_vccz .LBB57_1500
; %bb.1499:
	global_load_ubyte v10, v[8:9], off
	s_waitcnt vmcnt(0)
	v_lshlrev_b32_e32 v10, 24, v10
	v_and_b32_e32 v13, 0x7f000000, v10
	v_ffbh_u32_e32 v15, v13
	v_add_nc_u32_e32 v17, 0x1000000, v13
	v_cmp_ne_u32_e32 vcc_lo, 0, v13
	v_min_u32_e32 v15, 32, v15
	v_sub_nc_u32_e64 v15, v15, 4 clamp
	v_lshlrev_b32_e32 v16, v15, v13
	v_lshlrev_b32_e32 v15, 23, v15
	v_lshrrev_b32_e32 v16, 4, v16
	v_sub_nc_u32_e32 v15, v16, v15
	v_ashrrev_i32_e32 v16, 8, v17
	v_add_nc_u32_e32 v15, 0x3c000000, v15
	v_and_or_b32 v15, 0x7f800000, v16, v15
	v_cndmask_b32_e32 v13, 0, v15, vcc_lo
	v_and_or_b32 v10, 0x80000000, v10, v13
.LBB57_1500:
	s_mov_b32 s3, 0
.LBB57_1501:
	s_andn2_b32 vcc_lo, exec_lo, s3
	s_cbranch_vccnz .LBB57_1503
; %bb.1502:
	global_load_ubyte v10, v[8:9], off
	s_waitcnt vmcnt(0)
	v_lshlrev_b32_e32 v13, 25, v10
	v_lshlrev_b16 v10, 8, v10
	v_lshrrev_b32_e32 v15, 4, v13
	v_and_or_b32 v16, 0x7f00, v10, 0.5
	v_cmp_gt_u32_e32 vcc_lo, 0x8000000, v13
	v_bfe_i32 v10, v10, 0, 16
	v_or_b32_e32 v15, 0x70000000, v15
	v_add_f32_e32 v16, -0.5, v16
	v_mul_f32_e32 v15, 0x7800000, v15
	v_cndmask_b32_e32 v13, v15, v16, vcc_lo
	v_and_or_b32 v10, 0x80000000, v10, v13
.LBB57_1503:
	s_mov_b32 s3, 0
	s_mov_b32 s6, -1
.LBB57_1504:
	s_andn2_b32 vcc_lo, exec_lo, s3
	s_mov_b32 s3, 0
	s_cbranch_vccnz .LBB57_1515
; %bb.1505:
	s_cmp_gt_i32 s0, 14
	s_cbranch_scc0 .LBB57_1508
; %bb.1506:
	s_cmp_eq_u32 s0, 15
	s_cbranch_scc0 .LBB57_1511
; %bb.1507:
	global_load_ushort v10, v[8:9], off
	s_mov_b32 s1, 0
	s_mov_b32 s6, -1
	s_waitcnt vmcnt(0)
	v_lshlrev_b32_e32 v10, 16, v10
	s_branch .LBB57_1513
.LBB57_1508:
	s_mov_b32 s3, -1
	s_branch .LBB57_1512
.LBB57_1509:
	s_or_saveexec_b32 s6, s6
	v_mov_b32_e32 v10, 0x7f800001
	s_xor_b32 exec_lo, exec_lo, s6
	s_cbranch_execz .LBB57_1490
.LBB57_1510:
	v_cmp_ne_u16_e32 vcc_lo, 0, v13
	v_mov_b32_e32 v10, 0
	s_andn2_b32 s3, s3, exec_lo
	s_and_b32 s7, vcc_lo, exec_lo
	s_or_b32 s3, s3, s7
	s_or_b32 exec_lo, exec_lo, s6
	s_and_saveexec_b32 s6, s3
	s_cbranch_execnz .LBB57_1491
	s_branch .LBB57_1492
.LBB57_1511:
	s_mov_b32 s1, -1
.LBB57_1512:
                                        ; implicit-def: $vgpr10
.LBB57_1513:
	s_and_b32 vcc_lo, exec_lo, s3
	s_mov_b32 s3, 0
	s_cbranch_vccz .LBB57_1515
; %bb.1514:
	s_cmp_lg_u32 s0, 11
	s_mov_b32 s3, -1
	s_cselect_b32 s1, -1, 0
.LBB57_1515:
	s_and_b32 vcc_lo, exec_lo, s1
	s_cbranch_vccnz .LBB57_1584
; %bb.1516:
	s_andn2_b32 vcc_lo, exec_lo, s3
	s_cbranch_vccnz .LBB57_1518
.LBB57_1517:
	global_load_ubyte v10, v[8:9], off
	s_mov_b32 s6, -1
	s_waitcnt vmcnt(0)
	v_cmp_ne_u16_e32 vcc_lo, 0, v10
	v_cndmask_b32_e64 v10, 0, 1.0, vcc_lo
.LBB57_1518:
	s_branch .LBB57_1445
.LBB57_1519:
	s_and_b32 s0, 0xffff, s2
	s_cmp_lt_i32 s0, 5
	s_cbranch_scc1 .LBB57_1524
; %bb.1520:
	s_cmp_lt_i32 s0, 8
	s_cbranch_scc1 .LBB57_1525
; %bb.1521:
	;; [unrolled: 3-line block ×3, first 2 shown]
	s_cmp_gt_i32 s0, 9
	s_cbranch_scc0 .LBB57_1527
; %bb.1523:
	global_load_dwordx2 v[15:16], v[8:9], off
	s_mov_b32 s1, 0
	s_waitcnt vmcnt(0)
	v_cvt_f32_f64_e32 v10, v[15:16]
	s_branch .LBB57_1528
.LBB57_1524:
	s_mov_b32 s1, -1
                                        ; implicit-def: $vgpr10
	s_branch .LBB57_1546
.LBB57_1525:
	s_mov_b32 s1, -1
                                        ; implicit-def: $vgpr10
	s_branch .LBB57_1534
.LBB57_1526:
	s_mov_b32 s1, -1
                                        ; implicit-def: $vgpr10
	s_branch .LBB57_1531
.LBB57_1527:
	s_mov_b32 s1, -1
                                        ; implicit-def: $vgpr10
.LBB57_1528:
	s_andn2_b32 vcc_lo, exec_lo, s1
	s_cbranch_vccnz .LBB57_1530
; %bb.1529:
	global_load_dword v10, v[8:9], off
.LBB57_1530:
	s_mov_b32 s1, 0
.LBB57_1531:
	s_andn2_b32 vcc_lo, exec_lo, s1
	s_cbranch_vccnz .LBB57_1533
; %bb.1532:
	global_load_dword v10, v[8:9], off
	s_waitcnt vmcnt(0)
	v_cvt_f32_f16_e32 v10, v10
.LBB57_1533:
	s_mov_b32 s1, 0
.LBB57_1534:
	s_andn2_b32 vcc_lo, exec_lo, s1
	s_cbranch_vccnz .LBB57_1545
; %bb.1535:
	s_cmp_lt_i32 s0, 6
	s_cbranch_scc1 .LBB57_1538
; %bb.1536:
	s_cmp_gt_i32 s0, 6
	s_cbranch_scc0 .LBB57_1539
; %bb.1537:
	global_load_dwordx2 v[15:16], v[8:9], off
	s_mov_b32 s1, 0
	s_waitcnt vmcnt(0)
	v_cvt_f32_f64_e32 v10, v[15:16]
	s_branch .LBB57_1540
.LBB57_1538:
	s_mov_b32 s1, -1
                                        ; implicit-def: $vgpr10
	s_branch .LBB57_1543
.LBB57_1539:
	s_mov_b32 s1, -1
                                        ; implicit-def: $vgpr10
.LBB57_1540:
	s_andn2_b32 vcc_lo, exec_lo, s1
	s_cbranch_vccnz .LBB57_1542
; %bb.1541:
	global_load_dword v10, v[8:9], off
.LBB57_1542:
	s_mov_b32 s1, 0
.LBB57_1543:
	s_andn2_b32 vcc_lo, exec_lo, s1
	s_cbranch_vccnz .LBB57_1545
; %bb.1544:
	global_load_ushort v10, v[8:9], off
	s_waitcnt vmcnt(0)
	v_cvt_f32_f16_e32 v10, v10
.LBB57_1545:
	s_mov_b32 s1, 0
.LBB57_1546:
	s_andn2_b32 vcc_lo, exec_lo, s1
	s_cbranch_vccnz .LBB57_1566
; %bb.1547:
	s_cmp_lt_i32 s0, 2
	s_cbranch_scc1 .LBB57_1551
; %bb.1548:
	s_cmp_lt_i32 s0, 3
	s_cbranch_scc1 .LBB57_1552
; %bb.1549:
	s_cmp_gt_i32 s0, 3
	s_cbranch_scc0 .LBB57_1553
; %bb.1550:
	global_load_dwordx2 v[15:16], v[8:9], off
	s_mov_b32 s1, 0
	s_waitcnt vmcnt(0)
	v_xor_b32_e32 v10, v15, v16
	v_ffbh_i32_e32 v13, v16
	v_ashrrev_i32_e32 v10, 31, v10
	v_add_nc_u32_e32 v13, -1, v13
	v_add_nc_u32_e32 v10, 32, v10
	v_min_u32_e32 v10, v13, v10
	v_lshlrev_b64 v[15:16], v10, v[15:16]
	v_sub_nc_u32_e32 v10, 32, v10
	v_min_u32_e32 v13, 1, v15
	v_or_b32_e32 v13, v16, v13
	v_cvt_f32_i32_e32 v13, v13
	v_ldexp_f32 v10, v13, v10
	s_branch .LBB57_1554
.LBB57_1551:
	s_mov_b32 s1, -1
                                        ; implicit-def: $vgpr10
	s_branch .LBB57_1560
.LBB57_1552:
	s_mov_b32 s1, -1
                                        ; implicit-def: $vgpr10
	s_branch .LBB57_1557
.LBB57_1553:
	s_mov_b32 s1, -1
                                        ; implicit-def: $vgpr10
.LBB57_1554:
	s_andn2_b32 vcc_lo, exec_lo, s1
	s_cbranch_vccnz .LBB57_1556
; %bb.1555:
	global_load_dword v10, v[8:9], off
	s_waitcnt vmcnt(0)
	v_cvt_f32_i32_e32 v10, v10
.LBB57_1556:
	s_mov_b32 s1, 0
.LBB57_1557:
	s_andn2_b32 vcc_lo, exec_lo, s1
	s_cbranch_vccnz .LBB57_1559
; %bb.1558:
	global_load_sshort v10, v[8:9], off
	s_waitcnt vmcnt(0)
	v_cvt_f32_i32_e32 v10, v10
.LBB57_1559:
	s_mov_b32 s1, 0
.LBB57_1560:
	s_andn2_b32 vcc_lo, exec_lo, s1
	s_cbranch_vccnz .LBB57_1566
; %bb.1561:
	s_cmp_gt_i32 s0, 0
	s_mov_b32 s0, 0
	s_cbranch_scc0 .LBB57_1563
; %bb.1562:
	global_load_sbyte v10, v[8:9], off
	s_waitcnt vmcnt(0)
	v_cvt_f32_i32_e32 v10, v10
	s_branch .LBB57_1564
.LBB57_1563:
	s_mov_b32 s0, -1
                                        ; implicit-def: $vgpr10
.LBB57_1564:
	s_andn2_b32 vcc_lo, exec_lo, s0
	s_cbranch_vccnz .LBB57_1566
; %bb.1565:
	global_load_ubyte v8, v[8:9], off
	s_waitcnt vmcnt(0)
	v_cvt_f32_ubyte0_e32 v10, v8
.LBB57_1566:
.LBB57_1567:
	v_mov_b32_e32 v16, 0
	v_mov_b32_e32 v13, 1.0
	s_mov_b32 s3, exec_lo
	s_waitcnt vmcnt(0)
	v_cmpx_gt_f32_e32 0.5, v10
	s_cbranch_execz .LBB57_1573
; %bb.1568:
	v_mul_f32_e32 v8, 0x40490fdb, v10
                                        ; implicit-def: $vgpr15
                                        ; implicit-def: $vgpr13
	s_mov_b32 s1, exec_lo
	v_and_b32_e32 v9, 0x7fffffff, v8
	v_cmpx_ngt_f32_e64 0x48000000, |v8|
	s_xor_b32 s6, exec_lo, s1
	s_cbranch_execz .LBB57_1570
; %bb.1569:
	s_mov_b32 s0, 0x7fffff
	v_mov_b32_e32 v17, 0
	v_and_or_b32 v13, v9, s0, 0x800000
	v_lshrrev_b32_e32 v22, 23, v9
	v_mad_u64_u32 v[15:16], null, 0xfe5163ab, v13, 0
	v_add_nc_u32_e32 v23, 0xffffff88, v22
	v_cmp_lt_u32_e32 vcc_lo, 63, v23
	v_mad_u64_u32 v[18:19], null, 0x3c439041, v13, v[16:17]
	v_cndmask_b32_e64 v24, 0, 0xffffffc0, vcc_lo
	v_mov_b32_e32 v16, v19
	v_add_nc_u32_e32 v24, v24, v23
	v_mad_u64_u32 v[19:20], null, 0xdb629599, v13, v[16:17]
	v_cmp_lt_u32_e64 s0, 31, v24
	v_cndmask_b32_e64 v25, 0, 0xffffffe0, s0
	v_mov_b32_e32 v16, v20
	v_cndmask_b32_e32 v15, v19, v15, vcc_lo
	v_mad_u64_u32 v[20:21], null, 0xf534ddc0, v13, v[16:17]
	v_mov_b32_e32 v16, v21
	v_cndmask_b32_e32 v18, v20, v18, vcc_lo
	v_mad_u64_u32 v[21:22], null, 0xfc2757d1, v13, v[16:17]
	v_cndmask_b32_e64 v15, v18, v15, s0
	v_mov_b32_e32 v16, v22
	v_mad_u64_u32 v[22:23], null, 0x4e441529, v13, v[16:17]
	v_mov_b32_e32 v16, v23
	v_add_nc_u32_e32 v23, v25, v24
	v_cndmask_b32_e32 v24, v22, v20, vcc_lo
	v_mad_u64_u32 v[16:17], null, 0xa2f9836e, v13, v[16:17]
	v_cmp_lt_u32_e64 s1, 31, v23
	v_cndmask_b32_e64 v13, 0, 0xffffffe0, s1
	v_cndmask_b32_e32 v16, v16, v21, vcc_lo
	v_cndmask_b32_e32 v17, v17, v22, vcc_lo
	v_cndmask_b32_e32 v21, v21, v19, vcc_lo
	v_add_nc_u32_e32 v13, v13, v23
	v_cndmask_b32_e64 v20, v16, v24, s0
	v_cndmask_b32_e64 v16, v17, v16, s0
	;; [unrolled: 1-line block ×4, first 2 shown]
	v_sub_nc_u32_e32 v22, 32, v13
	v_cmp_eq_u32_e32 vcc_lo, 0, v13
	v_cndmask_b32_e64 v16, v16, v20, s1
	v_cndmask_b32_e64 v20, v20, v17, s1
	;; [unrolled: 1-line block ×4, first 2 shown]
	v_alignbit_b32 v23, v16, v20, v22
	v_alignbit_b32 v19, v20, v17, v22
	;; [unrolled: 1-line block ×3, first 2 shown]
	v_cndmask_b32_e32 v13, v23, v16, vcc_lo
	v_cndmask_b32_e32 v16, v19, v20, vcc_lo
	;; [unrolled: 1-line block ×3, first 2 shown]
	v_bfe_u32 v18, v13, 29, 1
	v_alignbit_b32 v19, v13, v16, 30
	v_alignbit_b32 v16, v16, v17, 30
	;; [unrolled: 1-line block ×3, first 2 shown]
	v_sub_nc_u32_e32 v20, 0, v18
	v_xor_b32_e32 v19, v19, v20
	v_xor_b32_e32 v16, v16, v20
	;; [unrolled: 1-line block ×3, first 2 shown]
	v_lshrrev_b32_e32 v20, 29, v13
	v_ffbh_u32_e32 v21, v19
	v_min_u32_e32 v21, 32, v21
	v_sub_nc_u32_e32 v17, 31, v21
	v_lshlrev_b32_e32 v22, 23, v21
	v_alignbit_b32 v19, v19, v16, v17
	v_alignbit_b32 v15, v16, v15, v17
	v_lshlrev_b32_e32 v16, 31, v20
	v_alignbit_b32 v17, v19, v15, 9
	v_or_b32_e32 v20, 0.5, v16
	v_lshrrev_b32_e32 v19, 9, v19
	v_or_b32_e32 v16, 0x33000000, v16
	v_ffbh_u32_e32 v23, v17
	v_sub_nc_u32_e32 v20, v20, v22
	v_min_u32_e32 v22, 32, v23
	v_or_b32_e32 v19, v19, v20
	v_not_b32_e32 v20, v22
	v_mul_f32_e32 v23, 0x3fc90fda, v19
	v_add_lshl_u32 v21, v22, v21, 23
	v_alignbit_b32 v15, v17, v15, v20
	v_fma_f32 v17, 0x3fc90fda, v19, -v23
	v_sub_nc_u32_e32 v16, v16, v21
	v_lshrrev_b32_e32 v15, 9, v15
	v_fmamk_f32 v17, v19, 0x33a22168, v17
	v_or_b32_e32 v15, v16, v15
	v_fmac_f32_e32 v17, 0x3fc90fda, v15
	v_lshrrev_b32_e32 v15, 30, v13
	v_add_f32_e32 v13, v23, v17
	v_add_nc_u32_e32 v15, v18, v15
.LBB57_1570:
	s_andn2_saveexec_b32 s0, s6
; %bb.1571:
	v_mul_f32_e64 v13, 0x3f22f983, |v8|
	v_rndne_f32_e32 v15, v13
	v_fma_f32 v13, 0xbfc90fda, v15, |v8|
	v_fmamk_f32 v13, v15, 0xb3a22168, v13
	v_fmamk_f32 v13, v15, 0xa7c234c4, v13
	v_cvt_i32_f32_e32 v15, v15
; %bb.1572:
	s_or_b32 exec_lo, exec_lo, s0
	v_mul_f32_e32 v16, v13, v13
	s_mov_b32 s0, 0xb94c1982
	s_mov_b32 s1, 0x37d75334
	v_and_b32_e32 v19, 1, v15
	v_lshlrev_b32_e32 v15, 30, v15
	v_fmaak_f32 v17, s0, v16, 0x3c0881c4
	v_fmaak_f32 v18, s1, v16, 0xbab64f3b
	v_xor_b32_e32 v9, v9, v8
	v_cmp_eq_u32_e32 vcc_lo, 0, v19
	v_and_b32_e32 v15, 0x80000000, v15
	v_fmaak_f32 v17, v16, v17, 0xbe2aaa9d
	v_fmaak_f32 v18, v16, v18, 0x3d2aabf7
	v_sub_f32_e32 v10, 1.0, v10
	v_mul_f32_e32 v17, v16, v17
	v_fmaak_f32 v18, v16, v18, 0xbf000004
	v_fmac_f32_e32 v13, v13, v17
	v_fma_f32 v16, v16, v18, 1.0
	v_cndmask_b32_e32 v13, v16, v13, vcc_lo
	v_cmp_class_f32_e64 vcc_lo, v8, 0x1f8
	v_xor3_b32 v9, v9, v15, v13
	v_cndmask_b32_e32 v8, 0x7fc00000, v9, vcc_lo
	v_mul_f32_e32 v8, v8, v8
	v_div_scale_f32 v9, null, v8, v8, 0xc11de9e7
	v_div_scale_f32 v16, vcc_lo, 0xc11de9e7, v8, 0xc11de9e7
	v_rcp_f32_e32 v13, v9
	v_fma_f32 v15, -v9, v13, 1.0
	v_fmac_f32_e32 v13, v15, v13
	v_mul_f32_e32 v15, v16, v13
	v_fma_f32 v17, -v9, v15, v16
	v_fmac_f32_e32 v15, v17, v13
	v_fma_f32 v9, -v9, v15, v16
	v_div_fmas_f32 v9, v9, v13, v15
	v_mov_b32_e32 v13, -1.0
	v_div_fixup_f32 v8, v9, v8, 0xc11de9e7
	v_add_f32_e32 v16, 0, v8
.LBB57_1573:
	s_or_b32 exec_lo, exec_lo, s3
	v_add_co_u32 v7, s0, s10, v7
	v_add_co_ci_u32_e64 v8, null, s11, 0, s0
	s_cmp_lt_i32 s2, 11
	s_cbranch_scc1 .LBB57_1580
; %bb.1574:
	s_and_b32 s0, 0xffff, s2
	s_mov_b32 s3, 0
	s_cmp_gt_i32 s0, 25
	s_cbranch_scc0 .LBB57_1581
; %bb.1575:
	s_cmp_gt_i32 s0, 28
	s_cbranch_scc0 .LBB57_1582
; %bb.1576:
	;; [unrolled: 3-line block ×4, first 2 shown]
	s_cmp_eq_u32 s0, 46
	s_mov_b32 s7, 0
	s_cbranch_scc0 .LBB57_1586
; %bb.1579:
	global_load_dword v9, v[7:8], off
	s_mov_b32 s1, 0
	s_mov_b32 s6, -1
	s_waitcnt vmcnt(0)
	v_lshlrev_b32_e32 v9, 16, v9
	s_branch .LBB57_1588
.LBB57_1580:
	s_mov_b32 s0, -1
	s_mov_b32 s6, 0
                                        ; implicit-def: $vgpr9
	s_branch .LBB57_1654
.LBB57_1581:
	s_mov_b32 s7, -1
	s_mov_b32 s6, 0
	s_mov_b32 s1, 0
                                        ; implicit-def: $vgpr9
	s_branch .LBB57_1617
.LBB57_1582:
	s_mov_b32 s7, -1
	s_mov_b32 s6, 0
	s_mov_b32 s1, 0
                                        ; implicit-def: $vgpr9
	s_branch .LBB57_1598
.LBB57_1583:
	s_mov_b32 s7, -1
	s_mov_b32 s6, 0
	s_mov_b32 s1, 0
                                        ; implicit-def: $vgpr9
	s_branch .LBB57_1593
.LBB57_1584:
	s_or_b32 s4, s4, exec_lo
	s_trap 2
	s_cbranch_execz .LBB57_1517
	s_branch .LBB57_1518
.LBB57_1585:
	s_mov_b32 s7, -1
	s_mov_b32 s6, 0
	s_mov_b32 s1, 0
	s_branch .LBB57_1587
.LBB57_1586:
	s_mov_b32 s1, -1
	s_mov_b32 s6, 0
.LBB57_1587:
                                        ; implicit-def: $vgpr9
.LBB57_1588:
	s_and_b32 vcc_lo, exec_lo, s7
	s_cbranch_vccz .LBB57_1592
; %bb.1589:
	s_cmp_eq_u32 s0, 44
	s_cbranch_scc0 .LBB57_1591
; %bb.1590:
	global_load_ubyte v9, v[7:8], off
	s_mov_b32 s1, 0
	s_mov_b32 s6, -1
	s_waitcnt vmcnt(0)
	v_lshlrev_b32_e32 v15, 23, v9
	v_cmp_ne_u32_e32 vcc_lo, 0xff, v9
	v_cndmask_b32_e32 v15, 0x7f800001, v15, vcc_lo
	v_cmp_ne_u32_e32 vcc_lo, 0, v9
	v_cndmask_b32_e32 v9, 0x400000, v15, vcc_lo
	s_branch .LBB57_1592
.LBB57_1591:
	s_mov_b32 s1, -1
                                        ; implicit-def: $vgpr9
.LBB57_1592:
	s_mov_b32 s7, 0
.LBB57_1593:
	s_and_b32 vcc_lo, exec_lo, s7
	s_cbranch_vccz .LBB57_1597
; %bb.1594:
	s_cmp_eq_u32 s0, 29
	s_cbranch_scc0 .LBB57_1596
; %bb.1595:
	global_load_dwordx2 v[17:18], v[7:8], off
	s_mov_b32 s1, 0
	s_mov_b32 s6, -1
	s_mov_b32 s7, 0
	s_waitcnt vmcnt(0)
	v_ffbh_u32_e32 v9, v18
	v_min_u32_e32 v9, 32, v9
	v_lshlrev_b64 v[17:18], v9, v[17:18]
	v_sub_nc_u32_e32 v9, 32, v9
	v_min_u32_e32 v15, 1, v17
	v_or_b32_e32 v15, v18, v15
	v_cvt_f32_u32_e32 v15, v15
	v_ldexp_f32 v9, v15, v9
	s_branch .LBB57_1598
.LBB57_1596:
	s_mov_b32 s1, -1
                                        ; implicit-def: $vgpr9
.LBB57_1597:
	s_mov_b32 s7, 0
.LBB57_1598:
	s_and_b32 vcc_lo, exec_lo, s7
	s_cbranch_vccz .LBB57_1616
; %bb.1599:
	s_cmp_lt_i32 s0, 27
	s_cbranch_scc1 .LBB57_1602
; %bb.1600:
	s_cmp_gt_i32 s0, 27
	s_cbranch_scc0 .LBB57_1603
; %bb.1601:
	global_load_dword v9, v[7:8], off
	s_mov_b32 s6, 0
	s_waitcnt vmcnt(0)
	v_cvt_f32_u32_e32 v9, v9
	s_branch .LBB57_1604
.LBB57_1602:
	s_mov_b32 s6, -1
                                        ; implicit-def: $vgpr9
	s_branch .LBB57_1607
.LBB57_1603:
	s_mov_b32 s6, -1
                                        ; implicit-def: $vgpr9
.LBB57_1604:
	s_andn2_b32 vcc_lo, exec_lo, s6
	s_cbranch_vccnz .LBB57_1606
; %bb.1605:
	global_load_ushort v9, v[7:8], off
	s_waitcnt vmcnt(0)
	v_cvt_f32_u32_e32 v9, v9
.LBB57_1606:
	s_mov_b32 s6, 0
.LBB57_1607:
	s_andn2_b32 vcc_lo, exec_lo, s6
	s_cbranch_vccnz .LBB57_1615
; %bb.1608:
	global_load_ubyte v15, v[7:8], off
	s_mov_b32 s6, 0
	s_mov_b32 s7, exec_lo
	s_waitcnt vmcnt(0)
	v_cmpx_lt_i16_e32 0x7f, v15
	s_xor_b32 s7, exec_lo, s7
	s_cbranch_execz .LBB57_1629
; %bb.1609:
	s_mov_b32 s6, -1
	s_mov_b32 s10, exec_lo
	v_cmpx_eq_u16_e32 0x80, v15
; %bb.1610:
	s_xor_b32 s6, exec_lo, -1
; %bb.1611:
	s_or_b32 exec_lo, exec_lo, s10
	s_and_b32 s6, s6, exec_lo
	s_or_saveexec_b32 s7, s7
	v_mov_b32_e32 v9, 0x7f800001
	s_xor_b32 exec_lo, exec_lo, s7
	s_cbranch_execnz .LBB57_1630
.LBB57_1612:
	s_or_b32 exec_lo, exec_lo, s7
	s_and_saveexec_b32 s7, s6
	s_cbranch_execz .LBB57_1614
.LBB57_1613:
	v_and_b32_e32 v9, 0xffff, v15
	v_lshlrev_b32_e32 v15, 24, v15
	v_and_b32_e32 v17, 7, v9
	v_bfe_u32 v20, v9, 3, 4
	v_and_b32_e32 v15, 0x80000000, v15
	v_ffbh_u32_e32 v18, v17
	v_cmp_eq_u32_e32 vcc_lo, 0, v20
	v_min_u32_e32 v18, 32, v18
	v_subrev_nc_u32_e32 v19, 28, v18
	v_sub_nc_u32_e32 v18, 29, v18
	v_lshlrev_b32_e32 v9, v19, v9
	v_cndmask_b32_e32 v18, v20, v18, vcc_lo
	v_and_b32_e32 v9, 7, v9
	v_cndmask_b32_e32 v9, v17, v9, vcc_lo
	v_lshl_add_u32 v17, v18, 23, 0x3b800000
	v_lshlrev_b32_e32 v9, 20, v9
	v_or3_b32 v9, v15, v17, v9
.LBB57_1614:
	s_or_b32 exec_lo, exec_lo, s7
.LBB57_1615:
	s_mov_b32 s6, -1
.LBB57_1616:
	s_mov_b32 s7, 0
.LBB57_1617:
	s_and_b32 vcc_lo, exec_lo, s7
	s_cbranch_vccz .LBB57_1650
; %bb.1618:
	s_cmp_gt_i32 s0, 22
	s_cbranch_scc0 .LBB57_1628
; %bb.1619:
	s_cmp_lt_i32 s0, 24
	s_cbranch_scc1 .LBB57_1631
; %bb.1620:
	s_cmp_gt_i32 s0, 24
	s_cbranch_scc0 .LBB57_1632
; %bb.1621:
	global_load_ubyte v15, v[7:8], off
	s_mov_b32 s6, exec_lo
	s_waitcnt vmcnt(0)
	v_cmpx_lt_i16_e32 0x7f, v15
	s_xor_b32 s6, exec_lo, s6
	s_cbranch_execz .LBB57_1644
; %bb.1622:
	s_mov_b32 s3, -1
	s_mov_b32 s7, exec_lo
	v_cmpx_eq_u16_e32 0x80, v15
; %bb.1623:
	s_xor_b32 s3, exec_lo, -1
; %bb.1624:
	s_or_b32 exec_lo, exec_lo, s7
	s_and_b32 s3, s3, exec_lo
	s_or_saveexec_b32 s6, s6
	v_mov_b32_e32 v9, 0x7f800001
	s_xor_b32 exec_lo, exec_lo, s6
	s_cbranch_execnz .LBB57_1645
.LBB57_1625:
	s_or_b32 exec_lo, exec_lo, s6
	s_and_saveexec_b32 s6, s3
	s_cbranch_execz .LBB57_1627
.LBB57_1626:
	v_and_b32_e32 v9, 0xffff, v15
	v_lshlrev_b32_e32 v15, 24, v15
	v_and_b32_e32 v17, 3, v9
	v_bfe_u32 v20, v9, 2, 5
	v_and_b32_e32 v15, 0x80000000, v15
	v_ffbh_u32_e32 v18, v17
	v_cmp_eq_u32_e32 vcc_lo, 0, v20
	v_min_u32_e32 v18, 32, v18
	v_subrev_nc_u32_e32 v19, 29, v18
	v_sub_nc_u32_e32 v18, 30, v18
	v_lshlrev_b32_e32 v9, v19, v9
	v_cndmask_b32_e32 v18, v20, v18, vcc_lo
	v_and_b32_e32 v9, 3, v9
	v_cndmask_b32_e32 v9, v17, v9, vcc_lo
	v_lshl_add_u32 v17, v18, 23, 0x37800000
	v_lshlrev_b32_e32 v9, 21, v9
	v_or3_b32 v9, v15, v17, v9
.LBB57_1627:
	s_or_b32 exec_lo, exec_lo, s6
	s_mov_b32 s3, 0
	s_branch .LBB57_1633
.LBB57_1628:
	s_mov_b32 s3, -1
                                        ; implicit-def: $vgpr9
	s_branch .LBB57_1639
.LBB57_1629:
	s_or_saveexec_b32 s7, s7
	v_mov_b32_e32 v9, 0x7f800001
	s_xor_b32 exec_lo, exec_lo, s7
	s_cbranch_execz .LBB57_1612
.LBB57_1630:
	v_cmp_ne_u16_e32 vcc_lo, 0, v15
	v_mov_b32_e32 v9, 0
	s_andn2_b32 s6, s6, exec_lo
	s_and_b32 s10, vcc_lo, exec_lo
	s_or_b32 s6, s6, s10
	s_or_b32 exec_lo, exec_lo, s7
	s_and_saveexec_b32 s7, s6
	s_cbranch_execnz .LBB57_1613
	s_branch .LBB57_1614
.LBB57_1631:
	s_mov_b32 s3, -1
                                        ; implicit-def: $vgpr9
	s_branch .LBB57_1636
.LBB57_1632:
	s_mov_b32 s3, -1
                                        ; implicit-def: $vgpr9
.LBB57_1633:
	s_and_b32 vcc_lo, exec_lo, s3
	s_cbranch_vccz .LBB57_1635
; %bb.1634:
	global_load_ubyte v9, v[7:8], off
	s_waitcnt vmcnt(0)
	v_lshlrev_b32_e32 v9, 24, v9
	v_and_b32_e32 v15, 0x7f000000, v9
	v_ffbh_u32_e32 v17, v15
	v_add_nc_u32_e32 v19, 0x1000000, v15
	v_cmp_ne_u32_e32 vcc_lo, 0, v15
	v_min_u32_e32 v17, 32, v17
	v_sub_nc_u32_e64 v17, v17, 4 clamp
	v_lshlrev_b32_e32 v18, v17, v15
	v_lshlrev_b32_e32 v17, 23, v17
	v_lshrrev_b32_e32 v18, 4, v18
	v_sub_nc_u32_e32 v17, v18, v17
	v_ashrrev_i32_e32 v18, 8, v19
	v_add_nc_u32_e32 v17, 0x3c000000, v17
	v_and_or_b32 v17, 0x7f800000, v18, v17
	v_cndmask_b32_e32 v15, 0, v17, vcc_lo
	v_and_or_b32 v9, 0x80000000, v9, v15
.LBB57_1635:
	s_mov_b32 s3, 0
.LBB57_1636:
	s_andn2_b32 vcc_lo, exec_lo, s3
	s_cbranch_vccnz .LBB57_1638
; %bb.1637:
	global_load_ubyte v9, v[7:8], off
	s_waitcnt vmcnt(0)
	v_lshlrev_b32_e32 v15, 25, v9
	v_lshlrev_b16 v9, 8, v9
	v_lshrrev_b32_e32 v17, 4, v15
	v_and_or_b32 v18, 0x7f00, v9, 0.5
	v_cmp_gt_u32_e32 vcc_lo, 0x8000000, v15
	v_bfe_i32 v9, v9, 0, 16
	v_or_b32_e32 v17, 0x70000000, v17
	v_add_f32_e32 v18, -0.5, v18
	v_mul_f32_e32 v17, 0x7800000, v17
	v_cndmask_b32_e32 v15, v17, v18, vcc_lo
	v_and_or_b32 v9, 0x80000000, v9, v15
.LBB57_1638:
	s_mov_b32 s3, 0
	s_mov_b32 s6, -1
.LBB57_1639:
	s_andn2_b32 vcc_lo, exec_lo, s3
	s_mov_b32 s3, 0
	s_cbranch_vccnz .LBB57_1650
; %bb.1640:
	s_cmp_gt_i32 s0, 14
	s_cbranch_scc0 .LBB57_1643
; %bb.1641:
	s_cmp_eq_u32 s0, 15
	s_cbranch_scc0 .LBB57_1646
; %bb.1642:
	global_load_ushort v9, v[7:8], off
	s_mov_b32 s1, 0
	s_mov_b32 s6, -1
	s_waitcnt vmcnt(0)
	v_lshlrev_b32_e32 v9, 16, v9
	s_branch .LBB57_1648
.LBB57_1643:
	s_mov_b32 s3, -1
	s_branch .LBB57_1647
.LBB57_1644:
	s_or_saveexec_b32 s6, s6
	v_mov_b32_e32 v9, 0x7f800001
	s_xor_b32 exec_lo, exec_lo, s6
	s_cbranch_execz .LBB57_1625
.LBB57_1645:
	v_cmp_ne_u16_e32 vcc_lo, 0, v15
	v_mov_b32_e32 v9, 0
	s_andn2_b32 s3, s3, exec_lo
	s_and_b32 s7, vcc_lo, exec_lo
	s_or_b32 s3, s3, s7
	s_or_b32 exec_lo, exec_lo, s6
	s_and_saveexec_b32 s6, s3
	s_cbranch_execnz .LBB57_1626
	s_branch .LBB57_1627
.LBB57_1646:
	s_mov_b32 s1, -1
.LBB57_1647:
                                        ; implicit-def: $vgpr9
.LBB57_1648:
	s_and_b32 vcc_lo, exec_lo, s3
	s_mov_b32 s3, 0
	s_cbranch_vccz .LBB57_1650
; %bb.1649:
	s_cmp_lg_u32 s0, 11
	s_mov_b32 s3, -1
	s_cselect_b32 s1, -1, 0
.LBB57_1650:
	s_and_b32 vcc_lo, exec_lo, s1
	s_cbranch_vccnz .LBB57_2189
; %bb.1651:
	s_andn2_b32 vcc_lo, exec_lo, s3
	s_cbranch_vccnz .LBB57_1653
.LBB57_1652:
	global_load_ubyte v9, v[7:8], off
	s_mov_b32 s6, -1
	s_waitcnt vmcnt(0)
	v_cmp_ne_u16_e32 vcc_lo, 0, v9
	v_cndmask_b32_e64 v9, 0, 1.0, vcc_lo
.LBB57_1653:
	s_mov_b32 s0, 0
.LBB57_1654:
	s_and_b32 vcc_lo, exec_lo, s0
	s_cbranch_vccz .LBB57_1703
; %bb.1655:
	s_and_b32 s0, 0xffff, s2
	s_cmp_lt_i32 s0, 5
	s_cbranch_scc1 .LBB57_1660
; %bb.1656:
	s_cmp_lt_i32 s0, 8
	s_cbranch_scc1 .LBB57_1661
; %bb.1657:
	;; [unrolled: 3-line block ×3, first 2 shown]
	s_cmp_gt_i32 s0, 9
	s_cbranch_scc0 .LBB57_1663
; %bb.1659:
	global_load_dwordx2 v[17:18], v[7:8], off
	s_mov_b32 s1, 0
	s_waitcnt vmcnt(0)
	v_cvt_f32_f64_e32 v9, v[17:18]
	s_branch .LBB57_1664
.LBB57_1660:
	s_mov_b32 s1, -1
                                        ; implicit-def: $vgpr9
	s_branch .LBB57_1682
.LBB57_1661:
	s_mov_b32 s1, -1
                                        ; implicit-def: $vgpr9
	s_branch .LBB57_1670
.LBB57_1662:
	s_mov_b32 s1, -1
                                        ; implicit-def: $vgpr9
	s_branch .LBB57_1667
.LBB57_1663:
	s_mov_b32 s1, -1
                                        ; implicit-def: $vgpr9
.LBB57_1664:
	s_andn2_b32 vcc_lo, exec_lo, s1
	s_cbranch_vccnz .LBB57_1666
; %bb.1665:
	global_load_dword v9, v[7:8], off
.LBB57_1666:
	s_mov_b32 s1, 0
.LBB57_1667:
	s_andn2_b32 vcc_lo, exec_lo, s1
	s_cbranch_vccnz .LBB57_1669
; %bb.1668:
	global_load_dword v9, v[7:8], off
	s_waitcnt vmcnt(0)
	v_cvt_f32_f16_e32 v9, v9
.LBB57_1669:
	s_mov_b32 s1, 0
.LBB57_1670:
	s_andn2_b32 vcc_lo, exec_lo, s1
	s_cbranch_vccnz .LBB57_1681
; %bb.1671:
	s_cmp_lt_i32 s0, 6
	s_cbranch_scc1 .LBB57_1674
; %bb.1672:
	s_cmp_gt_i32 s0, 6
	s_cbranch_scc0 .LBB57_1675
; %bb.1673:
	global_load_dwordx2 v[17:18], v[7:8], off
	s_mov_b32 s1, 0
	s_waitcnt vmcnt(0)
	v_cvt_f32_f64_e32 v9, v[17:18]
	s_branch .LBB57_1676
.LBB57_1674:
	s_mov_b32 s1, -1
                                        ; implicit-def: $vgpr9
	s_branch .LBB57_1679
.LBB57_1675:
	s_mov_b32 s1, -1
                                        ; implicit-def: $vgpr9
.LBB57_1676:
	s_andn2_b32 vcc_lo, exec_lo, s1
	s_cbranch_vccnz .LBB57_1678
; %bb.1677:
	global_load_dword v9, v[7:8], off
.LBB57_1678:
	s_mov_b32 s1, 0
.LBB57_1679:
	s_andn2_b32 vcc_lo, exec_lo, s1
	s_cbranch_vccnz .LBB57_1681
; %bb.1680:
	global_load_ushort v9, v[7:8], off
	s_waitcnt vmcnt(0)
	v_cvt_f32_f16_e32 v9, v9
.LBB57_1681:
	s_mov_b32 s1, 0
.LBB57_1682:
	s_andn2_b32 vcc_lo, exec_lo, s1
	s_cbranch_vccnz .LBB57_1702
; %bb.1683:
	s_cmp_lt_i32 s0, 2
	s_cbranch_scc1 .LBB57_1687
; %bb.1684:
	s_cmp_lt_i32 s0, 3
	s_cbranch_scc1 .LBB57_1688
; %bb.1685:
	s_cmp_gt_i32 s0, 3
	s_cbranch_scc0 .LBB57_1689
; %bb.1686:
	global_load_dwordx2 v[17:18], v[7:8], off
	s_mov_b32 s1, 0
	s_waitcnt vmcnt(0)
	v_xor_b32_e32 v9, v17, v18
	v_ffbh_i32_e32 v15, v18
	v_ashrrev_i32_e32 v9, 31, v9
	v_add_nc_u32_e32 v15, -1, v15
	v_add_nc_u32_e32 v9, 32, v9
	v_min_u32_e32 v9, v15, v9
	v_lshlrev_b64 v[17:18], v9, v[17:18]
	v_sub_nc_u32_e32 v9, 32, v9
	v_min_u32_e32 v15, 1, v17
	v_or_b32_e32 v15, v18, v15
	v_cvt_f32_i32_e32 v15, v15
	v_ldexp_f32 v9, v15, v9
	s_branch .LBB57_1690
.LBB57_1687:
	s_mov_b32 s1, -1
                                        ; implicit-def: $vgpr9
	s_branch .LBB57_1696
.LBB57_1688:
	s_mov_b32 s1, -1
                                        ; implicit-def: $vgpr9
	s_branch .LBB57_1693
.LBB57_1689:
	s_mov_b32 s1, -1
                                        ; implicit-def: $vgpr9
.LBB57_1690:
	s_andn2_b32 vcc_lo, exec_lo, s1
	s_cbranch_vccnz .LBB57_1692
; %bb.1691:
	global_load_dword v9, v[7:8], off
	s_waitcnt vmcnt(0)
	v_cvt_f32_i32_e32 v9, v9
.LBB57_1692:
	s_mov_b32 s1, 0
.LBB57_1693:
	s_andn2_b32 vcc_lo, exec_lo, s1
	s_cbranch_vccnz .LBB57_1695
; %bb.1694:
	global_load_sshort v9, v[7:8], off
	s_waitcnt vmcnt(0)
	v_cvt_f32_i32_e32 v9, v9
.LBB57_1695:
	s_mov_b32 s1, 0
.LBB57_1696:
	s_andn2_b32 vcc_lo, exec_lo, s1
	s_cbranch_vccnz .LBB57_1702
; %bb.1697:
	s_cmp_gt_i32 s0, 0
	s_mov_b32 s0, 0
	s_cbranch_scc0 .LBB57_1699
; %bb.1698:
	global_load_sbyte v9, v[7:8], off
	s_waitcnt vmcnt(0)
	v_cvt_f32_i32_e32 v9, v9
	s_branch .LBB57_1700
.LBB57_1699:
	s_mov_b32 s0, -1
                                        ; implicit-def: $vgpr9
.LBB57_1700:
	s_andn2_b32 vcc_lo, exec_lo, s0
	s_cbranch_vccnz .LBB57_1702
; %bb.1701:
	global_load_ubyte v7, v[7:8], off
	s_waitcnt vmcnt(0)
	v_cvt_f32_ubyte0_e32 v9, v7
.LBB57_1702:
	s_mov_b32 s6, -1
.LBB57_1703:
	s_andn2_b32 vcc_lo, exec_lo, s6
	s_cbranch_vccnz .LBB57_2143
; %bb.1704:
	v_mov_b32_e32 v17, 0
	v_mov_b32_e32 v15, 1.0
	s_mov_b32 s2, exec_lo
	s_waitcnt vmcnt(0)
	v_cmpx_gt_f32_e32 0.5, v9
	s_cbranch_execz .LBB57_1710
; %bb.1705:
	v_mul_f32_e32 v7, 0x40490fdb, v9
                                        ; implicit-def: $vgpr17
                                        ; implicit-def: $vgpr15
	s_mov_b32 s1, exec_lo
	v_and_b32_e32 v8, 0x7fffffff, v7
	v_cmpx_ngt_f32_e64 0x48000000, |v7|
	s_xor_b32 s3, exec_lo, s1
	s_cbranch_execz .LBB57_1707
; %bb.1706:
	s_mov_b32 s0, 0x7fffff
	v_mov_b32_e32 v19, 0
	v_and_or_b32 v15, v8, s0, 0x800000
	v_lshrrev_b32_e32 v24, 23, v8
	v_mad_u64_u32 v[17:18], null, 0xfe5163ab, v15, 0
	v_add_nc_u32_e32 v25, 0xffffff88, v24
	v_cmp_lt_u32_e32 vcc_lo, 63, v25
	v_mad_u64_u32 v[20:21], null, 0x3c439041, v15, v[18:19]
	v_cndmask_b32_e64 v26, 0, 0xffffffc0, vcc_lo
	v_mov_b32_e32 v18, v21
	v_add_nc_u32_e32 v26, v26, v25
	v_mad_u64_u32 v[21:22], null, 0xdb629599, v15, v[18:19]
	v_cmp_lt_u32_e64 s0, 31, v26
	v_cndmask_b32_e64 v27, 0, 0xffffffe0, s0
	v_mov_b32_e32 v18, v22
	v_cndmask_b32_e32 v17, v21, v17, vcc_lo
	v_mad_u64_u32 v[22:23], null, 0xf534ddc0, v15, v[18:19]
	v_mov_b32_e32 v18, v23
	v_cndmask_b32_e32 v20, v22, v20, vcc_lo
	v_mad_u64_u32 v[23:24], null, 0xfc2757d1, v15, v[18:19]
	v_cndmask_b32_e64 v17, v20, v17, s0
	v_mov_b32_e32 v18, v24
	v_mad_u64_u32 v[24:25], null, 0x4e441529, v15, v[18:19]
	v_mov_b32_e32 v18, v25
	v_add_nc_u32_e32 v25, v27, v26
	v_cndmask_b32_e32 v26, v24, v22, vcc_lo
	v_mad_u64_u32 v[18:19], null, 0xa2f9836e, v15, v[18:19]
	v_cmp_lt_u32_e64 s1, 31, v25
	v_cndmask_b32_e64 v15, 0, 0xffffffe0, s1
	v_cndmask_b32_e32 v18, v18, v23, vcc_lo
	v_cndmask_b32_e32 v19, v19, v24, vcc_lo
	;; [unrolled: 1-line block ×3, first 2 shown]
	v_add_nc_u32_e32 v15, v15, v25
	v_cndmask_b32_e64 v22, v18, v26, s0
	v_cndmask_b32_e64 v18, v19, v18, s0
	;; [unrolled: 1-line block ×4, first 2 shown]
	v_sub_nc_u32_e32 v24, 32, v15
	v_cmp_eq_u32_e32 vcc_lo, 0, v15
	v_cndmask_b32_e64 v18, v18, v22, s1
	v_cndmask_b32_e64 v22, v22, v19, s1
	;; [unrolled: 1-line block ×4, first 2 shown]
	v_alignbit_b32 v25, v18, v22, v24
	v_alignbit_b32 v21, v22, v19, v24
	;; [unrolled: 1-line block ×3, first 2 shown]
	v_cndmask_b32_e32 v15, v25, v18, vcc_lo
	v_cndmask_b32_e32 v18, v21, v22, vcc_lo
	v_cndmask_b32_e32 v19, v23, v19, vcc_lo
	v_bfe_u32 v20, v15, 29, 1
	v_alignbit_b32 v21, v15, v18, 30
	v_alignbit_b32 v18, v18, v19, 30
	v_alignbit_b32 v17, v19, v17, 30
	v_sub_nc_u32_e32 v22, 0, v20
	v_xor_b32_e32 v21, v21, v22
	v_xor_b32_e32 v18, v18, v22
	;; [unrolled: 1-line block ×3, first 2 shown]
	v_lshrrev_b32_e32 v22, 29, v15
	v_ffbh_u32_e32 v23, v21
	v_min_u32_e32 v23, 32, v23
	v_sub_nc_u32_e32 v19, 31, v23
	v_lshlrev_b32_e32 v24, 23, v23
	v_alignbit_b32 v21, v21, v18, v19
	v_alignbit_b32 v17, v18, v17, v19
	v_lshlrev_b32_e32 v18, 31, v22
	v_alignbit_b32 v19, v21, v17, 9
	v_or_b32_e32 v22, 0.5, v18
	v_lshrrev_b32_e32 v21, 9, v21
	v_or_b32_e32 v18, 0x33000000, v18
	v_ffbh_u32_e32 v25, v19
	v_sub_nc_u32_e32 v22, v22, v24
	v_min_u32_e32 v24, 32, v25
	v_or_b32_e32 v21, v21, v22
	v_not_b32_e32 v22, v24
	v_mul_f32_e32 v25, 0x3fc90fda, v21
	v_add_lshl_u32 v23, v24, v23, 23
	v_alignbit_b32 v17, v19, v17, v22
	v_fma_f32 v19, 0x3fc90fda, v21, -v25
	v_sub_nc_u32_e32 v18, v18, v23
	v_lshrrev_b32_e32 v17, 9, v17
	v_fmamk_f32 v19, v21, 0x33a22168, v19
	v_or_b32_e32 v17, v18, v17
	v_fmac_f32_e32 v19, 0x3fc90fda, v17
	v_lshrrev_b32_e32 v17, 30, v15
	v_add_f32_e32 v15, v25, v19
	v_add_nc_u32_e32 v17, v20, v17
.LBB57_1707:
	s_andn2_saveexec_b32 s0, s3
; %bb.1708:
	v_mul_f32_e64 v15, 0x3f22f983, |v7|
	v_rndne_f32_e32 v17, v15
	v_fma_f32 v15, 0xbfc90fda, v17, |v7|
	v_fmamk_f32 v15, v17, 0xb3a22168, v15
	v_fmamk_f32 v15, v17, 0xa7c234c4, v15
	v_cvt_i32_f32_e32 v17, v17
; %bb.1709:
	s_or_b32 exec_lo, exec_lo, s0
	v_mul_f32_e32 v18, v15, v15
	s_mov_b32 s0, 0xb94c1982
	s_mov_b32 s1, 0x37d75334
	v_and_b32_e32 v21, 1, v17
	v_lshlrev_b32_e32 v17, 30, v17
	v_fmaak_f32 v19, s0, v18, 0x3c0881c4
	v_fmaak_f32 v20, s1, v18, 0xbab64f3b
	v_xor_b32_e32 v8, v8, v7
	v_cmp_eq_u32_e32 vcc_lo, 0, v21
	v_and_b32_e32 v17, 0x80000000, v17
	v_fmaak_f32 v19, v18, v19, 0xbe2aaa9d
	v_fmaak_f32 v20, v18, v20, 0x3d2aabf7
	v_sub_f32_e32 v9, 1.0, v9
	v_mul_f32_e32 v19, v18, v19
	v_fmaak_f32 v20, v18, v20, 0xbf000004
	v_fmac_f32_e32 v15, v15, v19
	v_fma_f32 v18, v18, v20, 1.0
	v_cndmask_b32_e32 v15, v18, v15, vcc_lo
	v_cmp_class_f32_e64 vcc_lo, v7, 0x1f8
	v_xor3_b32 v8, v8, v17, v15
	v_cndmask_b32_e32 v7, 0x7fc00000, v8, vcc_lo
	v_mul_f32_e32 v7, v7, v7
	v_div_scale_f32 v8, null, v7, v7, 0xc11de9e7
	v_div_scale_f32 v18, vcc_lo, 0xc11de9e7, v7, 0xc11de9e7
	v_rcp_f32_e32 v15, v8
	v_fma_f32 v17, -v8, v15, 1.0
	v_fmac_f32_e32 v15, v17, v15
	v_mul_f32_e32 v17, v18, v15
	v_fma_f32 v19, -v8, v17, v18
	v_fmac_f32_e32 v17, v19, v15
	v_fma_f32 v8, -v8, v17, v18
	v_div_fmas_f32 v8, v8, v15, v17
	v_mov_b32_e32 v15, -1.0
	v_div_fixup_f32 v7, v8, v7, 0xc11de9e7
	v_add_f32_e32 v17, 0, v7
.LBB57_1710:
	s_or_b32 exec_lo, exec_lo, s2
	v_add_f32_e32 v7, 1.0, v1
	v_mul_f32_e32 v1, v1, v1
	v_mul_f32_e32 v8, v7, v7
	v_add_f32_e32 v7, 1.0, v7
	v_div_scale_f32 v18, null, v1, v1, 1.0
	v_div_scale_f32 v20, vcc_lo, 1.0, v1, 1.0
	v_mul_f32_e32 v21, v7, v7
	v_div_scale_f32 v19, null, v8, v8, 1.0
	v_rcp_f32_e32 v22, v18
	v_div_scale_f32 v25, s0, 1.0, v8, 1.0
	v_div_scale_f32 v24, null, v21, v21, 1.0
	v_rcp_f32_e32 v23, v19
	v_add_f32_e32 v7, 1.0, v7
	v_div_scale_f32 v26, s1, 1.0, v21, 1.0
	v_rcp_f32_e32 v27, v24
	v_fma_f32 v29, -v18, v22, 1.0
	v_mul_f32_e32 v28, v7, v7
	v_add_f32_e32 v7, 1.0, v7
	v_fma_f32 v30, -v19, v23, 1.0
	v_fmac_f32_e32 v22, v29, v22
	v_mul_f32_e32 v32, v7, v7
	v_add_f32_e32 v7, 1.0, v7
	v_fma_f32 v29, -v24, v27, 1.0
	v_fmac_f32_e32 v23, v30, v23
	v_mul_f32_e32 v33, v20, v22
	v_div_scale_f32 v31, null, v28, v28, 1.0
	v_fmac_f32_e32 v27, v29, v27
	v_mul_f32_e32 v34, v25, v23
	v_fma_f32 v35, -v18, v33, v20
	v_add_f32_e32 v38, 1.0, v7
	v_rcp_f32_e32 v30, v31
	v_mul_f32_e32 v37, v26, v27
	v_fma_f32 v36, -v19, v34, v25
	v_fmac_f32_e32 v33, v35, v22
	v_mul_f32_e32 v7, v7, v7
	v_div_scale_f32 v29, null, v32, v32, 1.0
	v_fma_f32 v35, -v24, v37, v26
	v_fmac_f32_e32 v34, v36, v23
	v_fma_f32 v18, -v18, v33, v20
	v_mul_f32_e32 v20, v38, v38
	v_rcp_f32_e32 v36, v29
	v_fmac_f32_e32 v37, v35, v27
	v_fma_f32 v19, -v19, v34, v25
	v_div_fmas_f32 v18, v18, v22, v33
	s_mov_b32 vcc_lo, s0
	v_fma_f32 v39, -v31, v30, 1.0
	v_fma_f32 v22, -v24, v37, v26
	v_div_fmas_f32 v19, v19, v23, v34
	s_mov_b32 vcc_lo, s1
	v_div_scale_f32 v23, null, v7, v7, 1.0
	v_div_fmas_f32 v22, v22, v27, v37
	v_div_scale_f32 v24, null, v20, v20, 1.0
	v_add_f32_e32 v27, v38, v38
	v_rcp_f32_e32 v26, v23
	v_fmac_f32_e32 v30, v39, v30
	v_rcp_f32_e32 v34, v24
	v_div_scale_f32 v25, vcc_lo, 1.0, v28, 1.0
	v_div_scale_f32 v37, null, v27, v27, 1.0
	v_fma_f32 v33, -v29, v36, 1.0
	v_mul_f32_e32 v35, v25, v30
	v_div_fixup_f32 v1, v18, v1, 1.0
	v_rcp_f32_e32 v40, v37
	v_fma_f32 v39, -v23, v26, 1.0
	v_fmac_f32_e32 v36, v33, v36
	v_div_scale_f32 v33, s0, 1.0, v32, 1.0
	v_fma_f32 v42, -v24, v34, 1.0
	v_fma_f32 v41, -v31, v35, v25
	v_fmac_f32_e32 v26, v39, v26
	v_div_scale_f32 v39, s1, 1.0, v7, 1.0
	v_mul_f32_e32 v43, v33, v36
	v_fmac_f32_e32 v34, v42, v34
	v_div_scale_f32 v42, s2, 1.0, v20, 1.0
	v_fma_f32 v44, -v37, v40, 1.0
	v_fmac_f32_e32 v35, v41, v30
	v_mul_f32_e32 v45, v39, v26
	v_fma_f32 v41, -v29, v43, v33
	v_mul_f32_e32 v46, v42, v34
	v_fmac_f32_e32 v40, v44, v40
	v_div_scale_f32 v44, s3, 1.0, v27, 1.0
	v_fma_f32 v25, -v31, v35, v25
	v_fma_f32 v31, -v23, v45, v39
	v_fmac_f32_e32 v43, v41, v36
	v_fma_f32 v41, -v24, v46, v42
	v_mul_f32_e32 v47, v44, v40
	v_div_fmas_f32 v25, v25, v30, v35
	v_fmac_f32_e32 v45, v31, v26
	v_fma_f32 v29, -v29, v43, v33
	v_fmac_f32_e32 v46, v41, v34
	v_fma_f32 v30, -v37, v47, v44
	s_mov_b32 vcc_lo, s0
	v_fma_f32 v23, -v23, v45, v39
	v_div_fmas_f32 v29, v29, v36, v43
	v_fma_f32 v24, -v24, v46, v42
	v_fmac_f32_e32 v47, v30, v40
	s_mov_b32 vcc_lo, s1
	s_mov_b32 s0, 0xbcc30c31
	v_div_fmas_f32 v23, v23, v26, v45
	s_mov_b32 vcc_lo, s2
	v_fma_f32 v26, -v37, v47, v44
	v_div_fmas_f32 v24, v24, v34, v46
	s_mov_b32 vcc_lo, s3
	v_add_f32_e32 v1, v12, v1
	v_div_fixup_f32 v8, v19, v8, 1.0
	v_div_fmas_f32 v26, v26, v40, v47
	v_div_fixup_f32 v20, v24, v20, 1.0
	v_div_fixup_f32 v7, v23, v7, 1.0
	s_bfe_u32 s1, s5, 0x80008
	v_add_f32_e32 v1, v1, v8
	v_div_fixup_f32 v24, v26, v27, 1.0
	v_fmaak_f32 v26, s0, v20, 0x3d088889
	v_div_fixup_f32 v8, v22, v21, 1.0
	s_cmp_lt_i32 s1, 11
	v_add_f32_e32 v24, 1.0, v24
	v_fma_f32 v26, -v20, v26, 0x3e2aaaab
	v_add_f32_e32 v1, v1, v8
	v_div_fixup_f32 v8, v25, v28, 1.0
	v_fmac_f32_e32 v24, v20, v26
	v_add_f32_e32 v1, v1, v8
	v_div_fixup_f32 v8, v29, v32, 1.0
	v_div_scale_f32 v20, null, v38, v38, v24
	v_div_scale_f32 v12, vcc_lo, v24, v38, v24
	v_add_f32_e32 v1, v1, v8
	v_rcp_f32_e32 v26, v20
	v_add_f32_e32 v1, v1, v7
	v_fma_f32 v18, -v20, v26, 1.0
	v_fmac_f32_e32 v26, v18, v26
	v_mul_f32_e32 v18, v12, v26
	v_fma_f32 v19, -v20, v18, v12
	v_fmac_f32_e32 v18, v19, v26
	v_fma_f32 v12, -v20, v18, v12
	v_div_fmas_f32 v8, v12, v26, v18
	v_div_fixup_f32 v7, v8, v38, v24
	v_add_f32_e32 v1, v1, v7
	v_mul_f32_e32 v7, v5, v1
	v_add_co_u32 v5, s0, s8, v6
	v_add_co_ci_u32_e64 v6, null, s9, 0, s0
	s_cbranch_scc1 .LBB57_1788
; %bb.1711:
	s_and_b32 s2, 0xffff, s1
	s_mov_b32 s7, -1
	s_mov_b32 s3, 0
	s_cmp_gt_i32 s2, 25
	s_mov_b32 s6, 0
	s_mov_b32 s0, 0
	s_cbranch_scc0 .LBB57_1744
; %bb.1712:
	s_cmp_gt_i32 s2, 28
	s_cbranch_scc0 .LBB57_1727
; %bb.1713:
	s_cmp_gt_i32 s2, 43
	;; [unrolled: 3-line block ×3, first 2 shown]
	s_cbranch_scc0 .LBB57_1717
; %bb.1715:
	s_mov_b32 s0, -1
	s_mov_b32 s7, 0
	s_cmp_eq_u32 s2, 46
	s_cbranch_scc0 .LBB57_1717
; %bb.1716:
	v_bfe_u32 v1, v7, 16, 1
	v_cmp_o_f32_e32 vcc_lo, v7, v7
	v_mov_b32_e32 v8, 0x7fc0
	s_mov_b32 s0, 0
	s_mov_b32 s6, -1
	v_add3_u32 v1, v7, v1, 0x7fff
	v_cndmask_b32_sdwa v1, v8, v1, vcc_lo dst_sel:DWORD dst_unused:UNUSED_PAD src0_sel:DWORD src1_sel:WORD_1
	global_store_dword v[5:6], v1, off
.LBB57_1717:
	s_and_b32 vcc_lo, exec_lo, s7
	s_cbranch_vccz .LBB57_1722
; %bb.1718:
	s_cmp_eq_u32 s2, 44
	s_mov_b32 s0, -1
	s_cbranch_scc0 .LBB57_1722
; %bb.1719:
	v_bfe_u32 v8, v7, 23, 8
	v_mov_b32_e32 v1, 0xff
	s_mov_b32 s6, exec_lo
	v_cmpx_ne_u32_e32 0xff, v8
	s_cbranch_execz .LBB57_1721
; %bb.1720:
	v_and_b32_e32 v1, 0x400000, v7
	v_and_or_b32 v8, 0x3fffff, v7, v8
	v_cmp_ne_u32_e32 vcc_lo, 0, v1
	v_cmp_ne_u32_e64 s0, 0, v8
	v_lshrrev_b32_e32 v1, 23, v7
	s_and_b32 s0, vcc_lo, s0
	v_cndmask_b32_e64 v8, 0, 1, s0
	v_add_nc_u32_e32 v1, v1, v8
.LBB57_1721:
	s_or_b32 exec_lo, exec_lo, s6
	s_mov_b32 s0, 0
	s_mov_b32 s6, -1
	global_store_byte v[5:6], v1, off
.LBB57_1722:
	s_mov_b32 s7, 0
.LBB57_1723:
	s_and_b32 vcc_lo, exec_lo, s7
	s_cbranch_vccz .LBB57_1726
; %bb.1724:
	s_cmp_eq_u32 s2, 29
	s_mov_b32 s0, -1
	s_cbranch_scc0 .LBB57_1726
; %bb.1725:
	v_trunc_f32_e32 v1, v7
	s_mov_b32 s0, 0
	s_mov_b32 s6, -1
	v_mul_f32_e32 v8, 0x2f800000, v1
	v_floor_f32_e32 v8, v8
	v_fmamk_f32 v1, v8, 0xcf800000, v1
	v_cvt_u32_f32_e32 v19, v8
	v_cvt_u32_f32_e32 v18, v1
	global_store_dwordx2 v[5:6], v[18:19], off
.LBB57_1726:
	s_mov_b32 s7, 0
.LBB57_1727:
	s_and_b32 vcc_lo, exec_lo, s7
	s_cbranch_vccz .LBB57_1743
; %bb.1728:
	s_cmp_lt_i32 s2, 27
	s_mov_b32 s6, -1
	s_cbranch_scc1 .LBB57_1734
; %bb.1729:
	v_cvt_u32_f32_e32 v1, v7
	s_cmp_gt_i32 s2, 27
	s_cbranch_scc0 .LBB57_1731
; %bb.1730:
	s_mov_b32 s6, 0
	global_store_dword v[5:6], v1, off
.LBB57_1731:
	s_andn2_b32 vcc_lo, exec_lo, s6
	s_cbranch_vccnz .LBB57_1733
; %bb.1732:
	global_store_short v[5:6], v1, off
.LBB57_1733:
	s_mov_b32 s6, 0
.LBB57_1734:
	s_andn2_b32 vcc_lo, exec_lo, s6
	s_cbranch_vccnz .LBB57_1742
; %bb.1735:
	v_and_b32_e32 v1, 0x7fffffff, v7
	v_mov_b32_e32 v8, 0x80
	s_mov_b32 s6, exec_lo
	v_cmpx_gt_u32_e32 0x43800000, v1
	s_cbranch_execz .LBB57_1741
; %bb.1736:
	v_cmp_lt_u32_e32 vcc_lo, 0x3bffffff, v1
	s_mov_b32 s7, 0
                                        ; implicit-def: $vgpr1
	s_and_saveexec_b32 s10, vcc_lo
	s_xor_b32 s10, exec_lo, s10
	s_cbranch_execz .LBB57_2190
; %bb.1737:
	v_bfe_u32 v1, v7, 20, 1
	s_mov_b32 s7, exec_lo
	v_add3_u32 v1, v7, v1, 0x487ffff
	v_lshrrev_b32_e32 v1, 20, v1
	s_andn2_saveexec_b32 s10, s10
	s_cbranch_execnz .LBB57_2191
.LBB57_1738:
	s_or_b32 exec_lo, exec_lo, s10
	v_mov_b32_e32 v8, 0
	s_and_saveexec_b32 s10, s7
.LBB57_1739:
	v_lshrrev_b32_e32 v8, 24, v7
	v_and_or_b32 v8, 0x80, v8, v1
.LBB57_1740:
	s_or_b32 exec_lo, exec_lo, s10
.LBB57_1741:
	s_or_b32 exec_lo, exec_lo, s6
	global_store_byte v[5:6], v8, off
.LBB57_1742:
	s_mov_b32 s6, -1
.LBB57_1743:
	s_mov_b32 s7, 0
.LBB57_1744:
	s_and_b32 vcc_lo, exec_lo, s7
	s_cbranch_vccz .LBB57_1784
; %bb.1745:
	s_cmp_gt_i32 s2, 22
	s_mov_b32 s3, -1
	s_cbranch_scc0 .LBB57_1777
; %bb.1746:
	s_cmp_lt_i32 s2, 24
	s_cbranch_scc1 .LBB57_1766
; %bb.1747:
	s_cmp_gt_i32 s2, 24
	s_cbranch_scc0 .LBB57_1755
; %bb.1748:
	v_and_b32_e32 v1, 0x7fffffff, v7
	v_mov_b32_e32 v8, 0x80
	s_mov_b32 s3, exec_lo
	v_cmpx_gt_u32_e32 0x47800000, v1
	s_cbranch_execz .LBB57_1754
; %bb.1749:
	v_cmp_lt_u32_e32 vcc_lo, 0x37ffffff, v1
	s_mov_b32 s6, 0
                                        ; implicit-def: $vgpr1
	s_and_saveexec_b32 s7, vcc_lo
	s_xor_b32 s7, exec_lo, s7
	s_cbranch_execz .LBB57_2193
; %bb.1750:
	v_bfe_u32 v1, v7, 21, 1
	s_mov_b32 s6, exec_lo
	v_add3_u32 v1, v7, v1, 0x88fffff
	v_lshrrev_b32_e32 v1, 21, v1
	s_andn2_saveexec_b32 s7, s7
	s_cbranch_execnz .LBB57_2194
.LBB57_1751:
	s_or_b32 exec_lo, exec_lo, s7
	v_mov_b32_e32 v8, 0
	s_and_saveexec_b32 s7, s6
.LBB57_1752:
	v_lshrrev_b32_e32 v8, 24, v7
	v_and_or_b32 v8, 0x80, v8, v1
.LBB57_1753:
	s_or_b32 exec_lo, exec_lo, s7
.LBB57_1754:
	s_or_b32 exec_lo, exec_lo, s3
	s_mov_b32 s3, 0
	global_store_byte v[5:6], v8, off
.LBB57_1755:
	s_and_b32 vcc_lo, exec_lo, s3
	s_cbranch_vccz .LBB57_1765
; %bb.1756:
	v_and_b32_e32 v8, 0x7fffffff, v7
	s_mov_b32 s3, exec_lo
                                        ; implicit-def: $vgpr1
	v_cmpx_gt_u32_e32 0x43f00000, v8
	s_xor_b32 s3, exec_lo, s3
	s_cbranch_execz .LBB57_1762
; %bb.1757:
	s_mov_b32 s6, exec_lo
                                        ; implicit-def: $vgpr1
	v_cmpx_lt_u32_e32 0x3c7fffff, v8
	s_xor_b32 s6, exec_lo, s6
; %bb.1758:
	v_bfe_u32 v1, v7, 20, 1
	v_add3_u32 v1, v7, v1, 0x407ffff
	v_and_b32_e32 v8, 0xff00000, v1
	v_lshrrev_b32_e32 v1, 20, v1
	v_cmp_ne_u32_e32 vcc_lo, 0x7f00000, v8
	v_cndmask_b32_e32 v1, 0x7e, v1, vcc_lo
; %bb.1759:
	s_andn2_saveexec_b32 s6, s6
; %bb.1760:
	v_add_f32_e64 v1, 0x46800000, |v7|
; %bb.1761:
	s_or_b32 exec_lo, exec_lo, s6
                                        ; implicit-def: $vgpr8
.LBB57_1762:
	s_andn2_saveexec_b32 s3, s3
; %bb.1763:
	v_mov_b32_e32 v1, 0x7f
	v_cmp_lt_u32_e32 vcc_lo, 0x7f800000, v8
	v_cndmask_b32_e32 v1, 0x7e, v1, vcc_lo
; %bb.1764:
	s_or_b32 exec_lo, exec_lo, s3
	v_lshrrev_b32_e32 v8, 24, v7
	v_and_or_b32 v1, 0x80, v8, v1
	global_store_byte v[5:6], v1, off
.LBB57_1765:
	s_mov_b32 s3, 0
.LBB57_1766:
	s_andn2_b32 vcc_lo, exec_lo, s3
	s_cbranch_vccnz .LBB57_1776
; %bb.1767:
	v_and_b32_e32 v8, 0x7fffffff, v7
	s_mov_b32 s3, exec_lo
                                        ; implicit-def: $vgpr1
	v_cmpx_gt_u32_e32 0x47800000, v8
	s_xor_b32 s3, exec_lo, s3
	s_cbranch_execz .LBB57_1773
; %bb.1768:
	s_mov_b32 s6, exec_lo
                                        ; implicit-def: $vgpr1
	v_cmpx_lt_u32_e32 0x387fffff, v8
	s_xor_b32 s6, exec_lo, s6
; %bb.1769:
	v_bfe_u32 v1, v7, 21, 1
	v_add3_u32 v1, v7, v1, 0x80fffff
	v_lshrrev_b32_e32 v1, 21, v1
; %bb.1770:
	s_andn2_saveexec_b32 s6, s6
; %bb.1771:
	v_add_f32_e64 v1, 0x43000000, |v7|
; %bb.1772:
	s_or_b32 exec_lo, exec_lo, s6
                                        ; implicit-def: $vgpr8
.LBB57_1773:
	s_andn2_saveexec_b32 s3, s3
; %bb.1774:
	v_mov_b32_e32 v1, 0x7f
	v_cmp_lt_u32_e32 vcc_lo, 0x7f800000, v8
	v_cndmask_b32_e32 v1, 0x7c, v1, vcc_lo
; %bb.1775:
	s_or_b32 exec_lo, exec_lo, s3
	v_lshrrev_b32_e32 v8, 24, v7
	v_and_or_b32 v1, 0x80, v8, v1
	global_store_byte v[5:6], v1, off
.LBB57_1776:
	s_mov_b32 s3, 0
	s_mov_b32 s6, -1
.LBB57_1777:
	s_andn2_b32 vcc_lo, exec_lo, s3
	s_mov_b32 s3, 0
	s_cbranch_vccnz .LBB57_1784
; %bb.1778:
	s_cmp_gt_i32 s2, 14
	s_mov_b32 s3, -1
	s_cbranch_scc0 .LBB57_1782
; %bb.1779:
	s_cmp_eq_u32 s2, 15
	s_mov_b32 s0, -1
	s_cbranch_scc0 .LBB57_1781
; %bb.1780:
	v_bfe_u32 v1, v7, 16, 1
	v_cmp_o_f32_e32 vcc_lo, v7, v7
	v_mov_b32_e32 v8, 0x7fc0
	s_mov_b32 s0, 0
	s_mov_b32 s6, -1
	v_add3_u32 v1, v7, v1, 0x7fff
	v_cndmask_b32_sdwa v1, v8, v1, vcc_lo dst_sel:DWORD dst_unused:UNUSED_PAD src0_sel:DWORD src1_sel:WORD_1
	global_store_short v[5:6], v1, off
.LBB57_1781:
	s_mov_b32 s3, 0
.LBB57_1782:
	s_and_b32 vcc_lo, exec_lo, s3
	s_mov_b32 s3, 0
	s_cbranch_vccz .LBB57_1784
; %bb.1783:
	s_cmp_lg_u32 s2, 11
	s_mov_b32 s3, -1
	s_cselect_b32 s0, -1, 0
.LBB57_1784:
	s_and_b32 vcc_lo, exec_lo, s0
	s_cbranch_vccnz .LBB57_2192
; %bb.1785:
	s_andn2_b32 vcc_lo, exec_lo, s3
	s_cbranch_vccnz .LBB57_1787
.LBB57_1786:
	v_cmp_neq_f32_e32 vcc_lo, 0, v7
	s_mov_b32 s6, -1
	v_cndmask_b32_e64 v1, 0, 1, vcc_lo
	global_store_byte v[5:6], v1, off
.LBB57_1787:
	s_mov_b32 s0, 0
	s_branch .LBB57_1789
.LBB57_1788:
	s_mov_b32 s0, -1
	s_mov_b32 s6, 0
.LBB57_1789:
	s_and_b32 vcc_lo, exec_lo, s0
	s_cbranch_vccz .LBB57_1828
; %bb.1790:
	s_and_b32 s0, 0xffff, s1
	s_mov_b32 s1, -1
	s_cmp_lt_i32 s0, 5
	s_cbranch_scc1 .LBB57_1811
; %bb.1791:
	s_cmp_lt_i32 s0, 8
	s_cbranch_scc1 .LBB57_1801
; %bb.1792:
	;; [unrolled: 3-line block ×3, first 2 shown]
	s_cmp_gt_i32 s0, 9
	s_cbranch_scc0 .LBB57_1795
; %bb.1794:
	v_cvt_f64_f32_e32 v[18:19], v7
	v_mov_b32_e32 v20, 0
	s_mov_b32 s1, 0
	v_mov_b32_e32 v21, v20
	global_store_dwordx4 v[5:6], v[18:21], off
.LBB57_1795:
	s_andn2_b32 vcc_lo, exec_lo, s1
	s_cbranch_vccnz .LBB57_1797
; %bb.1796:
	v_mov_b32_e32 v8, 0
	global_store_dwordx2 v[5:6], v[7:8], off
.LBB57_1797:
	s_mov_b32 s1, 0
.LBB57_1798:
	s_andn2_b32 vcc_lo, exec_lo, s1
	s_cbranch_vccnz .LBB57_1800
; %bb.1799:
	v_cvt_f16_f32_e32 v1, v7
	v_and_b32_e32 v1, 0xffff, v1
	global_store_dword v[5:6], v1, off
.LBB57_1800:
	s_mov_b32 s1, 0
.LBB57_1801:
	s_andn2_b32 vcc_lo, exec_lo, s1
	s_cbranch_vccnz .LBB57_1810
; %bb.1802:
	s_cmp_lt_i32 s0, 6
	s_mov_b32 s1, -1
	s_cbranch_scc1 .LBB57_1808
; %bb.1803:
	s_cmp_gt_i32 s0, 6
	s_cbranch_scc0 .LBB57_1805
; %bb.1804:
	v_cvt_f64_f32_e32 v[18:19], v7
	s_mov_b32 s1, 0
	global_store_dwordx2 v[5:6], v[18:19], off
.LBB57_1805:
	s_andn2_b32 vcc_lo, exec_lo, s1
	s_cbranch_vccnz .LBB57_1807
; %bb.1806:
	global_store_dword v[5:6], v7, off
.LBB57_1807:
	s_mov_b32 s1, 0
.LBB57_1808:
	s_andn2_b32 vcc_lo, exec_lo, s1
	s_cbranch_vccnz .LBB57_1810
; %bb.1809:
	v_cvt_f16_f32_e32 v1, v7
	global_store_short v[5:6], v1, off
.LBB57_1810:
	s_mov_b32 s1, 0
.LBB57_1811:
	s_andn2_b32 vcc_lo, exec_lo, s1
	s_cbranch_vccnz .LBB57_1827
; %bb.1812:
	s_cmp_lt_i32 s0, 2
	s_mov_b32 s1, -1
	s_cbranch_scc1 .LBB57_1822
; %bb.1813:
	s_cmp_lt_i32 s0, 3
	s_cbranch_scc1 .LBB57_1819
; %bb.1814:
	s_cmp_gt_i32 s0, 3
	s_cbranch_scc0 .LBB57_1816
; %bb.1815:
	v_trunc_f32_e32 v1, v7
	s_mov_b32 s1, 0
	v_mul_f32_e64 v8, 0x2f800000, |v1|
	v_floor_f32_e32 v8, v8
	v_fma_f32 v12, 0xcf800000, v8, |v1|
	v_ashrrev_i32_e32 v1, 31, v1
	v_cvt_u32_f32_e32 v8, v8
	v_cvt_u32_f32_e32 v12, v12
	v_xor_b32_e32 v8, v8, v1
	v_xor_b32_e32 v12, v12, v1
	v_sub_co_u32 v18, vcc_lo, v12, v1
	v_sub_co_ci_u32_e64 v19, null, v8, v1, vcc_lo
	global_store_dwordx2 v[5:6], v[18:19], off
.LBB57_1816:
	s_andn2_b32 vcc_lo, exec_lo, s1
	s_cbranch_vccnz .LBB57_1818
; %bb.1817:
	v_cvt_i32_f32_e32 v1, v7
	global_store_dword v[5:6], v1, off
.LBB57_1818:
	s_mov_b32 s1, 0
.LBB57_1819:
	s_andn2_b32 vcc_lo, exec_lo, s1
	s_cbranch_vccnz .LBB57_1821
; %bb.1820:
	v_cvt_i32_f32_e32 v1, v7
	global_store_short v[5:6], v1, off
.LBB57_1821:
	s_mov_b32 s1, 0
.LBB57_1822:
	s_andn2_b32 vcc_lo, exec_lo, s1
	s_cbranch_vccnz .LBB57_1827
; %bb.1823:
	s_cmp_gt_i32 s0, 0
	s_mov_b32 s0, -1
	s_cbranch_scc0 .LBB57_1825
; %bb.1824:
	v_cvt_i32_f32_e32 v1, v7
	s_mov_b32 s0, 0
	global_store_byte v[5:6], v1, off
.LBB57_1825:
	s_andn2_b32 vcc_lo, exec_lo, s0
	s_cbranch_vccnz .LBB57_1827
; %bb.1826:
	v_trunc_f32_e32 v1, v7
	v_mul_f32_e64 v7, 0x2f800000, |v1|
	v_floor_f32_e32 v7, v7
	v_fma_f32 v7, 0xcf800000, v7, |v1|
	v_ashrrev_i32_e32 v1, 31, v1
	v_cvt_u32_f32_e32 v7, v7
	v_xor_b32_e32 v7, v7, v1
	v_sub_nc_u32_e32 v1, v7, v1
	global_store_byte v[5:6], v1, off
.LBB57_1827:
	s_mov_b32 s6, -1
.LBB57_1828:
	s_andn2_b32 vcc_lo, exec_lo, s6
	s_cbranch_vccnz .LBB57_2143
; %bb.1829:
	v_add_f32_e32 v1, 1.0, v3
	v_mul_f32_e32 v3, v3, v3
	v_mul_f32_e32 v5, v1, v1
	v_add_f32_e32 v1, 1.0, v1
	v_div_scale_f32 v6, null, v3, v3, 1.0
	v_div_scale_f32 v8, vcc_lo, 1.0, v3, 1.0
	v_mul_f32_e32 v12, v1, v1
	v_div_scale_f32 v7, null, v5, v5, 1.0
	v_rcp_f32_e32 v18, v6
	v_div_scale_f32 v21, s0, 1.0, v5, 1.0
	v_div_scale_f32 v20, null, v12, v12, 1.0
	v_rcp_f32_e32 v19, v7
	v_add_f32_e32 v1, 1.0, v1
	v_div_scale_f32 v22, s1, 1.0, v12, 1.0
	v_rcp_f32_e32 v23, v20
	v_fma_f32 v25, -v6, v18, 1.0
	v_mul_f32_e32 v24, v1, v1
	v_add_f32_e32 v1, 1.0, v1
	v_fma_f32 v26, -v7, v19, 1.0
	v_fmac_f32_e32 v18, v25, v18
	v_mul_f32_e32 v28, v1, v1
	v_add_f32_e32 v1, 1.0, v1
	v_fma_f32 v25, -v20, v23, 1.0
	v_fmac_f32_e32 v19, v26, v19
	v_mul_f32_e32 v29, v8, v18
	v_div_scale_f32 v27, null, v24, v24, 1.0
	v_fmac_f32_e32 v23, v25, v23
	v_mul_f32_e32 v30, v21, v19
	v_fma_f32 v31, -v6, v29, v8
	v_add_f32_e32 v34, 1.0, v1
	v_rcp_f32_e32 v26, v27
	v_mul_f32_e32 v33, v22, v23
	v_fma_f32 v32, -v7, v30, v21
	v_fmac_f32_e32 v29, v31, v18
	v_mul_f32_e32 v1, v1, v1
	v_div_scale_f32 v25, null, v28, v28, 1.0
	v_fma_f32 v31, -v20, v33, v22
	v_fmac_f32_e32 v30, v32, v19
	v_fma_f32 v6, -v6, v29, v8
	v_mul_f32_e32 v8, v34, v34
	v_rcp_f32_e32 v32, v25
	v_fmac_f32_e32 v33, v31, v23
	v_fma_f32 v7, -v7, v30, v21
	v_div_fmas_f32 v6, v6, v18, v29
	s_mov_b32 vcc_lo, s0
	v_fma_f32 v35, -v27, v26, 1.0
	v_fma_f32 v18, -v20, v33, v22
	v_div_fmas_f32 v7, v7, v19, v30
	s_mov_b32 vcc_lo, s1
	v_div_scale_f32 v19, null, v1, v1, 1.0
	v_div_fmas_f32 v18, v18, v23, v33
	v_div_scale_f32 v20, null, v8, v8, 1.0
	v_add_f32_e32 v23, v34, v34
	v_rcp_f32_e32 v22, v19
	v_fmac_f32_e32 v26, v35, v26
	v_rcp_f32_e32 v30, v20
	v_div_scale_f32 v21, vcc_lo, 1.0, v24, 1.0
	v_div_scale_f32 v33, null, v23, v23, 1.0
	v_fma_f32 v29, -v25, v32, 1.0
	v_mul_f32_e32 v31, v21, v26
	v_div_fixup_f32 v3, v6, v3, 1.0
	v_rcp_f32_e32 v36, v33
	v_fma_f32 v35, -v19, v22, 1.0
	v_fmac_f32_e32 v32, v29, v32
	v_div_scale_f32 v29, s0, 1.0, v28, 1.0
	v_fma_f32 v38, -v20, v30, 1.0
	v_fma_f32 v37, -v27, v31, v21
	v_fmac_f32_e32 v22, v35, v22
	v_div_scale_f32 v35, s1, 1.0, v1, 1.0
	v_mul_f32_e32 v39, v29, v32
	v_fmac_f32_e32 v30, v38, v30
	v_div_scale_f32 v38, s2, 1.0, v8, 1.0
	v_fma_f32 v40, -v33, v36, 1.0
	v_fmac_f32_e32 v31, v37, v26
	v_mul_f32_e32 v41, v35, v22
	v_fma_f32 v37, -v25, v39, v29
	v_mul_f32_e32 v42, v38, v30
	v_fmac_f32_e32 v36, v40, v36
	v_div_scale_f32 v40, s3, 1.0, v23, 1.0
	v_fma_f32 v21, -v27, v31, v21
	v_fma_f32 v27, -v19, v41, v35
	v_fmac_f32_e32 v39, v37, v32
	v_fma_f32 v37, -v20, v42, v38
	v_mul_f32_e32 v43, v40, v36
	v_div_fmas_f32 v21, v21, v26, v31
	v_fmac_f32_e32 v41, v27, v22
	v_fma_f32 v25, -v25, v39, v29
	v_fmac_f32_e32 v42, v37, v30
	v_fma_f32 v26, -v33, v43, v40
	s_mov_b32 vcc_lo, s0
	v_fma_f32 v19, -v19, v41, v35
	v_div_fmas_f32 v25, v25, v32, v39
	v_fma_f32 v20, -v20, v42, v38
	v_fmac_f32_e32 v43, v26, v36
	s_mov_b32 vcc_lo, s1
	s_mov_b32 s0, 0xbcc30c31
	v_div_fmas_f32 v19, v19, v22, v41
	s_mov_b32 vcc_lo, s2
	v_fma_f32 v22, -v33, v43, v40
	v_div_fmas_f32 v20, v20, v30, v42
	s_mov_b32 vcc_lo, s3
	v_add_f32_e32 v3, v14, v3
	v_div_fixup_f32 v5, v7, v5, 1.0
	v_div_fmas_f32 v22, v22, v36, v43
	v_div_fixup_f32 v8, v20, v8, 1.0
	v_div_fixup_f32 v1, v19, v1, 1.0
	v_add_f32_e32 v3, v3, v5
	v_div_fixup_f32 v20, v22, v23, 1.0
	v_fmaak_f32 v22, s0, v8, 0x3d088889
	v_div_fixup_f32 v5, v18, v12, 1.0
	s_lshr_b32 s0, s5, 8
	v_add_f32_e32 v20, 1.0, v20
	v_fma_f32 v22, -v8, v22, 0x3e2aaaab
	v_add_f32_e32 v3, v3, v5
	v_div_fixup_f32 v5, v21, v24, 1.0
	s_and_b32 s10, s0, 0xff
	v_fmac_f32_e32 v20, v8, v22
	s_cmp_lt_i32 s10, 11
	v_add_f32_e32 v3, v3, v5
	v_div_fixup_f32 v5, v25, v28, 1.0
	v_div_scale_f32 v8, null, v34, v34, v20
	v_add_f32_e32 v3, v3, v5
	v_rcp_f32_e32 v22, v8
	v_add_f32_e32 v1, v3, v1
	v_fma_f32 v6, -v8, v22, 1.0
	v_fmac_f32_e32 v22, v6, v22
	v_div_scale_f32 v6, vcc_lo, v20, v34, v20
	v_mul_f32_e32 v7, v6, v22
	v_fma_f32 v12, -v8, v7, v6
	v_fmac_f32_e32 v7, v12, v22
	v_fma_f32 v6, -v8, v7, v6
	v_div_fmas_f32 v5, v6, v22, v7
	v_div_fixup_f32 v3, v5, v34, v20
	v_add_f32_e32 v1, v1, v3
	v_add_co_u32 v3, s0, s8, v4
	v_add_co_ci_u32_e64 v4, null, s9, 0, s0
	v_mul_f32_e32 v5, v11, v1
	s_cbranch_scc1 .LBB57_1907
; %bb.1830:
	s_and_b32 s1, 0xffff, s10
	s_mov_b32 s5, -1
	s_mov_b32 s2, 0
	s_cmp_gt_i32 s1, 25
	s_mov_b32 s3, 0
	s_mov_b32 s0, 0
	s_cbranch_scc0 .LBB57_1863
; %bb.1831:
	s_cmp_gt_i32 s1, 28
	s_cbranch_scc0 .LBB57_1846
; %bb.1832:
	s_cmp_gt_i32 s1, 43
	;; [unrolled: 3-line block ×3, first 2 shown]
	s_cbranch_scc0 .LBB57_1836
; %bb.1834:
	s_mov_b32 s0, -1
	s_mov_b32 s5, 0
	s_cmp_eq_u32 s1, 46
	s_cbranch_scc0 .LBB57_1836
; %bb.1835:
	v_bfe_u32 v1, v5, 16, 1
	v_cmp_o_f32_e32 vcc_lo, v5, v5
	v_mov_b32_e32 v6, 0x7fc0
	s_mov_b32 s0, 0
	s_mov_b32 s3, -1
	v_add3_u32 v1, v5, v1, 0x7fff
	v_cndmask_b32_sdwa v1, v6, v1, vcc_lo dst_sel:DWORD dst_unused:UNUSED_PAD src0_sel:DWORD src1_sel:WORD_1
	global_store_dword v[3:4], v1, off
.LBB57_1836:
	s_and_b32 vcc_lo, exec_lo, s5
	s_cbranch_vccz .LBB57_1841
; %bb.1837:
	s_cmp_eq_u32 s1, 44
	s_mov_b32 s0, -1
	s_cbranch_scc0 .LBB57_1841
; %bb.1838:
	v_bfe_u32 v6, v5, 23, 8
	v_mov_b32_e32 v1, 0xff
	s_mov_b32 s3, exec_lo
	v_cmpx_ne_u32_e32 0xff, v6
	s_cbranch_execz .LBB57_1840
; %bb.1839:
	v_and_b32_e32 v1, 0x400000, v5
	v_and_or_b32 v6, 0x3fffff, v5, v6
	v_cmp_ne_u32_e32 vcc_lo, 0, v1
	v_cmp_ne_u32_e64 s0, 0, v6
	v_lshrrev_b32_e32 v1, 23, v5
	s_and_b32 s0, vcc_lo, s0
	v_cndmask_b32_e64 v6, 0, 1, s0
	v_add_nc_u32_e32 v1, v1, v6
.LBB57_1840:
	s_or_b32 exec_lo, exec_lo, s3
	s_mov_b32 s0, 0
	s_mov_b32 s3, -1
	global_store_byte v[3:4], v1, off
.LBB57_1841:
	s_mov_b32 s5, 0
.LBB57_1842:
	s_and_b32 vcc_lo, exec_lo, s5
	s_cbranch_vccz .LBB57_1845
; %bb.1843:
	s_cmp_eq_u32 s1, 29
	s_mov_b32 s0, -1
	s_cbranch_scc0 .LBB57_1845
; %bb.1844:
	v_trunc_f32_e32 v1, v5
	s_mov_b32 s0, 0
	s_mov_b32 s3, -1
	v_mul_f32_e32 v6, 0x2f800000, v1
	v_floor_f32_e32 v6, v6
	v_fmamk_f32 v1, v6, 0xcf800000, v1
	v_cvt_u32_f32_e32 v7, v6
	v_cvt_u32_f32_e32 v6, v1
	global_store_dwordx2 v[3:4], v[6:7], off
.LBB57_1845:
	s_mov_b32 s5, 0
.LBB57_1846:
	s_and_b32 vcc_lo, exec_lo, s5
	s_cbranch_vccz .LBB57_1862
; %bb.1847:
	s_cmp_lt_i32 s1, 27
	s_mov_b32 s3, -1
	s_cbranch_scc1 .LBB57_1853
; %bb.1848:
	s_cmp_gt_i32 s1, 27
	s_cbranch_scc0 .LBB57_1850
; %bb.1849:
	v_cvt_u32_f32_e32 v1, v5
	s_mov_b32 s3, 0
	global_store_dword v[3:4], v1, off
.LBB57_1850:
	s_andn2_b32 vcc_lo, exec_lo, s3
	s_cbranch_vccnz .LBB57_1852
; %bb.1851:
	v_cvt_u32_f32_e32 v1, v5
	global_store_short v[3:4], v1, off
.LBB57_1852:
	s_mov_b32 s3, 0
.LBB57_1853:
	s_andn2_b32 vcc_lo, exec_lo, s3
	s_cbranch_vccnz .LBB57_1861
; %bb.1854:
	v_and_b32_e32 v1, 0x7fffffff, v5
	v_mov_b32_e32 v6, 0x80
	s_mov_b32 s3, exec_lo
	v_cmpx_gt_u32_e32 0x43800000, v1
	s_cbranch_execz .LBB57_1860
; %bb.1855:
	v_cmp_lt_u32_e32 vcc_lo, 0x3bffffff, v1
	s_mov_b32 s5, 0
                                        ; implicit-def: $vgpr1
	s_and_saveexec_b32 s6, vcc_lo
	s_xor_b32 s6, exec_lo, s6
	s_cbranch_execz .LBB57_2195
; %bb.1856:
	v_bfe_u32 v1, v5, 20, 1
	s_mov_b32 s5, exec_lo
	v_add3_u32 v1, v5, v1, 0x487ffff
	v_lshrrev_b32_e32 v1, 20, v1
	s_andn2_saveexec_b32 s6, s6
	s_cbranch_execnz .LBB57_2196
.LBB57_1857:
	s_or_b32 exec_lo, exec_lo, s6
	v_mov_b32_e32 v6, 0
	s_and_saveexec_b32 s6, s5
.LBB57_1858:
	v_lshrrev_b32_e32 v6, 24, v5
	v_and_or_b32 v6, 0x80, v6, v1
.LBB57_1859:
	s_or_b32 exec_lo, exec_lo, s6
.LBB57_1860:
	s_or_b32 exec_lo, exec_lo, s3
	global_store_byte v[3:4], v6, off
.LBB57_1861:
	s_mov_b32 s3, -1
.LBB57_1862:
	s_mov_b32 s5, 0
.LBB57_1863:
	s_and_b32 vcc_lo, exec_lo, s5
	s_cbranch_vccz .LBB57_1903
; %bb.1864:
	s_cmp_gt_i32 s1, 22
	s_mov_b32 s2, -1
	s_cbranch_scc0 .LBB57_1896
; %bb.1865:
	s_cmp_lt_i32 s1, 24
	s_cbranch_scc1 .LBB57_1885
; %bb.1866:
	s_cmp_gt_i32 s1, 24
	s_cbranch_scc0 .LBB57_1874
; %bb.1867:
	v_and_b32_e32 v1, 0x7fffffff, v5
	v_mov_b32_e32 v6, 0x80
	s_mov_b32 s2, exec_lo
	v_cmpx_gt_u32_e32 0x47800000, v1
	s_cbranch_execz .LBB57_1873
; %bb.1868:
	v_cmp_lt_u32_e32 vcc_lo, 0x37ffffff, v1
	s_mov_b32 s3, 0
                                        ; implicit-def: $vgpr1
	s_and_saveexec_b32 s5, vcc_lo
	s_xor_b32 s5, exec_lo, s5
	s_cbranch_execz .LBB57_2198
; %bb.1869:
	v_bfe_u32 v1, v5, 21, 1
	s_mov_b32 s3, exec_lo
	v_add3_u32 v1, v5, v1, 0x88fffff
	v_lshrrev_b32_e32 v1, 21, v1
	s_andn2_saveexec_b32 s5, s5
	s_cbranch_execnz .LBB57_2199
.LBB57_1870:
	s_or_b32 exec_lo, exec_lo, s5
	v_mov_b32_e32 v6, 0
	s_and_saveexec_b32 s5, s3
.LBB57_1871:
	v_lshrrev_b32_e32 v6, 24, v5
	v_and_or_b32 v6, 0x80, v6, v1
.LBB57_1872:
	s_or_b32 exec_lo, exec_lo, s5
.LBB57_1873:
	s_or_b32 exec_lo, exec_lo, s2
	s_mov_b32 s2, 0
	global_store_byte v[3:4], v6, off
.LBB57_1874:
	s_and_b32 vcc_lo, exec_lo, s2
	s_cbranch_vccz .LBB57_1884
; %bb.1875:
	v_and_b32_e32 v6, 0x7fffffff, v5
	s_mov_b32 s2, exec_lo
                                        ; implicit-def: $vgpr1
	v_cmpx_gt_u32_e32 0x43f00000, v6
	s_xor_b32 s2, exec_lo, s2
	s_cbranch_execz .LBB57_1881
; %bb.1876:
	s_mov_b32 s3, exec_lo
                                        ; implicit-def: $vgpr1
	v_cmpx_lt_u32_e32 0x3c7fffff, v6
	s_xor_b32 s3, exec_lo, s3
; %bb.1877:
	v_bfe_u32 v1, v5, 20, 1
	v_add3_u32 v1, v5, v1, 0x407ffff
	v_and_b32_e32 v6, 0xff00000, v1
	v_lshrrev_b32_e32 v1, 20, v1
	v_cmp_ne_u32_e32 vcc_lo, 0x7f00000, v6
	v_cndmask_b32_e32 v1, 0x7e, v1, vcc_lo
; %bb.1878:
	s_andn2_saveexec_b32 s3, s3
; %bb.1879:
	v_add_f32_e64 v1, 0x46800000, |v5|
; %bb.1880:
	s_or_b32 exec_lo, exec_lo, s3
                                        ; implicit-def: $vgpr6
.LBB57_1881:
	s_andn2_saveexec_b32 s2, s2
; %bb.1882:
	v_mov_b32_e32 v1, 0x7f
	v_cmp_lt_u32_e32 vcc_lo, 0x7f800000, v6
	v_cndmask_b32_e32 v1, 0x7e, v1, vcc_lo
; %bb.1883:
	s_or_b32 exec_lo, exec_lo, s2
	v_lshrrev_b32_e32 v6, 24, v5
	v_and_or_b32 v1, 0x80, v6, v1
	global_store_byte v[3:4], v1, off
.LBB57_1884:
	s_mov_b32 s2, 0
.LBB57_1885:
	s_andn2_b32 vcc_lo, exec_lo, s2
	s_cbranch_vccnz .LBB57_1895
; %bb.1886:
	v_and_b32_e32 v6, 0x7fffffff, v5
	s_mov_b32 s2, exec_lo
                                        ; implicit-def: $vgpr1
	v_cmpx_gt_u32_e32 0x47800000, v6
	s_xor_b32 s2, exec_lo, s2
	s_cbranch_execz .LBB57_1892
; %bb.1887:
	s_mov_b32 s3, exec_lo
                                        ; implicit-def: $vgpr1
	v_cmpx_lt_u32_e32 0x387fffff, v6
	s_xor_b32 s3, exec_lo, s3
; %bb.1888:
	v_bfe_u32 v1, v5, 21, 1
	v_add3_u32 v1, v5, v1, 0x80fffff
	v_lshrrev_b32_e32 v1, 21, v1
; %bb.1889:
	s_andn2_saveexec_b32 s3, s3
; %bb.1890:
	v_add_f32_e64 v1, 0x43000000, |v5|
; %bb.1891:
	s_or_b32 exec_lo, exec_lo, s3
                                        ; implicit-def: $vgpr6
.LBB57_1892:
	s_andn2_saveexec_b32 s2, s2
; %bb.1893:
	v_mov_b32_e32 v1, 0x7f
	v_cmp_lt_u32_e32 vcc_lo, 0x7f800000, v6
	v_cndmask_b32_e32 v1, 0x7c, v1, vcc_lo
; %bb.1894:
	s_or_b32 exec_lo, exec_lo, s2
	v_lshrrev_b32_e32 v6, 24, v5
	v_and_or_b32 v1, 0x80, v6, v1
	global_store_byte v[3:4], v1, off
.LBB57_1895:
	s_mov_b32 s2, 0
	s_mov_b32 s3, -1
.LBB57_1896:
	s_andn2_b32 vcc_lo, exec_lo, s2
	s_mov_b32 s2, 0
	s_cbranch_vccnz .LBB57_1903
; %bb.1897:
	s_cmp_gt_i32 s1, 14
	s_mov_b32 s2, -1
	s_cbranch_scc0 .LBB57_1901
; %bb.1898:
	s_cmp_eq_u32 s1, 15
	s_mov_b32 s0, -1
	s_cbranch_scc0 .LBB57_1900
; %bb.1899:
	v_bfe_u32 v1, v5, 16, 1
	v_cmp_o_f32_e32 vcc_lo, v5, v5
	v_mov_b32_e32 v6, 0x7fc0
	s_mov_b32 s0, 0
	s_mov_b32 s3, -1
	v_add3_u32 v1, v5, v1, 0x7fff
	v_cndmask_b32_sdwa v1, v6, v1, vcc_lo dst_sel:DWORD dst_unused:UNUSED_PAD src0_sel:DWORD src1_sel:WORD_1
	global_store_short v[3:4], v1, off
.LBB57_1900:
	s_mov_b32 s2, 0
.LBB57_1901:
	s_and_b32 vcc_lo, exec_lo, s2
	s_mov_b32 s2, 0
	s_cbranch_vccz .LBB57_1903
; %bb.1902:
	s_cmp_lg_u32 s1, 11
	s_mov_b32 s2, -1
	s_cselect_b32 s0, -1, 0
.LBB57_1903:
	s_and_b32 vcc_lo, exec_lo, s0
	s_cbranch_vccnz .LBB57_2197
; %bb.1904:
	s_andn2_b32 vcc_lo, exec_lo, s2
	s_cbranch_vccnz .LBB57_1906
.LBB57_1905:
	v_cmp_neq_f32_e32 vcc_lo, 0, v5
	s_mov_b32 s3, -1
	v_cndmask_b32_e64 v1, 0, 1, vcc_lo
	global_store_byte v[3:4], v1, off
.LBB57_1906:
	s_mov_b32 s0, 0
	s_branch .LBB57_1908
.LBB57_1907:
	s_mov_b32 s0, -1
	s_mov_b32 s3, 0
.LBB57_1908:
	s_and_b32 vcc_lo, exec_lo, s0
	s_cbranch_vccz .LBB57_1947
; %bb.1909:
	s_and_b32 s0, 0xffff, s10
	s_mov_b32 s1, -1
	s_cmp_lt_i32 s0, 5
	s_cbranch_scc1 .LBB57_1930
; %bb.1910:
	s_cmp_lt_i32 s0, 8
	s_cbranch_scc1 .LBB57_1920
; %bb.1911:
	;; [unrolled: 3-line block ×3, first 2 shown]
	s_cmp_gt_i32 s0, 9
	s_cbranch_scc0 .LBB57_1914
; %bb.1913:
	v_cvt_f64_f32_e32 v[18:19], v5
	v_mov_b32_e32 v20, 0
	s_mov_b32 s1, 0
	v_mov_b32_e32 v21, v20
	global_store_dwordx4 v[3:4], v[18:21], off
.LBB57_1914:
	s_andn2_b32 vcc_lo, exec_lo, s1
	s_cbranch_vccnz .LBB57_1916
; %bb.1915:
	v_mov_b32_e32 v6, 0
	global_store_dwordx2 v[3:4], v[5:6], off
.LBB57_1916:
	s_mov_b32 s1, 0
.LBB57_1917:
	s_andn2_b32 vcc_lo, exec_lo, s1
	s_cbranch_vccnz .LBB57_1919
; %bb.1918:
	v_cvt_f16_f32_e32 v1, v5
	v_and_b32_e32 v1, 0xffff, v1
	global_store_dword v[3:4], v1, off
.LBB57_1919:
	s_mov_b32 s1, 0
.LBB57_1920:
	s_andn2_b32 vcc_lo, exec_lo, s1
	s_cbranch_vccnz .LBB57_1929
; %bb.1921:
	s_cmp_lt_i32 s0, 6
	s_mov_b32 s1, -1
	s_cbranch_scc1 .LBB57_1927
; %bb.1922:
	s_cmp_gt_i32 s0, 6
	s_cbranch_scc0 .LBB57_1924
; %bb.1923:
	v_cvt_f64_f32_e32 v[6:7], v5
	s_mov_b32 s1, 0
	global_store_dwordx2 v[3:4], v[6:7], off
.LBB57_1924:
	s_andn2_b32 vcc_lo, exec_lo, s1
	s_cbranch_vccnz .LBB57_1926
; %bb.1925:
	global_store_dword v[3:4], v5, off
.LBB57_1926:
	s_mov_b32 s1, 0
.LBB57_1927:
	s_andn2_b32 vcc_lo, exec_lo, s1
	s_cbranch_vccnz .LBB57_1929
; %bb.1928:
	v_cvt_f16_f32_e32 v1, v5
	global_store_short v[3:4], v1, off
.LBB57_1929:
	s_mov_b32 s1, 0
.LBB57_1930:
	s_andn2_b32 vcc_lo, exec_lo, s1
	s_cbranch_vccnz .LBB57_1946
; %bb.1931:
	s_cmp_lt_i32 s0, 2
	s_mov_b32 s1, -1
	s_cbranch_scc1 .LBB57_1941
; %bb.1932:
	s_cmp_lt_i32 s0, 3
	s_cbranch_scc1 .LBB57_1938
; %bb.1933:
	s_cmp_gt_i32 s0, 3
	s_cbranch_scc0 .LBB57_1935
; %bb.1934:
	v_trunc_f32_e32 v1, v5
	s_mov_b32 s1, 0
	v_mul_f32_e64 v6, 0x2f800000, |v1|
	v_floor_f32_e32 v6, v6
	v_fma_f32 v7, 0xcf800000, v6, |v1|
	v_ashrrev_i32_e32 v1, 31, v1
	v_cvt_u32_f32_e32 v6, v6
	v_cvt_u32_f32_e32 v7, v7
	v_xor_b32_e32 v8, v6, v1
	v_xor_b32_e32 v7, v7, v1
	v_sub_co_u32 v6, vcc_lo, v7, v1
	v_sub_co_ci_u32_e64 v7, null, v8, v1, vcc_lo
	global_store_dwordx2 v[3:4], v[6:7], off
.LBB57_1935:
	s_andn2_b32 vcc_lo, exec_lo, s1
	s_cbranch_vccnz .LBB57_1937
; %bb.1936:
	v_cvt_i32_f32_e32 v1, v5
	global_store_dword v[3:4], v1, off
.LBB57_1937:
	s_mov_b32 s1, 0
.LBB57_1938:
	s_andn2_b32 vcc_lo, exec_lo, s1
	s_cbranch_vccnz .LBB57_1940
; %bb.1939:
	v_cvt_i32_f32_e32 v1, v5
	global_store_short v[3:4], v1, off
.LBB57_1940:
	s_mov_b32 s1, 0
.LBB57_1941:
	s_andn2_b32 vcc_lo, exec_lo, s1
	s_cbranch_vccnz .LBB57_1946
; %bb.1942:
	s_cmp_gt_i32 s0, 0
	s_mov_b32 s0, -1
	s_cbranch_scc0 .LBB57_1944
; %bb.1943:
	v_cvt_i32_f32_e32 v1, v5
	s_mov_b32 s0, 0
	global_store_byte v[3:4], v1, off
.LBB57_1944:
	s_andn2_b32 vcc_lo, exec_lo, s0
	s_cbranch_vccnz .LBB57_1946
; %bb.1945:
	v_trunc_f32_e32 v1, v5
	v_mul_f32_e64 v5, 0x2f800000, |v1|
	v_floor_f32_e32 v5, v5
	v_fma_f32 v5, 0xcf800000, v5, |v1|
	v_ashrrev_i32_e32 v1, 31, v1
	v_cvt_u32_f32_e32 v5, v5
	v_xor_b32_e32 v5, v5, v1
	v_sub_nc_u32_e32 v1, v5, v1
	global_store_byte v[3:4], v1, off
.LBB57_1946:
	s_mov_b32 s3, -1
.LBB57_1947:
	s_andn2_b32 vcc_lo, exec_lo, s3
	s_cbranch_vccnz .LBB57_2143
; %bb.1948:
	v_add_f32_e32 v1, 1.0, v10
	v_mul_f32_e32 v3, v10, v10
	s_cmp_lt_i32 s10, 11
	v_mul_f32_e32 v4, v1, v1
	v_add_f32_e32 v1, 1.0, v1
	v_div_scale_f32 v5, null, v3, v3, 1.0
	v_div_scale_f32 v7, vcc_lo, 1.0, v3, 1.0
	v_mul_f32_e32 v8, v1, v1
	v_div_scale_f32 v6, null, v4, v4, 1.0
	v_rcp_f32_e32 v10, v5
	v_div_scale_f32 v14, s0, 1.0, v4, 1.0
	v_div_scale_f32 v12, null, v8, v8, 1.0
	v_rcp_f32_e32 v11, v6
	v_add_f32_e32 v1, 1.0, v1
	v_div_scale_f32 v18, s1, 1.0, v8, 1.0
	v_rcp_f32_e32 v19, v12
	v_fma_f32 v21, -v5, v10, 1.0
	v_mul_f32_e32 v20, v1, v1
	v_add_f32_e32 v1, 1.0, v1
	v_fma_f32 v22, -v6, v11, 1.0
	v_fmac_f32_e32 v10, v21, v10
	v_mul_f32_e32 v24, v1, v1
	v_add_f32_e32 v1, 1.0, v1
	v_fma_f32 v21, -v12, v19, 1.0
	v_fmac_f32_e32 v11, v22, v11
	v_mul_f32_e32 v25, v7, v10
	v_div_scale_f32 v23, null, v20, v20, 1.0
	v_fmac_f32_e32 v19, v21, v19
	v_mul_f32_e32 v26, v14, v11
	v_fma_f32 v27, -v5, v25, v7
	v_add_f32_e32 v30, 1.0, v1
	v_rcp_f32_e32 v22, v23
	v_mul_f32_e32 v29, v18, v19
	v_fma_f32 v28, -v6, v26, v14
	v_fmac_f32_e32 v25, v27, v10
	v_mul_f32_e32 v1, v1, v1
	v_div_scale_f32 v21, null, v24, v24, 1.0
	v_fma_f32 v27, -v12, v29, v18
	v_fmac_f32_e32 v26, v28, v11
	v_fma_f32 v5, -v5, v25, v7
	v_mul_f32_e32 v7, v30, v30
	v_rcp_f32_e32 v28, v21
	v_fmac_f32_e32 v29, v27, v19
	v_fma_f32 v6, -v6, v26, v14
	v_div_fmas_f32 v5, v5, v10, v25
	s_mov_b32 vcc_lo, s0
	v_fma_f32 v31, -v23, v22, 1.0
	v_fma_f32 v10, -v12, v29, v18
	v_div_fmas_f32 v6, v6, v11, v26
	s_mov_b32 vcc_lo, s1
	v_div_scale_f32 v11, null, v1, v1, 1.0
	v_div_fmas_f32 v10, v10, v19, v29
	v_div_scale_f32 v12, null, v7, v7, 1.0
	v_add_f32_e32 v19, v30, v30
	v_rcp_f32_e32 v18, v11
	v_fmac_f32_e32 v22, v31, v22
	v_rcp_f32_e32 v26, v12
	v_div_scale_f32 v14, vcc_lo, 1.0, v20, 1.0
	v_div_scale_f32 v29, null, v19, v19, 1.0
	v_fma_f32 v25, -v21, v28, 1.0
	v_mul_f32_e32 v27, v14, v22
	v_div_fixup_f32 v3, v5, v3, 1.0
	v_rcp_f32_e32 v32, v29
	v_fma_f32 v31, -v11, v18, 1.0
	v_fmac_f32_e32 v28, v25, v28
	v_div_scale_f32 v25, s0, 1.0, v24, 1.0
	v_fma_f32 v34, -v12, v26, 1.0
	v_fma_f32 v33, -v23, v27, v14
	v_fmac_f32_e32 v18, v31, v18
	v_div_scale_f32 v31, s1, 1.0, v1, 1.0
	v_mul_f32_e32 v35, v25, v28
	v_fmac_f32_e32 v26, v34, v26
	v_div_scale_f32 v34, s2, 1.0, v7, 1.0
	v_fma_f32 v36, -v29, v32, 1.0
	v_fmac_f32_e32 v27, v33, v22
	v_mul_f32_e32 v37, v31, v18
	v_fma_f32 v33, -v21, v35, v25
	v_mul_f32_e32 v38, v34, v26
	v_fmac_f32_e32 v32, v36, v32
	v_div_scale_f32 v36, s3, 1.0, v19, 1.0
	v_fma_f32 v14, -v23, v27, v14
	v_fma_f32 v23, -v11, v37, v31
	v_fmac_f32_e32 v35, v33, v28
	v_fma_f32 v33, -v12, v38, v34
	v_mul_f32_e32 v39, v36, v32
	v_div_fmas_f32 v14, v14, v22, v27
	v_fmac_f32_e32 v37, v23, v18
	v_fma_f32 v21, -v21, v35, v25
	v_fmac_f32_e32 v38, v33, v26
	v_fma_f32 v22, -v29, v39, v36
	s_mov_b32 vcc_lo, s0
	v_fma_f32 v11, -v11, v37, v31
	v_div_fmas_f32 v21, v21, v28, v35
	v_fma_f32 v12, -v12, v38, v34
	v_fmac_f32_e32 v39, v22, v32
	s_mov_b32 vcc_lo, s1
	s_mov_b32 s0, 0xbcc30c31
	v_div_fmas_f32 v11, v11, v18, v37
	s_mov_b32 vcc_lo, s2
	v_fma_f32 v18, -v29, v39, v36
	v_div_fmas_f32 v12, v12, v26, v38
	s_mov_b32 vcc_lo, s3
	v_add_f32_e32 v3, v16, v3
	v_div_fixup_f32 v4, v6, v4, 1.0
	v_div_fmas_f32 v18, v18, v32, v39
	v_div_fixup_f32 v7, v12, v7, 1.0
	v_div_fixup_f32 v1, v11, v1, 1.0
	v_add_f32_e32 v3, v3, v4
	v_div_fixup_f32 v12, v18, v19, 1.0
	v_fmaak_f32 v18, s0, v7, 0x3d088889
	v_div_fixup_f32 v4, v10, v8, 1.0
	v_add_f32_e32 v12, 1.0, v12
	v_fma_f32 v18, -v7, v18, 0x3e2aaaab
	v_add_f32_e32 v3, v3, v4
	v_div_fixup_f32 v4, v14, v20, 1.0
	v_fmac_f32_e32 v12, v7, v18
	v_add_f32_e32 v3, v3, v4
	v_div_fixup_f32 v4, v21, v24, 1.0
	v_div_scale_f32 v7, null, v30, v30, v12
	v_add_f32_e32 v3, v3, v4
	v_rcp_f32_e32 v18, v7
	v_add_f32_e32 v1, v3, v1
	v_fma_f32 v5, -v7, v18, 1.0
	v_fmac_f32_e32 v18, v5, v18
	v_div_scale_f32 v5, vcc_lo, v12, v30, v12
	v_mul_f32_e32 v6, v5, v18
	v_fma_f32 v8, -v7, v6, v5
	v_fmac_f32_e32 v6, v8, v18
	v_fma_f32 v5, -v7, v6, v5
	v_div_fmas_f32 v4, v5, v18, v6
	v_div_fixup_f32 v3, v4, v30, v12
	v_add_f32_e32 v1, v1, v3
	v_mul_f32_e32 v3, v13, v1
	v_add_co_u32 v1, s0, s8, v2
	v_add_co_ci_u32_e64 v2, null, s9, 0, s0
	s_cbranch_scc1 .LBB57_2026
; %bb.1949:
	s_and_b32 s1, 0xffff, s10
	s_mov_b32 s5, -1
	s_mov_b32 s2, 0
	s_cmp_gt_i32 s1, 25
	s_mov_b32 s3, 0
	s_mov_b32 s0, 0
	s_cbranch_scc0 .LBB57_1982
; %bb.1950:
	s_cmp_gt_i32 s1, 28
	s_cbranch_scc0 .LBB57_1965
; %bb.1951:
	s_cmp_gt_i32 s1, 43
	;; [unrolled: 3-line block ×3, first 2 shown]
	s_cbranch_scc0 .LBB57_1955
; %bb.1953:
	s_mov_b32 s0, -1
	s_mov_b32 s5, 0
	s_cmp_eq_u32 s1, 46
	s_cbranch_scc0 .LBB57_1955
; %bb.1954:
	v_bfe_u32 v4, v3, 16, 1
	v_cmp_o_f32_e32 vcc_lo, v3, v3
	v_mov_b32_e32 v5, 0x7fc0
	s_mov_b32 s0, 0
	s_mov_b32 s3, -1
	v_add3_u32 v4, v3, v4, 0x7fff
	v_cndmask_b32_sdwa v4, v5, v4, vcc_lo dst_sel:DWORD dst_unused:UNUSED_PAD src0_sel:DWORD src1_sel:WORD_1
	global_store_dword v[1:2], v4, off
.LBB57_1955:
	s_and_b32 vcc_lo, exec_lo, s5
	s_cbranch_vccz .LBB57_1960
; %bb.1956:
	s_cmp_eq_u32 s1, 44
	s_mov_b32 s0, -1
	s_cbranch_scc0 .LBB57_1960
; %bb.1957:
	v_bfe_u32 v5, v3, 23, 8
	v_mov_b32_e32 v4, 0xff
	s_mov_b32 s3, exec_lo
	v_cmpx_ne_u32_e32 0xff, v5
	s_cbranch_execz .LBB57_1959
; %bb.1958:
	v_and_b32_e32 v4, 0x400000, v3
	v_and_or_b32 v5, 0x3fffff, v3, v5
	v_cmp_ne_u32_e32 vcc_lo, 0, v4
	v_cmp_ne_u32_e64 s0, 0, v5
	v_lshrrev_b32_e32 v4, 23, v3
	s_and_b32 s0, vcc_lo, s0
	v_cndmask_b32_e64 v5, 0, 1, s0
	v_add_nc_u32_e32 v4, v4, v5
.LBB57_1959:
	s_or_b32 exec_lo, exec_lo, s3
	s_mov_b32 s0, 0
	s_mov_b32 s3, -1
	global_store_byte v[1:2], v4, off
.LBB57_1960:
	s_mov_b32 s5, 0
.LBB57_1961:
	s_and_b32 vcc_lo, exec_lo, s5
	s_cbranch_vccz .LBB57_1964
; %bb.1962:
	s_cmp_eq_u32 s1, 29
	s_mov_b32 s0, -1
	s_cbranch_scc0 .LBB57_1964
; %bb.1963:
	v_trunc_f32_e32 v4, v3
	s_mov_b32 s0, 0
	s_mov_b32 s3, -1
	v_mul_f32_e32 v5, 0x2f800000, v4
	v_floor_f32_e32 v5, v5
	v_fmamk_f32 v4, v5, 0xcf800000, v4
	v_cvt_u32_f32_e32 v5, v5
	v_cvt_u32_f32_e32 v4, v4
	global_store_dwordx2 v[1:2], v[4:5], off
.LBB57_1964:
	s_mov_b32 s5, 0
.LBB57_1965:
	s_and_b32 vcc_lo, exec_lo, s5
	s_cbranch_vccz .LBB57_1981
; %bb.1966:
	s_cmp_lt_i32 s1, 27
	s_mov_b32 s3, -1
	s_cbranch_scc1 .LBB57_1972
; %bb.1967:
	v_cvt_u32_f32_e32 v4, v3
	s_cmp_gt_i32 s1, 27
	s_cbranch_scc0 .LBB57_1969
; %bb.1968:
	s_mov_b32 s3, 0
	global_store_dword v[1:2], v4, off
.LBB57_1969:
	s_andn2_b32 vcc_lo, exec_lo, s3
	s_cbranch_vccnz .LBB57_1971
; %bb.1970:
	global_store_short v[1:2], v4, off
.LBB57_1971:
	s_mov_b32 s3, 0
.LBB57_1972:
	s_andn2_b32 vcc_lo, exec_lo, s3
	s_cbranch_vccnz .LBB57_1980
; %bb.1973:
	v_and_b32_e32 v4, 0x7fffffff, v3
	v_mov_b32_e32 v5, 0x80
	s_mov_b32 s3, exec_lo
	v_cmpx_gt_u32_e32 0x43800000, v4
	s_cbranch_execz .LBB57_1979
; %bb.1974:
	v_cmp_lt_u32_e32 vcc_lo, 0x3bffffff, v4
	s_mov_b32 s5, 0
                                        ; implicit-def: $vgpr4
	s_and_saveexec_b32 s6, vcc_lo
	s_xor_b32 s6, exec_lo, s6
	s_cbranch_execz .LBB57_2200
; %bb.1975:
	v_bfe_u32 v4, v3, 20, 1
	s_mov_b32 s5, exec_lo
	v_add3_u32 v4, v3, v4, 0x487ffff
	v_lshrrev_b32_e32 v4, 20, v4
	s_andn2_saveexec_b32 s6, s6
	s_cbranch_execnz .LBB57_2201
.LBB57_1976:
	s_or_b32 exec_lo, exec_lo, s6
	v_mov_b32_e32 v5, 0
	s_and_saveexec_b32 s6, s5
.LBB57_1977:
	v_lshrrev_b32_e32 v5, 24, v3
	v_and_or_b32 v5, 0x80, v5, v4
.LBB57_1978:
	s_or_b32 exec_lo, exec_lo, s6
.LBB57_1979:
	s_or_b32 exec_lo, exec_lo, s3
	global_store_byte v[1:2], v5, off
.LBB57_1980:
	s_mov_b32 s3, -1
.LBB57_1981:
	s_mov_b32 s5, 0
.LBB57_1982:
	s_and_b32 vcc_lo, exec_lo, s5
	s_cbranch_vccz .LBB57_2022
; %bb.1983:
	s_cmp_gt_i32 s1, 22
	s_mov_b32 s2, -1
	s_cbranch_scc0 .LBB57_2015
; %bb.1984:
	s_cmp_lt_i32 s1, 24
	s_cbranch_scc1 .LBB57_2004
; %bb.1985:
	s_cmp_gt_i32 s1, 24
	s_cbranch_scc0 .LBB57_1993
; %bb.1986:
	v_and_b32_e32 v4, 0x7fffffff, v3
	v_mov_b32_e32 v5, 0x80
	s_mov_b32 s2, exec_lo
	v_cmpx_gt_u32_e32 0x47800000, v4
	s_cbranch_execz .LBB57_1992
; %bb.1987:
	v_cmp_lt_u32_e32 vcc_lo, 0x37ffffff, v4
	s_mov_b32 s3, 0
                                        ; implicit-def: $vgpr4
	s_and_saveexec_b32 s5, vcc_lo
	s_xor_b32 s5, exec_lo, s5
	s_cbranch_execz .LBB57_2203
; %bb.1988:
	v_bfe_u32 v4, v3, 21, 1
	s_mov_b32 s3, exec_lo
	v_add3_u32 v4, v3, v4, 0x88fffff
	v_lshrrev_b32_e32 v4, 21, v4
	s_andn2_saveexec_b32 s5, s5
	s_cbranch_execnz .LBB57_2204
.LBB57_1989:
	s_or_b32 exec_lo, exec_lo, s5
	v_mov_b32_e32 v5, 0
	s_and_saveexec_b32 s5, s3
.LBB57_1990:
	v_lshrrev_b32_e32 v5, 24, v3
	v_and_or_b32 v5, 0x80, v5, v4
.LBB57_1991:
	s_or_b32 exec_lo, exec_lo, s5
.LBB57_1992:
	s_or_b32 exec_lo, exec_lo, s2
	s_mov_b32 s2, 0
	global_store_byte v[1:2], v5, off
.LBB57_1993:
	s_and_b32 vcc_lo, exec_lo, s2
	s_cbranch_vccz .LBB57_2003
; %bb.1994:
	v_and_b32_e32 v5, 0x7fffffff, v3
	s_mov_b32 s2, exec_lo
                                        ; implicit-def: $vgpr4
	v_cmpx_gt_u32_e32 0x43f00000, v5
	s_xor_b32 s2, exec_lo, s2
	s_cbranch_execz .LBB57_2000
; %bb.1995:
	s_mov_b32 s3, exec_lo
                                        ; implicit-def: $vgpr4
	v_cmpx_lt_u32_e32 0x3c7fffff, v5
	s_xor_b32 s3, exec_lo, s3
; %bb.1996:
	v_bfe_u32 v4, v3, 20, 1
	v_add3_u32 v4, v3, v4, 0x407ffff
	v_and_b32_e32 v5, 0xff00000, v4
	v_lshrrev_b32_e32 v4, 20, v4
	v_cmp_ne_u32_e32 vcc_lo, 0x7f00000, v5
	v_cndmask_b32_e32 v4, 0x7e, v4, vcc_lo
; %bb.1997:
	s_andn2_saveexec_b32 s3, s3
; %bb.1998:
	v_add_f32_e64 v4, 0x46800000, |v3|
; %bb.1999:
	s_or_b32 exec_lo, exec_lo, s3
                                        ; implicit-def: $vgpr5
.LBB57_2000:
	s_andn2_saveexec_b32 s2, s2
; %bb.2001:
	v_mov_b32_e32 v4, 0x7f
	v_cmp_lt_u32_e32 vcc_lo, 0x7f800000, v5
	v_cndmask_b32_e32 v4, 0x7e, v4, vcc_lo
; %bb.2002:
	s_or_b32 exec_lo, exec_lo, s2
	v_lshrrev_b32_e32 v5, 24, v3
	v_and_or_b32 v4, 0x80, v5, v4
	global_store_byte v[1:2], v4, off
.LBB57_2003:
	s_mov_b32 s2, 0
.LBB57_2004:
	s_andn2_b32 vcc_lo, exec_lo, s2
	s_cbranch_vccnz .LBB57_2014
; %bb.2005:
	v_and_b32_e32 v5, 0x7fffffff, v3
	s_mov_b32 s2, exec_lo
                                        ; implicit-def: $vgpr4
	v_cmpx_gt_u32_e32 0x47800000, v5
	s_xor_b32 s2, exec_lo, s2
	s_cbranch_execz .LBB57_2011
; %bb.2006:
	s_mov_b32 s3, exec_lo
                                        ; implicit-def: $vgpr4
	v_cmpx_lt_u32_e32 0x387fffff, v5
	s_xor_b32 s3, exec_lo, s3
; %bb.2007:
	v_bfe_u32 v4, v3, 21, 1
	v_add3_u32 v4, v3, v4, 0x80fffff
	v_lshrrev_b32_e32 v4, 21, v4
; %bb.2008:
	s_andn2_saveexec_b32 s3, s3
; %bb.2009:
	v_add_f32_e64 v4, 0x43000000, |v3|
; %bb.2010:
	s_or_b32 exec_lo, exec_lo, s3
                                        ; implicit-def: $vgpr5
.LBB57_2011:
	s_andn2_saveexec_b32 s2, s2
; %bb.2012:
	v_mov_b32_e32 v4, 0x7f
	v_cmp_lt_u32_e32 vcc_lo, 0x7f800000, v5
	v_cndmask_b32_e32 v4, 0x7c, v4, vcc_lo
; %bb.2013:
	s_or_b32 exec_lo, exec_lo, s2
	v_lshrrev_b32_e32 v5, 24, v3
	v_and_or_b32 v4, 0x80, v5, v4
	global_store_byte v[1:2], v4, off
.LBB57_2014:
	s_mov_b32 s2, 0
	s_mov_b32 s3, -1
.LBB57_2015:
	s_andn2_b32 vcc_lo, exec_lo, s2
	s_mov_b32 s2, 0
	s_cbranch_vccnz .LBB57_2022
; %bb.2016:
	s_cmp_gt_i32 s1, 14
	s_mov_b32 s2, -1
	s_cbranch_scc0 .LBB57_2020
; %bb.2017:
	s_cmp_eq_u32 s1, 15
	s_mov_b32 s0, -1
	s_cbranch_scc0 .LBB57_2019
; %bb.2018:
	v_bfe_u32 v4, v3, 16, 1
	v_cmp_o_f32_e32 vcc_lo, v3, v3
	v_mov_b32_e32 v5, 0x7fc0
	s_mov_b32 s0, 0
	s_mov_b32 s3, -1
	v_add3_u32 v4, v3, v4, 0x7fff
	v_cndmask_b32_sdwa v4, v5, v4, vcc_lo dst_sel:DWORD dst_unused:UNUSED_PAD src0_sel:DWORD src1_sel:WORD_1
	global_store_short v[1:2], v4, off
.LBB57_2019:
	s_mov_b32 s2, 0
.LBB57_2020:
	s_and_b32 vcc_lo, exec_lo, s2
	s_mov_b32 s2, 0
	s_cbranch_vccz .LBB57_2022
; %bb.2021:
	s_cmp_lg_u32 s1, 11
	s_mov_b32 s2, -1
	s_cselect_b32 s0, -1, 0
.LBB57_2022:
	s_and_b32 vcc_lo, exec_lo, s0
	s_cbranch_vccnz .LBB57_2202
; %bb.2023:
	s_andn2_b32 vcc_lo, exec_lo, s2
	s_cbranch_vccnz .LBB57_2025
.LBB57_2024:
	v_cmp_neq_f32_e32 vcc_lo, 0, v3
	s_mov_b32 s3, -1
	v_cndmask_b32_e64 v4, 0, 1, vcc_lo
	global_store_byte v[1:2], v4, off
.LBB57_2025:
	s_mov_b32 s0, 0
	s_branch .LBB57_2027
.LBB57_2026:
	s_mov_b32 s0, -1
	s_mov_b32 s3, 0
.LBB57_2027:
	s_and_b32 vcc_lo, exec_lo, s0
	s_cbranch_vccz .LBB57_2066
; %bb.2028:
	s_and_b32 s0, 0xffff, s10
	s_mov_b32 s1, -1
	s_cmp_lt_i32 s0, 5
	s_cbranch_scc1 .LBB57_2049
; %bb.2029:
	s_cmp_lt_i32 s0, 8
	s_cbranch_scc1 .LBB57_2039
; %bb.2030:
	;; [unrolled: 3-line block ×3, first 2 shown]
	s_cmp_gt_i32 s0, 9
	s_cbranch_scc0 .LBB57_2033
; %bb.2032:
	v_cvt_f64_f32_e32 v[4:5], v3
	v_mov_b32_e32 v6, 0
	s_mov_b32 s1, 0
	v_mov_b32_e32 v7, v6
	global_store_dwordx4 v[1:2], v[4:7], off
.LBB57_2033:
	s_andn2_b32 vcc_lo, exec_lo, s1
	s_cbranch_vccnz .LBB57_2035
; %bb.2034:
	v_mov_b32_e32 v4, 0
	global_store_dwordx2 v[1:2], v[3:4], off
.LBB57_2035:
	s_mov_b32 s1, 0
.LBB57_2036:
	s_andn2_b32 vcc_lo, exec_lo, s1
	s_cbranch_vccnz .LBB57_2038
; %bb.2037:
	v_cvt_f16_f32_e32 v4, v3
	v_and_b32_e32 v4, 0xffff, v4
	global_store_dword v[1:2], v4, off
.LBB57_2038:
	s_mov_b32 s1, 0
.LBB57_2039:
	s_andn2_b32 vcc_lo, exec_lo, s1
	s_cbranch_vccnz .LBB57_2048
; %bb.2040:
	s_cmp_lt_i32 s0, 6
	s_mov_b32 s1, -1
	s_cbranch_scc1 .LBB57_2046
; %bb.2041:
	s_cmp_gt_i32 s0, 6
	s_cbranch_scc0 .LBB57_2043
; %bb.2042:
	v_cvt_f64_f32_e32 v[4:5], v3
	s_mov_b32 s1, 0
	global_store_dwordx2 v[1:2], v[4:5], off
.LBB57_2043:
	s_andn2_b32 vcc_lo, exec_lo, s1
	s_cbranch_vccnz .LBB57_2045
; %bb.2044:
	global_store_dword v[1:2], v3, off
.LBB57_2045:
	s_mov_b32 s1, 0
.LBB57_2046:
	s_andn2_b32 vcc_lo, exec_lo, s1
	s_cbranch_vccnz .LBB57_2048
; %bb.2047:
	v_cvt_f16_f32_e32 v4, v3
	global_store_short v[1:2], v4, off
.LBB57_2048:
	s_mov_b32 s1, 0
.LBB57_2049:
	s_andn2_b32 vcc_lo, exec_lo, s1
	s_cbranch_vccnz .LBB57_2065
; %bb.2050:
	s_cmp_lt_i32 s0, 2
	s_mov_b32 s1, -1
	s_cbranch_scc1 .LBB57_2060
; %bb.2051:
	s_cmp_lt_i32 s0, 3
	s_cbranch_scc1 .LBB57_2057
; %bb.2052:
	s_cmp_gt_i32 s0, 3
	s_cbranch_scc0 .LBB57_2054
; %bb.2053:
	v_trunc_f32_e32 v4, v3
	s_mov_b32 s1, 0
	v_mul_f32_e64 v5, 0x2f800000, |v4|
	v_ashrrev_i32_e32 v7, 31, v4
	v_floor_f32_e32 v5, v5
	v_fma_f32 v6, 0xcf800000, v5, |v4|
	v_cvt_u32_f32_e32 v5, v5
	v_cvt_u32_f32_e32 v4, v6
	v_xor_b32_e32 v5, v5, v7
	v_xor_b32_e32 v4, v4, v7
	v_sub_co_u32 v4, vcc_lo, v4, v7
	v_sub_co_ci_u32_e64 v5, null, v5, v7, vcc_lo
	global_store_dwordx2 v[1:2], v[4:5], off
.LBB57_2054:
	s_andn2_b32 vcc_lo, exec_lo, s1
	s_cbranch_vccnz .LBB57_2056
; %bb.2055:
	v_cvt_i32_f32_e32 v4, v3
	global_store_dword v[1:2], v4, off
.LBB57_2056:
	s_mov_b32 s1, 0
.LBB57_2057:
	s_andn2_b32 vcc_lo, exec_lo, s1
	s_cbranch_vccnz .LBB57_2059
; %bb.2058:
	v_cvt_i32_f32_e32 v4, v3
	global_store_short v[1:2], v4, off
.LBB57_2059:
	s_mov_b32 s1, 0
.LBB57_2060:
	s_andn2_b32 vcc_lo, exec_lo, s1
	s_cbranch_vccnz .LBB57_2065
; %bb.2061:
	s_cmp_gt_i32 s0, 0
	s_mov_b32 s0, -1
	s_cbranch_scc0 .LBB57_2063
; %bb.2062:
	v_cvt_i32_f32_e32 v4, v3
	s_mov_b32 s0, 0
	global_store_byte v[1:2], v4, off
.LBB57_2063:
	s_andn2_b32 vcc_lo, exec_lo, s0
	s_cbranch_vccnz .LBB57_2065
; %bb.2064:
	v_trunc_f32_e32 v3, v3
	v_mul_f32_e64 v4, 0x2f800000, |v3|
	v_floor_f32_e32 v4, v4
	v_fma_f32 v4, 0xcf800000, v4, |v3|
	v_ashrrev_i32_e32 v3, 31, v3
	v_cvt_u32_f32_e32 v4, v4
	v_xor_b32_e32 v4, v4, v3
	v_sub_nc_u32_e32 v3, v4, v3
	global_store_byte v[1:2], v3, off
.LBB57_2065:
	s_mov_b32 s3, -1
.LBB57_2066:
	s_andn2_b32 vcc_lo, exec_lo, s3
	s_cbranch_vccnz .LBB57_2143
; %bb.2067:
	v_add_f32_e32 v1, 1.0, v9
	v_mul_f32_e32 v2, v9, v9
	s_cmp_lt_i32 s10, 11
	v_mul_f32_e32 v3, v1, v1
	v_add_f32_e32 v1, 1.0, v1
	v_div_scale_f32 v4, null, v2, v2, 1.0
	v_div_scale_f32 v6, vcc_lo, 1.0, v2, 1.0
	v_mul_f32_e32 v7, v1, v1
	v_div_scale_f32 v5, null, v3, v3, 1.0
	v_rcp_f32_e32 v8, v4
	v_div_scale_f32 v11, s0, 1.0, v3, 1.0
	v_div_scale_f32 v10, null, v7, v7, 1.0
	v_rcp_f32_e32 v9, v5
	v_add_f32_e32 v1, 1.0, v1
	v_div_scale_f32 v12, s1, 1.0, v7, 1.0
	v_rcp_f32_e32 v13, v10
	v_fma_f32 v16, -v4, v8, 1.0
	v_mul_f32_e32 v14, v1, v1
	v_add_f32_e32 v1, 1.0, v1
	v_fma_f32 v18, -v5, v9, 1.0
	v_fmac_f32_e32 v8, v16, v8
	v_mul_f32_e32 v20, v1, v1
	v_add_f32_e32 v1, 1.0, v1
	v_fma_f32 v16, -v10, v13, 1.0
	v_fmac_f32_e32 v9, v18, v9
	v_mul_f32_e32 v21, v6, v8
	v_div_scale_f32 v19, null, v14, v14, 1.0
	v_fmac_f32_e32 v13, v16, v13
	v_mul_f32_e32 v22, v11, v9
	v_fma_f32 v23, -v4, v21, v6
	v_add_f32_e32 v26, 1.0, v1
	v_rcp_f32_e32 v18, v19
	v_mul_f32_e32 v25, v12, v13
	v_fma_f32 v24, -v5, v22, v11
	v_fmac_f32_e32 v21, v23, v8
	v_mul_f32_e32 v1, v1, v1
	v_div_scale_f32 v16, null, v20, v20, 1.0
	v_fma_f32 v23, -v10, v25, v12
	v_fmac_f32_e32 v22, v24, v9
	v_fma_f32 v4, -v4, v21, v6
	v_mul_f32_e32 v6, v26, v26
	v_rcp_f32_e32 v24, v16
	v_fmac_f32_e32 v25, v23, v13
	v_fma_f32 v5, -v5, v22, v11
	v_div_fmas_f32 v4, v4, v8, v21
	s_mov_b32 vcc_lo, s0
	v_fma_f32 v27, -v19, v18, 1.0
	v_fma_f32 v8, -v10, v25, v12
	v_div_fmas_f32 v5, v5, v9, v22
	s_mov_b32 vcc_lo, s1
	v_div_scale_f32 v9, null, v1, v1, 1.0
	v_div_fmas_f32 v8, v8, v13, v25
	v_div_scale_f32 v10, null, v6, v6, 1.0
	v_add_f32_e32 v13, v26, v26
	v_rcp_f32_e32 v12, v9
	v_fmac_f32_e32 v18, v27, v18
	v_rcp_f32_e32 v22, v10
	v_div_scale_f32 v11, vcc_lo, 1.0, v14, 1.0
	v_div_scale_f32 v25, null, v13, v13, 1.0
	v_fma_f32 v21, -v16, v24, 1.0
	v_mul_f32_e32 v23, v11, v18
	v_div_fixup_f32 v2, v4, v2, 1.0
	v_rcp_f32_e32 v28, v25
	v_fma_f32 v27, -v9, v12, 1.0
	v_fmac_f32_e32 v24, v21, v24
	v_div_scale_f32 v21, s0, 1.0, v20, 1.0
	v_fma_f32 v30, -v10, v22, 1.0
	v_fma_f32 v29, -v19, v23, v11
	v_fmac_f32_e32 v12, v27, v12
	v_div_scale_f32 v27, s1, 1.0, v1, 1.0
	v_mul_f32_e32 v31, v21, v24
	v_fmac_f32_e32 v22, v30, v22
	v_div_scale_f32 v30, s2, 1.0, v6, 1.0
	v_fma_f32 v32, -v25, v28, 1.0
	v_fmac_f32_e32 v23, v29, v18
	v_mul_f32_e32 v33, v27, v12
	v_fma_f32 v29, -v16, v31, v21
	v_mul_f32_e32 v34, v30, v22
	v_fmac_f32_e32 v28, v32, v28
	v_div_scale_f32 v32, s3, 1.0, v13, 1.0
	v_fma_f32 v11, -v19, v23, v11
	v_fma_f32 v19, -v9, v33, v27
	v_fmac_f32_e32 v31, v29, v24
	v_fma_f32 v29, -v10, v34, v30
	v_mul_f32_e32 v35, v32, v28
	v_div_fmas_f32 v11, v11, v18, v23
	v_fmac_f32_e32 v33, v19, v12
	v_fma_f32 v16, -v16, v31, v21
	v_fmac_f32_e32 v34, v29, v22
	v_fma_f32 v18, -v25, v35, v32
	s_mov_b32 vcc_lo, s0
	v_fma_f32 v9, -v9, v33, v27
	v_div_fmas_f32 v16, v16, v24, v31
	v_fma_f32 v10, -v10, v34, v30
	v_fmac_f32_e32 v35, v18, v28
	s_mov_b32 vcc_lo, s1
	s_mov_b32 s0, 0xbcc30c31
	v_div_fmas_f32 v9, v9, v12, v33
	s_mov_b32 vcc_lo, s2
	v_fma_f32 v12, -v25, v35, v32
	v_div_fmas_f32 v10, v10, v22, v34
	s_mov_b32 vcc_lo, s3
	v_add_f32_e32 v2, v17, v2
	v_div_fixup_f32 v3, v5, v3, 1.0
	v_div_fmas_f32 v12, v12, v28, v35
	v_div_fixup_f32 v6, v10, v6, 1.0
	v_div_fixup_f32 v1, v9, v1, 1.0
	v_add_f32_e32 v2, v2, v3
	v_div_fixup_f32 v10, v12, v13, 1.0
	v_fmaak_f32 v12, s0, v6, 0x3d088889
	v_div_fixup_f32 v3, v8, v7, 1.0
	v_add_co_u32 v0, s0, s8, v0
	v_add_f32_e32 v10, 1.0, v10
	v_fma_f32 v12, -v6, v12, 0x3e2aaaab
	v_add_f32_e32 v2, v2, v3
	v_div_fixup_f32 v3, v11, v14, 1.0
	v_fmac_f32_e32 v10, v6, v12
	v_add_f32_e32 v2, v2, v3
	v_div_fixup_f32 v3, v16, v20, 1.0
	v_div_scale_f32 v6, null, v26, v26, v10
	v_add_f32_e32 v2, v2, v3
	v_rcp_f32_e32 v12, v6
	v_add_f32_e32 v1, v2, v1
	v_fma_f32 v4, -v6, v12, 1.0
	v_fmac_f32_e32 v12, v4, v12
	v_div_scale_f32 v4, vcc_lo, v10, v26, v10
	v_mul_f32_e32 v5, v4, v12
	v_fma_f32 v7, -v6, v5, v4
	v_fmac_f32_e32 v5, v7, v12
	v_fma_f32 v4, -v6, v5, v4
	v_div_fmas_f32 v3, v4, v12, v5
	v_div_fixup_f32 v2, v3, v26, v10
	v_add_f32_e32 v1, v1, v2
	v_mul_f32_e32 v2, v15, v1
	v_add_co_ci_u32_e64 v1, null, s9, 0, s0
	s_cbranch_scc1 .LBB57_2188
; %bb.2068:
	s_and_b32 s1, 0xffff, s10
	s_mov_b32 s3, -1
	s_mov_b32 s2, 0
	s_cmp_gt_i32 s1, 25
	s_mov_b32 s0, 0
	s_cbranch_scc0 .LBB57_2101
; %bb.2069:
	s_cmp_gt_i32 s1, 28
	s_cbranch_scc0 .LBB57_2085
; %bb.2070:
	s_cmp_gt_i32 s1, 43
	s_cbranch_scc0 .LBB57_2081
; %bb.2071:
	s_cmp_gt_i32 s1, 45
	s_cbranch_scc0 .LBB57_2075
; %bb.2072:
	s_cmp_eq_u32 s1, 46
	s_mov_b32 s0, -1
	s_cbranch_scc0 .LBB57_2074
; %bb.2073:
	v_bfe_u32 v3, v2, 16, 1
	v_cmp_o_f32_e32 vcc_lo, v2, v2
	v_mov_b32_e32 v4, 0x7fc0
	s_mov_b32 s0, 0
	v_add3_u32 v3, v2, v3, 0x7fff
	v_cndmask_b32_sdwa v3, v4, v3, vcc_lo dst_sel:DWORD dst_unused:UNUSED_PAD src0_sel:DWORD src1_sel:WORD_1
	global_store_dword v[0:1], v3, off
.LBB57_2074:
	s_mov_b32 s3, 0
.LBB57_2075:
	s_and_b32 vcc_lo, exec_lo, s3
	s_cbranch_vccz .LBB57_2080
; %bb.2076:
	s_cmp_eq_u32 s1, 44
	s_mov_b32 s0, -1
	s_cbranch_scc0 .LBB57_2080
; %bb.2077:
	v_bfe_u32 v4, v2, 23, 8
	v_mov_b32_e32 v3, 0xff
	s_mov_b32 s3, exec_lo
	v_cmpx_ne_u32_e32 0xff, v4
	s_cbranch_execz .LBB57_2079
; %bb.2078:
	v_and_b32_e32 v3, 0x400000, v2
	v_and_or_b32 v4, 0x3fffff, v2, v4
	v_cmp_ne_u32_e32 vcc_lo, 0, v3
	v_cmp_ne_u32_e64 s0, 0, v4
	v_lshrrev_b32_e32 v3, 23, v2
	s_and_b32 s0, vcc_lo, s0
	v_cndmask_b32_e64 v4, 0, 1, s0
	v_add_nc_u32_e32 v3, v3, v4
.LBB57_2079:
	s_or_b32 exec_lo, exec_lo, s3
	s_mov_b32 s0, 0
	global_store_byte v[0:1], v3, off
.LBB57_2080:
	s_mov_b32 s3, 0
.LBB57_2081:
	s_and_b32 vcc_lo, exec_lo, s3
	s_cbranch_vccz .LBB57_2084
; %bb.2082:
	s_cmp_eq_u32 s1, 29
	s_mov_b32 s0, -1
	s_cbranch_scc0 .LBB57_2084
; %bb.2083:
	v_trunc_f32_e32 v3, v2
	s_mov_b32 s0, 0
	v_mul_f32_e32 v4, 0x2f800000, v3
	v_floor_f32_e32 v4, v4
	v_fmamk_f32 v3, v4, 0xcf800000, v3
	v_cvt_u32_f32_e32 v4, v4
	v_cvt_u32_f32_e32 v3, v3
	global_store_dwordx2 v[0:1], v[3:4], off
.LBB57_2084:
	s_mov_b32 s3, 0
.LBB57_2085:
	s_and_b32 vcc_lo, exec_lo, s3
	s_cbranch_vccz .LBB57_2100
; %bb.2086:
	s_cmp_lt_i32 s1, 27
	s_mov_b32 s3, -1
	s_cbranch_scc1 .LBB57_2092
; %bb.2087:
	s_cmp_gt_i32 s1, 27
	s_cbranch_scc0 .LBB57_2089
; %bb.2088:
	v_cvt_u32_f32_e32 v3, v2
	s_mov_b32 s3, 0
	global_store_dword v[0:1], v3, off
.LBB57_2089:
	s_andn2_b32 vcc_lo, exec_lo, s3
	s_cbranch_vccnz .LBB57_2091
; %bb.2090:
	v_cvt_u32_f32_e32 v3, v2
	global_store_short v[0:1], v3, off
.LBB57_2091:
	s_mov_b32 s3, 0
.LBB57_2092:
	s_andn2_b32 vcc_lo, exec_lo, s3
	s_cbranch_vccnz .LBB57_2100
; %bb.2093:
	v_and_b32_e32 v3, 0x7fffffff, v2
	v_mov_b32_e32 v4, 0x80
	s_mov_b32 s3, exec_lo
	v_cmpx_gt_u32_e32 0x43800000, v3
	s_cbranch_execz .LBB57_2099
; %bb.2094:
	v_cmp_lt_u32_e32 vcc_lo, 0x3bffffff, v3
	s_mov_b32 s5, 0
                                        ; implicit-def: $vgpr3
	s_and_saveexec_b32 s6, vcc_lo
	s_xor_b32 s6, exec_lo, s6
	s_cbranch_execz .LBB57_2205
; %bb.2095:
	v_bfe_u32 v3, v2, 20, 1
	s_mov_b32 s5, exec_lo
	v_add3_u32 v3, v2, v3, 0x487ffff
	v_lshrrev_b32_e32 v3, 20, v3
	s_andn2_saveexec_b32 s6, s6
	s_cbranch_execnz .LBB57_2206
.LBB57_2096:
	s_or_b32 exec_lo, exec_lo, s6
	v_mov_b32_e32 v4, 0
	s_and_saveexec_b32 s6, s5
.LBB57_2097:
	v_lshrrev_b32_e32 v4, 24, v2
	v_and_or_b32 v4, 0x80, v4, v3
.LBB57_2098:
	s_or_b32 exec_lo, exec_lo, s6
.LBB57_2099:
	s_or_b32 exec_lo, exec_lo, s3
	global_store_byte v[0:1], v4, off
.LBB57_2100:
	s_mov_b32 s3, 0
.LBB57_2101:
	s_and_b32 vcc_lo, exec_lo, s3
	s_cbranch_vccz .LBB57_2141
; %bb.2102:
	s_cmp_gt_i32 s1, 22
	s_mov_b32 s2, -1
	s_cbranch_scc0 .LBB57_2134
; %bb.2103:
	s_cmp_lt_i32 s1, 24
	s_cbranch_scc1 .LBB57_2123
; %bb.2104:
	s_cmp_gt_i32 s1, 24
	s_cbranch_scc0 .LBB57_2112
; %bb.2105:
	v_and_b32_e32 v3, 0x7fffffff, v2
	v_mov_b32_e32 v4, 0x80
	s_mov_b32 s2, exec_lo
	v_cmpx_gt_u32_e32 0x47800000, v3
	s_cbranch_execz .LBB57_2111
; %bb.2106:
	v_cmp_lt_u32_e32 vcc_lo, 0x37ffffff, v3
	s_mov_b32 s3, 0
                                        ; implicit-def: $vgpr3
	s_and_saveexec_b32 s5, vcc_lo
	s_xor_b32 s5, exec_lo, s5
	s_cbranch_execz .LBB57_2208
; %bb.2107:
	v_bfe_u32 v3, v2, 21, 1
	s_mov_b32 s3, exec_lo
	v_add3_u32 v3, v2, v3, 0x88fffff
	v_lshrrev_b32_e32 v3, 21, v3
	s_andn2_saveexec_b32 s5, s5
	s_cbranch_execnz .LBB57_2209
.LBB57_2108:
	s_or_b32 exec_lo, exec_lo, s5
	v_mov_b32_e32 v4, 0
	s_and_saveexec_b32 s5, s3
.LBB57_2109:
	v_lshrrev_b32_e32 v4, 24, v2
	v_and_or_b32 v4, 0x80, v4, v3
.LBB57_2110:
	s_or_b32 exec_lo, exec_lo, s5
.LBB57_2111:
	s_or_b32 exec_lo, exec_lo, s2
	s_mov_b32 s2, 0
	global_store_byte v[0:1], v4, off
.LBB57_2112:
	s_and_b32 vcc_lo, exec_lo, s2
	s_cbranch_vccz .LBB57_2122
; %bb.2113:
	v_and_b32_e32 v4, 0x7fffffff, v2
	s_mov_b32 s2, exec_lo
                                        ; implicit-def: $vgpr3
	v_cmpx_gt_u32_e32 0x43f00000, v4
	s_xor_b32 s2, exec_lo, s2
	s_cbranch_execz .LBB57_2119
; %bb.2114:
	s_mov_b32 s3, exec_lo
                                        ; implicit-def: $vgpr3
	v_cmpx_lt_u32_e32 0x3c7fffff, v4
	s_xor_b32 s3, exec_lo, s3
; %bb.2115:
	v_bfe_u32 v3, v2, 20, 1
	v_add3_u32 v3, v2, v3, 0x407ffff
	v_and_b32_e32 v4, 0xff00000, v3
	v_lshrrev_b32_e32 v3, 20, v3
	v_cmp_ne_u32_e32 vcc_lo, 0x7f00000, v4
	v_cndmask_b32_e32 v3, 0x7e, v3, vcc_lo
; %bb.2116:
	s_andn2_saveexec_b32 s3, s3
; %bb.2117:
	v_add_f32_e64 v3, 0x46800000, |v2|
; %bb.2118:
	s_or_b32 exec_lo, exec_lo, s3
                                        ; implicit-def: $vgpr4
.LBB57_2119:
	s_andn2_saveexec_b32 s2, s2
; %bb.2120:
	v_mov_b32_e32 v3, 0x7f
	v_cmp_lt_u32_e32 vcc_lo, 0x7f800000, v4
	v_cndmask_b32_e32 v3, 0x7e, v3, vcc_lo
; %bb.2121:
	s_or_b32 exec_lo, exec_lo, s2
	v_lshrrev_b32_e32 v4, 24, v2
	v_and_or_b32 v3, 0x80, v4, v3
	global_store_byte v[0:1], v3, off
.LBB57_2122:
	s_mov_b32 s2, 0
.LBB57_2123:
	s_andn2_b32 vcc_lo, exec_lo, s2
	s_cbranch_vccnz .LBB57_2133
; %bb.2124:
	v_and_b32_e32 v4, 0x7fffffff, v2
	s_mov_b32 s2, exec_lo
                                        ; implicit-def: $vgpr3
	v_cmpx_gt_u32_e32 0x47800000, v4
	s_xor_b32 s2, exec_lo, s2
	s_cbranch_execz .LBB57_2130
; %bb.2125:
	s_mov_b32 s3, exec_lo
                                        ; implicit-def: $vgpr3
	v_cmpx_lt_u32_e32 0x387fffff, v4
	s_xor_b32 s3, exec_lo, s3
; %bb.2126:
	v_bfe_u32 v3, v2, 21, 1
	v_add3_u32 v3, v2, v3, 0x80fffff
	v_lshrrev_b32_e32 v3, 21, v3
; %bb.2127:
	s_andn2_saveexec_b32 s3, s3
; %bb.2128:
	v_add_f32_e64 v3, 0x43000000, |v2|
; %bb.2129:
	s_or_b32 exec_lo, exec_lo, s3
                                        ; implicit-def: $vgpr4
.LBB57_2130:
	s_andn2_saveexec_b32 s2, s2
; %bb.2131:
	v_mov_b32_e32 v3, 0x7f
	v_cmp_lt_u32_e32 vcc_lo, 0x7f800000, v4
	v_cndmask_b32_e32 v3, 0x7c, v3, vcc_lo
; %bb.2132:
	s_or_b32 exec_lo, exec_lo, s2
	v_lshrrev_b32_e32 v4, 24, v2
	v_and_or_b32 v3, 0x80, v4, v3
	global_store_byte v[0:1], v3, off
.LBB57_2133:
	s_mov_b32 s2, 0
.LBB57_2134:
	s_andn2_b32 vcc_lo, exec_lo, s2
	s_mov_b32 s2, 0
	s_cbranch_vccnz .LBB57_2141
; %bb.2135:
	s_cmp_gt_i32 s1, 14
	s_mov_b32 s2, -1
	s_cbranch_scc0 .LBB57_2139
; %bb.2136:
	s_cmp_eq_u32 s1, 15
	s_mov_b32 s0, -1
	s_cbranch_scc0 .LBB57_2138
; %bb.2137:
	v_bfe_u32 v3, v2, 16, 1
	v_cmp_o_f32_e32 vcc_lo, v2, v2
	v_mov_b32_e32 v4, 0x7fc0
	s_mov_b32 s0, 0
	v_add3_u32 v3, v2, v3, 0x7fff
	v_cndmask_b32_sdwa v3, v4, v3, vcc_lo dst_sel:DWORD dst_unused:UNUSED_PAD src0_sel:DWORD src1_sel:WORD_1
	global_store_short v[0:1], v3, off
.LBB57_2138:
	s_mov_b32 s2, 0
.LBB57_2139:
	s_and_b32 vcc_lo, exec_lo, s2
	s_mov_b32 s2, 0
	s_cbranch_vccz .LBB57_2141
; %bb.2140:
	s_cmp_lg_u32 s1, 11
	s_mov_b32 s2, -1
	s_cselect_b32 s0, -1, 0
.LBB57_2141:
	s_and_b32 vcc_lo, exec_lo, s0
	s_cbranch_vccnz .LBB57_2207
.LBB57_2142:
	s_mov_b32 s0, 0
	s_branch .LBB57_2144
.LBB57_2143:
	s_mov_b32 s0, 0
	s_mov_b32 s2, 0
                                        ; implicit-def: $vgpr0_vgpr1
                                        ; implicit-def: $sgpr10
                                        ; implicit-def: $vgpr2
.LBB57_2144:
	s_andn2_b32 s1, s12, exec_lo
	s_and_b32 s3, s4, exec_lo
	s_and_b32 s0, s0, exec_lo
	;; [unrolled: 1-line block ×3, first 2 shown]
	s_or_b32 s12, s1, s3
.LBB57_2145:
	s_or_b32 exec_lo, exec_lo, s13
	s_and_saveexec_b32 s1, s12
	s_cbranch_execz .LBB57_2148
; %bb.2146:
	; divergent unreachable
	s_or_b32 exec_lo, exec_lo, s1
	s_and_saveexec_b32 s1, s26
	s_xor_b32 s1, exec_lo, s1
	s_cbranch_execnz .LBB57_2149
.LBB57_2147:
	s_or_b32 exec_lo, exec_lo, s1
	s_and_saveexec_b32 s1, s0
	s_cbranch_execnz .LBB57_2150
	s_branch .LBB57_2187
.LBB57_2148:
	s_or_b32 exec_lo, exec_lo, s1
	s_and_saveexec_b32 s1, s26
	s_xor_b32 s1, exec_lo, s1
	s_cbranch_execz .LBB57_2147
.LBB57_2149:
	v_cmp_neq_f32_e32 vcc_lo, 0, v2
	s_waitcnt vmcnt(0)
	v_cndmask_b32_e64 v3, 0, 1, vcc_lo
	global_store_byte v[0:1], v3, off
	s_or_b32 exec_lo, exec_lo, s1
	s_and_saveexec_b32 s1, s0
	s_cbranch_execz .LBB57_2187
.LBB57_2150:
	s_sext_i32_i16 s1, s10
	s_mov_b32 s0, -1
	s_cmp_lt_i32 s1, 5
	s_cbranch_scc1 .LBB57_2171
; %bb.2151:
	s_cmp_lt_i32 s1, 8
	s_cbranch_scc1 .LBB57_2161
; %bb.2152:
	;; [unrolled: 3-line block ×3, first 2 shown]
	s_cmp_gt_i32 s1, 9
	s_cbranch_scc0 .LBB57_2155
; %bb.2154:
	s_waitcnt vmcnt(0)
	v_cvt_f64_f32_e32 v[3:4], v2
	v_mov_b32_e32 v5, 0
	s_mov_b32 s0, 0
	v_mov_b32_e32 v6, v5
	global_store_dwordx4 v[0:1], v[3:6], off
.LBB57_2155:
	s_andn2_b32 vcc_lo, exec_lo, s0
	s_cbranch_vccnz .LBB57_2157
; %bb.2156:
	s_waitcnt vmcnt(0)
	v_mov_b32_e32 v3, 0
	global_store_dwordx2 v[0:1], v[2:3], off
.LBB57_2157:
	s_mov_b32 s0, 0
.LBB57_2158:
	s_andn2_b32 vcc_lo, exec_lo, s0
	s_cbranch_vccnz .LBB57_2160
; %bb.2159:
	s_waitcnt vmcnt(0)
	v_cvt_f16_f32_e32 v3, v2
	v_and_b32_e32 v3, 0xffff, v3
	global_store_dword v[0:1], v3, off
.LBB57_2160:
	s_mov_b32 s0, 0
.LBB57_2161:
	s_andn2_b32 vcc_lo, exec_lo, s0
	s_cbranch_vccnz .LBB57_2170
; %bb.2162:
	s_sext_i32_i16 s1, s10
	s_mov_b32 s0, -1
	s_cmp_lt_i32 s1, 6
	s_cbranch_scc1 .LBB57_2168
; %bb.2163:
	s_cmp_gt_i32 s1, 6
	s_cbranch_scc0 .LBB57_2165
; %bb.2164:
	s_waitcnt vmcnt(0)
	v_cvt_f64_f32_e32 v[3:4], v2
	s_mov_b32 s0, 0
	global_store_dwordx2 v[0:1], v[3:4], off
.LBB57_2165:
	s_andn2_b32 vcc_lo, exec_lo, s0
	s_cbranch_vccnz .LBB57_2167
; %bb.2166:
	s_waitcnt vmcnt(0)
	global_store_dword v[0:1], v2, off
.LBB57_2167:
	s_mov_b32 s0, 0
.LBB57_2168:
	s_andn2_b32 vcc_lo, exec_lo, s0
	s_cbranch_vccnz .LBB57_2170
; %bb.2169:
	s_waitcnt vmcnt(0)
	v_cvt_f16_f32_e32 v3, v2
	global_store_short v[0:1], v3, off
.LBB57_2170:
	s_mov_b32 s0, 0
.LBB57_2171:
	s_andn2_b32 vcc_lo, exec_lo, s0
	s_cbranch_vccnz .LBB57_2187
; %bb.2172:
	s_sext_i32_i16 s1, s10
	s_mov_b32 s0, -1
	s_cmp_lt_i32 s1, 2
	s_cbranch_scc1 .LBB57_2182
; %bb.2173:
	s_cmp_lt_i32 s1, 3
	s_cbranch_scc1 .LBB57_2179
; %bb.2174:
	s_cmp_gt_i32 s1, 3
	s_cbranch_scc0 .LBB57_2176
; %bb.2175:
	s_waitcnt vmcnt(0)
	v_trunc_f32_e32 v3, v2
	s_mov_b32 s0, 0
	v_mul_f32_e64 v4, 0x2f800000, |v3|
	v_ashrrev_i32_e32 v6, 31, v3
	v_floor_f32_e32 v4, v4
	v_fma_f32 v5, 0xcf800000, v4, |v3|
	v_cvt_u32_f32_e32 v4, v4
	v_cvt_u32_f32_e32 v3, v5
	v_xor_b32_e32 v4, v4, v6
	v_xor_b32_e32 v3, v3, v6
	v_sub_co_u32 v3, vcc_lo, v3, v6
	v_sub_co_ci_u32_e64 v4, null, v4, v6, vcc_lo
	global_store_dwordx2 v[0:1], v[3:4], off
.LBB57_2176:
	s_andn2_b32 vcc_lo, exec_lo, s0
	s_cbranch_vccnz .LBB57_2178
; %bb.2177:
	s_waitcnt vmcnt(0)
	v_cvt_i32_f32_e32 v3, v2
	global_store_dword v[0:1], v3, off
.LBB57_2178:
	s_mov_b32 s0, 0
.LBB57_2179:
	s_andn2_b32 vcc_lo, exec_lo, s0
	s_cbranch_vccnz .LBB57_2181
; %bb.2180:
	s_waitcnt vmcnt(0)
	v_cvt_i32_f32_e32 v3, v2
	global_store_short v[0:1], v3, off
.LBB57_2181:
	s_mov_b32 s0, 0
.LBB57_2182:
	s_andn2_b32 vcc_lo, exec_lo, s0
	s_cbranch_vccnz .LBB57_2187
; %bb.2183:
	s_sext_i32_i16 s0, s10
	s_cmp_gt_i32 s0, 0
	s_mov_b32 s0, -1
	s_cbranch_scc0 .LBB57_2185
; %bb.2184:
	s_waitcnt vmcnt(0)
	v_cvt_i32_f32_e32 v3, v2
	s_mov_b32 s0, 0
	global_store_byte v[0:1], v3, off
.LBB57_2185:
	s_andn2_b32 vcc_lo, exec_lo, s0
	s_cbranch_vccnz .LBB57_2187
; %bb.2186:
	v_trunc_f32_e32 v2, v2
	s_waitcnt vmcnt(0)
	v_mul_f32_e64 v3, 0x2f800000, |v2|
	v_floor_f32_e32 v3, v3
	v_fma_f32 v3, 0xcf800000, v3, |v2|
	v_ashrrev_i32_e32 v2, 31, v2
	v_cvt_u32_f32_e32 v3, v3
	v_xor_b32_e32 v3, v3, v2
	v_sub_nc_u32_e32 v2, v3, v2
	global_store_byte v[0:1], v2, off
	s_endpgm
.LBB57_2187:
	s_endpgm
.LBB57_2188:
	s_mov_b32 s2, 0
	s_mov_b32 s0, -1
	s_branch .LBB57_2144
.LBB57_2189:
	s_or_b32 s4, s4, exec_lo
	s_trap 2
	s_cbranch_execz .LBB57_1652
	s_branch .LBB57_1653
.LBB57_2190:
	s_andn2_saveexec_b32 s10, s10
	s_cbranch_execz .LBB57_1738
.LBB57_2191:
	v_add_f32_e64 v1, 0x46000000, |v7|
	s_andn2_b32 s7, s7, exec_lo
	v_and_b32_e32 v1, 0xff, v1
	v_cmp_ne_u32_e32 vcc_lo, 0, v1
	s_and_b32 s11, vcc_lo, exec_lo
	s_or_b32 s7, s7, s11
	s_or_b32 exec_lo, exec_lo, s10
	v_mov_b32_e32 v8, 0
	s_and_saveexec_b32 s10, s7
	s_cbranch_execnz .LBB57_1739
	s_branch .LBB57_1740
.LBB57_2192:
	s_or_b32 s4, s4, exec_lo
	s_trap 2
	s_cbranch_execz .LBB57_1786
	s_branch .LBB57_1787
.LBB57_2193:
	s_andn2_saveexec_b32 s7, s7
	s_cbranch_execz .LBB57_1751
.LBB57_2194:
	v_add_f32_e64 v1, 0x42800000, |v7|
	s_andn2_b32 s6, s6, exec_lo
	v_and_b32_e32 v1, 0xff, v1
	v_cmp_ne_u32_e32 vcc_lo, 0, v1
	s_and_b32 s10, vcc_lo, exec_lo
	s_or_b32 s6, s6, s10
	s_or_b32 exec_lo, exec_lo, s7
	v_mov_b32_e32 v8, 0
	s_and_saveexec_b32 s7, s6
	s_cbranch_execnz .LBB57_1752
	s_branch .LBB57_1753
.LBB57_2195:
	s_andn2_saveexec_b32 s6, s6
	s_cbranch_execz .LBB57_1857
.LBB57_2196:
	v_add_f32_e64 v1, 0x46000000, |v5|
	s_andn2_b32 s5, s5, exec_lo
	v_and_b32_e32 v1, 0xff, v1
	v_cmp_ne_u32_e32 vcc_lo, 0, v1
	s_and_b32 s7, vcc_lo, exec_lo
	s_or_b32 s5, s5, s7
	s_or_b32 exec_lo, exec_lo, s6
	v_mov_b32_e32 v6, 0
	s_and_saveexec_b32 s6, s5
	s_cbranch_execnz .LBB57_1858
	s_branch .LBB57_1859
.LBB57_2197:
	s_or_b32 s4, s4, exec_lo
	s_trap 2
	s_cbranch_execz .LBB57_1905
	s_branch .LBB57_1906
.LBB57_2198:
	s_andn2_saveexec_b32 s5, s5
	s_cbranch_execz .LBB57_1870
.LBB57_2199:
	v_add_f32_e64 v1, 0x42800000, |v5|
	s_andn2_b32 s3, s3, exec_lo
	v_and_b32_e32 v1, 0xff, v1
	v_cmp_ne_u32_e32 vcc_lo, 0, v1
	s_and_b32 s6, vcc_lo, exec_lo
	s_or_b32 s3, s3, s6
	s_or_b32 exec_lo, exec_lo, s5
	v_mov_b32_e32 v6, 0
	s_and_saveexec_b32 s5, s3
	s_cbranch_execnz .LBB57_1871
	s_branch .LBB57_1872
.LBB57_2200:
	s_andn2_saveexec_b32 s6, s6
	s_cbranch_execz .LBB57_1976
.LBB57_2201:
	v_add_f32_e64 v4, 0x46000000, |v3|
	s_andn2_b32 s5, s5, exec_lo
	v_and_b32_e32 v4, 0xff, v4
	v_cmp_ne_u32_e32 vcc_lo, 0, v4
	s_and_b32 s7, vcc_lo, exec_lo
	s_or_b32 s5, s5, s7
	s_or_b32 exec_lo, exec_lo, s6
	v_mov_b32_e32 v5, 0
	s_and_saveexec_b32 s6, s5
	s_cbranch_execnz .LBB57_1977
	s_branch .LBB57_1978
.LBB57_2202:
	s_or_b32 s4, s4, exec_lo
	s_trap 2
	s_cbranch_execz .LBB57_2024
	s_branch .LBB57_2025
.LBB57_2203:
	s_andn2_saveexec_b32 s5, s5
	s_cbranch_execz .LBB57_1989
.LBB57_2204:
	v_add_f32_e64 v4, 0x42800000, |v3|
	s_andn2_b32 s3, s3, exec_lo
	v_and_b32_e32 v4, 0xff, v4
	v_cmp_ne_u32_e32 vcc_lo, 0, v4
	s_and_b32 s6, vcc_lo, exec_lo
	s_or_b32 s3, s3, s6
	s_or_b32 exec_lo, exec_lo, s5
	v_mov_b32_e32 v5, 0
	s_and_saveexec_b32 s5, s3
	s_cbranch_execnz .LBB57_1990
	s_branch .LBB57_1991
.LBB57_2205:
	s_andn2_saveexec_b32 s6, s6
	s_cbranch_execz .LBB57_2096
.LBB57_2206:
	v_add_f32_e64 v3, 0x46000000, |v2|
	s_andn2_b32 s5, s5, exec_lo
	v_and_b32_e32 v3, 0xff, v3
	v_cmp_ne_u32_e32 vcc_lo, 0, v3
	s_and_b32 s7, vcc_lo, exec_lo
	s_or_b32 s5, s5, s7
	s_or_b32 exec_lo, exec_lo, s6
	v_mov_b32_e32 v4, 0
	s_and_saveexec_b32 s6, s5
	s_cbranch_execnz .LBB57_2097
	s_branch .LBB57_2098
.LBB57_2207:
	s_mov_b32 s2, 0
	s_or_b32 s4, s4, exec_lo
	s_trap 2
	s_branch .LBB57_2142
.LBB57_2208:
	s_andn2_saveexec_b32 s5, s5
	s_cbranch_execz .LBB57_2108
.LBB57_2209:
	v_add_f32_e64 v3, 0x42800000, |v2|
	s_andn2_b32 s3, s3, exec_lo
	v_and_b32_e32 v3, 0xff, v3
	v_cmp_ne_u32_e32 vcc_lo, 0, v3
	s_and_b32 s6, vcc_lo, exec_lo
	s_or_b32 s3, s3, s6
	s_or_b32 exec_lo, exec_lo, s5
	v_mov_b32_e32 v4, 0
	s_and_saveexec_b32 s5, s3
	s_cbranch_execnz .LBB57_2109
	s_branch .LBB57_2110
	.section	.rodata,"a",@progbits
	.p2align	6, 0x0
	.amdhsa_kernel _ZN2at6native32elementwise_kernel_manual_unrollILi128ELi4EZNS0_15gpu_kernel_implIZZZNS0_20trigamma_kernel_cudaERNS_18TensorIteratorBaseEENKUlvE_clEvENKUlvE0_clEvEUlfE_EEvS4_RKT_EUlibE0_EEviT1_
		.amdhsa_group_segment_fixed_size 0
		.amdhsa_private_segment_fixed_size 0
		.amdhsa_kernarg_size 360
		.amdhsa_user_sgpr_count 6
		.amdhsa_user_sgpr_private_segment_buffer 1
		.amdhsa_user_sgpr_dispatch_ptr 0
		.amdhsa_user_sgpr_queue_ptr 0
		.amdhsa_user_sgpr_kernarg_segment_ptr 1
		.amdhsa_user_sgpr_dispatch_id 0
		.amdhsa_user_sgpr_flat_scratch_init 0
		.amdhsa_user_sgpr_private_segment_size 0
		.amdhsa_wavefront_size32 1
		.amdhsa_uses_dynamic_stack 0
		.amdhsa_system_sgpr_private_segment_wavefront_offset 0
		.amdhsa_system_sgpr_workgroup_id_x 1
		.amdhsa_system_sgpr_workgroup_id_y 0
		.amdhsa_system_sgpr_workgroup_id_z 0
		.amdhsa_system_sgpr_workgroup_info 0
		.amdhsa_system_vgpr_workitem_id 0
		.amdhsa_next_free_vgpr 48
		.amdhsa_next_free_sgpr 68
		.amdhsa_reserve_vcc 1
		.amdhsa_reserve_flat_scratch 0
		.amdhsa_float_round_mode_32 0
		.amdhsa_float_round_mode_16_64 0
		.amdhsa_float_denorm_mode_32 3
		.amdhsa_float_denorm_mode_16_64 3
		.amdhsa_dx10_clamp 1
		.amdhsa_ieee_mode 1
		.amdhsa_fp16_overflow 0
		.amdhsa_workgroup_processor_mode 1
		.amdhsa_memory_ordered 1
		.amdhsa_forward_progress 1
		.amdhsa_shared_vgpr_count 0
		.amdhsa_exception_fp_ieee_invalid_op 0
		.amdhsa_exception_fp_denorm_src 0
		.amdhsa_exception_fp_ieee_div_zero 0
		.amdhsa_exception_fp_ieee_overflow 0
		.amdhsa_exception_fp_ieee_underflow 0
		.amdhsa_exception_fp_ieee_inexact 0
		.amdhsa_exception_int_div_zero 0
	.end_amdhsa_kernel
	.section	.text._ZN2at6native32elementwise_kernel_manual_unrollILi128ELi4EZNS0_15gpu_kernel_implIZZZNS0_20trigamma_kernel_cudaERNS_18TensorIteratorBaseEENKUlvE_clEvENKUlvE0_clEvEUlfE_EEvS4_RKT_EUlibE0_EEviT1_,"axG",@progbits,_ZN2at6native32elementwise_kernel_manual_unrollILi128ELi4EZNS0_15gpu_kernel_implIZZZNS0_20trigamma_kernel_cudaERNS_18TensorIteratorBaseEENKUlvE_clEvENKUlvE0_clEvEUlfE_EEvS4_RKT_EUlibE0_EEviT1_,comdat
.Lfunc_end57:
	.size	_ZN2at6native32elementwise_kernel_manual_unrollILi128ELi4EZNS0_15gpu_kernel_implIZZZNS0_20trigamma_kernel_cudaERNS_18TensorIteratorBaseEENKUlvE_clEvENKUlvE0_clEvEUlfE_EEvS4_RKT_EUlibE0_EEviT1_, .Lfunc_end57-_ZN2at6native32elementwise_kernel_manual_unrollILi128ELi4EZNS0_15gpu_kernel_implIZZZNS0_20trigamma_kernel_cudaERNS_18TensorIteratorBaseEENKUlvE_clEvENKUlvE0_clEvEUlfE_EEvS4_RKT_EUlibE0_EEviT1_
                                        ; -- End function
	.set _ZN2at6native32elementwise_kernel_manual_unrollILi128ELi4EZNS0_15gpu_kernel_implIZZZNS0_20trigamma_kernel_cudaERNS_18TensorIteratorBaseEENKUlvE_clEvENKUlvE0_clEvEUlfE_EEvS4_RKT_EUlibE0_EEviT1_.num_vgpr, 48
	.set _ZN2at6native32elementwise_kernel_manual_unrollILi128ELi4EZNS0_15gpu_kernel_implIZZZNS0_20trigamma_kernel_cudaERNS_18TensorIteratorBaseEENKUlvE_clEvENKUlvE0_clEvEUlfE_EEvS4_RKT_EUlibE0_EEviT1_.num_agpr, 0
	.set _ZN2at6native32elementwise_kernel_manual_unrollILi128ELi4EZNS0_15gpu_kernel_implIZZZNS0_20trigamma_kernel_cudaERNS_18TensorIteratorBaseEENKUlvE_clEvENKUlvE0_clEvEUlfE_EEvS4_RKT_EUlibE0_EEviT1_.numbered_sgpr, 68
	.set _ZN2at6native32elementwise_kernel_manual_unrollILi128ELi4EZNS0_15gpu_kernel_implIZZZNS0_20trigamma_kernel_cudaERNS_18TensorIteratorBaseEENKUlvE_clEvENKUlvE0_clEvEUlfE_EEvS4_RKT_EUlibE0_EEviT1_.num_named_barrier, 0
	.set _ZN2at6native32elementwise_kernel_manual_unrollILi128ELi4EZNS0_15gpu_kernel_implIZZZNS0_20trigamma_kernel_cudaERNS_18TensorIteratorBaseEENKUlvE_clEvENKUlvE0_clEvEUlfE_EEvS4_RKT_EUlibE0_EEviT1_.private_seg_size, 0
	.set _ZN2at6native32elementwise_kernel_manual_unrollILi128ELi4EZNS0_15gpu_kernel_implIZZZNS0_20trigamma_kernel_cudaERNS_18TensorIteratorBaseEENKUlvE_clEvENKUlvE0_clEvEUlfE_EEvS4_RKT_EUlibE0_EEviT1_.uses_vcc, 1
	.set _ZN2at6native32elementwise_kernel_manual_unrollILi128ELi4EZNS0_15gpu_kernel_implIZZZNS0_20trigamma_kernel_cudaERNS_18TensorIteratorBaseEENKUlvE_clEvENKUlvE0_clEvEUlfE_EEvS4_RKT_EUlibE0_EEviT1_.uses_flat_scratch, 0
	.set _ZN2at6native32elementwise_kernel_manual_unrollILi128ELi4EZNS0_15gpu_kernel_implIZZZNS0_20trigamma_kernel_cudaERNS_18TensorIteratorBaseEENKUlvE_clEvENKUlvE0_clEvEUlfE_EEvS4_RKT_EUlibE0_EEviT1_.has_dyn_sized_stack, 0
	.set _ZN2at6native32elementwise_kernel_manual_unrollILi128ELi4EZNS0_15gpu_kernel_implIZZZNS0_20trigamma_kernel_cudaERNS_18TensorIteratorBaseEENKUlvE_clEvENKUlvE0_clEvEUlfE_EEvS4_RKT_EUlibE0_EEviT1_.has_recursion, 0
	.set _ZN2at6native32elementwise_kernel_manual_unrollILi128ELi4EZNS0_15gpu_kernel_implIZZZNS0_20trigamma_kernel_cudaERNS_18TensorIteratorBaseEENKUlvE_clEvENKUlvE0_clEvEUlfE_EEvS4_RKT_EUlibE0_EEviT1_.has_indirect_call, 0
	.section	.AMDGPU.csdata,"",@progbits
; Kernel info:
; codeLenInByte = 50816
; TotalNumSgprs: 70
; NumVgprs: 48
; ScratchSize: 0
; MemoryBound: 1
; FloatMode: 240
; IeeeMode: 1
; LDSByteSize: 0 bytes/workgroup (compile time only)
; SGPRBlocks: 0
; VGPRBlocks: 5
; NumSGPRsForWavesPerEU: 70
; NumVGPRsForWavesPerEU: 48
; Occupancy: 16
; WaveLimiterHint : 1
; COMPUTE_PGM_RSRC2:SCRATCH_EN: 0
; COMPUTE_PGM_RSRC2:USER_SGPR: 6
; COMPUTE_PGM_RSRC2:TRAP_HANDLER: 0
; COMPUTE_PGM_RSRC2:TGID_X_EN: 1
; COMPUTE_PGM_RSRC2:TGID_Y_EN: 0
; COMPUTE_PGM_RSRC2:TGID_Z_EN: 0
; COMPUTE_PGM_RSRC2:TIDIG_COMP_CNT: 0
	.text
	.p2align	2                               ; -- Begin function _ZN2at6native25elementwise_kernel_helperILb0EZZZNS0_20trigamma_kernel_cudaERNS_18TensorIteratorBaseEENKUlvE_clEvENKUlvE1_clEvEUlN3c104HalfEE_NS0_6memory8policies11unroll_baseILi256ESt5arrayIPcLm2EE23TrivialOffsetCalculatorILi1EjESG_NS9_15LoadWithoutCastENS9_16StoreWithoutCastELi8ELi1EEEEEvT0_T1_
	.type	_ZN2at6native25elementwise_kernel_helperILb0EZZZNS0_20trigamma_kernel_cudaERNS_18TensorIteratorBaseEENKUlvE_clEvENKUlvE1_clEvEUlN3c104HalfEE_NS0_6memory8policies11unroll_baseILi256ESt5arrayIPcLm2EE23TrivialOffsetCalculatorILi1EjESG_NS9_15LoadWithoutCastENS9_16StoreWithoutCastELi8ELi1EEEEEvT0_T1_,@function
_ZN2at6native25elementwise_kernel_helperILb0EZZZNS0_20trigamma_kernel_cudaERNS_18TensorIteratorBaseEENKUlvE_clEvENKUlvE1_clEvEUlN3c104HalfEE_NS0_6memory8policies11unroll_baseILi256ESt5arrayIPcLm2EE23TrivialOffsetCalculatorILi1EjESG_NS9_15LoadWithoutCastENS9_16StoreWithoutCastELi8ELi1EEEEEvT0_T1_: ; @_ZN2at6native25elementwise_kernel_helperILb0EZZZNS0_20trigamma_kernel_cudaERNS_18TensorIteratorBaseEENKUlvE_clEvENKUlvE1_clEvEUlN3c104HalfEE_NS0_6memory8policies11unroll_baseILi256ESt5arrayIPcLm2EE23TrivialOffsetCalculatorILi1EjESG_NS9_15LoadWithoutCastENS9_16StoreWithoutCastELi8ELi1EEEEEvT0_T1_
; %bb.0:
	s_waitcnt vmcnt(0) expcnt(0) lgkmcnt(0)
	v_and_b32_e32 v7, 0x3ff, v31
	s_lshl_b32 s9, s12, 11
	v_mov_b32_e32 v11, 0
	v_mov_b32_e32 v15, 0
	v_cmp_lt_i32_e64 s4, v7, v4
	v_or_b32_e32 v5, s9, v7
	v_add_nc_u32_e32 v8, 0x100, v7
	v_mov_b32_e32 v16, v7
	s_and_saveexec_b32 s5, s4
	s_cbranch_execz .LBB58_2
; %bb.1:
	v_mov_b32_e32 v6, 0
	v_add_nc_u32_e32 v16, 0x100, v7
	v_lshlrev_b64 v[9:10], 1, v[5:6]
	v_add_co_u32 v9, vcc_lo, v2, v9
	v_add_co_ci_u32_e64 v10, null, v3, v10, vcc_lo
	flat_load_ushort v15, v[9:10]
.LBB58_2:
	s_or_b32 exec_lo, exec_lo, s5
	s_mov_b32 s5, exec_lo
	v_cmpx_lt_i32_e64 v16, v4
	s_cbranch_execz .LBB58_4
; %bb.3:
	v_add_nc_u32_e32 v9, s9, v16
	v_mov_b32_e32 v10, 0
	v_add_nc_u32_e32 v16, 0x100, v16
	v_lshlrev_b64 v[9:10], 1, v[9:10]
	v_add_co_u32 v9, vcc_lo, v2, v9
	v_add_co_ci_u32_e64 v10, null, v3, v10, vcc_lo
	flat_load_ushort v11, v[9:10]
.LBB58_4:
	s_or_b32 exec_lo, exec_lo, s5
	v_mov_b32_e32 v14, 0
	v_mov_b32_e32 v12, 0
	s_mov_b32 s5, exec_lo
	v_cmpx_lt_i32_e64 v16, v4
	s_cbranch_execz .LBB58_6
; %bb.5:
	v_add_nc_u32_e32 v9, s9, v16
	v_mov_b32_e32 v10, 0
	v_add_nc_u32_e32 v16, 0x100, v16
	v_lshlrev_b64 v[9:10], 1, v[9:10]
	v_add_co_u32 v9, vcc_lo, v2, v9
	v_add_co_ci_u32_e64 v10, null, v3, v10, vcc_lo
	flat_load_ushort v12, v[9:10]
.LBB58_6:
	s_or_b32 exec_lo, exec_lo, s5
	s_mov_b32 s5, exec_lo
	v_cmpx_lt_i32_e64 v16, v4
	s_cbranch_execz .LBB58_8
; %bb.7:
	v_add_nc_u32_e32 v9, s9, v16
	v_mov_b32_e32 v10, 0
	v_add_nc_u32_e32 v16, 0x100, v16
	v_lshlrev_b64 v[9:10], 1, v[9:10]
	v_add_co_u32 v9, vcc_lo, v2, v9
	v_add_co_ci_u32_e64 v10, null, v3, v10, vcc_lo
	flat_load_ushort v14, v[9:10]
.LBB58_8:
	s_or_b32 exec_lo, exec_lo, s5
	v_mov_b32_e32 v10, 0
	v_mov_b32_e32 v13, 0
	s_mov_b32 s5, exec_lo
	v_cmpx_lt_i32_e64 v16, v4
	s_cbranch_execz .LBB58_10
; %bb.9:
	v_add_nc_u32_e32 v17, s9, v16
	v_mov_b32_e32 v18, 0
	v_add_nc_u32_e32 v16, 0x100, v16
	v_lshlrev_b64 v[17:18], 1, v[17:18]
	v_add_co_u32 v17, vcc_lo, v2, v17
	v_add_co_ci_u32_e64 v18, null, v3, v18, vcc_lo
	flat_load_ushort v13, v[17:18]
.LBB58_10:
	s_or_b32 exec_lo, exec_lo, s5
	s_mov_b32 s5, exec_lo
	v_cmpx_lt_i32_e64 v16, v4
	s_cbranch_execz .LBB58_12
; %bb.11:
	v_add_nc_u32_e32 v9, s9, v16
	v_mov_b32_e32 v10, 0
	v_add_nc_u32_e32 v16, 0x100, v16
	v_lshlrev_b64 v[9:10], 1, v[9:10]
	v_add_co_u32 v9, vcc_lo, v2, v9
	v_add_co_ci_u32_e64 v10, null, v3, v10, vcc_lo
	flat_load_ushort v10, v[9:10]
.LBB58_12:
	s_or_b32 exec_lo, exec_lo, s5
	v_mov_b32_e32 v6, 0
	v_mov_b32_e32 v9, 0
	s_mov_b32 s5, exec_lo
	v_cmpx_lt_i32_e64 v16, v4
	s_cbranch_execz .LBB58_16
; %bb.13:
	v_add_nc_u32_e32 v17, s9, v16
	v_mov_b32_e32 v18, 0
	v_add_nc_u32_e32 v16, 0x100, v16
	v_lshlrev_b64 v[17:18], 1, v[17:18]
	v_add_co_u32 v17, vcc_lo, v2, v17
	v_add_co_ci_u32_e64 v18, null, v3, v18, vcc_lo
	flat_load_ushort v9, v[17:18]
	s_or_b32 exec_lo, exec_lo, s5
	s_mov_b32 s5, exec_lo
	v_cmpx_lt_i32_e64 v16, v4
	s_cbranch_execnz .LBB58_17
.LBB58_14:
	s_or_b32 exec_lo, exec_lo, s5
                                        ; implicit-def: $vgpr2
	s_and_saveexec_b32 s10, s4
	s_cbranch_execnz .LBB58_18
.LBB58_15:
	s_or_b32 exec_lo, exec_lo, s10
	s_mov_b32 s10, exec_lo
                                        ; implicit-def: $vgpr3
	v_cmpx_lt_i32_e64 v8, v4
	s_cbranch_execz .LBB58_32
	s_branch .LBB58_25
.LBB58_16:
	s_or_b32 exec_lo, exec_lo, s5
	s_mov_b32 s5, exec_lo
	v_cmpx_lt_i32_e64 v16, v4
	s_cbranch_execz .LBB58_14
.LBB58_17:
	v_add_nc_u32_e32 v16, s9, v16
	v_mov_b32_e32 v17, 0
	v_lshlrev_b64 v[16:17], 1, v[16:17]
	v_add_co_u32 v2, vcc_lo, v2, v16
	v_add_co_ci_u32_e64 v3, null, v3, v17, vcc_lo
	flat_load_ushort v6, v[2:3]
	s_or_b32 exec_lo, exec_lo, s5
                                        ; implicit-def: $vgpr2
	s_and_saveexec_b32 s10, s4
	s_cbranch_execz .LBB58_15
.LBB58_18:
	s_waitcnt vmcnt(0) lgkmcnt(0)
	v_cvt_f32_f16_e32 v2, v15
	v_cmp_gt_f16_e32 vcc_lo, 0.5, v15
	v_mov_b32_e32 v15, 0
	v_mov_b32_e32 v3, 1.0
	s_and_saveexec_b32 s7, vcc_lo
	s_cbranch_execz .LBB58_24
; %bb.19:
	v_mul_f32_e32 v3, 0x40490fdb, v2
                                        ; implicit-def: $vgpr17
                                        ; implicit-def: $vgpr16
	s_mov_b32 s6, exec_lo
	v_and_b32_e32 v15, 0x7fffffff, v3
	v_cmpx_ngt_f32_e64 0x48000000, |v3|
	s_xor_b32 s8, exec_lo, s6
	s_cbranch_execz .LBB58_21
; %bb.20:
	s_mov_b32 s5, 0x7fffff
	v_mov_b32_e32 v18, 0
	v_and_or_b32 v25, v15, s5, 0x800000
	v_lshrrev_b32_e32 v23, 23, v15
	v_mad_u64_u32 v[16:17], null, 0xfe5163ab, v25, 0
	v_add_nc_u32_e32 v24, 0xffffff88, v23
	v_cmp_lt_u32_e32 vcc_lo, 63, v24
	v_mad_u64_u32 v[19:20], null, 0x3c439041, v25, v[17:18]
	v_cndmask_b32_e64 v26, 0, 0xffffffc0, vcc_lo
	v_mov_b32_e32 v17, v20
	v_add_nc_u32_e32 v26, v26, v24
	v_mad_u64_u32 v[20:21], null, 0xdb629599, v25, v[17:18]
	v_cmp_lt_u32_e64 s5, 31, v26
	v_cndmask_b32_e64 v27, 0, 0xffffffe0, s5
	v_mov_b32_e32 v17, v21
	v_cndmask_b32_e32 v16, v20, v16, vcc_lo
	v_mad_u64_u32 v[21:22], null, 0xf534ddc0, v25, v[17:18]
	v_mov_b32_e32 v17, v22
	v_cndmask_b32_e32 v19, v21, v19, vcc_lo
	v_mad_u64_u32 v[22:23], null, 0xfc2757d1, v25, v[17:18]
	v_cndmask_b32_e64 v16, v19, v16, s5
	v_mov_b32_e32 v17, v23
	v_mad_u64_u32 v[23:24], null, 0x4e441529, v25, v[17:18]
	v_mov_b32_e32 v17, v24
	v_add_nc_u32_e32 v24, v27, v26
	v_cndmask_b32_e32 v26, v23, v21, vcc_lo
	v_mad_u64_u32 v[17:18], null, 0xa2f9836e, v25, v[17:18]
	v_cmp_lt_u32_e64 s6, 31, v24
	v_cndmask_b32_e64 v25, 0, 0xffffffe0, s6
	v_cndmask_b32_e32 v17, v17, v22, vcc_lo
	v_cndmask_b32_e32 v18, v18, v23, vcc_lo
	;; [unrolled: 1-line block ×3, first 2 shown]
	v_add_nc_u32_e32 v23, v25, v24
	v_cndmask_b32_e64 v21, v17, v26, s5
	v_cndmask_b32_e64 v17, v18, v17, s5
	;; [unrolled: 1-line block ×4, first 2 shown]
	v_sub_nc_u32_e32 v24, 32, v23
	v_cmp_eq_u32_e32 vcc_lo, 0, v23
	v_cndmask_b32_e64 v17, v17, v21, s6
	v_cndmask_b32_e64 v21, v21, v18, s6
	;; [unrolled: 1-line block ×4, first 2 shown]
	v_alignbit_b32 v25, v17, v21, v24
	v_alignbit_b32 v20, v21, v18, v24
	;; [unrolled: 1-line block ×3, first 2 shown]
	v_cndmask_b32_e32 v17, v25, v17, vcc_lo
	v_cndmask_b32_e32 v19, v20, v21, vcc_lo
	;; [unrolled: 1-line block ×3, first 2 shown]
	v_bfe_u32 v20, v17, 29, 1
	v_alignbit_b32 v21, v17, v19, 30
	v_alignbit_b32 v19, v19, v18, 30
	v_alignbit_b32 v16, v18, v16, 30
	v_sub_nc_u32_e32 v22, 0, v20
	v_xor_b32_e32 v21, v21, v22
	v_xor_b32_e32 v18, v19, v22
	;; [unrolled: 1-line block ×3, first 2 shown]
	v_lshrrev_b32_e32 v22, 29, v17
	v_lshrrev_b32_e32 v17, 30, v17
	v_ffbh_u32_e32 v23, v21
	v_add_nc_u32_e32 v17, v20, v17
	v_min_u32_e32 v23, 32, v23
	v_sub_nc_u32_e32 v19, 31, v23
	v_lshlrev_b32_e32 v24, 23, v23
	v_alignbit_b32 v21, v21, v18, v19
	v_alignbit_b32 v16, v18, v16, v19
	v_lshlrev_b32_e32 v18, 31, v22
	v_alignbit_b32 v19, v21, v16, 9
	v_or_b32_e32 v22, 0.5, v18
	v_lshrrev_b32_e32 v21, 9, v21
	v_or_b32_e32 v18, 0x33000000, v18
	v_ffbh_u32_e32 v25, v19
	v_sub_nc_u32_e32 v22, v22, v24
	v_min_u32_e32 v24, 32, v25
	v_or_b32_e32 v21, v21, v22
	v_not_b32_e32 v22, v24
	v_mul_f32_e32 v25, 0x3fc90fda, v21
	v_add_lshl_u32 v23, v24, v23, 23
	v_alignbit_b32 v16, v19, v16, v22
	v_fma_f32 v19, 0x3fc90fda, v21, -v25
	v_sub_nc_u32_e32 v18, v18, v23
	v_lshrrev_b32_e32 v16, 9, v16
	v_fmamk_f32 v19, v21, 0x33a22168, v19
	v_or_b32_e32 v16, v18, v16
	v_fmac_f32_e32 v19, 0x3fc90fda, v16
	v_add_f32_e32 v16, v25, v19
.LBB58_21:
	s_andn2_saveexec_b32 s5, s8
; %bb.22:
	v_mul_f32_e64 v16, 0x3f22f983, |v3|
	v_rndne_f32_e32 v17, v16
	v_fma_f32 v16, 0xbfc90fda, v17, |v3|
	v_fmamk_f32 v16, v17, 0xb3a22168, v16
	v_fmamk_f32 v16, v17, 0xa7c234c4, v16
	v_cvt_i32_f32_e32 v17, v17
; %bb.23:
	s_or_b32 exec_lo, exec_lo, s5
	v_mul_f32_e32 v18, v16, v16
	s_mov_b32 s5, 0xb94c1982
	s_mov_b32 s6, 0x37d75334
	v_and_b32_e32 v21, 1, v17
	v_lshlrev_b32_e32 v17, 30, v17
	v_fmaak_f32 v19, s5, v18, 0x3c0881c4
	v_fmaak_f32 v20, s6, v18, 0xbab64f3b
	v_xor_b32_e32 v15, v15, v3
	v_cmp_eq_u32_e32 vcc_lo, 0, v21
	v_and_b32_e32 v17, 0x80000000, v17
	v_fmaak_f32 v19, v18, v19, 0xbe2aaa9d
	v_fmaak_f32 v20, v18, v20, 0x3d2aabf7
	v_sub_f32_e32 v2, 1.0, v2
	v_mul_f32_e32 v19, v18, v19
	v_fmaak_f32 v20, v18, v20, 0xbf000004
	v_fmac_f32_e32 v16, v16, v19
	v_fma_f32 v18, v18, v20, 1.0
	v_cndmask_b32_e32 v16, v18, v16, vcc_lo
	v_cmp_class_f32_e64 vcc_lo, v3, 0x1f8
	v_xor3_b32 v15, v15, v17, v16
	v_cndmask_b32_e32 v3, 0x7fc00000, v15, vcc_lo
	v_mul_f32_e32 v3, v3, v3
	v_div_scale_f32 v15, null, v3, v3, 0xc11de9e7
	v_div_scale_f32 v18, vcc_lo, 0xc11de9e7, v3, 0xc11de9e7
	v_rcp_f32_e32 v16, v15
	v_fma_f32 v17, -v15, v16, 1.0
	v_fmac_f32_e32 v16, v17, v16
	v_mul_f32_e32 v17, v18, v16
	v_fma_f32 v19, -v15, v17, v18
	v_fmac_f32_e32 v17, v19, v16
	v_fma_f32 v15, -v15, v17, v18
	v_div_fmas_f32 v15, v15, v16, v17
	v_div_fixup_f32 v3, v15, v3, 0xc11de9e7
	v_add_f32_e32 v15, 0, v3
	v_mov_b32_e32 v3, -1.0
.LBB58_24:
	s_or_b32 exec_lo, exec_lo, s7
	v_add_f32_e32 v16, 1.0, v2
	v_mul_f32_e32 v2, v2, v2
	v_mul_f32_e32 v17, v16, v16
	v_add_f32_e32 v16, 1.0, v16
	v_div_scale_f32 v18, null, v2, v2, 1.0
	v_div_scale_f32 v20, vcc_lo, 1.0, v2, 1.0
	v_mul_f32_e32 v21, v16, v16
	v_div_scale_f32 v19, null, v17, v17, 1.0
	v_rcp_f32_e32 v22, v18
	v_div_scale_f32 v25, s5, 1.0, v17, 1.0
	v_div_scale_f32 v24, null, v21, v21, 1.0
	v_rcp_f32_e32 v23, v19
	v_add_f32_e32 v16, 1.0, v16
	v_div_scale_f32 v26, s6, 1.0, v21, 1.0
	v_rcp_f32_e32 v27, v24
	v_fma_f32 v29, -v18, v22, 1.0
	v_mul_f32_e32 v28, v16, v16
	v_add_f32_e32 v16, 1.0, v16
	v_fma_f32 v30, -v19, v23, 1.0
	v_fmac_f32_e32 v22, v29, v22
	v_mul_f32_e32 v32, v16, v16
	v_add_f32_e32 v16, 1.0, v16
	v_fma_f32 v29, -v24, v27, 1.0
	v_fmac_f32_e32 v23, v30, v23
	v_mul_f32_e32 v33, v20, v22
	v_div_scale_f32 v31, null, v28, v28, 1.0
	v_fmac_f32_e32 v27, v29, v27
	v_mul_f32_e32 v34, v25, v23
	v_fma_f32 v35, -v18, v33, v20
	v_add_f32_e32 v38, 1.0, v16
	v_rcp_f32_e32 v30, v31
	v_mul_f32_e32 v37, v26, v27
	v_fma_f32 v36, -v19, v34, v25
	v_fmac_f32_e32 v33, v35, v22
	v_mul_f32_e32 v16, v16, v16
	v_div_scale_f32 v29, null, v32, v32, 1.0
	v_fma_f32 v35, -v24, v37, v26
	v_fmac_f32_e32 v34, v36, v23
	v_fma_f32 v18, -v18, v33, v20
	v_mul_f32_e32 v20, v38, v38
	v_rcp_f32_e32 v36, v29
	v_fmac_f32_e32 v37, v35, v27
	v_fma_f32 v19, -v19, v34, v25
	v_div_fmas_f32 v18, v18, v22, v33
	s_mov_b32 vcc_lo, s5
	v_fma_f32 v39, -v31, v30, 1.0
	v_fma_f32 v22, -v24, v37, v26
	v_div_fmas_f32 v19, v19, v23, v34
	s_mov_b32 vcc_lo, s6
	v_div_scale_f32 v23, null, v16, v16, 1.0
	v_div_fmas_f32 v22, v22, v27, v37
	v_div_scale_f32 v24, null, v20, v20, 1.0
	v_add_f32_e32 v27, v38, v38
	v_rcp_f32_e32 v26, v23
	v_fmac_f32_e32 v30, v39, v30
	v_rcp_f32_e32 v34, v24
	v_div_scale_f32 v25, vcc_lo, 1.0, v28, 1.0
	v_div_scale_f32 v37, null, v27, v27, 1.0
	v_fma_f32 v33, -v29, v36, 1.0
	v_mul_f32_e32 v35, v25, v30
	v_div_fixup_f32 v2, v18, v2, 1.0
	v_rcp_f32_e32 v48, v37
	v_fma_f32 v39, -v23, v26, 1.0
	v_fmac_f32_e32 v36, v33, v36
	v_div_scale_f32 v33, s5, 1.0, v32, 1.0
	v_fma_f32 v50, -v24, v34, 1.0
	v_fma_f32 v49, -v31, v35, v25
	v_fmac_f32_e32 v26, v39, v26
	v_div_scale_f32 v39, s6, 1.0, v16, 1.0
	v_mul_f32_e32 v51, v33, v36
	v_fmac_f32_e32 v34, v50, v34
	v_div_scale_f32 v50, s7, 1.0, v20, 1.0
	v_fma_f32 v52, -v37, v48, 1.0
	v_fmac_f32_e32 v35, v49, v30
	v_mul_f32_e32 v53, v39, v26
	v_fma_f32 v49, -v29, v51, v33
	v_mul_f32_e32 v54, v50, v34
	v_fmac_f32_e32 v48, v52, v48
	v_div_scale_f32 v52, s8, 1.0, v27, 1.0
	v_fma_f32 v25, -v31, v35, v25
	v_fma_f32 v31, -v23, v53, v39
	v_fmac_f32_e32 v51, v49, v36
	v_fma_f32 v49, -v24, v54, v50
	v_mul_f32_e32 v55, v52, v48
	v_div_fmas_f32 v25, v25, v30, v35
	v_fmac_f32_e32 v53, v31, v26
	v_fma_f32 v29, -v29, v51, v33
	v_fmac_f32_e32 v54, v49, v34
	v_fma_f32 v30, -v37, v55, v52
	s_mov_b32 vcc_lo, s5
	v_fma_f32 v23, -v23, v53, v39
	v_div_fmas_f32 v29, v29, v36, v51
	v_fma_f32 v24, -v24, v54, v50
	v_fmac_f32_e32 v55, v30, v48
	s_mov_b32 vcc_lo, s6
	s_mov_b32 s5, 0xbcc30c31
	v_div_fmas_f32 v23, v23, v26, v53
	s_mov_b32 vcc_lo, s7
	v_fma_f32 v26, -v37, v55, v52
	v_div_fmas_f32 v24, v24, v34, v54
	s_mov_b32 vcc_lo, s8
	v_add_f32_e32 v2, v15, v2
	v_div_fixup_f32 v15, v19, v17, 1.0
	v_div_fmas_f32 v26, v26, v48, v55
	v_div_fixup_f32 v20, v24, v20, 1.0
	v_add_f32_e32 v2, v2, v15
	v_div_fixup_f32 v24, v26, v27, 1.0
	v_fmaak_f32 v26, s5, v20, 0x3d088889
	v_div_fixup_f32 v15, v22, v21, 1.0
	v_add_f32_e32 v24, 1.0, v24
	v_fma_f32 v26, -v20, v26, 0x3e2aaaab
	v_add_f32_e32 v2, v2, v15
	v_div_fixup_f32 v15, v25, v28, 1.0
	v_fmac_f32_e32 v24, v20, v26
	v_add_f32_e32 v2, v2, v15
	v_div_fixup_f32 v15, v29, v32, 1.0
	v_div_scale_f32 v20, null, v38, v38, v24
	v_div_scale_f32 v17, vcc_lo, v24, v38, v24
	v_add_f32_e32 v2, v2, v15
	v_rcp_f32_e32 v26, v20
	v_div_fixup_f32 v15, v23, v16, 1.0
	v_add_f32_e32 v2, v2, v15
	v_fma_f32 v18, -v20, v26, 1.0
	v_fmac_f32_e32 v26, v18, v26
	v_mul_f32_e32 v18, v17, v26
	v_fma_f32 v19, -v20, v18, v17
	v_fmac_f32_e32 v18, v19, v26
	v_fma_f32 v17, -v20, v18, v17
	v_div_fmas_f32 v16, v17, v26, v18
	v_div_fixup_f32 v15, v16, v38, v24
	v_add_f32_e32 v2, v2, v15
	v_fma_mixlo_f16 v2, v3, v2, 0
	s_or_b32 exec_lo, exec_lo, s10
	s_mov_b32 s10, exec_lo
                                        ; implicit-def: $vgpr3
	v_cmpx_lt_i32_e64 v8, v4
	s_cbranch_execz .LBB58_32
.LBB58_25:
	s_waitcnt vmcnt(0) lgkmcnt(0)
	v_cvt_f32_f16_e32 v3, v11
	v_cmp_gt_f16_e32 vcc_lo, 0.5, v11
	v_mov_b32_e32 v15, 0
	v_mov_b32_e32 v11, 1.0
	s_and_saveexec_b32 s7, vcc_lo
	s_cbranch_execz .LBB58_31
; %bb.26:
	v_mul_f32_e32 v11, 0x40490fdb, v3
                                        ; implicit-def: $vgpr17
                                        ; implicit-def: $vgpr16
	s_mov_b32 s6, exec_lo
	v_and_b32_e32 v15, 0x7fffffff, v11
	v_cmpx_ngt_f32_e64 0x48000000, |v11|
	s_xor_b32 s8, exec_lo, s6
	s_cbranch_execz .LBB58_28
; %bb.27:
	s_mov_b32 s5, 0x7fffff
	v_mov_b32_e32 v18, 0
	v_and_or_b32 v25, v15, s5, 0x800000
	v_lshrrev_b32_e32 v23, 23, v15
	v_mad_u64_u32 v[16:17], null, 0xfe5163ab, v25, 0
	v_add_nc_u32_e32 v24, 0xffffff88, v23
	v_cmp_lt_u32_e32 vcc_lo, 63, v24
	v_mad_u64_u32 v[19:20], null, 0x3c439041, v25, v[17:18]
	v_cndmask_b32_e64 v26, 0, 0xffffffc0, vcc_lo
	v_mov_b32_e32 v17, v20
	v_add_nc_u32_e32 v26, v26, v24
	v_mad_u64_u32 v[20:21], null, 0xdb629599, v25, v[17:18]
	v_cmp_lt_u32_e64 s5, 31, v26
	v_cndmask_b32_e64 v27, 0, 0xffffffe0, s5
	v_mov_b32_e32 v17, v21
	v_cndmask_b32_e32 v16, v20, v16, vcc_lo
	v_mad_u64_u32 v[21:22], null, 0xf534ddc0, v25, v[17:18]
	v_mov_b32_e32 v17, v22
	v_cndmask_b32_e32 v19, v21, v19, vcc_lo
	v_mad_u64_u32 v[22:23], null, 0xfc2757d1, v25, v[17:18]
	v_cndmask_b32_e64 v16, v19, v16, s5
	v_mov_b32_e32 v17, v23
	v_mad_u64_u32 v[23:24], null, 0x4e441529, v25, v[17:18]
	v_mov_b32_e32 v17, v24
	v_add_nc_u32_e32 v24, v27, v26
	v_cndmask_b32_e32 v26, v23, v21, vcc_lo
	v_mad_u64_u32 v[17:18], null, 0xa2f9836e, v25, v[17:18]
	v_cmp_lt_u32_e64 s6, 31, v24
	v_cndmask_b32_e64 v25, 0, 0xffffffe0, s6
	v_cndmask_b32_e32 v17, v17, v22, vcc_lo
	v_cndmask_b32_e32 v18, v18, v23, vcc_lo
	v_cndmask_b32_e32 v22, v22, v20, vcc_lo
	v_add_nc_u32_e32 v23, v25, v24
	v_cndmask_b32_e64 v21, v17, v26, s5
	v_cndmask_b32_e64 v17, v18, v17, s5
	;; [unrolled: 1-line block ×4, first 2 shown]
	v_sub_nc_u32_e32 v24, 32, v23
	v_cmp_eq_u32_e32 vcc_lo, 0, v23
	v_cndmask_b32_e64 v17, v17, v21, s6
	v_cndmask_b32_e64 v21, v21, v18, s6
	v_cndmask_b32_e64 v18, v18, v22, s6
	v_cndmask_b32_e64 v16, v22, v16, s6
	v_alignbit_b32 v25, v17, v21, v24
	v_alignbit_b32 v20, v21, v18, v24
	;; [unrolled: 1-line block ×3, first 2 shown]
	v_cndmask_b32_e32 v17, v25, v17, vcc_lo
	v_cndmask_b32_e32 v19, v20, v21, vcc_lo
	;; [unrolled: 1-line block ×3, first 2 shown]
	v_bfe_u32 v20, v17, 29, 1
	v_alignbit_b32 v21, v17, v19, 30
	v_alignbit_b32 v19, v19, v18, 30
	;; [unrolled: 1-line block ×3, first 2 shown]
	v_sub_nc_u32_e32 v22, 0, v20
	v_xor_b32_e32 v21, v21, v22
	v_xor_b32_e32 v18, v19, v22
	;; [unrolled: 1-line block ×3, first 2 shown]
	v_lshrrev_b32_e32 v22, 29, v17
	v_lshrrev_b32_e32 v17, 30, v17
	v_ffbh_u32_e32 v23, v21
	v_add_nc_u32_e32 v17, v20, v17
	v_min_u32_e32 v23, 32, v23
	v_sub_nc_u32_e32 v19, 31, v23
	v_lshlrev_b32_e32 v24, 23, v23
	v_alignbit_b32 v21, v21, v18, v19
	v_alignbit_b32 v16, v18, v16, v19
	v_lshlrev_b32_e32 v18, 31, v22
	v_alignbit_b32 v19, v21, v16, 9
	v_or_b32_e32 v22, 0.5, v18
	v_lshrrev_b32_e32 v21, 9, v21
	v_or_b32_e32 v18, 0x33000000, v18
	v_ffbh_u32_e32 v25, v19
	v_sub_nc_u32_e32 v22, v22, v24
	v_min_u32_e32 v24, 32, v25
	v_or_b32_e32 v21, v21, v22
	v_not_b32_e32 v22, v24
	v_mul_f32_e32 v25, 0x3fc90fda, v21
	v_add_lshl_u32 v23, v24, v23, 23
	v_alignbit_b32 v16, v19, v16, v22
	v_fma_f32 v19, 0x3fc90fda, v21, -v25
	v_sub_nc_u32_e32 v18, v18, v23
	v_lshrrev_b32_e32 v16, 9, v16
	v_fmamk_f32 v19, v21, 0x33a22168, v19
	v_or_b32_e32 v16, v18, v16
	v_fmac_f32_e32 v19, 0x3fc90fda, v16
	v_add_f32_e32 v16, v25, v19
.LBB58_28:
	s_andn2_saveexec_b32 s5, s8
; %bb.29:
	v_mul_f32_e64 v16, 0x3f22f983, |v11|
	v_rndne_f32_e32 v17, v16
	v_fma_f32 v16, 0xbfc90fda, v17, |v11|
	v_fmamk_f32 v16, v17, 0xb3a22168, v16
	v_fmamk_f32 v16, v17, 0xa7c234c4, v16
	v_cvt_i32_f32_e32 v17, v17
; %bb.30:
	s_or_b32 exec_lo, exec_lo, s5
	v_mul_f32_e32 v18, v16, v16
	s_mov_b32 s5, 0xb94c1982
	s_mov_b32 s6, 0x37d75334
	v_and_b32_e32 v21, 1, v17
	v_lshlrev_b32_e32 v17, 30, v17
	v_fmaak_f32 v19, s5, v18, 0x3c0881c4
	v_fmaak_f32 v20, s6, v18, 0xbab64f3b
	v_xor_b32_e32 v15, v15, v11
	v_cmp_eq_u32_e32 vcc_lo, 0, v21
	v_and_b32_e32 v17, 0x80000000, v17
	v_fmaak_f32 v19, v18, v19, 0xbe2aaa9d
	v_fmaak_f32 v20, v18, v20, 0x3d2aabf7
	v_sub_f32_e32 v3, 1.0, v3
	v_mul_f32_e32 v19, v18, v19
	v_fmaak_f32 v20, v18, v20, 0xbf000004
	v_fmac_f32_e32 v16, v16, v19
	v_fma_f32 v18, v18, v20, 1.0
	v_cndmask_b32_e32 v16, v18, v16, vcc_lo
	v_cmp_class_f32_e64 vcc_lo, v11, 0x1f8
	v_xor3_b32 v15, v15, v17, v16
	v_cndmask_b32_e32 v11, 0x7fc00000, v15, vcc_lo
	v_mul_f32_e32 v11, v11, v11
	v_div_scale_f32 v15, null, v11, v11, 0xc11de9e7
	v_div_scale_f32 v18, vcc_lo, 0xc11de9e7, v11, 0xc11de9e7
	v_rcp_f32_e32 v16, v15
	v_fma_f32 v17, -v15, v16, 1.0
	v_fmac_f32_e32 v16, v17, v16
	v_mul_f32_e32 v17, v18, v16
	v_fma_f32 v19, -v15, v17, v18
	v_fmac_f32_e32 v17, v19, v16
	v_fma_f32 v15, -v15, v17, v18
	v_div_fmas_f32 v15, v15, v16, v17
	v_div_fixup_f32 v11, v15, v11, 0xc11de9e7
	v_add_f32_e32 v15, 0, v11
	v_mov_b32_e32 v11, -1.0
.LBB58_31:
	s_or_b32 exec_lo, exec_lo, s7
	v_add_f32_e32 v16, 1.0, v3
	v_mul_f32_e32 v3, v3, v3
	v_mul_f32_e32 v17, v16, v16
	v_add_f32_e32 v16, 1.0, v16
	v_div_scale_f32 v18, null, v3, v3, 1.0
	v_div_scale_f32 v20, vcc_lo, 1.0, v3, 1.0
	v_mul_f32_e32 v21, v16, v16
	v_div_scale_f32 v19, null, v17, v17, 1.0
	v_rcp_f32_e32 v22, v18
	v_div_scale_f32 v25, s5, 1.0, v17, 1.0
	v_div_scale_f32 v24, null, v21, v21, 1.0
	v_rcp_f32_e32 v23, v19
	v_add_f32_e32 v16, 1.0, v16
	v_div_scale_f32 v26, s6, 1.0, v21, 1.0
	v_rcp_f32_e32 v27, v24
	v_fma_f32 v29, -v18, v22, 1.0
	v_mul_f32_e32 v28, v16, v16
	v_add_f32_e32 v16, 1.0, v16
	v_fma_f32 v30, -v19, v23, 1.0
	v_fmac_f32_e32 v22, v29, v22
	v_mul_f32_e32 v32, v16, v16
	v_add_f32_e32 v16, 1.0, v16
	v_fma_f32 v29, -v24, v27, 1.0
	v_fmac_f32_e32 v23, v30, v23
	v_mul_f32_e32 v33, v20, v22
	v_div_scale_f32 v31, null, v28, v28, 1.0
	v_fmac_f32_e32 v27, v29, v27
	v_mul_f32_e32 v34, v25, v23
	v_fma_f32 v35, -v18, v33, v20
	v_add_f32_e32 v38, 1.0, v16
	v_rcp_f32_e32 v30, v31
	v_mul_f32_e32 v37, v26, v27
	v_fma_f32 v36, -v19, v34, v25
	v_fmac_f32_e32 v33, v35, v22
	v_mul_f32_e32 v16, v16, v16
	v_div_scale_f32 v29, null, v32, v32, 1.0
	v_fma_f32 v35, -v24, v37, v26
	v_fmac_f32_e32 v34, v36, v23
	v_fma_f32 v18, -v18, v33, v20
	v_mul_f32_e32 v20, v38, v38
	v_rcp_f32_e32 v36, v29
	v_fmac_f32_e32 v37, v35, v27
	v_fma_f32 v19, -v19, v34, v25
	v_div_fmas_f32 v18, v18, v22, v33
	s_mov_b32 vcc_lo, s5
	v_fma_f32 v39, -v31, v30, 1.0
	v_fma_f32 v22, -v24, v37, v26
	v_div_fmas_f32 v19, v19, v23, v34
	s_mov_b32 vcc_lo, s6
	v_div_scale_f32 v23, null, v16, v16, 1.0
	v_div_fmas_f32 v22, v22, v27, v37
	v_div_scale_f32 v24, null, v20, v20, 1.0
	v_add_f32_e32 v27, v38, v38
	v_rcp_f32_e32 v26, v23
	v_fmac_f32_e32 v30, v39, v30
	v_rcp_f32_e32 v34, v24
	v_div_scale_f32 v25, vcc_lo, 1.0, v28, 1.0
	v_div_scale_f32 v37, null, v27, v27, 1.0
	v_fma_f32 v33, -v29, v36, 1.0
	v_mul_f32_e32 v35, v25, v30
	v_div_fixup_f32 v3, v18, v3, 1.0
	v_rcp_f32_e32 v48, v37
	v_fma_f32 v39, -v23, v26, 1.0
	v_fmac_f32_e32 v36, v33, v36
	v_div_scale_f32 v33, s5, 1.0, v32, 1.0
	v_fma_f32 v50, -v24, v34, 1.0
	v_fma_f32 v49, -v31, v35, v25
	v_fmac_f32_e32 v26, v39, v26
	v_div_scale_f32 v39, s6, 1.0, v16, 1.0
	v_mul_f32_e32 v51, v33, v36
	v_fmac_f32_e32 v34, v50, v34
	v_div_scale_f32 v50, s7, 1.0, v20, 1.0
	v_fma_f32 v52, -v37, v48, 1.0
	v_fmac_f32_e32 v35, v49, v30
	v_mul_f32_e32 v53, v39, v26
	v_fma_f32 v49, -v29, v51, v33
	v_mul_f32_e32 v54, v50, v34
	v_fmac_f32_e32 v48, v52, v48
	v_div_scale_f32 v52, s8, 1.0, v27, 1.0
	v_fma_f32 v25, -v31, v35, v25
	v_fma_f32 v31, -v23, v53, v39
	v_fmac_f32_e32 v51, v49, v36
	v_fma_f32 v49, -v24, v54, v50
	v_mul_f32_e32 v55, v52, v48
	v_div_fmas_f32 v25, v25, v30, v35
	v_fmac_f32_e32 v53, v31, v26
	v_fma_f32 v29, -v29, v51, v33
	v_fmac_f32_e32 v54, v49, v34
	v_fma_f32 v30, -v37, v55, v52
	s_mov_b32 vcc_lo, s5
	v_fma_f32 v23, -v23, v53, v39
	v_div_fmas_f32 v29, v29, v36, v51
	v_fma_f32 v24, -v24, v54, v50
	v_fmac_f32_e32 v55, v30, v48
	s_mov_b32 vcc_lo, s6
	s_mov_b32 s5, 0xbcc30c31
	v_div_fmas_f32 v23, v23, v26, v53
	s_mov_b32 vcc_lo, s7
	v_fma_f32 v26, -v37, v55, v52
	v_div_fmas_f32 v24, v24, v34, v54
	s_mov_b32 vcc_lo, s8
	v_add_f32_e32 v3, v15, v3
	v_div_fixup_f32 v15, v19, v17, 1.0
	v_div_fmas_f32 v26, v26, v48, v55
	v_div_fixup_f32 v20, v24, v20, 1.0
	v_add_f32_e32 v3, v3, v15
	v_div_fixup_f32 v24, v26, v27, 1.0
	v_fmaak_f32 v26, s5, v20, 0x3d088889
	v_div_fixup_f32 v15, v22, v21, 1.0
	v_add_f32_e32 v24, 1.0, v24
	v_fma_f32 v26, -v20, v26, 0x3e2aaaab
	v_add_f32_e32 v3, v3, v15
	v_div_fixup_f32 v15, v25, v28, 1.0
	v_fmac_f32_e32 v24, v20, v26
	v_add_f32_e32 v3, v3, v15
	v_div_fixup_f32 v15, v29, v32, 1.0
	v_div_scale_f32 v20, null, v38, v38, v24
	v_div_scale_f32 v17, vcc_lo, v24, v38, v24
	v_add_f32_e32 v3, v3, v15
	v_rcp_f32_e32 v26, v20
	v_div_fixup_f32 v15, v23, v16, 1.0
	v_add_f32_e32 v3, v3, v15
	v_fma_f32 v18, -v20, v26, 1.0
	v_fmac_f32_e32 v26, v18, v26
	v_mul_f32_e32 v18, v17, v26
	v_fma_f32 v19, -v20, v18, v17
	v_fmac_f32_e32 v18, v19, v26
	v_fma_f32 v17, -v20, v18, v17
	v_div_fmas_f32 v16, v17, v26, v18
	v_div_fixup_f32 v15, v16, v38, v24
	v_add_f32_e32 v3, v3, v15
	v_fma_mixlo_f16 v3, v11, v3, 0
.LBB58_32:
	s_or_b32 exec_lo, exec_lo, s10
	s_waitcnt vmcnt(0) lgkmcnt(0)
	v_add_nc_u32_e32 v11, 0x200, v7
	v_cmp_lt_i32_e32 vcc_lo, v11, v4
                                        ; implicit-def: $vgpr11
	s_and_saveexec_b32 s10, vcc_lo
	s_cbranch_execz .LBB58_40
; %bb.33:
	v_cvt_f32_f16_e32 v11, v12
	v_cmp_gt_f16_e32 vcc_lo, 0.5, v12
	v_mov_b32_e32 v15, 0
	v_mov_b32_e32 v12, 1.0
	s_and_saveexec_b32 s7, vcc_lo
	s_cbranch_execz .LBB58_39
; %bb.34:
	v_mul_f32_e32 v12, 0x40490fdb, v11
                                        ; implicit-def: $vgpr17
                                        ; implicit-def: $vgpr16
	s_mov_b32 s6, exec_lo
	v_and_b32_e32 v15, 0x7fffffff, v12
	v_cmpx_ngt_f32_e64 0x48000000, |v12|
	s_xor_b32 s8, exec_lo, s6
	s_cbranch_execz .LBB58_36
; %bb.35:
	s_mov_b32 s5, 0x7fffff
	v_mov_b32_e32 v18, 0
	v_and_or_b32 v25, v15, s5, 0x800000
	v_lshrrev_b32_e32 v23, 23, v15
	v_mad_u64_u32 v[16:17], null, 0xfe5163ab, v25, 0
	v_add_nc_u32_e32 v24, 0xffffff88, v23
	v_cmp_lt_u32_e32 vcc_lo, 63, v24
	v_mad_u64_u32 v[19:20], null, 0x3c439041, v25, v[17:18]
	v_cndmask_b32_e64 v26, 0, 0xffffffc0, vcc_lo
	v_mov_b32_e32 v17, v20
	v_add_nc_u32_e32 v26, v26, v24
	v_mad_u64_u32 v[20:21], null, 0xdb629599, v25, v[17:18]
	v_cmp_lt_u32_e64 s5, 31, v26
	v_cndmask_b32_e64 v27, 0, 0xffffffe0, s5
	v_mov_b32_e32 v17, v21
	v_cndmask_b32_e32 v16, v20, v16, vcc_lo
	v_mad_u64_u32 v[21:22], null, 0xf534ddc0, v25, v[17:18]
	v_mov_b32_e32 v17, v22
	v_cndmask_b32_e32 v19, v21, v19, vcc_lo
	v_mad_u64_u32 v[22:23], null, 0xfc2757d1, v25, v[17:18]
	v_cndmask_b32_e64 v16, v19, v16, s5
	v_mov_b32_e32 v17, v23
	v_mad_u64_u32 v[23:24], null, 0x4e441529, v25, v[17:18]
	v_mov_b32_e32 v17, v24
	v_add_nc_u32_e32 v24, v27, v26
	v_cndmask_b32_e32 v26, v23, v21, vcc_lo
	v_mad_u64_u32 v[17:18], null, 0xa2f9836e, v25, v[17:18]
	v_cmp_lt_u32_e64 s6, 31, v24
	v_cndmask_b32_e64 v25, 0, 0xffffffe0, s6
	v_cndmask_b32_e32 v17, v17, v22, vcc_lo
	v_cndmask_b32_e32 v18, v18, v23, vcc_lo
	;; [unrolled: 1-line block ×3, first 2 shown]
	v_add_nc_u32_e32 v23, v25, v24
	v_cndmask_b32_e64 v21, v17, v26, s5
	v_cndmask_b32_e64 v17, v18, v17, s5
	;; [unrolled: 1-line block ×4, first 2 shown]
	v_sub_nc_u32_e32 v24, 32, v23
	v_cmp_eq_u32_e32 vcc_lo, 0, v23
	v_cndmask_b32_e64 v17, v17, v21, s6
	v_cndmask_b32_e64 v21, v21, v18, s6
	;; [unrolled: 1-line block ×4, first 2 shown]
	v_alignbit_b32 v25, v17, v21, v24
	v_alignbit_b32 v20, v21, v18, v24
	;; [unrolled: 1-line block ×3, first 2 shown]
	v_cndmask_b32_e32 v17, v25, v17, vcc_lo
	v_cndmask_b32_e32 v19, v20, v21, vcc_lo
	;; [unrolled: 1-line block ×3, first 2 shown]
	v_bfe_u32 v20, v17, 29, 1
	v_alignbit_b32 v21, v17, v19, 30
	v_alignbit_b32 v19, v19, v18, 30
	;; [unrolled: 1-line block ×3, first 2 shown]
	v_sub_nc_u32_e32 v22, 0, v20
	v_xor_b32_e32 v21, v21, v22
	v_xor_b32_e32 v18, v19, v22
	;; [unrolled: 1-line block ×3, first 2 shown]
	v_lshrrev_b32_e32 v22, 29, v17
	v_lshrrev_b32_e32 v17, 30, v17
	v_ffbh_u32_e32 v23, v21
	v_add_nc_u32_e32 v17, v20, v17
	v_min_u32_e32 v23, 32, v23
	v_sub_nc_u32_e32 v19, 31, v23
	v_lshlrev_b32_e32 v24, 23, v23
	v_alignbit_b32 v21, v21, v18, v19
	v_alignbit_b32 v16, v18, v16, v19
	v_lshlrev_b32_e32 v18, 31, v22
	v_alignbit_b32 v19, v21, v16, 9
	v_or_b32_e32 v22, 0.5, v18
	v_lshrrev_b32_e32 v21, 9, v21
	v_or_b32_e32 v18, 0x33000000, v18
	v_ffbh_u32_e32 v25, v19
	v_sub_nc_u32_e32 v22, v22, v24
	v_min_u32_e32 v24, 32, v25
	v_or_b32_e32 v21, v21, v22
	v_not_b32_e32 v22, v24
	v_mul_f32_e32 v25, 0x3fc90fda, v21
	v_add_lshl_u32 v23, v24, v23, 23
	v_alignbit_b32 v16, v19, v16, v22
	v_fma_f32 v19, 0x3fc90fda, v21, -v25
	v_sub_nc_u32_e32 v18, v18, v23
	v_lshrrev_b32_e32 v16, 9, v16
	v_fmamk_f32 v19, v21, 0x33a22168, v19
	v_or_b32_e32 v16, v18, v16
	v_fmac_f32_e32 v19, 0x3fc90fda, v16
	v_add_f32_e32 v16, v25, v19
.LBB58_36:
	s_andn2_saveexec_b32 s5, s8
; %bb.37:
	v_mul_f32_e64 v16, 0x3f22f983, |v12|
	v_rndne_f32_e32 v17, v16
	v_fma_f32 v16, 0xbfc90fda, v17, |v12|
	v_fmamk_f32 v16, v17, 0xb3a22168, v16
	v_fmamk_f32 v16, v17, 0xa7c234c4, v16
	v_cvt_i32_f32_e32 v17, v17
; %bb.38:
	s_or_b32 exec_lo, exec_lo, s5
	v_mul_f32_e32 v18, v16, v16
	s_mov_b32 s5, 0xb94c1982
	s_mov_b32 s6, 0x37d75334
	v_and_b32_e32 v21, 1, v17
	v_lshlrev_b32_e32 v17, 30, v17
	v_fmaak_f32 v19, s5, v18, 0x3c0881c4
	v_fmaak_f32 v20, s6, v18, 0xbab64f3b
	v_xor_b32_e32 v15, v15, v12
	v_cmp_eq_u32_e32 vcc_lo, 0, v21
	v_and_b32_e32 v17, 0x80000000, v17
	v_fmaak_f32 v19, v18, v19, 0xbe2aaa9d
	v_fmaak_f32 v20, v18, v20, 0x3d2aabf7
	v_sub_f32_e32 v11, 1.0, v11
	v_mul_f32_e32 v19, v18, v19
	v_fmaak_f32 v20, v18, v20, 0xbf000004
	v_fmac_f32_e32 v16, v16, v19
	v_fma_f32 v18, v18, v20, 1.0
	v_cndmask_b32_e32 v16, v18, v16, vcc_lo
	v_cmp_class_f32_e64 vcc_lo, v12, 0x1f8
	v_xor3_b32 v15, v15, v17, v16
	v_cndmask_b32_e32 v12, 0x7fc00000, v15, vcc_lo
	v_mul_f32_e32 v12, v12, v12
	v_div_scale_f32 v15, null, v12, v12, 0xc11de9e7
	v_div_scale_f32 v18, vcc_lo, 0xc11de9e7, v12, 0xc11de9e7
	v_rcp_f32_e32 v16, v15
	v_fma_f32 v17, -v15, v16, 1.0
	v_fmac_f32_e32 v16, v17, v16
	v_mul_f32_e32 v17, v18, v16
	v_fma_f32 v19, -v15, v17, v18
	v_fmac_f32_e32 v17, v19, v16
	v_fma_f32 v15, -v15, v17, v18
	v_div_fmas_f32 v15, v15, v16, v17
	v_div_fixup_f32 v12, v15, v12, 0xc11de9e7
	v_add_f32_e32 v15, 0, v12
	v_mov_b32_e32 v12, -1.0
.LBB58_39:
	s_or_b32 exec_lo, exec_lo, s7
	v_add_f32_e32 v16, 1.0, v11
	v_mul_f32_e32 v11, v11, v11
	v_mul_f32_e32 v17, v16, v16
	v_add_f32_e32 v16, 1.0, v16
	v_div_scale_f32 v18, null, v11, v11, 1.0
	v_div_scale_f32 v20, vcc_lo, 1.0, v11, 1.0
	v_mul_f32_e32 v21, v16, v16
	v_div_scale_f32 v19, null, v17, v17, 1.0
	v_rcp_f32_e32 v22, v18
	v_div_scale_f32 v25, s5, 1.0, v17, 1.0
	v_div_scale_f32 v24, null, v21, v21, 1.0
	v_rcp_f32_e32 v23, v19
	v_add_f32_e32 v16, 1.0, v16
	v_div_scale_f32 v26, s6, 1.0, v21, 1.0
	v_rcp_f32_e32 v27, v24
	v_fma_f32 v29, -v18, v22, 1.0
	v_mul_f32_e32 v28, v16, v16
	v_add_f32_e32 v16, 1.0, v16
	v_fma_f32 v30, -v19, v23, 1.0
	v_fmac_f32_e32 v22, v29, v22
	v_mul_f32_e32 v32, v16, v16
	v_add_f32_e32 v16, 1.0, v16
	v_fma_f32 v29, -v24, v27, 1.0
	v_fmac_f32_e32 v23, v30, v23
	v_mul_f32_e32 v33, v20, v22
	v_div_scale_f32 v31, null, v28, v28, 1.0
	v_fmac_f32_e32 v27, v29, v27
	v_mul_f32_e32 v34, v25, v23
	v_fma_f32 v35, -v18, v33, v20
	v_add_f32_e32 v38, 1.0, v16
	v_rcp_f32_e32 v30, v31
	v_mul_f32_e32 v37, v26, v27
	v_fma_f32 v36, -v19, v34, v25
	v_fmac_f32_e32 v33, v35, v22
	v_mul_f32_e32 v16, v16, v16
	v_div_scale_f32 v29, null, v32, v32, 1.0
	v_fma_f32 v35, -v24, v37, v26
	v_fmac_f32_e32 v34, v36, v23
	v_fma_f32 v18, -v18, v33, v20
	v_mul_f32_e32 v20, v38, v38
	v_rcp_f32_e32 v36, v29
	v_fmac_f32_e32 v37, v35, v27
	v_fma_f32 v19, -v19, v34, v25
	v_div_fmas_f32 v18, v18, v22, v33
	s_mov_b32 vcc_lo, s5
	v_fma_f32 v39, -v31, v30, 1.0
	v_fma_f32 v22, -v24, v37, v26
	v_div_fmas_f32 v19, v19, v23, v34
	s_mov_b32 vcc_lo, s6
	v_div_scale_f32 v23, null, v16, v16, 1.0
	v_div_fmas_f32 v22, v22, v27, v37
	v_div_scale_f32 v24, null, v20, v20, 1.0
	v_add_f32_e32 v27, v38, v38
	v_rcp_f32_e32 v26, v23
	v_fmac_f32_e32 v30, v39, v30
	v_rcp_f32_e32 v34, v24
	v_div_scale_f32 v25, vcc_lo, 1.0, v28, 1.0
	v_div_scale_f32 v37, null, v27, v27, 1.0
	v_fma_f32 v33, -v29, v36, 1.0
	v_mul_f32_e32 v35, v25, v30
	v_div_fixup_f32 v11, v18, v11, 1.0
	v_rcp_f32_e32 v48, v37
	v_fma_f32 v39, -v23, v26, 1.0
	v_fmac_f32_e32 v36, v33, v36
	v_div_scale_f32 v33, s5, 1.0, v32, 1.0
	v_fma_f32 v50, -v24, v34, 1.0
	v_fma_f32 v49, -v31, v35, v25
	v_fmac_f32_e32 v26, v39, v26
	v_div_scale_f32 v39, s6, 1.0, v16, 1.0
	v_mul_f32_e32 v51, v33, v36
	v_fmac_f32_e32 v34, v50, v34
	v_div_scale_f32 v50, s7, 1.0, v20, 1.0
	v_fma_f32 v52, -v37, v48, 1.0
	v_fmac_f32_e32 v35, v49, v30
	v_mul_f32_e32 v53, v39, v26
	v_fma_f32 v49, -v29, v51, v33
	v_mul_f32_e32 v54, v50, v34
	v_fmac_f32_e32 v48, v52, v48
	v_div_scale_f32 v52, s8, 1.0, v27, 1.0
	v_fma_f32 v25, -v31, v35, v25
	v_fma_f32 v31, -v23, v53, v39
	v_fmac_f32_e32 v51, v49, v36
	v_fma_f32 v49, -v24, v54, v50
	v_mul_f32_e32 v55, v52, v48
	v_div_fmas_f32 v25, v25, v30, v35
	v_fmac_f32_e32 v53, v31, v26
	v_fma_f32 v29, -v29, v51, v33
	v_fmac_f32_e32 v54, v49, v34
	v_fma_f32 v30, -v37, v55, v52
	s_mov_b32 vcc_lo, s5
	v_fma_f32 v23, -v23, v53, v39
	v_div_fmas_f32 v29, v29, v36, v51
	v_fma_f32 v24, -v24, v54, v50
	v_fmac_f32_e32 v55, v30, v48
	s_mov_b32 vcc_lo, s6
	s_mov_b32 s5, 0xbcc30c31
	v_div_fmas_f32 v23, v23, v26, v53
	s_mov_b32 vcc_lo, s7
	v_fma_f32 v26, -v37, v55, v52
	v_div_fmas_f32 v24, v24, v34, v54
	s_mov_b32 vcc_lo, s8
	v_add_f32_e32 v11, v15, v11
	v_div_fixup_f32 v15, v19, v17, 1.0
	v_div_fmas_f32 v26, v26, v48, v55
	v_div_fixup_f32 v20, v24, v20, 1.0
	v_add_f32_e32 v11, v11, v15
	v_div_fixup_f32 v24, v26, v27, 1.0
	v_fmaak_f32 v26, s5, v20, 0x3d088889
	v_div_fixup_f32 v15, v22, v21, 1.0
	v_add_f32_e32 v24, 1.0, v24
	v_fma_f32 v26, -v20, v26, 0x3e2aaaab
	v_add_f32_e32 v11, v11, v15
	v_div_fixup_f32 v15, v25, v28, 1.0
	v_fmac_f32_e32 v24, v20, v26
	v_add_f32_e32 v11, v11, v15
	v_div_fixup_f32 v15, v29, v32, 1.0
	v_div_scale_f32 v20, null, v38, v38, v24
	v_div_scale_f32 v17, vcc_lo, v24, v38, v24
	v_add_f32_e32 v11, v11, v15
	v_rcp_f32_e32 v26, v20
	v_div_fixup_f32 v15, v23, v16, 1.0
	v_add_f32_e32 v11, v11, v15
	v_fma_f32 v18, -v20, v26, 1.0
	v_fmac_f32_e32 v26, v18, v26
	v_mul_f32_e32 v18, v17, v26
	v_fma_f32 v19, -v20, v18, v17
	v_fmac_f32_e32 v18, v19, v26
	v_fma_f32 v17, -v20, v18, v17
	v_div_fmas_f32 v16, v17, v26, v18
	v_div_fixup_f32 v15, v16, v38, v24
	v_add_f32_e32 v11, v11, v15
	v_fma_mixlo_f16 v11, v12, v11, 0
.LBB58_40:
	s_or_b32 exec_lo, exec_lo, s10
	v_add_nc_u32_e32 v12, 0x300, v7
	v_cmp_lt_i32_e32 vcc_lo, v12, v4
                                        ; implicit-def: $vgpr12
	s_and_saveexec_b32 s10, vcc_lo
	s_cbranch_execz .LBB58_48
; %bb.41:
	v_cvt_f32_f16_e32 v12, v14
	v_cmp_gt_f16_e32 vcc_lo, 0.5, v14
	v_mov_b32_e32 v15, 0
	v_mov_b32_e32 v14, 1.0
	s_and_saveexec_b32 s7, vcc_lo
	s_cbranch_execz .LBB58_47
; %bb.42:
	v_mul_f32_e32 v14, 0x40490fdb, v12
                                        ; implicit-def: $vgpr17
                                        ; implicit-def: $vgpr16
	s_mov_b32 s6, exec_lo
	v_and_b32_e32 v15, 0x7fffffff, v14
	v_cmpx_ngt_f32_e64 0x48000000, |v14|
	s_xor_b32 s8, exec_lo, s6
	s_cbranch_execz .LBB58_44
; %bb.43:
	s_mov_b32 s5, 0x7fffff
	v_mov_b32_e32 v18, 0
	v_and_or_b32 v25, v15, s5, 0x800000
	v_lshrrev_b32_e32 v23, 23, v15
	v_mad_u64_u32 v[16:17], null, 0xfe5163ab, v25, 0
	v_add_nc_u32_e32 v24, 0xffffff88, v23
	v_cmp_lt_u32_e32 vcc_lo, 63, v24
	v_mad_u64_u32 v[19:20], null, 0x3c439041, v25, v[17:18]
	v_cndmask_b32_e64 v26, 0, 0xffffffc0, vcc_lo
	v_mov_b32_e32 v17, v20
	v_add_nc_u32_e32 v26, v26, v24
	v_mad_u64_u32 v[20:21], null, 0xdb629599, v25, v[17:18]
	v_cmp_lt_u32_e64 s5, 31, v26
	v_cndmask_b32_e64 v27, 0, 0xffffffe0, s5
	v_mov_b32_e32 v17, v21
	v_cndmask_b32_e32 v16, v20, v16, vcc_lo
	v_mad_u64_u32 v[21:22], null, 0xf534ddc0, v25, v[17:18]
	v_mov_b32_e32 v17, v22
	v_cndmask_b32_e32 v19, v21, v19, vcc_lo
	v_mad_u64_u32 v[22:23], null, 0xfc2757d1, v25, v[17:18]
	v_cndmask_b32_e64 v16, v19, v16, s5
	v_mov_b32_e32 v17, v23
	v_mad_u64_u32 v[23:24], null, 0x4e441529, v25, v[17:18]
	v_mov_b32_e32 v17, v24
	v_add_nc_u32_e32 v24, v27, v26
	v_cndmask_b32_e32 v26, v23, v21, vcc_lo
	v_mad_u64_u32 v[17:18], null, 0xa2f9836e, v25, v[17:18]
	v_cmp_lt_u32_e64 s6, 31, v24
	v_cndmask_b32_e64 v25, 0, 0xffffffe0, s6
	v_cndmask_b32_e32 v17, v17, v22, vcc_lo
	v_cndmask_b32_e32 v18, v18, v23, vcc_lo
	;; [unrolled: 1-line block ×3, first 2 shown]
	v_add_nc_u32_e32 v23, v25, v24
	v_cndmask_b32_e64 v21, v17, v26, s5
	v_cndmask_b32_e64 v17, v18, v17, s5
	v_cndmask_b32_e64 v18, v26, v22, s5
	v_cndmask_b32_e64 v22, v22, v19, s5
	v_sub_nc_u32_e32 v24, 32, v23
	v_cmp_eq_u32_e32 vcc_lo, 0, v23
	v_cndmask_b32_e64 v17, v17, v21, s6
	v_cndmask_b32_e64 v21, v21, v18, s6
	;; [unrolled: 1-line block ×4, first 2 shown]
	v_alignbit_b32 v25, v17, v21, v24
	v_alignbit_b32 v20, v21, v18, v24
	v_alignbit_b32 v23, v18, v16, v24
	v_cndmask_b32_e32 v17, v25, v17, vcc_lo
	v_cndmask_b32_e32 v19, v20, v21, vcc_lo
	;; [unrolled: 1-line block ×3, first 2 shown]
	v_bfe_u32 v20, v17, 29, 1
	v_alignbit_b32 v21, v17, v19, 30
	v_alignbit_b32 v19, v19, v18, 30
	;; [unrolled: 1-line block ×3, first 2 shown]
	v_sub_nc_u32_e32 v22, 0, v20
	v_xor_b32_e32 v21, v21, v22
	v_xor_b32_e32 v18, v19, v22
	;; [unrolled: 1-line block ×3, first 2 shown]
	v_lshrrev_b32_e32 v22, 29, v17
	v_lshrrev_b32_e32 v17, 30, v17
	v_ffbh_u32_e32 v23, v21
	v_add_nc_u32_e32 v17, v20, v17
	v_min_u32_e32 v23, 32, v23
	v_sub_nc_u32_e32 v19, 31, v23
	v_lshlrev_b32_e32 v24, 23, v23
	v_alignbit_b32 v21, v21, v18, v19
	v_alignbit_b32 v16, v18, v16, v19
	v_lshlrev_b32_e32 v18, 31, v22
	v_alignbit_b32 v19, v21, v16, 9
	v_or_b32_e32 v22, 0.5, v18
	v_lshrrev_b32_e32 v21, 9, v21
	v_or_b32_e32 v18, 0x33000000, v18
	v_ffbh_u32_e32 v25, v19
	v_sub_nc_u32_e32 v22, v22, v24
	v_min_u32_e32 v24, 32, v25
	v_or_b32_e32 v21, v21, v22
	v_not_b32_e32 v22, v24
	v_mul_f32_e32 v25, 0x3fc90fda, v21
	v_add_lshl_u32 v23, v24, v23, 23
	v_alignbit_b32 v16, v19, v16, v22
	v_fma_f32 v19, 0x3fc90fda, v21, -v25
	v_sub_nc_u32_e32 v18, v18, v23
	v_lshrrev_b32_e32 v16, 9, v16
	v_fmamk_f32 v19, v21, 0x33a22168, v19
	v_or_b32_e32 v16, v18, v16
	v_fmac_f32_e32 v19, 0x3fc90fda, v16
	v_add_f32_e32 v16, v25, v19
.LBB58_44:
	s_andn2_saveexec_b32 s5, s8
; %bb.45:
	v_mul_f32_e64 v16, 0x3f22f983, |v14|
	v_rndne_f32_e32 v17, v16
	v_fma_f32 v16, 0xbfc90fda, v17, |v14|
	v_fmamk_f32 v16, v17, 0xb3a22168, v16
	v_fmamk_f32 v16, v17, 0xa7c234c4, v16
	v_cvt_i32_f32_e32 v17, v17
; %bb.46:
	s_or_b32 exec_lo, exec_lo, s5
	v_mul_f32_e32 v18, v16, v16
	s_mov_b32 s5, 0xb94c1982
	s_mov_b32 s6, 0x37d75334
	v_and_b32_e32 v21, 1, v17
	v_lshlrev_b32_e32 v17, 30, v17
	v_fmaak_f32 v19, s5, v18, 0x3c0881c4
	v_fmaak_f32 v20, s6, v18, 0xbab64f3b
	v_xor_b32_e32 v15, v15, v14
	v_cmp_eq_u32_e32 vcc_lo, 0, v21
	v_and_b32_e32 v17, 0x80000000, v17
	v_fmaak_f32 v19, v18, v19, 0xbe2aaa9d
	v_fmaak_f32 v20, v18, v20, 0x3d2aabf7
	v_sub_f32_e32 v12, 1.0, v12
	v_mul_f32_e32 v19, v18, v19
	v_fmaak_f32 v20, v18, v20, 0xbf000004
	v_fmac_f32_e32 v16, v16, v19
	v_fma_f32 v18, v18, v20, 1.0
	v_cndmask_b32_e32 v16, v18, v16, vcc_lo
	v_cmp_class_f32_e64 vcc_lo, v14, 0x1f8
	v_xor3_b32 v15, v15, v17, v16
	v_cndmask_b32_e32 v14, 0x7fc00000, v15, vcc_lo
	v_mul_f32_e32 v14, v14, v14
	v_div_scale_f32 v15, null, v14, v14, 0xc11de9e7
	v_div_scale_f32 v18, vcc_lo, 0xc11de9e7, v14, 0xc11de9e7
	v_rcp_f32_e32 v16, v15
	v_fma_f32 v17, -v15, v16, 1.0
	v_fmac_f32_e32 v16, v17, v16
	v_mul_f32_e32 v17, v18, v16
	v_fma_f32 v19, -v15, v17, v18
	v_fmac_f32_e32 v17, v19, v16
	v_fma_f32 v15, -v15, v17, v18
	v_div_fmas_f32 v15, v15, v16, v17
	v_div_fixup_f32 v14, v15, v14, 0xc11de9e7
	v_add_f32_e32 v15, 0, v14
	v_mov_b32_e32 v14, -1.0
.LBB58_47:
	s_or_b32 exec_lo, exec_lo, s7
	v_add_f32_e32 v16, 1.0, v12
	v_mul_f32_e32 v12, v12, v12
	v_mul_f32_e32 v17, v16, v16
	v_add_f32_e32 v16, 1.0, v16
	v_div_scale_f32 v18, null, v12, v12, 1.0
	v_div_scale_f32 v20, vcc_lo, 1.0, v12, 1.0
	v_mul_f32_e32 v21, v16, v16
	v_div_scale_f32 v19, null, v17, v17, 1.0
	v_rcp_f32_e32 v22, v18
	v_div_scale_f32 v25, s5, 1.0, v17, 1.0
	v_div_scale_f32 v24, null, v21, v21, 1.0
	v_rcp_f32_e32 v23, v19
	v_add_f32_e32 v16, 1.0, v16
	v_div_scale_f32 v26, s6, 1.0, v21, 1.0
	v_rcp_f32_e32 v27, v24
	v_fma_f32 v29, -v18, v22, 1.0
	v_mul_f32_e32 v28, v16, v16
	v_add_f32_e32 v16, 1.0, v16
	v_fma_f32 v30, -v19, v23, 1.0
	v_fmac_f32_e32 v22, v29, v22
	v_mul_f32_e32 v32, v16, v16
	v_add_f32_e32 v16, 1.0, v16
	v_fma_f32 v29, -v24, v27, 1.0
	v_fmac_f32_e32 v23, v30, v23
	v_mul_f32_e32 v33, v20, v22
	v_div_scale_f32 v31, null, v28, v28, 1.0
	v_fmac_f32_e32 v27, v29, v27
	v_mul_f32_e32 v34, v25, v23
	v_fma_f32 v35, -v18, v33, v20
	v_add_f32_e32 v38, 1.0, v16
	v_rcp_f32_e32 v30, v31
	v_mul_f32_e32 v37, v26, v27
	v_fma_f32 v36, -v19, v34, v25
	v_fmac_f32_e32 v33, v35, v22
	v_mul_f32_e32 v16, v16, v16
	v_div_scale_f32 v29, null, v32, v32, 1.0
	v_fma_f32 v35, -v24, v37, v26
	v_fmac_f32_e32 v34, v36, v23
	v_fma_f32 v18, -v18, v33, v20
	v_mul_f32_e32 v20, v38, v38
	v_rcp_f32_e32 v36, v29
	v_fmac_f32_e32 v37, v35, v27
	v_fma_f32 v19, -v19, v34, v25
	v_div_fmas_f32 v18, v18, v22, v33
	s_mov_b32 vcc_lo, s5
	v_fma_f32 v39, -v31, v30, 1.0
	v_fma_f32 v22, -v24, v37, v26
	v_div_fmas_f32 v19, v19, v23, v34
	s_mov_b32 vcc_lo, s6
	v_div_scale_f32 v23, null, v16, v16, 1.0
	v_div_fmas_f32 v22, v22, v27, v37
	v_div_scale_f32 v24, null, v20, v20, 1.0
	v_add_f32_e32 v27, v38, v38
	v_rcp_f32_e32 v26, v23
	v_fmac_f32_e32 v30, v39, v30
	v_rcp_f32_e32 v34, v24
	v_div_scale_f32 v25, vcc_lo, 1.0, v28, 1.0
	v_div_scale_f32 v37, null, v27, v27, 1.0
	v_fma_f32 v33, -v29, v36, 1.0
	v_mul_f32_e32 v35, v25, v30
	v_div_fixup_f32 v12, v18, v12, 1.0
	v_rcp_f32_e32 v48, v37
	v_fma_f32 v39, -v23, v26, 1.0
	v_fmac_f32_e32 v36, v33, v36
	v_div_scale_f32 v33, s5, 1.0, v32, 1.0
	v_fma_f32 v50, -v24, v34, 1.0
	v_fma_f32 v49, -v31, v35, v25
	v_fmac_f32_e32 v26, v39, v26
	v_div_scale_f32 v39, s6, 1.0, v16, 1.0
	v_mul_f32_e32 v51, v33, v36
	v_fmac_f32_e32 v34, v50, v34
	v_div_scale_f32 v50, s7, 1.0, v20, 1.0
	v_fma_f32 v52, -v37, v48, 1.0
	v_fmac_f32_e32 v35, v49, v30
	v_mul_f32_e32 v53, v39, v26
	v_fma_f32 v49, -v29, v51, v33
	v_mul_f32_e32 v54, v50, v34
	v_fmac_f32_e32 v48, v52, v48
	v_div_scale_f32 v52, s8, 1.0, v27, 1.0
	v_fma_f32 v25, -v31, v35, v25
	v_fma_f32 v31, -v23, v53, v39
	v_fmac_f32_e32 v51, v49, v36
	v_fma_f32 v49, -v24, v54, v50
	v_mul_f32_e32 v55, v52, v48
	v_div_fmas_f32 v25, v25, v30, v35
	v_fmac_f32_e32 v53, v31, v26
	v_fma_f32 v29, -v29, v51, v33
	v_fmac_f32_e32 v54, v49, v34
	v_fma_f32 v30, -v37, v55, v52
	s_mov_b32 vcc_lo, s5
	v_fma_f32 v23, -v23, v53, v39
	v_div_fmas_f32 v29, v29, v36, v51
	v_fma_f32 v24, -v24, v54, v50
	v_fmac_f32_e32 v55, v30, v48
	s_mov_b32 vcc_lo, s6
	s_mov_b32 s5, 0xbcc30c31
	v_div_fmas_f32 v23, v23, v26, v53
	s_mov_b32 vcc_lo, s7
	v_fma_f32 v26, -v37, v55, v52
	v_div_fmas_f32 v24, v24, v34, v54
	s_mov_b32 vcc_lo, s8
	v_add_f32_e32 v12, v15, v12
	v_div_fixup_f32 v15, v19, v17, 1.0
	v_div_fmas_f32 v26, v26, v48, v55
	v_div_fixup_f32 v20, v24, v20, 1.0
	v_add_f32_e32 v12, v12, v15
	v_div_fixup_f32 v24, v26, v27, 1.0
	v_fmaak_f32 v26, s5, v20, 0x3d088889
	v_div_fixup_f32 v15, v22, v21, 1.0
	v_add_f32_e32 v24, 1.0, v24
	v_fma_f32 v26, -v20, v26, 0x3e2aaaab
	v_add_f32_e32 v12, v12, v15
	v_div_fixup_f32 v15, v25, v28, 1.0
	v_fmac_f32_e32 v24, v20, v26
	v_add_f32_e32 v12, v12, v15
	v_div_fixup_f32 v15, v29, v32, 1.0
	v_div_scale_f32 v20, null, v38, v38, v24
	v_div_scale_f32 v17, vcc_lo, v24, v38, v24
	v_add_f32_e32 v12, v12, v15
	v_rcp_f32_e32 v26, v20
	v_div_fixup_f32 v15, v23, v16, 1.0
	v_add_f32_e32 v12, v12, v15
	v_fma_f32 v18, -v20, v26, 1.0
	v_fmac_f32_e32 v26, v18, v26
	v_mul_f32_e32 v18, v17, v26
	v_fma_f32 v19, -v20, v18, v17
	v_fmac_f32_e32 v18, v19, v26
	v_fma_f32 v17, -v20, v18, v17
	v_div_fmas_f32 v16, v17, v26, v18
	v_div_fixup_f32 v15, v16, v38, v24
	v_add_f32_e32 v12, v12, v15
	v_fma_mixlo_f16 v12, v14, v12, 0
.LBB58_48:
	s_or_b32 exec_lo, exec_lo, s10
	v_or_b32_e32 v14, 0x400, v7
	v_cmp_lt_i32_e32 vcc_lo, v14, v4
                                        ; implicit-def: $vgpr14
	s_and_saveexec_b32 s10, vcc_lo
	s_cbranch_execz .LBB58_56
; %bb.49:
	v_cvt_f32_f16_e32 v14, v13
	v_cmp_gt_f16_e32 vcc_lo, 0.5, v13
	v_mov_b32_e32 v15, 0
	v_mov_b32_e32 v13, 1.0
	s_and_saveexec_b32 s7, vcc_lo
	s_cbranch_execz .LBB58_55
; %bb.50:
	v_mul_f32_e32 v13, 0x40490fdb, v14
                                        ; implicit-def: $vgpr17
                                        ; implicit-def: $vgpr16
	s_mov_b32 s6, exec_lo
	v_and_b32_e32 v15, 0x7fffffff, v13
	v_cmpx_ngt_f32_e64 0x48000000, |v13|
	s_xor_b32 s8, exec_lo, s6
	s_cbranch_execz .LBB58_52
; %bb.51:
	s_mov_b32 s5, 0x7fffff
	v_mov_b32_e32 v18, 0
	v_and_or_b32 v25, v15, s5, 0x800000
	v_lshrrev_b32_e32 v23, 23, v15
	v_mad_u64_u32 v[16:17], null, 0xfe5163ab, v25, 0
	v_add_nc_u32_e32 v24, 0xffffff88, v23
	v_cmp_lt_u32_e32 vcc_lo, 63, v24
	v_mad_u64_u32 v[19:20], null, 0x3c439041, v25, v[17:18]
	v_cndmask_b32_e64 v26, 0, 0xffffffc0, vcc_lo
	v_mov_b32_e32 v17, v20
	v_add_nc_u32_e32 v26, v26, v24
	v_mad_u64_u32 v[20:21], null, 0xdb629599, v25, v[17:18]
	v_cmp_lt_u32_e64 s5, 31, v26
	v_cndmask_b32_e64 v27, 0, 0xffffffe0, s5
	v_mov_b32_e32 v17, v21
	v_cndmask_b32_e32 v16, v20, v16, vcc_lo
	v_mad_u64_u32 v[21:22], null, 0xf534ddc0, v25, v[17:18]
	v_mov_b32_e32 v17, v22
	v_cndmask_b32_e32 v19, v21, v19, vcc_lo
	v_mad_u64_u32 v[22:23], null, 0xfc2757d1, v25, v[17:18]
	v_cndmask_b32_e64 v16, v19, v16, s5
	v_mov_b32_e32 v17, v23
	v_mad_u64_u32 v[23:24], null, 0x4e441529, v25, v[17:18]
	v_mov_b32_e32 v17, v24
	v_add_nc_u32_e32 v24, v27, v26
	v_cndmask_b32_e32 v26, v23, v21, vcc_lo
	v_mad_u64_u32 v[17:18], null, 0xa2f9836e, v25, v[17:18]
	v_cmp_lt_u32_e64 s6, 31, v24
	v_cndmask_b32_e64 v25, 0, 0xffffffe0, s6
	v_cndmask_b32_e32 v17, v17, v22, vcc_lo
	v_cndmask_b32_e32 v18, v18, v23, vcc_lo
	;; [unrolled: 1-line block ×3, first 2 shown]
	v_add_nc_u32_e32 v23, v25, v24
	v_cndmask_b32_e64 v21, v17, v26, s5
	v_cndmask_b32_e64 v17, v18, v17, s5
	;; [unrolled: 1-line block ×4, first 2 shown]
	v_sub_nc_u32_e32 v24, 32, v23
	v_cmp_eq_u32_e32 vcc_lo, 0, v23
	v_cndmask_b32_e64 v17, v17, v21, s6
	v_cndmask_b32_e64 v21, v21, v18, s6
	;; [unrolled: 1-line block ×4, first 2 shown]
	v_alignbit_b32 v25, v17, v21, v24
	v_alignbit_b32 v20, v21, v18, v24
	;; [unrolled: 1-line block ×3, first 2 shown]
	v_cndmask_b32_e32 v17, v25, v17, vcc_lo
	v_cndmask_b32_e32 v19, v20, v21, vcc_lo
	;; [unrolled: 1-line block ×3, first 2 shown]
	v_bfe_u32 v20, v17, 29, 1
	v_alignbit_b32 v21, v17, v19, 30
	v_alignbit_b32 v19, v19, v18, 30
	;; [unrolled: 1-line block ×3, first 2 shown]
	v_sub_nc_u32_e32 v22, 0, v20
	v_xor_b32_e32 v21, v21, v22
	v_xor_b32_e32 v18, v19, v22
	;; [unrolled: 1-line block ×3, first 2 shown]
	v_lshrrev_b32_e32 v22, 29, v17
	v_lshrrev_b32_e32 v17, 30, v17
	v_ffbh_u32_e32 v23, v21
	v_add_nc_u32_e32 v17, v20, v17
	v_min_u32_e32 v23, 32, v23
	v_sub_nc_u32_e32 v19, 31, v23
	v_lshlrev_b32_e32 v24, 23, v23
	v_alignbit_b32 v21, v21, v18, v19
	v_alignbit_b32 v16, v18, v16, v19
	v_lshlrev_b32_e32 v18, 31, v22
	v_alignbit_b32 v19, v21, v16, 9
	v_or_b32_e32 v22, 0.5, v18
	v_lshrrev_b32_e32 v21, 9, v21
	v_or_b32_e32 v18, 0x33000000, v18
	v_ffbh_u32_e32 v25, v19
	v_sub_nc_u32_e32 v22, v22, v24
	v_min_u32_e32 v24, 32, v25
	v_or_b32_e32 v21, v21, v22
	v_not_b32_e32 v22, v24
	v_mul_f32_e32 v25, 0x3fc90fda, v21
	v_add_lshl_u32 v23, v24, v23, 23
	v_alignbit_b32 v16, v19, v16, v22
	v_fma_f32 v19, 0x3fc90fda, v21, -v25
	v_sub_nc_u32_e32 v18, v18, v23
	v_lshrrev_b32_e32 v16, 9, v16
	v_fmamk_f32 v19, v21, 0x33a22168, v19
	v_or_b32_e32 v16, v18, v16
	v_fmac_f32_e32 v19, 0x3fc90fda, v16
	v_add_f32_e32 v16, v25, v19
.LBB58_52:
	s_andn2_saveexec_b32 s5, s8
; %bb.53:
	v_mul_f32_e64 v16, 0x3f22f983, |v13|
	v_rndne_f32_e32 v17, v16
	v_fma_f32 v16, 0xbfc90fda, v17, |v13|
	v_fmamk_f32 v16, v17, 0xb3a22168, v16
	v_fmamk_f32 v16, v17, 0xa7c234c4, v16
	v_cvt_i32_f32_e32 v17, v17
; %bb.54:
	s_or_b32 exec_lo, exec_lo, s5
	v_mul_f32_e32 v18, v16, v16
	s_mov_b32 s5, 0xb94c1982
	s_mov_b32 s6, 0x37d75334
	v_and_b32_e32 v21, 1, v17
	v_lshlrev_b32_e32 v17, 30, v17
	v_fmaak_f32 v19, s5, v18, 0x3c0881c4
	v_fmaak_f32 v20, s6, v18, 0xbab64f3b
	v_xor_b32_e32 v15, v15, v13
	v_cmp_eq_u32_e32 vcc_lo, 0, v21
	v_and_b32_e32 v17, 0x80000000, v17
	v_fmaak_f32 v19, v18, v19, 0xbe2aaa9d
	v_fmaak_f32 v20, v18, v20, 0x3d2aabf7
	v_sub_f32_e32 v14, 1.0, v14
	v_mul_f32_e32 v19, v18, v19
	v_fmaak_f32 v20, v18, v20, 0xbf000004
	v_fmac_f32_e32 v16, v16, v19
	v_fma_f32 v18, v18, v20, 1.0
	v_cndmask_b32_e32 v16, v18, v16, vcc_lo
	v_cmp_class_f32_e64 vcc_lo, v13, 0x1f8
	v_xor3_b32 v15, v15, v17, v16
	v_cndmask_b32_e32 v13, 0x7fc00000, v15, vcc_lo
	v_mul_f32_e32 v13, v13, v13
	v_div_scale_f32 v15, null, v13, v13, 0xc11de9e7
	v_div_scale_f32 v18, vcc_lo, 0xc11de9e7, v13, 0xc11de9e7
	v_rcp_f32_e32 v16, v15
	v_fma_f32 v17, -v15, v16, 1.0
	v_fmac_f32_e32 v16, v17, v16
	v_mul_f32_e32 v17, v18, v16
	v_fma_f32 v19, -v15, v17, v18
	v_fmac_f32_e32 v17, v19, v16
	v_fma_f32 v15, -v15, v17, v18
	v_div_fmas_f32 v15, v15, v16, v17
	v_div_fixup_f32 v13, v15, v13, 0xc11de9e7
	v_add_f32_e32 v15, 0, v13
	v_mov_b32_e32 v13, -1.0
.LBB58_55:
	s_or_b32 exec_lo, exec_lo, s7
	v_add_f32_e32 v16, 1.0, v14
	v_mul_f32_e32 v14, v14, v14
	v_mul_f32_e32 v17, v16, v16
	v_add_f32_e32 v16, 1.0, v16
	v_div_scale_f32 v18, null, v14, v14, 1.0
	v_div_scale_f32 v20, vcc_lo, 1.0, v14, 1.0
	v_mul_f32_e32 v21, v16, v16
	v_div_scale_f32 v19, null, v17, v17, 1.0
	v_rcp_f32_e32 v22, v18
	v_div_scale_f32 v25, s5, 1.0, v17, 1.0
	v_div_scale_f32 v24, null, v21, v21, 1.0
	v_rcp_f32_e32 v23, v19
	v_add_f32_e32 v16, 1.0, v16
	v_div_scale_f32 v26, s6, 1.0, v21, 1.0
	v_rcp_f32_e32 v27, v24
	v_fma_f32 v29, -v18, v22, 1.0
	v_mul_f32_e32 v28, v16, v16
	v_add_f32_e32 v16, 1.0, v16
	v_fma_f32 v30, -v19, v23, 1.0
	v_fmac_f32_e32 v22, v29, v22
	v_mul_f32_e32 v32, v16, v16
	v_add_f32_e32 v16, 1.0, v16
	v_fma_f32 v29, -v24, v27, 1.0
	v_fmac_f32_e32 v23, v30, v23
	v_mul_f32_e32 v33, v20, v22
	v_div_scale_f32 v31, null, v28, v28, 1.0
	v_fmac_f32_e32 v27, v29, v27
	v_mul_f32_e32 v34, v25, v23
	v_fma_f32 v35, -v18, v33, v20
	v_add_f32_e32 v38, 1.0, v16
	v_rcp_f32_e32 v30, v31
	v_mul_f32_e32 v37, v26, v27
	v_fma_f32 v36, -v19, v34, v25
	v_fmac_f32_e32 v33, v35, v22
	v_mul_f32_e32 v16, v16, v16
	v_div_scale_f32 v29, null, v32, v32, 1.0
	v_fma_f32 v35, -v24, v37, v26
	v_fmac_f32_e32 v34, v36, v23
	v_fma_f32 v18, -v18, v33, v20
	v_mul_f32_e32 v20, v38, v38
	v_rcp_f32_e32 v36, v29
	v_fmac_f32_e32 v37, v35, v27
	v_fma_f32 v19, -v19, v34, v25
	v_div_fmas_f32 v18, v18, v22, v33
	s_mov_b32 vcc_lo, s5
	v_fma_f32 v39, -v31, v30, 1.0
	v_fma_f32 v22, -v24, v37, v26
	v_div_fmas_f32 v19, v19, v23, v34
	s_mov_b32 vcc_lo, s6
	v_div_scale_f32 v23, null, v16, v16, 1.0
	v_div_fmas_f32 v22, v22, v27, v37
	v_div_scale_f32 v24, null, v20, v20, 1.0
	v_add_f32_e32 v27, v38, v38
	v_rcp_f32_e32 v26, v23
	v_fmac_f32_e32 v30, v39, v30
	v_rcp_f32_e32 v34, v24
	v_div_scale_f32 v25, vcc_lo, 1.0, v28, 1.0
	v_div_scale_f32 v37, null, v27, v27, 1.0
	v_fma_f32 v33, -v29, v36, 1.0
	v_mul_f32_e32 v35, v25, v30
	v_div_fixup_f32 v14, v18, v14, 1.0
	v_rcp_f32_e32 v48, v37
	v_fma_f32 v39, -v23, v26, 1.0
	v_fmac_f32_e32 v36, v33, v36
	v_div_scale_f32 v33, s5, 1.0, v32, 1.0
	v_fma_f32 v50, -v24, v34, 1.0
	v_fma_f32 v49, -v31, v35, v25
	v_fmac_f32_e32 v26, v39, v26
	v_div_scale_f32 v39, s6, 1.0, v16, 1.0
	v_mul_f32_e32 v51, v33, v36
	v_fmac_f32_e32 v34, v50, v34
	v_div_scale_f32 v50, s7, 1.0, v20, 1.0
	v_fma_f32 v52, -v37, v48, 1.0
	v_fmac_f32_e32 v35, v49, v30
	v_mul_f32_e32 v53, v39, v26
	v_fma_f32 v49, -v29, v51, v33
	v_mul_f32_e32 v54, v50, v34
	v_fmac_f32_e32 v48, v52, v48
	v_div_scale_f32 v52, s8, 1.0, v27, 1.0
	v_fma_f32 v25, -v31, v35, v25
	v_fma_f32 v31, -v23, v53, v39
	v_fmac_f32_e32 v51, v49, v36
	v_fma_f32 v49, -v24, v54, v50
	v_mul_f32_e32 v55, v52, v48
	v_div_fmas_f32 v25, v25, v30, v35
	v_fmac_f32_e32 v53, v31, v26
	v_fma_f32 v29, -v29, v51, v33
	v_fmac_f32_e32 v54, v49, v34
	v_fma_f32 v30, -v37, v55, v52
	s_mov_b32 vcc_lo, s5
	v_fma_f32 v23, -v23, v53, v39
	v_div_fmas_f32 v29, v29, v36, v51
	v_fma_f32 v24, -v24, v54, v50
	v_fmac_f32_e32 v55, v30, v48
	s_mov_b32 vcc_lo, s6
	s_mov_b32 s5, 0xbcc30c31
	v_div_fmas_f32 v23, v23, v26, v53
	s_mov_b32 vcc_lo, s7
	v_fma_f32 v26, -v37, v55, v52
	v_div_fmas_f32 v24, v24, v34, v54
	s_mov_b32 vcc_lo, s8
	v_add_f32_e32 v14, v15, v14
	v_div_fixup_f32 v15, v19, v17, 1.0
	v_div_fmas_f32 v26, v26, v48, v55
	v_div_fixup_f32 v20, v24, v20, 1.0
	v_add_f32_e32 v14, v14, v15
	v_div_fixup_f32 v24, v26, v27, 1.0
	v_fmaak_f32 v26, s5, v20, 0x3d088889
	v_div_fixup_f32 v15, v22, v21, 1.0
	v_add_f32_e32 v24, 1.0, v24
	v_fma_f32 v26, -v20, v26, 0x3e2aaaab
	v_add_f32_e32 v14, v14, v15
	v_div_fixup_f32 v15, v25, v28, 1.0
	v_fmac_f32_e32 v24, v20, v26
	v_add_f32_e32 v14, v14, v15
	v_div_fixup_f32 v15, v29, v32, 1.0
	v_div_scale_f32 v20, null, v38, v38, v24
	v_div_scale_f32 v17, vcc_lo, v24, v38, v24
	v_add_f32_e32 v14, v14, v15
	v_rcp_f32_e32 v26, v20
	v_div_fixup_f32 v15, v23, v16, 1.0
	v_add_f32_e32 v14, v14, v15
	v_fma_f32 v18, -v20, v26, 1.0
	v_fmac_f32_e32 v26, v18, v26
	v_mul_f32_e32 v18, v17, v26
	v_fma_f32 v19, -v20, v18, v17
	v_fmac_f32_e32 v18, v19, v26
	v_fma_f32 v17, -v20, v18, v17
	v_div_fmas_f32 v16, v17, v26, v18
	v_div_fixup_f32 v15, v16, v38, v24
	v_add_f32_e32 v14, v14, v15
	v_fma_mixlo_f16 v14, v13, v14, 0
.LBB58_56:
	s_or_b32 exec_lo, exec_lo, s10
	v_add_nc_u32_e32 v13, 0x500, v7
	v_cmp_lt_i32_e32 vcc_lo, v13, v4
                                        ; implicit-def: $vgpr13
	s_and_saveexec_b32 s10, vcc_lo
	s_cbranch_execz .LBB58_64
; %bb.57:
	v_cvt_f32_f16_e32 v13, v10
	v_cmp_gt_f16_e32 vcc_lo, 0.5, v10
	v_mov_b32_e32 v15, 0
	v_mov_b32_e32 v10, 1.0
	s_and_saveexec_b32 s7, vcc_lo
	s_cbranch_execz .LBB58_63
; %bb.58:
	v_mul_f32_e32 v10, 0x40490fdb, v13
                                        ; implicit-def: $vgpr17
                                        ; implicit-def: $vgpr16
	s_mov_b32 s6, exec_lo
	v_and_b32_e32 v15, 0x7fffffff, v10
	v_cmpx_ngt_f32_e64 0x48000000, |v10|
	s_xor_b32 s8, exec_lo, s6
	s_cbranch_execz .LBB58_60
; %bb.59:
	s_mov_b32 s5, 0x7fffff
	v_mov_b32_e32 v18, 0
	v_and_or_b32 v25, v15, s5, 0x800000
	v_lshrrev_b32_e32 v23, 23, v15
	v_mad_u64_u32 v[16:17], null, 0xfe5163ab, v25, 0
	v_add_nc_u32_e32 v24, 0xffffff88, v23
	v_cmp_lt_u32_e32 vcc_lo, 63, v24
	v_mad_u64_u32 v[19:20], null, 0x3c439041, v25, v[17:18]
	v_cndmask_b32_e64 v26, 0, 0xffffffc0, vcc_lo
	v_mov_b32_e32 v17, v20
	v_add_nc_u32_e32 v26, v26, v24
	v_mad_u64_u32 v[20:21], null, 0xdb629599, v25, v[17:18]
	v_cmp_lt_u32_e64 s5, 31, v26
	v_cndmask_b32_e64 v27, 0, 0xffffffe0, s5
	v_mov_b32_e32 v17, v21
	v_cndmask_b32_e32 v16, v20, v16, vcc_lo
	v_mad_u64_u32 v[21:22], null, 0xf534ddc0, v25, v[17:18]
	v_mov_b32_e32 v17, v22
	v_cndmask_b32_e32 v19, v21, v19, vcc_lo
	v_mad_u64_u32 v[22:23], null, 0xfc2757d1, v25, v[17:18]
	v_cndmask_b32_e64 v16, v19, v16, s5
	v_mov_b32_e32 v17, v23
	v_mad_u64_u32 v[23:24], null, 0x4e441529, v25, v[17:18]
	v_mov_b32_e32 v17, v24
	v_add_nc_u32_e32 v24, v27, v26
	v_cndmask_b32_e32 v26, v23, v21, vcc_lo
	v_mad_u64_u32 v[17:18], null, 0xa2f9836e, v25, v[17:18]
	v_cmp_lt_u32_e64 s6, 31, v24
	v_cndmask_b32_e64 v25, 0, 0xffffffe0, s6
	v_cndmask_b32_e32 v17, v17, v22, vcc_lo
	v_cndmask_b32_e32 v18, v18, v23, vcc_lo
	;; [unrolled: 1-line block ×3, first 2 shown]
	v_add_nc_u32_e32 v23, v25, v24
	v_cndmask_b32_e64 v21, v17, v26, s5
	v_cndmask_b32_e64 v17, v18, v17, s5
	;; [unrolled: 1-line block ×4, first 2 shown]
	v_sub_nc_u32_e32 v24, 32, v23
	v_cmp_eq_u32_e32 vcc_lo, 0, v23
	v_cndmask_b32_e64 v17, v17, v21, s6
	v_cndmask_b32_e64 v21, v21, v18, s6
	;; [unrolled: 1-line block ×4, first 2 shown]
	v_alignbit_b32 v25, v17, v21, v24
	v_alignbit_b32 v20, v21, v18, v24
	;; [unrolled: 1-line block ×3, first 2 shown]
	v_cndmask_b32_e32 v17, v25, v17, vcc_lo
	v_cndmask_b32_e32 v19, v20, v21, vcc_lo
	;; [unrolled: 1-line block ×3, first 2 shown]
	v_bfe_u32 v20, v17, 29, 1
	v_alignbit_b32 v21, v17, v19, 30
	v_alignbit_b32 v19, v19, v18, 30
	;; [unrolled: 1-line block ×3, first 2 shown]
	v_sub_nc_u32_e32 v22, 0, v20
	v_xor_b32_e32 v21, v21, v22
	v_xor_b32_e32 v18, v19, v22
	;; [unrolled: 1-line block ×3, first 2 shown]
	v_lshrrev_b32_e32 v22, 29, v17
	v_lshrrev_b32_e32 v17, 30, v17
	v_ffbh_u32_e32 v23, v21
	v_add_nc_u32_e32 v17, v20, v17
	v_min_u32_e32 v23, 32, v23
	v_sub_nc_u32_e32 v19, 31, v23
	v_lshlrev_b32_e32 v24, 23, v23
	v_alignbit_b32 v21, v21, v18, v19
	v_alignbit_b32 v16, v18, v16, v19
	v_lshlrev_b32_e32 v18, 31, v22
	v_alignbit_b32 v19, v21, v16, 9
	v_or_b32_e32 v22, 0.5, v18
	v_lshrrev_b32_e32 v21, 9, v21
	v_or_b32_e32 v18, 0x33000000, v18
	v_ffbh_u32_e32 v25, v19
	v_sub_nc_u32_e32 v22, v22, v24
	v_min_u32_e32 v24, 32, v25
	v_or_b32_e32 v21, v21, v22
	v_not_b32_e32 v22, v24
	v_mul_f32_e32 v25, 0x3fc90fda, v21
	v_add_lshl_u32 v23, v24, v23, 23
	v_alignbit_b32 v16, v19, v16, v22
	v_fma_f32 v19, 0x3fc90fda, v21, -v25
	v_sub_nc_u32_e32 v18, v18, v23
	v_lshrrev_b32_e32 v16, 9, v16
	v_fmamk_f32 v19, v21, 0x33a22168, v19
	v_or_b32_e32 v16, v18, v16
	v_fmac_f32_e32 v19, 0x3fc90fda, v16
	v_add_f32_e32 v16, v25, v19
.LBB58_60:
	s_andn2_saveexec_b32 s5, s8
; %bb.61:
	v_mul_f32_e64 v16, 0x3f22f983, |v10|
	v_rndne_f32_e32 v17, v16
	v_fma_f32 v16, 0xbfc90fda, v17, |v10|
	v_fmamk_f32 v16, v17, 0xb3a22168, v16
	v_fmamk_f32 v16, v17, 0xa7c234c4, v16
	v_cvt_i32_f32_e32 v17, v17
; %bb.62:
	s_or_b32 exec_lo, exec_lo, s5
	v_mul_f32_e32 v18, v16, v16
	s_mov_b32 s5, 0xb94c1982
	s_mov_b32 s6, 0x37d75334
	v_and_b32_e32 v21, 1, v17
	v_lshlrev_b32_e32 v17, 30, v17
	v_fmaak_f32 v19, s5, v18, 0x3c0881c4
	v_fmaak_f32 v20, s6, v18, 0xbab64f3b
	v_xor_b32_e32 v15, v15, v10
	v_cmp_eq_u32_e32 vcc_lo, 0, v21
	v_and_b32_e32 v17, 0x80000000, v17
	v_fmaak_f32 v19, v18, v19, 0xbe2aaa9d
	v_fmaak_f32 v20, v18, v20, 0x3d2aabf7
	v_sub_f32_e32 v13, 1.0, v13
	v_mul_f32_e32 v19, v18, v19
	v_fmaak_f32 v20, v18, v20, 0xbf000004
	v_fmac_f32_e32 v16, v16, v19
	v_fma_f32 v18, v18, v20, 1.0
	v_cndmask_b32_e32 v16, v18, v16, vcc_lo
	v_cmp_class_f32_e64 vcc_lo, v10, 0x1f8
	v_xor3_b32 v15, v15, v17, v16
	v_cndmask_b32_e32 v10, 0x7fc00000, v15, vcc_lo
	v_mul_f32_e32 v10, v10, v10
	v_div_scale_f32 v15, null, v10, v10, 0xc11de9e7
	v_div_scale_f32 v18, vcc_lo, 0xc11de9e7, v10, 0xc11de9e7
	v_rcp_f32_e32 v16, v15
	v_fma_f32 v17, -v15, v16, 1.0
	v_fmac_f32_e32 v16, v17, v16
	v_mul_f32_e32 v17, v18, v16
	v_fma_f32 v19, -v15, v17, v18
	v_fmac_f32_e32 v17, v19, v16
	v_fma_f32 v15, -v15, v17, v18
	v_div_fmas_f32 v15, v15, v16, v17
	v_div_fixup_f32 v10, v15, v10, 0xc11de9e7
	v_add_f32_e32 v15, 0, v10
	v_mov_b32_e32 v10, -1.0
.LBB58_63:
	s_or_b32 exec_lo, exec_lo, s7
	v_add_f32_e32 v16, 1.0, v13
	v_mul_f32_e32 v13, v13, v13
	v_mul_f32_e32 v17, v16, v16
	v_add_f32_e32 v16, 1.0, v16
	v_div_scale_f32 v18, null, v13, v13, 1.0
	v_div_scale_f32 v20, vcc_lo, 1.0, v13, 1.0
	v_mul_f32_e32 v21, v16, v16
	v_div_scale_f32 v19, null, v17, v17, 1.0
	v_rcp_f32_e32 v22, v18
	v_div_scale_f32 v25, s5, 1.0, v17, 1.0
	v_div_scale_f32 v24, null, v21, v21, 1.0
	v_rcp_f32_e32 v23, v19
	v_add_f32_e32 v16, 1.0, v16
	v_div_scale_f32 v26, s6, 1.0, v21, 1.0
	v_rcp_f32_e32 v27, v24
	v_fma_f32 v29, -v18, v22, 1.0
	v_mul_f32_e32 v28, v16, v16
	v_add_f32_e32 v16, 1.0, v16
	v_fma_f32 v30, -v19, v23, 1.0
	v_fmac_f32_e32 v22, v29, v22
	v_mul_f32_e32 v32, v16, v16
	v_add_f32_e32 v16, 1.0, v16
	v_fma_f32 v29, -v24, v27, 1.0
	v_fmac_f32_e32 v23, v30, v23
	v_mul_f32_e32 v33, v20, v22
	v_div_scale_f32 v31, null, v28, v28, 1.0
	v_fmac_f32_e32 v27, v29, v27
	v_mul_f32_e32 v34, v25, v23
	v_fma_f32 v35, -v18, v33, v20
	v_add_f32_e32 v38, 1.0, v16
	v_rcp_f32_e32 v30, v31
	v_mul_f32_e32 v37, v26, v27
	v_fma_f32 v36, -v19, v34, v25
	v_fmac_f32_e32 v33, v35, v22
	v_mul_f32_e32 v16, v16, v16
	v_div_scale_f32 v29, null, v32, v32, 1.0
	v_fma_f32 v35, -v24, v37, v26
	v_fmac_f32_e32 v34, v36, v23
	v_fma_f32 v18, -v18, v33, v20
	v_mul_f32_e32 v20, v38, v38
	v_rcp_f32_e32 v36, v29
	v_fmac_f32_e32 v37, v35, v27
	v_fma_f32 v19, -v19, v34, v25
	v_div_fmas_f32 v18, v18, v22, v33
	s_mov_b32 vcc_lo, s5
	v_fma_f32 v39, -v31, v30, 1.0
	v_fma_f32 v22, -v24, v37, v26
	v_div_fmas_f32 v19, v19, v23, v34
	s_mov_b32 vcc_lo, s6
	v_div_scale_f32 v23, null, v16, v16, 1.0
	v_div_fmas_f32 v22, v22, v27, v37
	v_div_scale_f32 v24, null, v20, v20, 1.0
	v_add_f32_e32 v27, v38, v38
	v_rcp_f32_e32 v26, v23
	v_fmac_f32_e32 v30, v39, v30
	v_rcp_f32_e32 v34, v24
	v_div_scale_f32 v25, vcc_lo, 1.0, v28, 1.0
	v_div_scale_f32 v37, null, v27, v27, 1.0
	v_fma_f32 v33, -v29, v36, 1.0
	v_mul_f32_e32 v35, v25, v30
	v_div_fixup_f32 v13, v18, v13, 1.0
	v_rcp_f32_e32 v48, v37
	v_fma_f32 v39, -v23, v26, 1.0
	v_fmac_f32_e32 v36, v33, v36
	v_div_scale_f32 v33, s5, 1.0, v32, 1.0
	v_fma_f32 v50, -v24, v34, 1.0
	v_fma_f32 v49, -v31, v35, v25
	v_fmac_f32_e32 v26, v39, v26
	v_div_scale_f32 v39, s6, 1.0, v16, 1.0
	v_mul_f32_e32 v51, v33, v36
	v_fmac_f32_e32 v34, v50, v34
	v_div_scale_f32 v50, s7, 1.0, v20, 1.0
	v_fma_f32 v52, -v37, v48, 1.0
	v_fmac_f32_e32 v35, v49, v30
	v_mul_f32_e32 v53, v39, v26
	v_fma_f32 v49, -v29, v51, v33
	v_mul_f32_e32 v54, v50, v34
	v_fmac_f32_e32 v48, v52, v48
	v_div_scale_f32 v52, s8, 1.0, v27, 1.0
	v_fma_f32 v25, -v31, v35, v25
	v_fma_f32 v31, -v23, v53, v39
	v_fmac_f32_e32 v51, v49, v36
	v_fma_f32 v49, -v24, v54, v50
	v_mul_f32_e32 v55, v52, v48
	v_div_fmas_f32 v25, v25, v30, v35
	v_fmac_f32_e32 v53, v31, v26
	v_fma_f32 v29, -v29, v51, v33
	v_fmac_f32_e32 v54, v49, v34
	v_fma_f32 v30, -v37, v55, v52
	s_mov_b32 vcc_lo, s5
	v_fma_f32 v23, -v23, v53, v39
	v_div_fmas_f32 v29, v29, v36, v51
	v_fma_f32 v24, -v24, v54, v50
	v_fmac_f32_e32 v55, v30, v48
	s_mov_b32 vcc_lo, s6
	s_mov_b32 s5, 0xbcc30c31
	v_div_fmas_f32 v23, v23, v26, v53
	s_mov_b32 vcc_lo, s7
	v_fma_f32 v26, -v37, v55, v52
	v_div_fmas_f32 v24, v24, v34, v54
	s_mov_b32 vcc_lo, s8
	v_add_f32_e32 v13, v15, v13
	v_div_fixup_f32 v15, v19, v17, 1.0
	v_div_fmas_f32 v26, v26, v48, v55
	v_div_fixup_f32 v20, v24, v20, 1.0
	v_add_f32_e32 v13, v13, v15
	v_div_fixup_f32 v24, v26, v27, 1.0
	v_fmaak_f32 v26, s5, v20, 0x3d088889
	v_div_fixup_f32 v15, v22, v21, 1.0
	v_add_f32_e32 v24, 1.0, v24
	v_fma_f32 v26, -v20, v26, 0x3e2aaaab
	v_add_f32_e32 v13, v13, v15
	v_div_fixup_f32 v15, v25, v28, 1.0
	v_fmac_f32_e32 v24, v20, v26
	v_add_f32_e32 v13, v13, v15
	v_div_fixup_f32 v15, v29, v32, 1.0
	v_div_scale_f32 v20, null, v38, v38, v24
	v_div_scale_f32 v17, vcc_lo, v24, v38, v24
	v_add_f32_e32 v13, v13, v15
	v_rcp_f32_e32 v26, v20
	v_div_fixup_f32 v15, v23, v16, 1.0
	v_add_f32_e32 v13, v13, v15
	v_fma_f32 v18, -v20, v26, 1.0
	v_fmac_f32_e32 v26, v18, v26
	v_mul_f32_e32 v18, v17, v26
	v_fma_f32 v19, -v20, v18, v17
	v_fmac_f32_e32 v18, v19, v26
	v_fma_f32 v17, -v20, v18, v17
	v_div_fmas_f32 v16, v17, v26, v18
	v_div_fixup_f32 v15, v16, v38, v24
	v_add_f32_e32 v13, v13, v15
	v_fma_mixlo_f16 v13, v10, v13, 0
.LBB58_64:
	s_or_b32 exec_lo, exec_lo, s10
	v_add_nc_u32_e32 v10, 0x600, v7
	v_cmp_lt_i32_e32 vcc_lo, v10, v4
                                        ; implicit-def: $vgpr10
	s_and_saveexec_b32 s10, vcc_lo
	s_cbranch_execz .LBB58_72
; %bb.65:
	v_cvt_f32_f16_e32 v10, v9
	v_cmp_gt_f16_e32 vcc_lo, 0.5, v9
	v_mov_b32_e32 v15, 0
	v_mov_b32_e32 v9, 1.0
	s_and_saveexec_b32 s7, vcc_lo
	s_cbranch_execz .LBB58_71
; %bb.66:
	v_mul_f32_e32 v9, 0x40490fdb, v10
                                        ; implicit-def: $vgpr17
                                        ; implicit-def: $vgpr16
	s_mov_b32 s6, exec_lo
	v_and_b32_e32 v15, 0x7fffffff, v9
	v_cmpx_ngt_f32_e64 0x48000000, |v9|
	s_xor_b32 s8, exec_lo, s6
	s_cbranch_execz .LBB58_68
; %bb.67:
	s_mov_b32 s5, 0x7fffff
	v_mov_b32_e32 v18, 0
	v_and_or_b32 v25, v15, s5, 0x800000
	v_lshrrev_b32_e32 v23, 23, v15
	v_mad_u64_u32 v[16:17], null, 0xfe5163ab, v25, 0
	v_add_nc_u32_e32 v24, 0xffffff88, v23
	v_cmp_lt_u32_e32 vcc_lo, 63, v24
	v_mad_u64_u32 v[19:20], null, 0x3c439041, v25, v[17:18]
	v_cndmask_b32_e64 v26, 0, 0xffffffc0, vcc_lo
	v_mov_b32_e32 v17, v20
	v_add_nc_u32_e32 v26, v26, v24
	v_mad_u64_u32 v[20:21], null, 0xdb629599, v25, v[17:18]
	v_cmp_lt_u32_e64 s5, 31, v26
	v_cndmask_b32_e64 v27, 0, 0xffffffe0, s5
	v_mov_b32_e32 v17, v21
	v_cndmask_b32_e32 v16, v20, v16, vcc_lo
	v_mad_u64_u32 v[21:22], null, 0xf534ddc0, v25, v[17:18]
	v_mov_b32_e32 v17, v22
	v_cndmask_b32_e32 v19, v21, v19, vcc_lo
	v_mad_u64_u32 v[22:23], null, 0xfc2757d1, v25, v[17:18]
	v_cndmask_b32_e64 v16, v19, v16, s5
	v_mov_b32_e32 v17, v23
	v_mad_u64_u32 v[23:24], null, 0x4e441529, v25, v[17:18]
	v_mov_b32_e32 v17, v24
	v_add_nc_u32_e32 v24, v27, v26
	v_cndmask_b32_e32 v26, v23, v21, vcc_lo
	v_mad_u64_u32 v[17:18], null, 0xa2f9836e, v25, v[17:18]
	v_cmp_lt_u32_e64 s6, 31, v24
	v_cndmask_b32_e64 v25, 0, 0xffffffe0, s6
	v_cndmask_b32_e32 v17, v17, v22, vcc_lo
	v_cndmask_b32_e32 v18, v18, v23, vcc_lo
	;; [unrolled: 1-line block ×3, first 2 shown]
	v_add_nc_u32_e32 v23, v25, v24
	v_cndmask_b32_e64 v21, v17, v26, s5
	v_cndmask_b32_e64 v17, v18, v17, s5
	;; [unrolled: 1-line block ×4, first 2 shown]
	v_sub_nc_u32_e32 v24, 32, v23
	v_cmp_eq_u32_e32 vcc_lo, 0, v23
	v_cndmask_b32_e64 v17, v17, v21, s6
	v_cndmask_b32_e64 v21, v21, v18, s6
	;; [unrolled: 1-line block ×4, first 2 shown]
	v_alignbit_b32 v25, v17, v21, v24
	v_alignbit_b32 v20, v21, v18, v24
	;; [unrolled: 1-line block ×3, first 2 shown]
	v_cndmask_b32_e32 v17, v25, v17, vcc_lo
	v_cndmask_b32_e32 v19, v20, v21, vcc_lo
	;; [unrolled: 1-line block ×3, first 2 shown]
	v_bfe_u32 v20, v17, 29, 1
	v_alignbit_b32 v21, v17, v19, 30
	v_alignbit_b32 v19, v19, v18, 30
	;; [unrolled: 1-line block ×3, first 2 shown]
	v_sub_nc_u32_e32 v22, 0, v20
	v_xor_b32_e32 v21, v21, v22
	v_xor_b32_e32 v18, v19, v22
	;; [unrolled: 1-line block ×3, first 2 shown]
	v_lshrrev_b32_e32 v22, 29, v17
	v_lshrrev_b32_e32 v17, 30, v17
	v_ffbh_u32_e32 v23, v21
	v_add_nc_u32_e32 v17, v20, v17
	v_min_u32_e32 v23, 32, v23
	v_sub_nc_u32_e32 v19, 31, v23
	v_lshlrev_b32_e32 v24, 23, v23
	v_alignbit_b32 v21, v21, v18, v19
	v_alignbit_b32 v16, v18, v16, v19
	v_lshlrev_b32_e32 v18, 31, v22
	v_alignbit_b32 v19, v21, v16, 9
	v_or_b32_e32 v22, 0.5, v18
	v_lshrrev_b32_e32 v21, 9, v21
	v_or_b32_e32 v18, 0x33000000, v18
	v_ffbh_u32_e32 v25, v19
	v_sub_nc_u32_e32 v22, v22, v24
	v_min_u32_e32 v24, 32, v25
	v_or_b32_e32 v21, v21, v22
	v_not_b32_e32 v22, v24
	v_mul_f32_e32 v25, 0x3fc90fda, v21
	v_add_lshl_u32 v23, v24, v23, 23
	v_alignbit_b32 v16, v19, v16, v22
	v_fma_f32 v19, 0x3fc90fda, v21, -v25
	v_sub_nc_u32_e32 v18, v18, v23
	v_lshrrev_b32_e32 v16, 9, v16
	v_fmamk_f32 v19, v21, 0x33a22168, v19
	v_or_b32_e32 v16, v18, v16
	v_fmac_f32_e32 v19, 0x3fc90fda, v16
	v_add_f32_e32 v16, v25, v19
.LBB58_68:
	s_andn2_saveexec_b32 s5, s8
; %bb.69:
	v_mul_f32_e64 v16, 0x3f22f983, |v9|
	v_rndne_f32_e32 v17, v16
	v_fma_f32 v16, 0xbfc90fda, v17, |v9|
	v_fmamk_f32 v16, v17, 0xb3a22168, v16
	v_fmamk_f32 v16, v17, 0xa7c234c4, v16
	v_cvt_i32_f32_e32 v17, v17
; %bb.70:
	s_or_b32 exec_lo, exec_lo, s5
	v_mul_f32_e32 v18, v16, v16
	s_mov_b32 s5, 0xb94c1982
	s_mov_b32 s6, 0x37d75334
	v_and_b32_e32 v21, 1, v17
	v_lshlrev_b32_e32 v17, 30, v17
	v_fmaak_f32 v19, s5, v18, 0x3c0881c4
	v_fmaak_f32 v20, s6, v18, 0xbab64f3b
	v_xor_b32_e32 v15, v15, v9
	v_cmp_eq_u32_e32 vcc_lo, 0, v21
	v_and_b32_e32 v17, 0x80000000, v17
	v_fmaak_f32 v19, v18, v19, 0xbe2aaa9d
	v_fmaak_f32 v20, v18, v20, 0x3d2aabf7
	v_sub_f32_e32 v10, 1.0, v10
	v_mul_f32_e32 v19, v18, v19
	v_fmaak_f32 v20, v18, v20, 0xbf000004
	v_fmac_f32_e32 v16, v16, v19
	v_fma_f32 v18, v18, v20, 1.0
	v_cndmask_b32_e32 v16, v18, v16, vcc_lo
	v_cmp_class_f32_e64 vcc_lo, v9, 0x1f8
	v_xor3_b32 v15, v15, v17, v16
	v_cndmask_b32_e32 v9, 0x7fc00000, v15, vcc_lo
	v_mul_f32_e32 v9, v9, v9
	v_div_scale_f32 v15, null, v9, v9, 0xc11de9e7
	v_div_scale_f32 v18, vcc_lo, 0xc11de9e7, v9, 0xc11de9e7
	v_rcp_f32_e32 v16, v15
	v_fma_f32 v17, -v15, v16, 1.0
	v_fmac_f32_e32 v16, v17, v16
	v_mul_f32_e32 v17, v18, v16
	v_fma_f32 v19, -v15, v17, v18
	v_fmac_f32_e32 v17, v19, v16
	v_fma_f32 v15, -v15, v17, v18
	v_div_fmas_f32 v15, v15, v16, v17
	v_div_fixup_f32 v9, v15, v9, 0xc11de9e7
	v_add_f32_e32 v15, 0, v9
	v_mov_b32_e32 v9, -1.0
.LBB58_71:
	s_or_b32 exec_lo, exec_lo, s7
	v_add_f32_e32 v16, 1.0, v10
	v_mul_f32_e32 v10, v10, v10
	v_mul_f32_e32 v17, v16, v16
	v_add_f32_e32 v16, 1.0, v16
	v_div_scale_f32 v18, null, v10, v10, 1.0
	v_div_scale_f32 v20, vcc_lo, 1.0, v10, 1.0
	v_mul_f32_e32 v21, v16, v16
	v_div_scale_f32 v19, null, v17, v17, 1.0
	v_rcp_f32_e32 v22, v18
	v_div_scale_f32 v25, s5, 1.0, v17, 1.0
	v_div_scale_f32 v24, null, v21, v21, 1.0
	v_rcp_f32_e32 v23, v19
	v_add_f32_e32 v16, 1.0, v16
	v_div_scale_f32 v26, s6, 1.0, v21, 1.0
	v_rcp_f32_e32 v27, v24
	v_fma_f32 v29, -v18, v22, 1.0
	v_mul_f32_e32 v28, v16, v16
	v_add_f32_e32 v16, 1.0, v16
	v_fma_f32 v30, -v19, v23, 1.0
	v_fmac_f32_e32 v22, v29, v22
	v_mul_f32_e32 v32, v16, v16
	v_add_f32_e32 v16, 1.0, v16
	v_fma_f32 v29, -v24, v27, 1.0
	v_fmac_f32_e32 v23, v30, v23
	v_mul_f32_e32 v33, v20, v22
	v_div_scale_f32 v31, null, v28, v28, 1.0
	v_fmac_f32_e32 v27, v29, v27
	v_mul_f32_e32 v34, v25, v23
	v_fma_f32 v35, -v18, v33, v20
	v_add_f32_e32 v38, 1.0, v16
	v_rcp_f32_e32 v30, v31
	v_mul_f32_e32 v37, v26, v27
	v_fma_f32 v36, -v19, v34, v25
	v_fmac_f32_e32 v33, v35, v22
	v_mul_f32_e32 v16, v16, v16
	v_div_scale_f32 v29, null, v32, v32, 1.0
	v_fma_f32 v35, -v24, v37, v26
	v_fmac_f32_e32 v34, v36, v23
	v_fma_f32 v18, -v18, v33, v20
	v_mul_f32_e32 v20, v38, v38
	v_rcp_f32_e32 v36, v29
	v_fmac_f32_e32 v37, v35, v27
	v_fma_f32 v19, -v19, v34, v25
	v_div_fmas_f32 v18, v18, v22, v33
	s_mov_b32 vcc_lo, s5
	v_fma_f32 v39, -v31, v30, 1.0
	v_fma_f32 v22, -v24, v37, v26
	v_div_fmas_f32 v19, v19, v23, v34
	s_mov_b32 vcc_lo, s6
	v_div_scale_f32 v23, null, v16, v16, 1.0
	v_div_fmas_f32 v22, v22, v27, v37
	v_div_scale_f32 v24, null, v20, v20, 1.0
	v_add_f32_e32 v27, v38, v38
	v_rcp_f32_e32 v26, v23
	v_fmac_f32_e32 v30, v39, v30
	v_rcp_f32_e32 v34, v24
	v_div_scale_f32 v25, vcc_lo, 1.0, v28, 1.0
	v_div_scale_f32 v37, null, v27, v27, 1.0
	v_fma_f32 v33, -v29, v36, 1.0
	v_mul_f32_e32 v35, v25, v30
	v_div_fixup_f32 v10, v18, v10, 1.0
	v_rcp_f32_e32 v48, v37
	v_fma_f32 v39, -v23, v26, 1.0
	v_fmac_f32_e32 v36, v33, v36
	v_div_scale_f32 v33, s5, 1.0, v32, 1.0
	v_fma_f32 v50, -v24, v34, 1.0
	v_fma_f32 v49, -v31, v35, v25
	v_fmac_f32_e32 v26, v39, v26
	v_div_scale_f32 v39, s6, 1.0, v16, 1.0
	v_mul_f32_e32 v51, v33, v36
	v_fmac_f32_e32 v34, v50, v34
	v_div_scale_f32 v50, s7, 1.0, v20, 1.0
	v_fma_f32 v52, -v37, v48, 1.0
	v_fmac_f32_e32 v35, v49, v30
	v_mul_f32_e32 v53, v39, v26
	v_fma_f32 v49, -v29, v51, v33
	v_mul_f32_e32 v54, v50, v34
	v_fmac_f32_e32 v48, v52, v48
	v_div_scale_f32 v52, s8, 1.0, v27, 1.0
	v_fma_f32 v25, -v31, v35, v25
	v_fma_f32 v31, -v23, v53, v39
	v_fmac_f32_e32 v51, v49, v36
	v_fma_f32 v49, -v24, v54, v50
	v_mul_f32_e32 v55, v52, v48
	v_div_fmas_f32 v25, v25, v30, v35
	v_fmac_f32_e32 v53, v31, v26
	v_fma_f32 v29, -v29, v51, v33
	v_fmac_f32_e32 v54, v49, v34
	v_fma_f32 v30, -v37, v55, v52
	s_mov_b32 vcc_lo, s5
	v_fma_f32 v23, -v23, v53, v39
	v_div_fmas_f32 v29, v29, v36, v51
	v_fma_f32 v24, -v24, v54, v50
	v_fmac_f32_e32 v55, v30, v48
	s_mov_b32 vcc_lo, s6
	s_mov_b32 s5, 0xbcc30c31
	v_div_fmas_f32 v23, v23, v26, v53
	s_mov_b32 vcc_lo, s7
	v_fma_f32 v26, -v37, v55, v52
	v_div_fmas_f32 v24, v24, v34, v54
	s_mov_b32 vcc_lo, s8
	v_add_f32_e32 v10, v15, v10
	v_div_fixup_f32 v15, v19, v17, 1.0
	v_div_fmas_f32 v26, v26, v48, v55
	v_div_fixup_f32 v20, v24, v20, 1.0
	v_add_f32_e32 v10, v10, v15
	v_div_fixup_f32 v24, v26, v27, 1.0
	v_fmaak_f32 v26, s5, v20, 0x3d088889
	v_div_fixup_f32 v15, v22, v21, 1.0
	v_add_f32_e32 v24, 1.0, v24
	v_fma_f32 v26, -v20, v26, 0x3e2aaaab
	v_add_f32_e32 v10, v10, v15
	v_div_fixup_f32 v15, v25, v28, 1.0
	v_fmac_f32_e32 v24, v20, v26
	v_add_f32_e32 v10, v10, v15
	v_div_fixup_f32 v15, v29, v32, 1.0
	v_div_scale_f32 v20, null, v38, v38, v24
	v_div_scale_f32 v17, vcc_lo, v24, v38, v24
	v_add_f32_e32 v10, v10, v15
	v_rcp_f32_e32 v26, v20
	v_div_fixup_f32 v15, v23, v16, 1.0
	v_add_f32_e32 v10, v10, v15
	v_fma_f32 v18, -v20, v26, 1.0
	v_fmac_f32_e32 v26, v18, v26
	v_mul_f32_e32 v18, v17, v26
	v_fma_f32 v19, -v20, v18, v17
	v_fmac_f32_e32 v18, v19, v26
	v_fma_f32 v17, -v20, v18, v17
	v_div_fmas_f32 v16, v17, v26, v18
	v_div_fixup_f32 v15, v16, v38, v24
	v_add_f32_e32 v10, v10, v15
	v_fma_mixlo_f16 v10, v9, v10, 0
.LBB58_72:
	s_or_b32 exec_lo, exec_lo, s10
	v_add_nc_u32_e32 v9, 0x700, v7
	v_cmp_lt_i32_e32 vcc_lo, v9, v4
                                        ; implicit-def: $vgpr9
	s_and_saveexec_b32 s10, vcc_lo
	s_cbranch_execz .LBB58_88
; %bb.73:
	v_cvt_f32_f16_e32 v9, v6
	v_cmp_gt_f16_e32 vcc_lo, 0.5, v6
	v_mov_b32_e32 v15, 0
	v_mov_b32_e32 v6, 1.0
	s_and_saveexec_b32 s7, vcc_lo
	s_cbranch_execz .LBB58_79
; %bb.74:
	v_mul_f32_e32 v6, 0x40490fdb, v9
                                        ; implicit-def: $vgpr17
                                        ; implicit-def: $vgpr16
	s_mov_b32 s6, exec_lo
	v_and_b32_e32 v15, 0x7fffffff, v6
	v_cmpx_ngt_f32_e64 0x48000000, |v6|
	s_xor_b32 s8, exec_lo, s6
	s_cbranch_execz .LBB58_76
; %bb.75:
	s_mov_b32 s5, 0x7fffff
	v_mov_b32_e32 v18, 0
	v_and_or_b32 v25, v15, s5, 0x800000
	v_lshrrev_b32_e32 v23, 23, v15
	v_mad_u64_u32 v[16:17], null, 0xfe5163ab, v25, 0
	v_add_nc_u32_e32 v24, 0xffffff88, v23
	v_cmp_lt_u32_e32 vcc_lo, 63, v24
	v_mad_u64_u32 v[19:20], null, 0x3c439041, v25, v[17:18]
	v_cndmask_b32_e64 v26, 0, 0xffffffc0, vcc_lo
	v_mov_b32_e32 v17, v20
	v_add_nc_u32_e32 v26, v26, v24
	v_mad_u64_u32 v[20:21], null, 0xdb629599, v25, v[17:18]
	v_cmp_lt_u32_e64 s5, 31, v26
	v_cndmask_b32_e64 v27, 0, 0xffffffe0, s5
	v_mov_b32_e32 v17, v21
	v_cndmask_b32_e32 v16, v20, v16, vcc_lo
	v_mad_u64_u32 v[21:22], null, 0xf534ddc0, v25, v[17:18]
	v_mov_b32_e32 v17, v22
	v_cndmask_b32_e32 v19, v21, v19, vcc_lo
	v_mad_u64_u32 v[22:23], null, 0xfc2757d1, v25, v[17:18]
	v_cndmask_b32_e64 v16, v19, v16, s5
	v_mov_b32_e32 v17, v23
	v_mad_u64_u32 v[23:24], null, 0x4e441529, v25, v[17:18]
	v_mov_b32_e32 v17, v24
	v_add_nc_u32_e32 v24, v27, v26
	v_cndmask_b32_e32 v26, v23, v21, vcc_lo
	v_mad_u64_u32 v[17:18], null, 0xa2f9836e, v25, v[17:18]
	v_cmp_lt_u32_e64 s6, 31, v24
	v_cndmask_b32_e64 v25, 0, 0xffffffe0, s6
	v_cndmask_b32_e32 v17, v17, v22, vcc_lo
	v_cndmask_b32_e32 v18, v18, v23, vcc_lo
	;; [unrolled: 1-line block ×3, first 2 shown]
	v_add_nc_u32_e32 v23, v25, v24
	v_cndmask_b32_e64 v21, v17, v26, s5
	v_cndmask_b32_e64 v17, v18, v17, s5
	;; [unrolled: 1-line block ×4, first 2 shown]
	v_sub_nc_u32_e32 v24, 32, v23
	v_cmp_eq_u32_e32 vcc_lo, 0, v23
	v_cndmask_b32_e64 v17, v17, v21, s6
	v_cndmask_b32_e64 v21, v21, v18, s6
	;; [unrolled: 1-line block ×4, first 2 shown]
	v_alignbit_b32 v25, v17, v21, v24
	v_alignbit_b32 v20, v21, v18, v24
	v_alignbit_b32 v23, v18, v16, v24
	v_cndmask_b32_e32 v17, v25, v17, vcc_lo
	v_cndmask_b32_e32 v19, v20, v21, vcc_lo
	;; [unrolled: 1-line block ×3, first 2 shown]
	v_bfe_u32 v20, v17, 29, 1
	v_alignbit_b32 v21, v17, v19, 30
	v_alignbit_b32 v19, v19, v18, 30
	v_alignbit_b32 v16, v18, v16, 30
	v_sub_nc_u32_e32 v22, 0, v20
	v_xor_b32_e32 v21, v21, v22
	v_xor_b32_e32 v18, v19, v22
	v_xor_b32_e32 v16, v16, v22
	v_lshrrev_b32_e32 v22, 29, v17
	v_lshrrev_b32_e32 v17, 30, v17
	v_ffbh_u32_e32 v23, v21
	v_add_nc_u32_e32 v17, v20, v17
	v_min_u32_e32 v23, 32, v23
	v_sub_nc_u32_e32 v19, 31, v23
	v_lshlrev_b32_e32 v24, 23, v23
	v_alignbit_b32 v21, v21, v18, v19
	v_alignbit_b32 v16, v18, v16, v19
	v_lshlrev_b32_e32 v18, 31, v22
	v_alignbit_b32 v19, v21, v16, 9
	v_or_b32_e32 v22, 0.5, v18
	v_lshrrev_b32_e32 v21, 9, v21
	v_or_b32_e32 v18, 0x33000000, v18
	v_ffbh_u32_e32 v25, v19
	v_sub_nc_u32_e32 v22, v22, v24
	v_min_u32_e32 v24, 32, v25
	v_or_b32_e32 v21, v21, v22
	v_not_b32_e32 v22, v24
	v_mul_f32_e32 v25, 0x3fc90fda, v21
	v_add_lshl_u32 v23, v24, v23, 23
	v_alignbit_b32 v16, v19, v16, v22
	v_fma_f32 v19, 0x3fc90fda, v21, -v25
	v_sub_nc_u32_e32 v18, v18, v23
	v_lshrrev_b32_e32 v16, 9, v16
	v_fmamk_f32 v19, v21, 0x33a22168, v19
	v_or_b32_e32 v16, v18, v16
	v_fmac_f32_e32 v19, 0x3fc90fda, v16
	v_add_f32_e32 v16, v25, v19
.LBB58_76:
	s_andn2_saveexec_b32 s5, s8
; %bb.77:
	v_mul_f32_e64 v16, 0x3f22f983, |v6|
	v_rndne_f32_e32 v17, v16
	v_fma_f32 v16, 0xbfc90fda, v17, |v6|
	v_fmamk_f32 v16, v17, 0xb3a22168, v16
	v_fmamk_f32 v16, v17, 0xa7c234c4, v16
	v_cvt_i32_f32_e32 v17, v17
; %bb.78:
	s_or_b32 exec_lo, exec_lo, s5
	v_mul_f32_e32 v18, v16, v16
	s_mov_b32 s5, 0xb94c1982
	s_mov_b32 s6, 0x37d75334
	v_and_b32_e32 v21, 1, v17
	v_lshlrev_b32_e32 v17, 30, v17
	v_fmaak_f32 v19, s5, v18, 0x3c0881c4
	v_fmaak_f32 v20, s6, v18, 0xbab64f3b
	v_xor_b32_e32 v15, v15, v6
	v_cmp_eq_u32_e32 vcc_lo, 0, v21
	v_and_b32_e32 v17, 0x80000000, v17
	v_fmaak_f32 v19, v18, v19, 0xbe2aaa9d
	v_fmaak_f32 v20, v18, v20, 0x3d2aabf7
	v_sub_f32_e32 v9, 1.0, v9
	v_mul_f32_e32 v19, v18, v19
	v_fmaak_f32 v20, v18, v20, 0xbf000004
	v_fmac_f32_e32 v16, v16, v19
	v_fma_f32 v18, v18, v20, 1.0
	v_cndmask_b32_e32 v16, v18, v16, vcc_lo
	v_cmp_class_f32_e64 vcc_lo, v6, 0x1f8
	v_xor3_b32 v15, v15, v17, v16
	v_cndmask_b32_e32 v6, 0x7fc00000, v15, vcc_lo
	v_mul_f32_e32 v6, v6, v6
	v_div_scale_f32 v15, null, v6, v6, 0xc11de9e7
	v_div_scale_f32 v18, vcc_lo, 0xc11de9e7, v6, 0xc11de9e7
	v_rcp_f32_e32 v16, v15
	v_fma_f32 v17, -v15, v16, 1.0
	v_fmac_f32_e32 v16, v17, v16
	v_mul_f32_e32 v17, v18, v16
	v_fma_f32 v19, -v15, v17, v18
	v_fmac_f32_e32 v17, v19, v16
	v_fma_f32 v15, -v15, v17, v18
	v_div_fmas_f32 v15, v15, v16, v17
	v_div_fixup_f32 v6, v15, v6, 0xc11de9e7
	v_add_f32_e32 v15, 0, v6
	v_mov_b32_e32 v6, -1.0
.LBB58_79:
	s_or_b32 exec_lo, exec_lo, s7
	v_add_f32_e32 v16, 1.0, v9
	v_mul_f32_e32 v9, v9, v9
	v_mul_f32_e32 v17, v16, v16
	v_add_f32_e32 v16, 1.0, v16
	v_div_scale_f32 v18, null, v9, v9, 1.0
	v_div_scale_f32 v20, vcc_lo, 1.0, v9, 1.0
	v_mul_f32_e32 v21, v16, v16
	v_div_scale_f32 v19, null, v17, v17, 1.0
	v_rcp_f32_e32 v22, v18
	v_div_scale_f32 v25, s5, 1.0, v17, 1.0
	v_div_scale_f32 v24, null, v21, v21, 1.0
	v_rcp_f32_e32 v23, v19
	v_add_f32_e32 v16, 1.0, v16
	v_div_scale_f32 v26, s6, 1.0, v21, 1.0
	v_rcp_f32_e32 v27, v24
	v_fma_f32 v29, -v18, v22, 1.0
	v_mul_f32_e32 v28, v16, v16
	v_add_f32_e32 v16, 1.0, v16
	v_fma_f32 v30, -v19, v23, 1.0
	v_fmac_f32_e32 v22, v29, v22
	v_mul_f32_e32 v32, v16, v16
	v_add_f32_e32 v16, 1.0, v16
	v_fma_f32 v29, -v24, v27, 1.0
	v_fmac_f32_e32 v23, v30, v23
	v_mul_f32_e32 v33, v20, v22
	v_div_scale_f32 v31, null, v28, v28, 1.0
	v_fmac_f32_e32 v27, v29, v27
	v_mul_f32_e32 v34, v25, v23
	v_fma_f32 v35, -v18, v33, v20
	v_add_f32_e32 v38, 1.0, v16
	v_rcp_f32_e32 v30, v31
	v_mul_f32_e32 v37, v26, v27
	v_fma_f32 v36, -v19, v34, v25
	v_fmac_f32_e32 v33, v35, v22
	v_mul_f32_e32 v16, v16, v16
	v_div_scale_f32 v29, null, v32, v32, 1.0
	v_fma_f32 v35, -v24, v37, v26
	v_fmac_f32_e32 v34, v36, v23
	v_fma_f32 v18, -v18, v33, v20
	v_mul_f32_e32 v20, v38, v38
	v_rcp_f32_e32 v36, v29
	v_fmac_f32_e32 v37, v35, v27
	v_fma_f32 v19, -v19, v34, v25
	v_div_fmas_f32 v18, v18, v22, v33
	s_mov_b32 vcc_lo, s5
	v_fma_f32 v39, -v31, v30, 1.0
	v_fma_f32 v22, -v24, v37, v26
	v_div_fmas_f32 v19, v19, v23, v34
	s_mov_b32 vcc_lo, s6
	v_div_scale_f32 v23, null, v16, v16, 1.0
	v_div_fmas_f32 v22, v22, v27, v37
	v_div_scale_f32 v24, null, v20, v20, 1.0
	v_add_f32_e32 v27, v38, v38
	v_rcp_f32_e32 v26, v23
	v_fmac_f32_e32 v30, v39, v30
	v_rcp_f32_e32 v34, v24
	v_div_scale_f32 v25, vcc_lo, 1.0, v28, 1.0
	v_div_scale_f32 v37, null, v27, v27, 1.0
	v_fma_f32 v33, -v29, v36, 1.0
	v_mul_f32_e32 v35, v25, v30
	v_div_fixup_f32 v9, v18, v9, 1.0
	v_rcp_f32_e32 v48, v37
	v_fma_f32 v39, -v23, v26, 1.0
	v_fmac_f32_e32 v36, v33, v36
	v_div_scale_f32 v33, s5, 1.0, v32, 1.0
	v_fma_f32 v50, -v24, v34, 1.0
	v_fma_f32 v49, -v31, v35, v25
	v_fmac_f32_e32 v26, v39, v26
	v_div_scale_f32 v39, s6, 1.0, v16, 1.0
	v_mul_f32_e32 v51, v33, v36
	v_fmac_f32_e32 v34, v50, v34
	v_div_scale_f32 v50, s7, 1.0, v20, 1.0
	v_fma_f32 v52, -v37, v48, 1.0
	v_fmac_f32_e32 v35, v49, v30
	v_mul_f32_e32 v53, v39, v26
	v_fma_f32 v49, -v29, v51, v33
	v_mul_f32_e32 v54, v50, v34
	v_fmac_f32_e32 v48, v52, v48
	v_div_scale_f32 v52, s8, 1.0, v27, 1.0
	v_fma_f32 v25, -v31, v35, v25
	v_fma_f32 v31, -v23, v53, v39
	v_fmac_f32_e32 v51, v49, v36
	v_fma_f32 v49, -v24, v54, v50
	v_mul_f32_e32 v55, v52, v48
	v_div_fmas_f32 v25, v25, v30, v35
	v_fmac_f32_e32 v53, v31, v26
	v_fma_f32 v29, -v29, v51, v33
	v_fmac_f32_e32 v54, v49, v34
	v_fma_f32 v30, -v37, v55, v52
	s_mov_b32 vcc_lo, s5
	v_fma_f32 v23, -v23, v53, v39
	v_div_fmas_f32 v29, v29, v36, v51
	v_fma_f32 v24, -v24, v54, v50
	v_fmac_f32_e32 v55, v30, v48
	s_mov_b32 vcc_lo, s6
	s_mov_b32 s5, 0xbcc30c31
	v_div_fmas_f32 v23, v23, v26, v53
	s_mov_b32 vcc_lo, s7
	v_fma_f32 v26, -v37, v55, v52
	v_div_fmas_f32 v24, v24, v34, v54
	s_mov_b32 vcc_lo, s8
	v_add_f32_e32 v9, v15, v9
	v_div_fixup_f32 v15, v19, v17, 1.0
	v_div_fmas_f32 v26, v26, v48, v55
	v_div_fixup_f32 v20, v24, v20, 1.0
	v_add_f32_e32 v9, v9, v15
	v_div_fixup_f32 v24, v26, v27, 1.0
	v_fmaak_f32 v26, s5, v20, 0x3d088889
	v_div_fixup_f32 v15, v22, v21, 1.0
	v_add_f32_e32 v24, 1.0, v24
	v_fma_f32 v26, -v20, v26, 0x3e2aaaab
	v_add_f32_e32 v9, v9, v15
	v_div_fixup_f32 v15, v25, v28, 1.0
	v_fmac_f32_e32 v24, v20, v26
	v_add_f32_e32 v9, v9, v15
	v_div_fixup_f32 v15, v29, v32, 1.0
	v_div_scale_f32 v20, null, v38, v38, v24
	v_div_scale_f32 v17, vcc_lo, v24, v38, v24
	v_add_f32_e32 v9, v9, v15
	v_rcp_f32_e32 v26, v20
	v_div_fixup_f32 v15, v23, v16, 1.0
	v_add_f32_e32 v9, v9, v15
	v_fma_f32 v18, -v20, v26, 1.0
	v_fmac_f32_e32 v26, v18, v26
	v_mul_f32_e32 v18, v17, v26
	v_fma_f32 v19, -v20, v18, v17
	v_fmac_f32_e32 v18, v19, v26
	v_fma_f32 v17, -v20, v18, v17
	v_div_fmas_f32 v16, v17, v26, v18
	v_div_fixup_f32 v15, v16, v38, v24
	v_add_f32_e32 v9, v9, v15
	v_fma_mixlo_f16 v9, v6, v9, 0
	s_or_b32 exec_lo, exec_lo, s10
	s_and_saveexec_b32 s5, s4
	s_xor_b32 s4, exec_lo, s5
	s_cbranch_execnz .LBB58_89
.LBB58_80:
	s_or_b32 exec_lo, exec_lo, s4
	s_mov_b32 s4, exec_lo
	v_cmpx_lt_i32_e64 v7, v4
	s_cbranch_execz .LBB58_90
.LBB58_81:
	v_add_nc_u32_e32 v5, s9, v7
	v_mov_b32_e32 v6, 0
	v_add_nc_u32_e32 v7, 0x100, v7
	v_lshlrev_b64 v[5:6], 1, v[5:6]
	v_add_co_u32 v5, vcc_lo, v0, v5
	v_add_co_ci_u32_e64 v6, null, v1, v6, vcc_lo
	flat_store_short v[5:6], v3
	s_or_b32 exec_lo, exec_lo, s4
	s_mov_b32 s4, exec_lo
	v_cmpx_lt_i32_e64 v7, v4
	s_cbranch_execnz .LBB58_91
.LBB58_82:
	s_or_b32 exec_lo, exec_lo, s4
	s_mov_b32 s4, exec_lo
	v_cmpx_lt_i32_e64 v7, v4
	s_cbranch_execz .LBB58_92
.LBB58_83:
	v_add_nc_u32_e32 v2, s9, v7
	v_mov_b32_e32 v3, 0
	v_add_nc_u32_e32 v7, 0x100, v7
	v_lshlrev_b64 v[2:3], 1, v[2:3]
	v_add_co_u32 v2, vcc_lo, v0, v2
	v_add_co_ci_u32_e64 v3, null, v1, v3, vcc_lo
	flat_store_short v[2:3], v12
	s_or_b32 exec_lo, exec_lo, s4
	s_mov_b32 s4, exec_lo
	v_cmpx_lt_i32_e64 v7, v4
	s_cbranch_execnz .LBB58_93
.LBB58_84:
	s_or_b32 exec_lo, exec_lo, s4
	s_mov_b32 s4, exec_lo
	v_cmpx_lt_i32_e64 v7, v4
	s_cbranch_execz .LBB58_94
.LBB58_85:
	v_add_nc_u32_e32 v2, s9, v7
	v_mov_b32_e32 v3, 0
	v_add_nc_u32_e32 v7, 0x100, v7
	v_lshlrev_b64 v[2:3], 1, v[2:3]
	v_add_co_u32 v2, vcc_lo, v0, v2
	v_add_co_ci_u32_e64 v3, null, v1, v3, vcc_lo
	flat_store_short v[2:3], v13
	s_or_b32 exec_lo, exec_lo, s4
	s_mov_b32 s4, exec_lo
	v_cmpx_lt_i32_e64 v7, v4
	s_cbranch_execnz .LBB58_95
.LBB58_86:
	s_or_b32 exec_lo, exec_lo, s4
	s_mov_b32 s4, exec_lo
	v_cmpx_lt_i32_e64 v7, v4
	s_cbranch_execz .LBB58_96
.LBB58_87:
	v_add_nc_u32_e32 v2, s9, v7
	v_mov_b32_e32 v3, 0
	v_lshlrev_b64 v[2:3], 1, v[2:3]
	v_add_co_u32 v0, vcc_lo, v0, v2
	v_add_co_ci_u32_e64 v1, null, v1, v3, vcc_lo
	flat_store_short v[0:1], v9
	s_or_b32 exec_lo, exec_lo, s4
	s_waitcnt lgkmcnt(0)
	s_setpc_b64 s[30:31]
.LBB58_88:
	s_or_b32 exec_lo, exec_lo, s10
	s_and_saveexec_b32 s5, s4
	s_xor_b32 s4, exec_lo, s5
	s_cbranch_execz .LBB58_80
.LBB58_89:
	v_mov_b32_e32 v6, 0
	v_mov_b32_e32 v7, v8
	v_lshlrev_b64 v[5:6], 1, v[5:6]
	v_add_co_u32 v5, vcc_lo, v0, v5
	v_add_co_ci_u32_e64 v6, null, v1, v6, vcc_lo
	flat_store_short v[5:6], v2
	s_or_b32 exec_lo, exec_lo, s4
	s_mov_b32 s4, exec_lo
	v_cmpx_lt_i32_e64 v7, v4
	s_cbranch_execnz .LBB58_81
.LBB58_90:
	s_or_b32 exec_lo, exec_lo, s4
	s_mov_b32 s4, exec_lo
	v_cmpx_lt_i32_e64 v7, v4
	s_cbranch_execz .LBB58_82
.LBB58_91:
	v_add_nc_u32_e32 v2, s9, v7
	v_mov_b32_e32 v3, 0
	v_add_nc_u32_e32 v7, 0x100, v7
	v_lshlrev_b64 v[2:3], 1, v[2:3]
	v_add_co_u32 v2, vcc_lo, v0, v2
	v_add_co_ci_u32_e64 v3, null, v1, v3, vcc_lo
	flat_store_short v[2:3], v11
	s_or_b32 exec_lo, exec_lo, s4
	s_mov_b32 s4, exec_lo
	v_cmpx_lt_i32_e64 v7, v4
	s_cbranch_execnz .LBB58_83
.LBB58_92:
	s_or_b32 exec_lo, exec_lo, s4
	s_mov_b32 s4, exec_lo
	v_cmpx_lt_i32_e64 v7, v4
	s_cbranch_execz .LBB58_84
.LBB58_93:
	v_add_nc_u32_e32 v2, s9, v7
	v_mov_b32_e32 v3, 0
	v_add_nc_u32_e32 v7, 0x100, v7
	v_lshlrev_b64 v[2:3], 1, v[2:3]
	v_add_co_u32 v2, vcc_lo, v0, v2
	v_add_co_ci_u32_e64 v3, null, v1, v3, vcc_lo
	flat_store_short v[2:3], v14
	s_or_b32 exec_lo, exec_lo, s4
	s_mov_b32 s4, exec_lo
	v_cmpx_lt_i32_e64 v7, v4
	s_cbranch_execnz .LBB58_85
.LBB58_94:
	s_or_b32 exec_lo, exec_lo, s4
	s_mov_b32 s4, exec_lo
	v_cmpx_lt_i32_e64 v7, v4
	s_cbranch_execz .LBB58_86
.LBB58_95:
	v_add_nc_u32_e32 v2, s9, v7
	v_mov_b32_e32 v3, 0
	v_add_nc_u32_e32 v7, 0x100, v7
	v_lshlrev_b64 v[2:3], 1, v[2:3]
	v_add_co_u32 v2, vcc_lo, v0, v2
	v_add_co_ci_u32_e64 v3, null, v1, v3, vcc_lo
	flat_store_short v[2:3], v10
	s_or_b32 exec_lo, exec_lo, s4
	s_mov_b32 s4, exec_lo
	v_cmpx_lt_i32_e64 v7, v4
	s_cbranch_execnz .LBB58_87
.LBB58_96:
	s_or_b32 exec_lo, exec_lo, s4
	s_waitcnt lgkmcnt(0)
	s_setpc_b64 s[30:31]
.Lfunc_end58:
	.size	_ZN2at6native25elementwise_kernel_helperILb0EZZZNS0_20trigamma_kernel_cudaERNS_18TensorIteratorBaseEENKUlvE_clEvENKUlvE1_clEvEUlN3c104HalfEE_NS0_6memory8policies11unroll_baseILi256ESt5arrayIPcLm2EE23TrivialOffsetCalculatorILi1EjESG_NS9_15LoadWithoutCastENS9_16StoreWithoutCastELi8ELi1EEEEEvT0_T1_, .Lfunc_end58-_ZN2at6native25elementwise_kernel_helperILb0EZZZNS0_20trigamma_kernel_cudaERNS_18TensorIteratorBaseEENKUlvE_clEvENKUlvE1_clEvEUlN3c104HalfEE_NS0_6memory8policies11unroll_baseILi256ESt5arrayIPcLm2EE23TrivialOffsetCalculatorILi1EjESG_NS9_15LoadWithoutCastENS9_16StoreWithoutCastELi8ELi1EEEEEvT0_T1_
                                        ; -- End function
	.set .L_ZN2at6native25elementwise_kernel_helperILb0EZZZNS0_20trigamma_kernel_cudaERNS_18TensorIteratorBaseEENKUlvE_clEvENKUlvE1_clEvEUlN3c104HalfEE_NS0_6memory8policies11unroll_baseILi256ESt5arrayIPcLm2EE23TrivialOffsetCalculatorILi1EjESG_NS9_15LoadWithoutCastENS9_16StoreWithoutCastELi8ELi1EEEEEvT0_T1_.num_vgpr, 56
	.set .L_ZN2at6native25elementwise_kernel_helperILb0EZZZNS0_20trigamma_kernel_cudaERNS_18TensorIteratorBaseEENKUlvE_clEvENKUlvE1_clEvEUlN3c104HalfEE_NS0_6memory8policies11unroll_baseILi256ESt5arrayIPcLm2EE23TrivialOffsetCalculatorILi1EjESG_NS9_15LoadWithoutCastENS9_16StoreWithoutCastELi8ELi1EEEEEvT0_T1_.num_agpr, 0
	.set .L_ZN2at6native25elementwise_kernel_helperILb0EZZZNS0_20trigamma_kernel_cudaERNS_18TensorIteratorBaseEENKUlvE_clEvENKUlvE1_clEvEUlN3c104HalfEE_NS0_6memory8policies11unroll_baseILi256ESt5arrayIPcLm2EE23TrivialOffsetCalculatorILi1EjESG_NS9_15LoadWithoutCastENS9_16StoreWithoutCastELi8ELi1EEEEEvT0_T1_.numbered_sgpr, 32
	.set .L_ZN2at6native25elementwise_kernel_helperILb0EZZZNS0_20trigamma_kernel_cudaERNS_18TensorIteratorBaseEENKUlvE_clEvENKUlvE1_clEvEUlN3c104HalfEE_NS0_6memory8policies11unroll_baseILi256ESt5arrayIPcLm2EE23TrivialOffsetCalculatorILi1EjESG_NS9_15LoadWithoutCastENS9_16StoreWithoutCastELi8ELi1EEEEEvT0_T1_.num_named_barrier, 0
	.set .L_ZN2at6native25elementwise_kernel_helperILb0EZZZNS0_20trigamma_kernel_cudaERNS_18TensorIteratorBaseEENKUlvE_clEvENKUlvE1_clEvEUlN3c104HalfEE_NS0_6memory8policies11unroll_baseILi256ESt5arrayIPcLm2EE23TrivialOffsetCalculatorILi1EjESG_NS9_15LoadWithoutCastENS9_16StoreWithoutCastELi8ELi1EEEEEvT0_T1_.private_seg_size, 0
	.set .L_ZN2at6native25elementwise_kernel_helperILb0EZZZNS0_20trigamma_kernel_cudaERNS_18TensorIteratorBaseEENKUlvE_clEvENKUlvE1_clEvEUlN3c104HalfEE_NS0_6memory8policies11unroll_baseILi256ESt5arrayIPcLm2EE23TrivialOffsetCalculatorILi1EjESG_NS9_15LoadWithoutCastENS9_16StoreWithoutCastELi8ELi1EEEEEvT0_T1_.uses_vcc, 1
	.set .L_ZN2at6native25elementwise_kernel_helperILb0EZZZNS0_20trigamma_kernel_cudaERNS_18TensorIteratorBaseEENKUlvE_clEvENKUlvE1_clEvEUlN3c104HalfEE_NS0_6memory8policies11unroll_baseILi256ESt5arrayIPcLm2EE23TrivialOffsetCalculatorILi1EjESG_NS9_15LoadWithoutCastENS9_16StoreWithoutCastELi8ELi1EEEEEvT0_T1_.uses_flat_scratch, 0
	.set .L_ZN2at6native25elementwise_kernel_helperILb0EZZZNS0_20trigamma_kernel_cudaERNS_18TensorIteratorBaseEENKUlvE_clEvENKUlvE1_clEvEUlN3c104HalfEE_NS0_6memory8policies11unroll_baseILi256ESt5arrayIPcLm2EE23TrivialOffsetCalculatorILi1EjESG_NS9_15LoadWithoutCastENS9_16StoreWithoutCastELi8ELi1EEEEEvT0_T1_.has_dyn_sized_stack, 0
	.set .L_ZN2at6native25elementwise_kernel_helperILb0EZZZNS0_20trigamma_kernel_cudaERNS_18TensorIteratorBaseEENKUlvE_clEvENKUlvE1_clEvEUlN3c104HalfEE_NS0_6memory8policies11unroll_baseILi256ESt5arrayIPcLm2EE23TrivialOffsetCalculatorILi1EjESG_NS9_15LoadWithoutCastENS9_16StoreWithoutCastELi8ELi1EEEEEvT0_T1_.has_recursion, 0
	.set .L_ZN2at6native25elementwise_kernel_helperILb0EZZZNS0_20trigamma_kernel_cudaERNS_18TensorIteratorBaseEENKUlvE_clEvENKUlvE1_clEvEUlN3c104HalfEE_NS0_6memory8policies11unroll_baseILi256ESt5arrayIPcLm2EE23TrivialOffsetCalculatorILi1EjESG_NS9_15LoadWithoutCastENS9_16StoreWithoutCastELi8ELi1EEEEEvT0_T1_.has_indirect_call, 0
	.section	.AMDGPU.csdata,"",@progbits
; Function info:
; codeLenInByte = 15236
; TotalNumSgprs: 34
; NumVgprs: 56
; ScratchSize: 0
; MemoryBound: 0
	.text
	.p2align	2                               ; -- Begin function _ZN2at6native25elementwise_kernel_helperILb0EZZZNS0_20trigamma_kernel_cudaERNS_18TensorIteratorBaseEENKUlvE_clEvENKUlvE1_clEvEUlN3c104HalfEE_NS0_6memory8policies10vectorizedILi8ESt5arrayIPcLm2EELi8EEEEEvT0_T1_
	.type	_ZN2at6native25elementwise_kernel_helperILb0EZZZNS0_20trigamma_kernel_cudaERNS_18TensorIteratorBaseEENKUlvE_clEvENKUlvE1_clEvEUlN3c104HalfEE_NS0_6memory8policies10vectorizedILi8ESt5arrayIPcLm2EELi8EEEEEvT0_T1_,@function
_ZN2at6native25elementwise_kernel_helperILb0EZZZNS0_20trigamma_kernel_cudaERNS_18TensorIteratorBaseEENKUlvE_clEvENKUlvE1_clEvEUlN3c104HalfEE_NS0_6memory8policies10vectorizedILi8ESt5arrayIPcLm2EELi8EEEEEvT0_T1_: ; @_ZN2at6native25elementwise_kernel_helperILb0EZZZNS0_20trigamma_kernel_cudaERNS_18TensorIteratorBaseEENKUlvE_clEvENKUlvE1_clEvEUlN3c104HalfEE_NS0_6memory8policies10vectorizedILi8ESt5arrayIPcLm2EELi8EEEEEvT0_T1_
; %bb.0:
	s_waitcnt vmcnt(0) expcnt(0) lgkmcnt(0)
	s_lshl_b32 s4, s12, 11
	v_and_b32_e32 v4, 0x3ff, v31
	s_ashr_i32 s5, s4, 31
	v_mov_b32_e32 v10, 0
	s_lshl_b64 s[6:7], s[4:5], 1
	v_mov_b32_e32 v9, 1.0
	v_lshlrev_b32_e32 v6, 4, v4
	v_add_co_u32 v2, vcc_lo, v2, s6
	v_add_co_ci_u32_e64 v3, null, s7, v3, vcc_lo
	s_mov_b32 s8, exec_lo
	v_add_co_u32 v2, vcc_lo, v2, v6
	v_add_co_ci_u32_e64 v3, null, 0, v3, vcc_lo
	flat_load_dwordx4 v[2:5], v[2:3]
	s_waitcnt vmcnt(0) lgkmcnt(0)
	v_cvt_f32_f16_e32 v7, v2
	v_cmpx_gt_f16_e32 0.5, v2
	s_cbranch_execz .LBB59_6
; %bb.1:
	v_mul_f32_e32 v8, 0x40490fdb, v7
                                        ; implicit-def: $vgpr11
                                        ; implicit-def: $vgpr10
	s_mov_b32 s5, exec_lo
	v_and_b32_e32 v9, 0x7fffffff, v8
	v_cmpx_ngt_f32_e64 0x48000000, |v8|
	s_xor_b32 s9, exec_lo, s5
	s_cbranch_execz .LBB59_3
; %bb.2:
	s_mov_b32 s4, 0x7fffff
	v_mov_b32_e32 v12, 0
	v_and_or_b32 v19, v9, s4, 0x800000
	v_lshrrev_b32_e32 v17, 23, v9
	v_mad_u64_u32 v[10:11], null, 0xfe5163ab, v19, 0
	v_add_nc_u32_e32 v18, 0xffffff88, v17
	v_cmp_lt_u32_e32 vcc_lo, 63, v18
	v_mad_u64_u32 v[13:14], null, 0x3c439041, v19, v[11:12]
	v_cndmask_b32_e64 v20, 0, 0xffffffc0, vcc_lo
	v_mov_b32_e32 v11, v14
	v_add_nc_u32_e32 v20, v20, v18
	v_mad_u64_u32 v[14:15], null, 0xdb629599, v19, v[11:12]
	v_cmp_lt_u32_e64 s4, 31, v20
	v_cndmask_b32_e64 v21, 0, 0xffffffe0, s4
	v_mov_b32_e32 v11, v15
	v_cndmask_b32_e32 v10, v14, v10, vcc_lo
	v_mad_u64_u32 v[15:16], null, 0xf534ddc0, v19, v[11:12]
	v_mov_b32_e32 v11, v16
	v_cndmask_b32_e32 v13, v15, v13, vcc_lo
	v_mad_u64_u32 v[16:17], null, 0xfc2757d1, v19, v[11:12]
	v_cndmask_b32_e64 v10, v13, v10, s4
	v_mov_b32_e32 v11, v17
	v_mad_u64_u32 v[17:18], null, 0x4e441529, v19, v[11:12]
	v_mov_b32_e32 v11, v18
	v_add_nc_u32_e32 v18, v21, v20
	v_cndmask_b32_e32 v20, v17, v15, vcc_lo
	v_mad_u64_u32 v[11:12], null, 0xa2f9836e, v19, v[11:12]
	v_cmp_lt_u32_e64 s5, 31, v18
	v_cndmask_b32_e64 v19, 0, 0xffffffe0, s5
	v_cndmask_b32_e32 v11, v11, v16, vcc_lo
	v_cndmask_b32_e32 v12, v12, v17, vcc_lo
	;; [unrolled: 1-line block ×3, first 2 shown]
	v_add_nc_u32_e32 v17, v19, v18
	v_cndmask_b32_e64 v15, v11, v20, s4
	v_cndmask_b32_e64 v11, v12, v11, s4
	;; [unrolled: 1-line block ×4, first 2 shown]
	v_sub_nc_u32_e32 v18, 32, v17
	v_cmp_eq_u32_e32 vcc_lo, 0, v17
	v_cndmask_b32_e64 v11, v11, v15, s5
	v_cndmask_b32_e64 v15, v15, v12, s5
	;; [unrolled: 1-line block ×4, first 2 shown]
	v_alignbit_b32 v19, v11, v15, v18
	v_alignbit_b32 v14, v15, v12, v18
	;; [unrolled: 1-line block ×3, first 2 shown]
	v_cndmask_b32_e32 v11, v19, v11, vcc_lo
	v_cndmask_b32_e32 v13, v14, v15, vcc_lo
	;; [unrolled: 1-line block ×3, first 2 shown]
	v_bfe_u32 v14, v11, 29, 1
	v_alignbit_b32 v15, v11, v13, 30
	v_alignbit_b32 v13, v13, v12, 30
	;; [unrolled: 1-line block ×3, first 2 shown]
	v_sub_nc_u32_e32 v16, 0, v14
	v_xor_b32_e32 v15, v15, v16
	v_xor_b32_e32 v12, v13, v16
	;; [unrolled: 1-line block ×3, first 2 shown]
	v_lshrrev_b32_e32 v16, 29, v11
	v_lshrrev_b32_e32 v11, 30, v11
	v_ffbh_u32_e32 v17, v15
	v_add_nc_u32_e32 v11, v14, v11
	v_min_u32_e32 v17, 32, v17
	v_sub_nc_u32_e32 v13, 31, v17
	v_lshlrev_b32_e32 v18, 23, v17
	v_alignbit_b32 v15, v15, v12, v13
	v_alignbit_b32 v10, v12, v10, v13
	v_lshlrev_b32_e32 v12, 31, v16
	v_alignbit_b32 v13, v15, v10, 9
	v_or_b32_e32 v16, 0.5, v12
	v_lshrrev_b32_e32 v15, 9, v15
	v_or_b32_e32 v12, 0x33000000, v12
	v_ffbh_u32_e32 v19, v13
	v_sub_nc_u32_e32 v16, v16, v18
	v_min_u32_e32 v18, 32, v19
	v_or_b32_e32 v15, v15, v16
	v_not_b32_e32 v16, v18
	v_mul_f32_e32 v19, 0x3fc90fda, v15
	v_add_lshl_u32 v17, v18, v17, 23
	v_alignbit_b32 v10, v13, v10, v16
	v_fma_f32 v13, 0x3fc90fda, v15, -v19
	v_sub_nc_u32_e32 v12, v12, v17
	v_lshrrev_b32_e32 v10, 9, v10
	v_fmamk_f32 v13, v15, 0x33a22168, v13
	v_or_b32_e32 v10, v12, v10
	v_fmac_f32_e32 v13, 0x3fc90fda, v10
	v_add_f32_e32 v10, v19, v13
.LBB59_3:
	s_andn2_saveexec_b32 s4, s9
; %bb.4:
	v_mul_f32_e64 v10, 0x3f22f983, |v8|
	v_rndne_f32_e32 v11, v10
	v_fma_f32 v10, 0xbfc90fda, v11, |v8|
	v_fmamk_f32 v10, v11, 0xb3a22168, v10
	v_fmamk_f32 v10, v11, 0xa7c234c4, v10
	v_cvt_i32_f32_e32 v11, v11
; %bb.5:
	s_or_b32 exec_lo, exec_lo, s4
	v_mul_f32_e32 v12, v10, v10
	s_mov_b32 s4, 0xb94c1982
	s_mov_b32 s5, 0x37d75334
	v_and_b32_e32 v15, 1, v11
	v_lshlrev_b32_e32 v11, 30, v11
	v_fmaak_f32 v13, s4, v12, 0x3c0881c4
	v_fmaak_f32 v14, s5, v12, 0xbab64f3b
	v_xor_b32_e32 v9, v9, v8
	v_cmp_eq_u32_e32 vcc_lo, 0, v15
	v_and_b32_e32 v11, 0x80000000, v11
	v_fmaak_f32 v13, v12, v13, 0xbe2aaa9d
	v_fmaak_f32 v14, v12, v14, 0x3d2aabf7
	v_sub_f32_e32 v7, 1.0, v7
	v_mul_f32_e32 v13, v12, v13
	v_fmaak_f32 v14, v12, v14, 0xbf000004
	v_fmac_f32_e32 v10, v10, v13
	v_fma_f32 v12, v12, v14, 1.0
	v_cndmask_b32_e32 v10, v12, v10, vcc_lo
	v_cmp_class_f32_e64 vcc_lo, v8, 0x1f8
	v_xor3_b32 v9, v9, v11, v10
	v_cndmask_b32_e32 v8, 0x7fc00000, v9, vcc_lo
	v_mul_f32_e32 v8, v8, v8
	v_div_scale_f32 v9, null, v8, v8, 0xc11de9e7
	v_div_scale_f32 v12, vcc_lo, 0xc11de9e7, v8, 0xc11de9e7
	v_rcp_f32_e32 v10, v9
	v_fma_f32 v11, -v9, v10, 1.0
	v_fmac_f32_e32 v10, v11, v10
	v_mul_f32_e32 v11, v12, v10
	v_fma_f32 v13, -v9, v11, v12
	v_fmac_f32_e32 v11, v13, v10
	v_fma_f32 v9, -v9, v11, v12
	v_div_fmas_f32 v9, v9, v10, v11
	v_div_fixup_f32 v8, v9, v8, 0xc11de9e7
	v_mov_b32_e32 v9, -1.0
	v_add_f32_e32 v10, 0, v8
.LBB59_6:
	s_or_b32 exec_lo, exec_lo, s8
	v_mov_b32_e32 v8, 0x3800
	v_cvt_f32_f16_sdwa v11, v2 dst_sel:DWORD dst_unused:UNUSED_PAD src0_sel:WORD_1
	v_mov_b32_e32 v13, 0
	v_cmp_lt_f16_sdwa s4, v2, v8 src0_sel:WORD_1 src1_sel:DWORD
	v_mov_b32_e32 v8, 1.0
	s_and_saveexec_b32 s8, s4
	s_cbranch_execz .LBB59_12
; %bb.7:
	v_mul_f32_e32 v2, 0x40490fdb, v11
                                        ; implicit-def: $vgpr13
                                        ; implicit-def: $vgpr12
	s_mov_b32 s5, exec_lo
	v_and_b32_e32 v8, 0x7fffffff, v2
	v_cmpx_ngt_f32_e64 0x48000000, |v2|
	s_xor_b32 s9, exec_lo, s5
	s_cbranch_execz .LBB59_9
; %bb.8:
	s_mov_b32 s4, 0x7fffff
	v_mov_b32_e32 v14, 0
	v_and_or_b32 v21, v8, s4, 0x800000
	v_lshrrev_b32_e32 v19, 23, v8
	v_mad_u64_u32 v[12:13], null, 0xfe5163ab, v21, 0
	v_add_nc_u32_e32 v20, 0xffffff88, v19
	v_cmp_lt_u32_e32 vcc_lo, 63, v20
	v_mad_u64_u32 v[15:16], null, 0x3c439041, v21, v[13:14]
	v_cndmask_b32_e64 v22, 0, 0xffffffc0, vcc_lo
	v_mov_b32_e32 v13, v16
	v_add_nc_u32_e32 v22, v22, v20
	v_mad_u64_u32 v[16:17], null, 0xdb629599, v21, v[13:14]
	v_cmp_lt_u32_e64 s4, 31, v22
	v_cndmask_b32_e64 v23, 0, 0xffffffe0, s4
	v_mov_b32_e32 v13, v17
	v_cndmask_b32_e32 v12, v16, v12, vcc_lo
	v_mad_u64_u32 v[17:18], null, 0xf534ddc0, v21, v[13:14]
	v_mov_b32_e32 v13, v18
	v_cndmask_b32_e32 v15, v17, v15, vcc_lo
	v_mad_u64_u32 v[18:19], null, 0xfc2757d1, v21, v[13:14]
	v_cndmask_b32_e64 v12, v15, v12, s4
	v_mov_b32_e32 v13, v19
	v_mad_u64_u32 v[19:20], null, 0x4e441529, v21, v[13:14]
	v_mov_b32_e32 v13, v20
	v_add_nc_u32_e32 v20, v23, v22
	v_cndmask_b32_e32 v22, v19, v17, vcc_lo
	v_mad_u64_u32 v[13:14], null, 0xa2f9836e, v21, v[13:14]
	v_cmp_lt_u32_e64 s5, 31, v20
	v_cndmask_b32_e64 v21, 0, 0xffffffe0, s5
	v_cndmask_b32_e32 v13, v13, v18, vcc_lo
	v_cndmask_b32_e32 v14, v14, v19, vcc_lo
	;; [unrolled: 1-line block ×3, first 2 shown]
	v_add_nc_u32_e32 v19, v21, v20
	v_cndmask_b32_e64 v17, v13, v22, s4
	v_cndmask_b32_e64 v13, v14, v13, s4
	;; [unrolled: 1-line block ×4, first 2 shown]
	v_sub_nc_u32_e32 v20, 32, v19
	v_cmp_eq_u32_e32 vcc_lo, 0, v19
	v_cndmask_b32_e64 v13, v13, v17, s5
	v_cndmask_b32_e64 v17, v17, v14, s5
	;; [unrolled: 1-line block ×4, first 2 shown]
	v_alignbit_b32 v21, v13, v17, v20
	v_alignbit_b32 v16, v17, v14, v20
	;; [unrolled: 1-line block ×3, first 2 shown]
	v_cndmask_b32_e32 v13, v21, v13, vcc_lo
	v_cndmask_b32_e32 v15, v16, v17, vcc_lo
	;; [unrolled: 1-line block ×3, first 2 shown]
	v_bfe_u32 v16, v13, 29, 1
	v_alignbit_b32 v17, v13, v15, 30
	v_alignbit_b32 v15, v15, v14, 30
	;; [unrolled: 1-line block ×3, first 2 shown]
	v_sub_nc_u32_e32 v18, 0, v16
	v_xor_b32_e32 v17, v17, v18
	v_xor_b32_e32 v14, v15, v18
	;; [unrolled: 1-line block ×3, first 2 shown]
	v_lshrrev_b32_e32 v18, 29, v13
	v_lshrrev_b32_e32 v13, 30, v13
	v_ffbh_u32_e32 v19, v17
	v_add_nc_u32_e32 v13, v16, v13
	v_min_u32_e32 v19, 32, v19
	v_sub_nc_u32_e32 v15, 31, v19
	v_lshlrev_b32_e32 v20, 23, v19
	v_alignbit_b32 v17, v17, v14, v15
	v_alignbit_b32 v12, v14, v12, v15
	v_lshlrev_b32_e32 v14, 31, v18
	v_alignbit_b32 v15, v17, v12, 9
	v_or_b32_e32 v18, 0.5, v14
	v_lshrrev_b32_e32 v17, 9, v17
	v_or_b32_e32 v14, 0x33000000, v14
	v_ffbh_u32_e32 v21, v15
	v_sub_nc_u32_e32 v18, v18, v20
	v_min_u32_e32 v20, 32, v21
	v_or_b32_e32 v17, v17, v18
	v_not_b32_e32 v18, v20
	v_mul_f32_e32 v21, 0x3fc90fda, v17
	v_add_lshl_u32 v19, v20, v19, 23
	v_alignbit_b32 v12, v15, v12, v18
	v_fma_f32 v15, 0x3fc90fda, v17, -v21
	v_sub_nc_u32_e32 v14, v14, v19
	v_lshrrev_b32_e32 v12, 9, v12
	v_fmamk_f32 v15, v17, 0x33a22168, v15
	v_or_b32_e32 v12, v14, v12
	v_fmac_f32_e32 v15, 0x3fc90fda, v12
	v_add_f32_e32 v12, v21, v15
.LBB59_9:
	s_andn2_saveexec_b32 s4, s9
; %bb.10:
	v_mul_f32_e64 v12, 0x3f22f983, |v2|
	v_rndne_f32_e32 v13, v12
	v_fma_f32 v12, 0xbfc90fda, v13, |v2|
	v_fmamk_f32 v12, v13, 0xb3a22168, v12
	v_fmamk_f32 v12, v13, 0xa7c234c4, v12
	v_cvt_i32_f32_e32 v13, v13
; %bb.11:
	s_or_b32 exec_lo, exec_lo, s4
	v_mul_f32_e32 v14, v12, v12
	s_mov_b32 s4, 0xb94c1982
	s_mov_b32 s5, 0x37d75334
	v_and_b32_e32 v17, 1, v13
	v_lshlrev_b32_e32 v13, 30, v13
	v_fmaak_f32 v15, s4, v14, 0x3c0881c4
	v_fmaak_f32 v16, s5, v14, 0xbab64f3b
	v_xor_b32_e32 v8, v8, v2
	v_cmp_eq_u32_e32 vcc_lo, 0, v17
	v_and_b32_e32 v13, 0x80000000, v13
	v_fmaak_f32 v15, v14, v15, 0xbe2aaa9d
	v_fmaak_f32 v16, v14, v16, 0x3d2aabf7
	v_sub_f32_e32 v11, 1.0, v11
	v_mul_f32_e32 v15, v14, v15
	v_fmaak_f32 v16, v14, v16, 0xbf000004
	v_fmac_f32_e32 v12, v12, v15
	v_fma_f32 v14, v14, v16, 1.0
	v_cndmask_b32_e32 v12, v14, v12, vcc_lo
	v_cmp_class_f32_e64 vcc_lo, v2, 0x1f8
	v_xor3_b32 v8, v8, v13, v12
	v_cndmask_b32_e32 v2, 0x7fc00000, v8, vcc_lo
	v_mul_f32_e32 v2, v2, v2
	v_div_scale_f32 v8, null, v2, v2, 0xc11de9e7
	v_div_scale_f32 v14, vcc_lo, 0xc11de9e7, v2, 0xc11de9e7
	v_rcp_f32_e32 v12, v8
	v_fma_f32 v13, -v8, v12, 1.0
	v_fmac_f32_e32 v12, v13, v12
	v_mul_f32_e32 v13, v14, v12
	v_fma_f32 v15, -v8, v13, v14
	v_fmac_f32_e32 v13, v15, v12
	v_fma_f32 v8, -v8, v13, v14
	v_div_fmas_f32 v8, v8, v12, v13
	v_div_fixup_f32 v2, v8, v2, 0xc11de9e7
	v_mov_b32_e32 v8, -1.0
	v_add_f32_e32 v13, 0, v2
.LBB59_12:
	s_or_b32 exec_lo, exec_lo, s8
	v_cvt_f32_f16_e32 v2, v3
	v_mov_b32_e32 v16, 0
	v_mov_b32_e32 v14, 1.0
	s_mov_b32 s8, exec_lo
	v_cmpx_gt_f16_e32 0.5, v3
	s_cbranch_execz .LBB59_18
; %bb.13:
	v_mul_f32_e32 v12, 0x40490fdb, v2
                                        ; implicit-def: $vgpr16
                                        ; implicit-def: $vgpr15
	s_mov_b32 s5, exec_lo
	v_and_b32_e32 v14, 0x7fffffff, v12
	v_cmpx_ngt_f32_e64 0x48000000, |v12|
	s_xor_b32 s9, exec_lo, s5
	s_cbranch_execz .LBB59_15
; %bb.14:
	s_mov_b32 s4, 0x7fffff
	v_mov_b32_e32 v17, 0
	v_and_or_b32 v24, v14, s4, 0x800000
	v_lshrrev_b32_e32 v22, 23, v14
	v_mad_u64_u32 v[15:16], null, 0xfe5163ab, v24, 0
	v_add_nc_u32_e32 v23, 0xffffff88, v22
	v_cmp_lt_u32_e32 vcc_lo, 63, v23
	v_mad_u64_u32 v[18:19], null, 0x3c439041, v24, v[16:17]
	v_cndmask_b32_e64 v25, 0, 0xffffffc0, vcc_lo
	v_mov_b32_e32 v16, v19
	v_add_nc_u32_e32 v25, v25, v23
	v_mad_u64_u32 v[19:20], null, 0xdb629599, v24, v[16:17]
	v_cmp_lt_u32_e64 s4, 31, v25
	v_cndmask_b32_e64 v26, 0, 0xffffffe0, s4
	v_mov_b32_e32 v16, v20
	v_cndmask_b32_e32 v15, v19, v15, vcc_lo
	v_mad_u64_u32 v[20:21], null, 0xf534ddc0, v24, v[16:17]
	v_mov_b32_e32 v16, v21
	v_cndmask_b32_e32 v18, v20, v18, vcc_lo
	v_mad_u64_u32 v[21:22], null, 0xfc2757d1, v24, v[16:17]
	v_cndmask_b32_e64 v15, v18, v15, s4
	v_mov_b32_e32 v16, v22
	v_mad_u64_u32 v[22:23], null, 0x4e441529, v24, v[16:17]
	v_mov_b32_e32 v16, v23
	v_add_nc_u32_e32 v23, v26, v25
	v_cndmask_b32_e32 v25, v22, v20, vcc_lo
	v_mad_u64_u32 v[16:17], null, 0xa2f9836e, v24, v[16:17]
	v_cmp_lt_u32_e64 s5, 31, v23
	v_cndmask_b32_e64 v24, 0, 0xffffffe0, s5
	v_cndmask_b32_e32 v16, v16, v21, vcc_lo
	v_cndmask_b32_e32 v17, v17, v22, vcc_lo
	;; [unrolled: 1-line block ×3, first 2 shown]
	v_add_nc_u32_e32 v22, v24, v23
	v_cndmask_b32_e64 v20, v16, v25, s4
	v_cndmask_b32_e64 v16, v17, v16, s4
	;; [unrolled: 1-line block ×4, first 2 shown]
	v_sub_nc_u32_e32 v23, 32, v22
	v_cmp_eq_u32_e32 vcc_lo, 0, v22
	v_cndmask_b32_e64 v16, v16, v20, s5
	v_cndmask_b32_e64 v20, v20, v17, s5
	;; [unrolled: 1-line block ×4, first 2 shown]
	v_alignbit_b32 v24, v16, v20, v23
	v_alignbit_b32 v19, v20, v17, v23
	;; [unrolled: 1-line block ×3, first 2 shown]
	v_cndmask_b32_e32 v16, v24, v16, vcc_lo
	v_cndmask_b32_e32 v18, v19, v20, vcc_lo
	;; [unrolled: 1-line block ×3, first 2 shown]
	v_bfe_u32 v19, v16, 29, 1
	v_alignbit_b32 v20, v16, v18, 30
	v_alignbit_b32 v18, v18, v17, 30
	;; [unrolled: 1-line block ×3, first 2 shown]
	v_sub_nc_u32_e32 v21, 0, v19
	v_xor_b32_e32 v20, v20, v21
	v_xor_b32_e32 v17, v18, v21
	;; [unrolled: 1-line block ×3, first 2 shown]
	v_lshrrev_b32_e32 v21, 29, v16
	v_lshrrev_b32_e32 v16, 30, v16
	v_ffbh_u32_e32 v22, v20
	v_add_nc_u32_e32 v16, v19, v16
	v_min_u32_e32 v22, 32, v22
	v_sub_nc_u32_e32 v18, 31, v22
	v_lshlrev_b32_e32 v23, 23, v22
	v_alignbit_b32 v20, v20, v17, v18
	v_alignbit_b32 v15, v17, v15, v18
	v_lshlrev_b32_e32 v17, 31, v21
	v_alignbit_b32 v18, v20, v15, 9
	v_or_b32_e32 v21, 0.5, v17
	v_lshrrev_b32_e32 v20, 9, v20
	v_or_b32_e32 v17, 0x33000000, v17
	v_ffbh_u32_e32 v24, v18
	v_sub_nc_u32_e32 v21, v21, v23
	v_min_u32_e32 v23, 32, v24
	v_or_b32_e32 v20, v20, v21
	v_not_b32_e32 v21, v23
	v_mul_f32_e32 v24, 0x3fc90fda, v20
	v_add_lshl_u32 v22, v23, v22, 23
	v_alignbit_b32 v15, v18, v15, v21
	v_fma_f32 v18, 0x3fc90fda, v20, -v24
	v_sub_nc_u32_e32 v17, v17, v22
	v_lshrrev_b32_e32 v15, 9, v15
	v_fmamk_f32 v18, v20, 0x33a22168, v18
	v_or_b32_e32 v15, v17, v15
	v_fmac_f32_e32 v18, 0x3fc90fda, v15
	v_add_f32_e32 v15, v24, v18
.LBB59_15:
	s_andn2_saveexec_b32 s4, s9
; %bb.16:
	v_mul_f32_e64 v15, 0x3f22f983, |v12|
	v_rndne_f32_e32 v16, v15
	v_fma_f32 v15, 0xbfc90fda, v16, |v12|
	v_fmamk_f32 v15, v16, 0xb3a22168, v15
	v_fmamk_f32 v15, v16, 0xa7c234c4, v15
	v_cvt_i32_f32_e32 v16, v16
; %bb.17:
	s_or_b32 exec_lo, exec_lo, s4
	v_mul_f32_e32 v17, v15, v15
	s_mov_b32 s4, 0xb94c1982
	s_mov_b32 s5, 0x37d75334
	v_and_b32_e32 v20, 1, v16
	v_lshlrev_b32_e32 v16, 30, v16
	v_fmaak_f32 v18, s4, v17, 0x3c0881c4
	v_fmaak_f32 v19, s5, v17, 0xbab64f3b
	v_xor_b32_e32 v14, v14, v12
	v_cmp_eq_u32_e32 vcc_lo, 0, v20
	v_and_b32_e32 v16, 0x80000000, v16
	v_fmaak_f32 v18, v17, v18, 0xbe2aaa9d
	v_fmaak_f32 v19, v17, v19, 0x3d2aabf7
	v_sub_f32_e32 v2, 1.0, v2
	v_mul_f32_e32 v18, v17, v18
	v_fmaak_f32 v19, v17, v19, 0xbf000004
	v_fmac_f32_e32 v15, v15, v18
	v_fma_f32 v17, v17, v19, 1.0
	v_cndmask_b32_e32 v15, v17, v15, vcc_lo
	v_cmp_class_f32_e64 vcc_lo, v12, 0x1f8
	v_xor3_b32 v14, v14, v16, v15
	v_cndmask_b32_e32 v12, 0x7fc00000, v14, vcc_lo
	v_mul_f32_e32 v12, v12, v12
	v_div_scale_f32 v14, null, v12, v12, 0xc11de9e7
	v_div_scale_f32 v17, vcc_lo, 0xc11de9e7, v12, 0xc11de9e7
	v_rcp_f32_e32 v15, v14
	v_fma_f32 v16, -v14, v15, 1.0
	v_fmac_f32_e32 v15, v16, v15
	v_mul_f32_e32 v16, v17, v15
	v_fma_f32 v18, -v14, v16, v17
	v_fmac_f32_e32 v16, v18, v15
	v_fma_f32 v14, -v14, v16, v17
	v_div_fmas_f32 v14, v14, v15, v16
	v_div_fixup_f32 v12, v14, v12, 0xc11de9e7
	v_mov_b32_e32 v14, -1.0
	v_add_f32_e32 v16, 0, v12
.LBB59_18:
	s_or_b32 exec_lo, exec_lo, s8
	v_mov_b32_e32 v12, 0x3800
	v_cvt_f32_f16_sdwa v17, v3 dst_sel:DWORD dst_unused:UNUSED_PAD src0_sel:WORD_1
	v_mov_b32_e32 v18, 0
	v_cmp_lt_f16_sdwa s4, v3, v12 src0_sel:WORD_1 src1_sel:DWORD
	v_mov_b32_e32 v12, 1.0
	s_and_saveexec_b32 s8, s4
	s_cbranch_execz .LBB59_24
; %bb.19:
	v_mul_f32_e32 v3, 0x40490fdb, v17
                                        ; implicit-def: $vgpr18
                                        ; implicit-def: $vgpr15
	s_mov_b32 s5, exec_lo
	v_and_b32_e32 v12, 0x7fffffff, v3
	v_cmpx_ngt_f32_e64 0x48000000, |v3|
	s_xor_b32 s9, exec_lo, s5
	s_cbranch_execz .LBB59_21
; %bb.20:
	s_mov_b32 s4, 0x7fffff
	v_mov_b32_e32 v20, 0
	v_and_or_b32 v15, v12, s4, 0x800000
	v_lshrrev_b32_e32 v25, 23, v12
	v_mad_u64_u32 v[18:19], null, 0xfe5163ab, v15, 0
	v_add_nc_u32_e32 v26, 0xffffff88, v25
	v_cmp_lt_u32_e32 vcc_lo, 63, v26
	v_mad_u64_u32 v[21:22], null, 0x3c439041, v15, v[19:20]
	v_cndmask_b32_e64 v27, 0, 0xffffffc0, vcc_lo
	v_mov_b32_e32 v19, v22
	v_add_nc_u32_e32 v27, v27, v26
	v_mad_u64_u32 v[22:23], null, 0xdb629599, v15, v[19:20]
	v_cmp_lt_u32_e64 s4, 31, v27
	v_cndmask_b32_e64 v28, 0, 0xffffffe0, s4
	v_mov_b32_e32 v19, v23
	v_cndmask_b32_e32 v18, v22, v18, vcc_lo
	v_mad_u64_u32 v[23:24], null, 0xf534ddc0, v15, v[19:20]
	v_mov_b32_e32 v19, v24
	v_cndmask_b32_e32 v21, v23, v21, vcc_lo
	v_mad_u64_u32 v[24:25], null, 0xfc2757d1, v15, v[19:20]
	v_cndmask_b32_e64 v18, v21, v18, s4
	v_mov_b32_e32 v19, v25
	v_mad_u64_u32 v[25:26], null, 0x4e441529, v15, v[19:20]
	v_mov_b32_e32 v19, v26
	v_add_nc_u32_e32 v26, v28, v27
	v_cndmask_b32_e32 v27, v25, v23, vcc_lo
	v_mad_u64_u32 v[19:20], null, 0xa2f9836e, v15, v[19:20]
	v_cmp_lt_u32_e64 s5, 31, v26
	v_cndmask_b32_e64 v15, 0, 0xffffffe0, s5
	v_cndmask_b32_e32 v19, v19, v24, vcc_lo
	v_cndmask_b32_e32 v20, v20, v25, vcc_lo
	;; [unrolled: 1-line block ×3, first 2 shown]
	v_add_nc_u32_e32 v15, v15, v26
	v_cndmask_b32_e64 v23, v19, v27, s4
	v_cndmask_b32_e64 v19, v20, v19, s4
	;; [unrolled: 1-line block ×4, first 2 shown]
	v_sub_nc_u32_e32 v25, 32, v15
	v_cmp_eq_u32_e32 vcc_lo, 0, v15
	v_cndmask_b32_e64 v19, v19, v23, s5
	v_cndmask_b32_e64 v23, v23, v20, s5
	;; [unrolled: 1-line block ×4, first 2 shown]
	v_alignbit_b32 v26, v19, v23, v25
	v_alignbit_b32 v22, v23, v20, v25
	;; [unrolled: 1-line block ×3, first 2 shown]
	v_cndmask_b32_e32 v15, v26, v19, vcc_lo
	v_cndmask_b32_e32 v19, v22, v23, vcc_lo
	;; [unrolled: 1-line block ×3, first 2 shown]
	v_bfe_u32 v21, v15, 29, 1
	v_alignbit_b32 v22, v15, v19, 30
	v_alignbit_b32 v19, v19, v20, 30
	;; [unrolled: 1-line block ×3, first 2 shown]
	v_sub_nc_u32_e32 v23, 0, v21
	v_xor_b32_e32 v22, v22, v23
	v_xor_b32_e32 v19, v19, v23
	;; [unrolled: 1-line block ×3, first 2 shown]
	v_lshrrev_b32_e32 v23, 29, v15
	v_ffbh_u32_e32 v24, v22
	v_min_u32_e32 v24, 32, v24
	v_sub_nc_u32_e32 v20, 31, v24
	v_lshlrev_b32_e32 v25, 23, v24
	v_alignbit_b32 v22, v22, v19, v20
	v_alignbit_b32 v18, v19, v18, v20
	v_lshlrev_b32_e32 v19, 31, v23
	v_alignbit_b32 v20, v22, v18, 9
	v_or_b32_e32 v23, 0.5, v19
	v_lshrrev_b32_e32 v22, 9, v22
	v_or_b32_e32 v19, 0x33000000, v19
	v_ffbh_u32_e32 v26, v20
	v_sub_nc_u32_e32 v23, v23, v25
	v_min_u32_e32 v25, 32, v26
	v_or_b32_e32 v22, v22, v23
	v_not_b32_e32 v23, v25
	v_mul_f32_e32 v26, 0x3fc90fda, v22
	v_add_lshl_u32 v24, v25, v24, 23
	v_alignbit_b32 v18, v20, v18, v23
	v_fma_f32 v20, 0x3fc90fda, v22, -v26
	v_sub_nc_u32_e32 v19, v19, v24
	v_lshrrev_b32_e32 v18, 9, v18
	v_fmamk_f32 v20, v22, 0x33a22168, v20
	v_or_b32_e32 v18, v19, v18
	v_fmac_f32_e32 v20, 0x3fc90fda, v18
	v_lshrrev_b32_e32 v18, 30, v15
	v_add_f32_e32 v15, v26, v20
	v_add_nc_u32_e32 v18, v21, v18
.LBB59_21:
	s_andn2_saveexec_b32 s4, s9
; %bb.22:
	v_mul_f32_e64 v15, 0x3f22f983, |v3|
	v_rndne_f32_e32 v18, v15
	v_fma_f32 v15, 0xbfc90fda, v18, |v3|
	v_fmamk_f32 v15, v18, 0xb3a22168, v15
	v_fmamk_f32 v15, v18, 0xa7c234c4, v15
	v_cvt_i32_f32_e32 v18, v18
; %bb.23:
	s_or_b32 exec_lo, exec_lo, s4
	v_mul_f32_e32 v19, v15, v15
	s_mov_b32 s4, 0xb94c1982
	s_mov_b32 s5, 0x37d75334
	v_and_b32_e32 v22, 1, v18
	v_lshlrev_b32_e32 v18, 30, v18
	v_fmaak_f32 v20, s4, v19, 0x3c0881c4
	v_fmaak_f32 v21, s5, v19, 0xbab64f3b
	v_xor_b32_e32 v12, v12, v3
	v_cmp_eq_u32_e32 vcc_lo, 0, v22
	v_and_b32_e32 v18, 0x80000000, v18
	v_fmaak_f32 v20, v19, v20, 0xbe2aaa9d
	v_fmaak_f32 v21, v19, v21, 0x3d2aabf7
	v_sub_f32_e32 v17, 1.0, v17
	v_mul_f32_e32 v20, v19, v20
	v_fmaak_f32 v21, v19, v21, 0xbf000004
	v_fmac_f32_e32 v15, v15, v20
	v_fma_f32 v19, v19, v21, 1.0
	v_cndmask_b32_e32 v15, v19, v15, vcc_lo
	v_cmp_class_f32_e64 vcc_lo, v3, 0x1f8
	v_xor3_b32 v12, v12, v18, v15
	v_cndmask_b32_e32 v3, 0x7fc00000, v12, vcc_lo
	v_mul_f32_e32 v3, v3, v3
	v_div_scale_f32 v12, null, v3, v3, 0xc11de9e7
	v_div_scale_f32 v19, vcc_lo, 0xc11de9e7, v3, 0xc11de9e7
	v_rcp_f32_e32 v15, v12
	v_fma_f32 v18, -v12, v15, 1.0
	v_fmac_f32_e32 v15, v18, v15
	v_mul_f32_e32 v18, v19, v15
	v_fma_f32 v20, -v12, v18, v19
	v_fmac_f32_e32 v18, v20, v15
	v_fma_f32 v12, -v12, v18, v19
	v_div_fmas_f32 v12, v12, v15, v18
	v_div_fixup_f32 v3, v12, v3, 0xc11de9e7
	v_mov_b32_e32 v12, -1.0
	v_add_f32_e32 v18, 0, v3
.LBB59_24:
	s_or_b32 exec_lo, exec_lo, s8
	v_cvt_f32_f16_e32 v3, v4
	v_mov_b32_e32 v23, 0
	v_mov_b32_e32 v21, 1.0
	s_mov_b32 s8, exec_lo
	v_cmpx_gt_f16_e32 0.5, v4
	s_cbranch_execz .LBB59_30
; %bb.25:
	v_mul_f32_e32 v15, 0x40490fdb, v3
                                        ; implicit-def: $vgpr21
                                        ; implicit-def: $vgpr20
	s_mov_b32 s5, exec_lo
	v_and_b32_e32 v19, 0x7fffffff, v15
	v_cmpx_ngt_f32_e64 0x48000000, |v15|
	s_xor_b32 s9, exec_lo, s5
	s_cbranch_execz .LBB59_27
; %bb.26:
	s_mov_b32 s4, 0x7fffff
	v_mov_b32_e32 v22, 0
	v_and_or_b32 v29, v19, s4, 0x800000
	v_lshrrev_b32_e32 v27, 23, v19
	v_mad_u64_u32 v[20:21], null, 0xfe5163ab, v29, 0
	v_add_nc_u32_e32 v28, 0xffffff88, v27
	v_cmp_lt_u32_e32 vcc_lo, 63, v28
	v_mad_u64_u32 v[23:24], null, 0x3c439041, v29, v[21:22]
	v_cndmask_b32_e64 v30, 0, 0xffffffc0, vcc_lo
	v_mov_b32_e32 v21, v24
	v_add_nc_u32_e32 v30, v30, v28
	v_mad_u64_u32 v[24:25], null, 0xdb629599, v29, v[21:22]
	v_cmp_lt_u32_e64 s4, 31, v30
	v_cndmask_b32_e64 v31, 0, 0xffffffe0, s4
	v_mov_b32_e32 v21, v25
	v_cndmask_b32_e32 v20, v24, v20, vcc_lo
	v_mad_u64_u32 v[25:26], null, 0xf534ddc0, v29, v[21:22]
	v_mov_b32_e32 v21, v26
	v_cndmask_b32_e32 v23, v25, v23, vcc_lo
	v_mad_u64_u32 v[26:27], null, 0xfc2757d1, v29, v[21:22]
	v_cndmask_b32_e64 v20, v23, v20, s4
	v_mov_b32_e32 v21, v27
	v_mad_u64_u32 v[27:28], null, 0x4e441529, v29, v[21:22]
	v_mov_b32_e32 v21, v28
	v_add_nc_u32_e32 v28, v31, v30
	v_cndmask_b32_e32 v30, v27, v25, vcc_lo
	v_mad_u64_u32 v[21:22], null, 0xa2f9836e, v29, v[21:22]
	v_cmp_lt_u32_e64 s5, 31, v28
	v_cndmask_b32_e64 v29, 0, 0xffffffe0, s5
	v_cndmask_b32_e32 v21, v21, v26, vcc_lo
	v_cndmask_b32_e32 v22, v22, v27, vcc_lo
	;; [unrolled: 1-line block ×3, first 2 shown]
	v_add_nc_u32_e32 v27, v29, v28
	v_cndmask_b32_e64 v25, v21, v30, s4
	v_cndmask_b32_e64 v21, v22, v21, s4
	;; [unrolled: 1-line block ×4, first 2 shown]
	v_sub_nc_u32_e32 v28, 32, v27
	v_cmp_eq_u32_e32 vcc_lo, 0, v27
	v_cndmask_b32_e64 v21, v21, v25, s5
	v_cndmask_b32_e64 v25, v25, v22, s5
	;; [unrolled: 1-line block ×4, first 2 shown]
	v_alignbit_b32 v29, v21, v25, v28
	v_alignbit_b32 v24, v25, v22, v28
	;; [unrolled: 1-line block ×3, first 2 shown]
	v_cndmask_b32_e32 v21, v29, v21, vcc_lo
	v_cndmask_b32_e32 v23, v24, v25, vcc_lo
	;; [unrolled: 1-line block ×3, first 2 shown]
	v_bfe_u32 v24, v21, 29, 1
	v_alignbit_b32 v25, v21, v23, 30
	v_alignbit_b32 v23, v23, v22, 30
	;; [unrolled: 1-line block ×3, first 2 shown]
	v_sub_nc_u32_e32 v26, 0, v24
	v_xor_b32_e32 v25, v25, v26
	v_xor_b32_e32 v22, v23, v26
	v_xor_b32_e32 v20, v20, v26
	v_lshrrev_b32_e32 v26, 29, v21
	v_lshrrev_b32_e32 v21, 30, v21
	v_ffbh_u32_e32 v27, v25
	v_add_nc_u32_e32 v21, v24, v21
	v_min_u32_e32 v27, 32, v27
	v_sub_nc_u32_e32 v23, 31, v27
	v_lshlrev_b32_e32 v28, 23, v27
	v_alignbit_b32 v25, v25, v22, v23
	v_alignbit_b32 v20, v22, v20, v23
	v_lshlrev_b32_e32 v22, 31, v26
	v_alignbit_b32 v23, v25, v20, 9
	v_or_b32_e32 v26, 0.5, v22
	v_lshrrev_b32_e32 v25, 9, v25
	v_or_b32_e32 v22, 0x33000000, v22
	v_ffbh_u32_e32 v29, v23
	v_sub_nc_u32_e32 v26, v26, v28
	v_min_u32_e32 v28, 32, v29
	v_or_b32_e32 v25, v25, v26
	v_not_b32_e32 v26, v28
	v_mul_f32_e32 v29, 0x3fc90fda, v25
	v_add_lshl_u32 v27, v28, v27, 23
	v_alignbit_b32 v20, v23, v20, v26
	v_fma_f32 v23, 0x3fc90fda, v25, -v29
	v_sub_nc_u32_e32 v22, v22, v27
	v_lshrrev_b32_e32 v20, 9, v20
	v_fmamk_f32 v23, v25, 0x33a22168, v23
	v_or_b32_e32 v20, v22, v20
	v_fmac_f32_e32 v23, 0x3fc90fda, v20
	v_add_f32_e32 v20, v29, v23
.LBB59_27:
	s_andn2_saveexec_b32 s4, s9
; %bb.28:
	v_mul_f32_e64 v20, 0x3f22f983, |v15|
	v_rndne_f32_e32 v21, v20
	v_fma_f32 v20, 0xbfc90fda, v21, |v15|
	v_fmamk_f32 v20, v21, 0xb3a22168, v20
	v_fmamk_f32 v20, v21, 0xa7c234c4, v20
	v_cvt_i32_f32_e32 v21, v21
; %bb.29:
	s_or_b32 exec_lo, exec_lo, s4
	v_mul_f32_e32 v22, v20, v20
	s_mov_b32 s4, 0xb94c1982
	s_mov_b32 s5, 0x37d75334
	v_and_b32_e32 v25, 1, v21
	v_lshlrev_b32_e32 v21, 30, v21
	v_fmaak_f32 v23, s4, v22, 0x3c0881c4
	v_fmaak_f32 v24, s5, v22, 0xbab64f3b
	v_xor_b32_e32 v19, v19, v15
	v_cmp_eq_u32_e32 vcc_lo, 0, v25
	v_and_b32_e32 v21, 0x80000000, v21
	v_fmaak_f32 v23, v22, v23, 0xbe2aaa9d
	v_fmaak_f32 v24, v22, v24, 0x3d2aabf7
	v_sub_f32_e32 v3, 1.0, v3
	v_mul_f32_e32 v23, v22, v23
	v_fmaak_f32 v24, v22, v24, 0xbf000004
	v_fmac_f32_e32 v20, v20, v23
	v_fma_f32 v22, v22, v24, 1.0
	v_cndmask_b32_e32 v20, v22, v20, vcc_lo
	v_cmp_class_f32_e64 vcc_lo, v15, 0x1f8
	v_xor3_b32 v19, v19, v21, v20
	v_cndmask_b32_e32 v15, 0x7fc00000, v19, vcc_lo
	v_mul_f32_e32 v15, v15, v15
	v_div_scale_f32 v19, null, v15, v15, 0xc11de9e7
	v_div_scale_f32 v22, vcc_lo, 0xc11de9e7, v15, 0xc11de9e7
	v_rcp_f32_e32 v20, v19
	v_fma_f32 v21, -v19, v20, 1.0
	v_fmac_f32_e32 v20, v21, v20
	v_mul_f32_e32 v21, v22, v20
	v_fma_f32 v23, -v19, v21, v22
	v_fmac_f32_e32 v21, v23, v20
	v_fma_f32 v19, -v19, v21, v22
	v_div_fmas_f32 v19, v19, v20, v21
	v_mov_b32_e32 v21, -1.0
	v_div_fixup_f32 v15, v19, v15, 0xc11de9e7
	v_add_f32_e32 v23, 0, v15
.LBB59_30:
	s_or_b32 exec_lo, exec_lo, s8
	v_mov_b32_e32 v15, 0x3800
	v_cvt_f32_f16_sdwa v24, v4 dst_sel:DWORD dst_unused:UNUSED_PAD src0_sel:WORD_1
	v_mov_b32_e32 v25, 0
	v_cmp_lt_f16_sdwa s4, v4, v15 src0_sel:WORD_1 src1_sel:DWORD
	v_mov_b32_e32 v15, 1.0
	s_and_saveexec_b32 s8, s4
	s_cbranch_execz .LBB59_36
; %bb.31:
	v_mul_f32_e32 v4, 0x40490fdb, v24
                                        ; implicit-def: $vgpr20
                                        ; implicit-def: $vgpr19
	s_mov_b32 s5, exec_lo
	v_and_b32_e32 v15, 0x7fffffff, v4
	v_cmpx_ngt_f32_e64 0x48000000, |v4|
	s_xor_b32 s9, exec_lo, s5
	s_cbranch_execz .LBB59_33
; %bb.32:
	s_mov_b32 s4, 0x7fffff
	v_mov_b32_e32 v26, 0
	v_and_or_b32 v22, v15, s4, 0x800000
	v_mad_u64_u32 v[19:20], null, 0xfe5163ab, v22, 0
	v_mov_b32_e32 v25, v20
	v_lshrrev_b32_e32 v20, 23, v15
	v_mad_u64_u32 v[27:28], null, 0x3c439041, v22, v[25:26]
	v_add_nc_u32_e32 v20, 0xffffff88, v20
	v_cmp_lt_u32_e32 vcc_lo, 63, v20
	v_mov_b32_e32 v25, v28
	v_cndmask_b32_e64 v32, 0, 0xffffffc0, vcc_lo
	v_mad_u64_u32 v[28:29], null, 0xdb629599, v22, v[25:26]
	v_add_nc_u32_e32 v20, v32, v20
	v_mov_b32_e32 v25, v29
	v_cmp_lt_u32_e64 s4, 31, v20
	v_cndmask_b32_e32 v19, v28, v19, vcc_lo
	v_mad_u64_u32 v[29:30], null, 0xf534ddc0, v22, v[25:26]
	v_cndmask_b32_e64 v33, 0, 0xffffffe0, s4
	v_add_nc_u32_e32 v20, v33, v20
	v_mov_b32_e32 v25, v30
	v_cmp_lt_u32_e64 s5, 31, v20
	v_mad_u64_u32 v[30:31], null, 0xfc2757d1, v22, v[25:26]
	v_mov_b32_e32 v25, v31
	v_mad_u64_u32 v[31:32], null, 0x4e441529, v22, v[25:26]
	v_mov_b32_e32 v25, v32
	v_cndmask_b32_e32 v32, v31, v29, vcc_lo
	v_mad_u64_u32 v[25:26], null, 0xa2f9836e, v22, v[25:26]
	v_cndmask_b32_e64 v22, 0, 0xffffffe0, s5
	v_add_nc_u32_e32 v20, v22, v20
	v_cndmask_b32_e32 v25, v25, v30, vcc_lo
	v_cndmask_b32_e32 v26, v26, v31, vcc_lo
	;; [unrolled: 1-line block ×4, first 2 shown]
	v_sub_nc_u32_e32 v29, 32, v20
	v_cndmask_b32_e64 v27, v25, v32, s4
	v_cndmask_b32_e64 v25, v26, v25, s4
	;; [unrolled: 1-line block ×4, first 2 shown]
	v_cmp_eq_u32_e32 vcc_lo, 0, v20
	v_cndmask_b32_e64 v19, v22, v19, s4
	v_cndmask_b32_e64 v25, v25, v27, s5
	;; [unrolled: 1-line block ×5, first 2 shown]
	v_alignbit_b32 v31, v25, v27, v29
	v_alignbit_b32 v28, v27, v26, v29
	v_alignbit_b32 v29, v26, v19, v29
	v_cndmask_b32_e32 v20, v31, v25, vcc_lo
	v_cndmask_b32_e32 v22, v28, v27, vcc_lo
	;; [unrolled: 1-line block ×3, first 2 shown]
	v_bfe_u32 v25, v20, 29, 1
	v_alignbit_b32 v27, v20, v22, 30
	v_alignbit_b32 v22, v22, v26, 30
	;; [unrolled: 1-line block ×3, first 2 shown]
	v_sub_nc_u32_e32 v28, 0, v25
	v_xor_b32_e32 v27, v27, v28
	v_xor_b32_e32 v22, v22, v28
	;; [unrolled: 1-line block ×3, first 2 shown]
	v_lshrrev_b32_e32 v28, 29, v20
	v_lshrrev_b32_e32 v20, 30, v20
	v_ffbh_u32_e32 v29, v27
	v_add_nc_u32_e32 v20, v25, v20
	v_min_u32_e32 v29, 32, v29
	v_sub_nc_u32_e32 v26, 31, v29
	v_lshlrev_b32_e32 v30, 23, v29
	v_alignbit_b32 v27, v27, v22, v26
	v_alignbit_b32 v19, v22, v19, v26
	v_lshlrev_b32_e32 v22, 31, v28
	v_alignbit_b32 v26, v27, v19, 9
	v_or_b32_e32 v28, 0.5, v22
	v_lshrrev_b32_e32 v27, 9, v27
	v_or_b32_e32 v22, 0x33000000, v22
	v_ffbh_u32_e32 v31, v26
	v_sub_nc_u32_e32 v28, v28, v30
	v_min_u32_e32 v30, 32, v31
	v_or_b32_e32 v27, v27, v28
	v_not_b32_e32 v28, v30
	v_mul_f32_e32 v31, 0x3fc90fda, v27
	v_add_lshl_u32 v29, v30, v29, 23
	v_alignbit_b32 v19, v26, v19, v28
	v_fma_f32 v26, 0x3fc90fda, v27, -v31
	v_sub_nc_u32_e32 v22, v22, v29
	v_lshrrev_b32_e32 v19, 9, v19
	v_fmamk_f32 v26, v27, 0x33a22168, v26
	v_or_b32_e32 v19, v22, v19
	v_fmac_f32_e32 v26, 0x3fc90fda, v19
	v_add_f32_e32 v19, v31, v26
.LBB59_33:
	s_andn2_saveexec_b32 s4, s9
; %bb.34:
	v_mul_f32_e64 v19, 0x3f22f983, |v4|
	v_rndne_f32_e32 v20, v19
	v_fma_f32 v19, 0xbfc90fda, v20, |v4|
	v_fmamk_f32 v19, v20, 0xb3a22168, v19
	v_fmamk_f32 v19, v20, 0xa7c234c4, v19
	v_cvt_i32_f32_e32 v20, v20
; %bb.35:
	s_or_b32 exec_lo, exec_lo, s4
	v_mul_f32_e32 v22, v19, v19
	s_mov_b32 s4, 0xb94c1982
	s_mov_b32 s5, 0x37d75334
	v_and_b32_e32 v27, 1, v20
	v_lshlrev_b32_e32 v20, 30, v20
	v_fmaak_f32 v25, s4, v22, 0x3c0881c4
	v_fmaak_f32 v26, s5, v22, 0xbab64f3b
	v_xor_b32_e32 v15, v15, v4
	v_cmp_eq_u32_e32 vcc_lo, 0, v27
	v_and_b32_e32 v20, 0x80000000, v20
	v_fmaak_f32 v25, v22, v25, 0xbe2aaa9d
	v_fmaak_f32 v26, v22, v26, 0x3d2aabf7
	v_sub_f32_e32 v24, 1.0, v24
	v_mul_f32_e32 v25, v22, v25
	v_fmaak_f32 v26, v22, v26, 0xbf000004
	v_fmac_f32_e32 v19, v19, v25
	v_fma_f32 v22, v22, v26, 1.0
	v_cndmask_b32_e32 v19, v22, v19, vcc_lo
	v_cmp_class_f32_e64 vcc_lo, v4, 0x1f8
	v_xor3_b32 v15, v15, v20, v19
	v_cndmask_b32_e32 v4, 0x7fc00000, v15, vcc_lo
	v_mul_f32_e32 v4, v4, v4
	v_div_scale_f32 v15, null, v4, v4, 0xc11de9e7
	v_div_scale_f32 v22, vcc_lo, 0xc11de9e7, v4, 0xc11de9e7
	v_rcp_f32_e32 v19, v15
	v_fma_f32 v20, -v15, v19, 1.0
	v_fmac_f32_e32 v19, v20, v19
	v_mul_f32_e32 v20, v22, v19
	v_fma_f32 v25, -v15, v20, v22
	v_fmac_f32_e32 v20, v25, v19
	v_fma_f32 v15, -v15, v20, v22
	v_div_fmas_f32 v15, v15, v19, v20
	v_div_fixup_f32 v4, v15, v4, 0xc11de9e7
	v_mov_b32_e32 v15, -1.0
	v_add_f32_e32 v25, 0, v4
.LBB59_36:
	s_or_b32 exec_lo, exec_lo, s8
	v_cvt_f32_f16_e32 v26, v5
	v_mov_b32_e32 v27, 0
	v_mov_b32_e32 v4, 1.0
	s_mov_b32 s8, exec_lo
	v_cmpx_gt_f16_e32 0.5, v5
	s_cbranch_execz .LBB59_42
; %bb.37:
	v_mul_f32_e32 v4, 0x40490fdb, v26
                                        ; implicit-def: $vgpr22
                                        ; implicit-def: $vgpr20
	s_mov_b32 s5, exec_lo
	v_and_b32_e32 v19, 0x7fffffff, v4
	v_cmpx_ngt_f32_e64 0x48000000, |v4|
	s_xor_b32 s9, exec_lo, s5
	s_cbranch_execz .LBB59_39
; %bb.38:
	s_mov_b32 s4, 0x7fffff
	v_mov_b32_e32 v29, 0
	v_and_or_b32 v20, v19, s4, 0x800000
	v_lshrrev_b32_e32 v22, 23, v19
	v_mad_u64_u32 v[27:28], null, 0xfe5163ab, v20, 0
	v_add_nc_u32_e32 v22, 0xffffff88, v22
	v_cmp_lt_u32_e32 vcc_lo, 63, v22
	v_mad_u64_u32 v[30:31], null, 0x3c439041, v20, v[28:29]
	v_cndmask_b32_e64 v35, 0, 0xffffffc0, vcc_lo
	v_mov_b32_e32 v28, v31
	v_add_nc_u32_e32 v22, v35, v22
	v_mad_u64_u32 v[31:32], null, 0xdb629599, v20, v[28:29]
	v_cmp_lt_u32_e64 s4, 31, v22
	v_cndmask_b32_e64 v36, 0, 0xffffffe0, s4
	v_mov_b32_e32 v28, v32
	v_cndmask_b32_e32 v27, v31, v27, vcc_lo
	v_add_nc_u32_e32 v22, v36, v22
	v_mad_u64_u32 v[32:33], null, 0xf534ddc0, v20, v[28:29]
	v_cmp_lt_u32_e64 s5, 31, v22
	v_mov_b32_e32 v28, v33
	v_mad_u64_u32 v[33:34], null, 0xfc2757d1, v20, v[28:29]
	v_mov_b32_e32 v28, v34
	v_mad_u64_u32 v[34:35], null, 0x4e441529, v20, v[28:29]
	v_mov_b32_e32 v28, v35
	v_cndmask_b32_e32 v35, v34, v32, vcc_lo
	v_mad_u64_u32 v[28:29], null, 0xa2f9836e, v20, v[28:29]
	v_cndmask_b32_e64 v20, 0, 0xffffffe0, s5
	v_add_nc_u32_e32 v20, v20, v22
	v_cndmask_b32_e32 v28, v28, v33, vcc_lo
	v_cndmask_b32_e32 v29, v29, v34, vcc_lo
	;; [unrolled: 1-line block ×4, first 2 shown]
	v_sub_nc_u32_e32 v32, 32, v20
	v_cndmask_b32_e64 v30, v28, v35, s4
	v_cndmask_b32_e64 v28, v29, v28, s4
	;; [unrolled: 1-line block ×4, first 2 shown]
	v_cmp_eq_u32_e32 vcc_lo, 0, v20
	v_cndmask_b32_e64 v22, v22, v27, s4
	v_cndmask_b32_e64 v28, v28, v30, s5
	;; [unrolled: 1-line block ×5, first 2 shown]
	v_alignbit_b32 v34, v28, v30, v32
	v_alignbit_b32 v31, v30, v29, v32
	;; [unrolled: 1-line block ×3, first 2 shown]
	v_cndmask_b32_e32 v20, v34, v28, vcc_lo
	v_cndmask_b32_e32 v27, v31, v30, vcc_lo
	;; [unrolled: 1-line block ×3, first 2 shown]
	v_bfe_u32 v28, v20, 29, 1
	v_alignbit_b32 v30, v20, v27, 30
	v_alignbit_b32 v27, v27, v29, 30
	;; [unrolled: 1-line block ×3, first 2 shown]
	v_sub_nc_u32_e32 v31, 0, v28
	v_xor_b32_e32 v30, v30, v31
	v_xor_b32_e32 v27, v27, v31
	;; [unrolled: 1-line block ×3, first 2 shown]
	v_lshrrev_b32_e32 v31, 29, v20
	v_ffbh_u32_e32 v32, v30
	v_min_u32_e32 v32, 32, v32
	v_sub_nc_u32_e32 v29, 31, v32
	v_lshlrev_b32_e32 v33, 23, v32
	v_alignbit_b32 v30, v30, v27, v29
	v_alignbit_b32 v22, v27, v22, v29
	v_lshlrev_b32_e32 v27, 31, v31
	v_alignbit_b32 v29, v30, v22, 9
	v_or_b32_e32 v31, 0.5, v27
	v_lshrrev_b32_e32 v30, 9, v30
	v_or_b32_e32 v27, 0x33000000, v27
	v_ffbh_u32_e32 v34, v29
	v_sub_nc_u32_e32 v31, v31, v33
	v_min_u32_e32 v33, 32, v34
	v_or_b32_e32 v30, v30, v31
	v_not_b32_e32 v31, v33
	v_mul_f32_e32 v34, 0x3fc90fda, v30
	v_add_lshl_u32 v32, v33, v32, 23
	v_alignbit_b32 v22, v29, v22, v31
	v_fma_f32 v29, 0x3fc90fda, v30, -v34
	v_sub_nc_u32_e32 v27, v27, v32
	v_lshrrev_b32_e32 v22, 9, v22
	v_fmamk_f32 v29, v30, 0x33a22168, v29
	v_or_b32_e32 v22, v27, v22
	v_fmac_f32_e32 v29, 0x3fc90fda, v22
	v_lshrrev_b32_e32 v22, 30, v20
	v_add_f32_e32 v20, v34, v29
	v_add_nc_u32_e32 v22, v28, v22
.LBB59_39:
	s_andn2_saveexec_b32 s4, s9
; %bb.40:
	v_mul_f32_e64 v20, 0x3f22f983, |v4|
	v_rndne_f32_e32 v22, v20
	v_fma_f32 v20, 0xbfc90fda, v22, |v4|
	v_fmamk_f32 v20, v22, 0xb3a22168, v20
	v_fmamk_f32 v20, v22, 0xa7c234c4, v20
	v_cvt_i32_f32_e32 v22, v22
; %bb.41:
	s_or_b32 exec_lo, exec_lo, s4
	v_mul_f32_e32 v27, v20, v20
	s_mov_b32 s4, 0xb94c1982
	s_mov_b32 s5, 0x37d75334
	v_and_b32_e32 v30, 1, v22
	v_lshlrev_b32_e32 v22, 30, v22
	v_fmaak_f32 v28, s4, v27, 0x3c0881c4
	v_fmaak_f32 v29, s5, v27, 0xbab64f3b
	v_xor_b32_e32 v19, v19, v4
	v_cmp_eq_u32_e32 vcc_lo, 0, v30
	v_and_b32_e32 v22, 0x80000000, v22
	v_fmaak_f32 v28, v27, v28, 0xbe2aaa9d
	v_fmaak_f32 v29, v27, v29, 0x3d2aabf7
	v_sub_f32_e32 v26, 1.0, v26
	v_mul_f32_e32 v28, v27, v28
	v_fmaak_f32 v29, v27, v29, 0xbf000004
	v_fmac_f32_e32 v20, v20, v28
	v_fma_f32 v27, v27, v29, 1.0
	v_cndmask_b32_e32 v20, v27, v20, vcc_lo
	v_cmp_class_f32_e64 vcc_lo, v4, 0x1f8
	v_xor3_b32 v19, v19, v22, v20
	v_cndmask_b32_e32 v4, 0x7fc00000, v19, vcc_lo
	v_mul_f32_e32 v4, v4, v4
	v_div_scale_f32 v19, null, v4, v4, 0xc11de9e7
	v_div_scale_f32 v27, vcc_lo, 0xc11de9e7, v4, 0xc11de9e7
	v_rcp_f32_e32 v20, v19
	v_fma_f32 v22, -v19, v20, 1.0
	v_fmac_f32_e32 v20, v22, v20
	v_mul_f32_e32 v22, v27, v20
	v_fma_f32 v28, -v19, v22, v27
	v_fmac_f32_e32 v22, v28, v20
	v_fma_f32 v19, -v19, v22, v27
	v_div_fmas_f32 v19, v19, v20, v22
	v_div_fixup_f32 v4, v19, v4, 0xc11de9e7
	v_add_f32_e32 v27, 0, v4
	v_mov_b32_e32 v4, -1.0
.LBB59_42:
	s_or_b32 exec_lo, exec_lo, s8
	v_mov_b32_e32 v19, 0x3800
	v_cvt_f32_f16_sdwa v20, v5 dst_sel:DWORD dst_unused:UNUSED_PAD src0_sel:WORD_1
	v_mov_b32_e32 v22, 0
	v_cmp_lt_f16_sdwa s4, v5, v19 src0_sel:WORD_1 src1_sel:DWORD
	v_mov_b32_e32 v19, 1.0
	s_and_saveexec_b32 s8, s4
	s_cbranch_execz .LBB59_48
; %bb.43:
	v_mul_f32_e32 v5, 0x40490fdb, v20
                                        ; implicit-def: $vgpr28
                                        ; implicit-def: $vgpr22
	s_mov_b32 s5, exec_lo
	v_and_b32_e32 v19, 0x7fffffff, v5
	v_cmpx_ngt_f32_e64 0x48000000, |v5|
	s_xor_b32 s9, exec_lo, s5
	s_cbranch_execz .LBB59_45
; %bb.44:
	s_mov_b32 s4, 0x7fffff
	v_mov_b32_e32 v30, 0
	v_and_or_b32 v22, v19, s4, 0x800000
	v_lshrrev_b32_e32 v35, 23, v19
	v_mad_u64_u32 v[28:29], null, 0xfe5163ab, v22, 0
	v_add_nc_u32_e32 v36, 0xffffff88, v35
	v_cmp_lt_u32_e32 vcc_lo, 63, v36
	v_mad_u64_u32 v[31:32], null, 0x3c439041, v22, v[29:30]
	v_cndmask_b32_e64 v37, 0, 0xffffffc0, vcc_lo
	v_mov_b32_e32 v29, v32
	v_add_nc_u32_e32 v37, v37, v36
	v_mad_u64_u32 v[32:33], null, 0xdb629599, v22, v[29:30]
	v_cmp_lt_u32_e64 s4, 31, v37
	v_cndmask_b32_e64 v38, 0, 0xffffffe0, s4
	v_mov_b32_e32 v29, v33
	v_cndmask_b32_e32 v28, v32, v28, vcc_lo
	v_mad_u64_u32 v[33:34], null, 0xf534ddc0, v22, v[29:30]
	v_mov_b32_e32 v29, v34
	v_cndmask_b32_e32 v31, v33, v31, vcc_lo
	v_mad_u64_u32 v[34:35], null, 0xfc2757d1, v22, v[29:30]
	v_cndmask_b32_e64 v28, v31, v28, s4
	v_mov_b32_e32 v29, v35
	v_mad_u64_u32 v[35:36], null, 0x4e441529, v22, v[29:30]
	v_mov_b32_e32 v29, v36
	v_add_nc_u32_e32 v36, v38, v37
	v_cndmask_b32_e32 v37, v35, v33, vcc_lo
	v_mad_u64_u32 v[29:30], null, 0xa2f9836e, v22, v[29:30]
	v_cmp_lt_u32_e64 s5, 31, v36
	v_cndmask_b32_e64 v22, 0, 0xffffffe0, s5
	v_cndmask_b32_e32 v29, v29, v34, vcc_lo
	v_cndmask_b32_e32 v30, v30, v35, vcc_lo
	;; [unrolled: 1-line block ×3, first 2 shown]
	v_add_nc_u32_e32 v22, v22, v36
	v_cndmask_b32_e64 v33, v29, v37, s4
	v_cndmask_b32_e64 v29, v30, v29, s4
	;; [unrolled: 1-line block ×4, first 2 shown]
	v_sub_nc_u32_e32 v35, 32, v22
	v_cmp_eq_u32_e32 vcc_lo, 0, v22
	v_cndmask_b32_e64 v29, v29, v33, s5
	v_cndmask_b32_e64 v33, v33, v30, s5
	;; [unrolled: 1-line block ×4, first 2 shown]
	v_alignbit_b32 v36, v29, v33, v35
	v_alignbit_b32 v32, v33, v30, v35
	;; [unrolled: 1-line block ×3, first 2 shown]
	v_cndmask_b32_e32 v22, v36, v29, vcc_lo
	v_cndmask_b32_e32 v29, v32, v33, vcc_lo
	;; [unrolled: 1-line block ×3, first 2 shown]
	v_bfe_u32 v31, v22, 29, 1
	v_alignbit_b32 v32, v22, v29, 30
	v_alignbit_b32 v29, v29, v30, 30
	v_alignbit_b32 v28, v30, v28, 30
	v_sub_nc_u32_e32 v33, 0, v31
	v_xor_b32_e32 v32, v32, v33
	v_xor_b32_e32 v29, v29, v33
	;; [unrolled: 1-line block ×3, first 2 shown]
	v_lshrrev_b32_e32 v33, 29, v22
	v_ffbh_u32_e32 v34, v32
	v_min_u32_e32 v34, 32, v34
	v_sub_nc_u32_e32 v30, 31, v34
	v_lshlrev_b32_e32 v35, 23, v34
	v_alignbit_b32 v32, v32, v29, v30
	v_alignbit_b32 v28, v29, v28, v30
	v_lshlrev_b32_e32 v29, 31, v33
	v_alignbit_b32 v30, v32, v28, 9
	v_or_b32_e32 v33, 0.5, v29
	v_lshrrev_b32_e32 v32, 9, v32
	v_or_b32_e32 v29, 0x33000000, v29
	v_ffbh_u32_e32 v36, v30
	v_sub_nc_u32_e32 v33, v33, v35
	v_min_u32_e32 v35, 32, v36
	v_or_b32_e32 v32, v32, v33
	v_not_b32_e32 v33, v35
	v_mul_f32_e32 v36, 0x3fc90fda, v32
	v_add_lshl_u32 v34, v35, v34, 23
	v_alignbit_b32 v28, v30, v28, v33
	v_fma_f32 v30, 0x3fc90fda, v32, -v36
	v_sub_nc_u32_e32 v29, v29, v34
	v_lshrrev_b32_e32 v28, 9, v28
	v_fmamk_f32 v30, v32, 0x33a22168, v30
	v_or_b32_e32 v28, v29, v28
	v_fmac_f32_e32 v30, 0x3fc90fda, v28
	v_lshrrev_b32_e32 v28, 30, v22
	v_add_f32_e32 v22, v36, v30
	v_add_nc_u32_e32 v28, v31, v28
.LBB59_45:
	s_andn2_saveexec_b32 s4, s9
; %bb.46:
	v_mul_f32_e64 v22, 0x3f22f983, |v5|
	v_rndne_f32_e32 v28, v22
	v_fma_f32 v22, 0xbfc90fda, v28, |v5|
	v_fmamk_f32 v22, v28, 0xb3a22168, v22
	v_fmamk_f32 v22, v28, 0xa7c234c4, v22
	v_cvt_i32_f32_e32 v28, v28
; %bb.47:
	s_or_b32 exec_lo, exec_lo, s4
	v_mul_f32_e32 v29, v22, v22
	s_mov_b32 s4, 0xb94c1982
	s_mov_b32 s5, 0x37d75334
	v_and_b32_e32 v32, 1, v28
	v_lshlrev_b32_e32 v28, 30, v28
	v_fmaak_f32 v30, s4, v29, 0x3c0881c4
	v_fmaak_f32 v31, s5, v29, 0xbab64f3b
	v_xor_b32_e32 v19, v19, v5
	v_cmp_eq_u32_e32 vcc_lo, 0, v32
	v_and_b32_e32 v28, 0x80000000, v28
	v_fmaak_f32 v30, v29, v30, 0xbe2aaa9d
	v_fmaak_f32 v31, v29, v31, 0x3d2aabf7
	v_sub_f32_e32 v20, 1.0, v20
	v_mul_f32_e32 v30, v29, v30
	v_fmaak_f32 v31, v29, v31, 0xbf000004
	v_fmac_f32_e32 v22, v22, v30
	v_fma_f32 v29, v29, v31, 1.0
	v_cndmask_b32_e32 v22, v29, v22, vcc_lo
	v_cmp_class_f32_e64 vcc_lo, v5, 0x1f8
	v_xor3_b32 v19, v19, v28, v22
	v_cndmask_b32_e32 v5, 0x7fc00000, v19, vcc_lo
	v_mul_f32_e32 v5, v5, v5
	v_div_scale_f32 v19, null, v5, v5, 0xc11de9e7
	v_div_scale_f32 v29, vcc_lo, 0xc11de9e7, v5, 0xc11de9e7
	v_rcp_f32_e32 v22, v19
	v_fma_f32 v28, -v19, v22, 1.0
	v_fmac_f32_e32 v22, v28, v22
	v_mul_f32_e32 v28, v29, v22
	v_fma_f32 v30, -v19, v28, v29
	v_fmac_f32_e32 v28, v30, v22
	v_fma_f32 v19, -v19, v28, v29
	v_div_fmas_f32 v19, v19, v22, v28
	v_div_fixup_f32 v5, v19, v5, 0xc11de9e7
	v_mov_b32_e32 v19, -1.0
	v_add_f32_e32 v22, 0, v5
.LBB59_48:
	s_or_b32 exec_lo, exec_lo, s8
	v_mul_f32_e32 v5, v26, v26
	v_add_f32_e32 v26, 1.0, v26
	s_mov_b32 s4, 0xbcc30c31
	v_div_scale_f32 v28, null, v5, v5, 1.0
	v_rcp_f32_e32 v29, v28
	v_fma_f32 v30, -v28, v29, 1.0
	v_fmac_f32_e32 v29, v30, v29
	v_div_scale_f32 v30, vcc_lo, 1.0, v5, 1.0
	v_mul_f32_e32 v31, v30, v29
	v_fma_f32 v32, -v28, v31, v30
	v_fmac_f32_e32 v31, v32, v29
	v_fma_f32 v28, -v28, v31, v30
	v_div_fmas_f32 v28, v28, v29, v31
	v_div_fixup_f32 v5, v28, v5, 1.0
	v_add_f32_e32 v5, v27, v5
	v_mul_f32_e32 v27, v26, v26
	v_add_f32_e32 v26, 1.0, v26
	v_div_scale_f32 v28, null, v27, v27, 1.0
	v_rcp_f32_e32 v29, v28
	v_fma_f32 v30, -v28, v29, 1.0
	v_fmac_f32_e32 v29, v30, v29
	v_div_scale_f32 v30, vcc_lo, 1.0, v27, 1.0
	v_mul_f32_e32 v31, v30, v29
	v_fma_f32 v32, -v28, v31, v30
	v_fmac_f32_e32 v31, v32, v29
	v_fma_f32 v28, -v28, v31, v30
	v_div_fmas_f32 v28, v28, v29, v31
	v_div_fixup_f32 v27, v28, v27, 1.0
	v_add_f32_e32 v5, v5, v27
	v_mul_f32_e32 v27, v26, v26
	v_add_f32_e32 v26, 1.0, v26
	;; [unrolled: 14-line block ×5, first 2 shown]
	v_div_scale_f32 v28, null, v27, v27, 1.0
	v_rcp_f32_e32 v29, v28
	v_fma_f32 v30, -v28, v29, 1.0
	v_fmac_f32_e32 v29, v30, v29
	v_div_scale_f32 v30, vcc_lo, 1.0, v27, 1.0
	v_mul_f32_e32 v31, v30, v29
	v_fma_f32 v32, -v28, v31, v30
	v_fmac_f32_e32 v31, v32, v29
	v_fma_f32 v28, -v28, v31, v30
	v_div_fmas_f32 v28, v28, v29, v31
	v_div_fixup_f32 v27, v28, v27, 1.0
	v_add_f32_e32 v5, v5, v27
	v_add_f32_e32 v27, v26, v26
	v_div_scale_f32 v28, null, v27, v27, 1.0
	v_rcp_f32_e32 v29, v28
	v_fma_f32 v30, -v28, v29, 1.0
	v_fmac_f32_e32 v29, v30, v29
	v_div_scale_f32 v30, vcc_lo, 1.0, v27, 1.0
	v_mul_f32_e32 v31, v30, v29
	v_fma_f32 v32, -v28, v31, v30
	v_fmac_f32_e32 v31, v32, v29
	v_fma_f32 v28, -v28, v31, v30
	v_div_fmas_f32 v28, v28, v29, v31
	v_div_fixup_f32 v27, v28, v27, 1.0
	v_mul_f32_e32 v28, v26, v26
	v_add_f32_e32 v27, 1.0, v27
	v_div_scale_f32 v29, null, v28, v28, 1.0
	v_rcp_f32_e32 v30, v29
	v_fma_f32 v31, -v29, v30, 1.0
	v_fmac_f32_e32 v30, v31, v30
	v_div_scale_f32 v31, vcc_lo, 1.0, v28, 1.0
	v_mul_f32_e32 v32, v31, v30
	v_fma_f32 v33, -v29, v32, v31
	v_fmac_f32_e32 v32, v33, v30
	v_fma_f32 v29, -v29, v32, v31
	v_div_fmas_f32 v29, v29, v30, v32
	v_div_fixup_f32 v28, v29, v28, 1.0
	v_fmaak_f32 v29, s4, v28, 0x3d088889
	v_fma_f32 v29, -v28, v29, 0x3e2aaaab
	v_fmac_f32_e32 v27, v28, v29
	v_div_scale_f32 v28, null, v26, v26, v27
	v_rcp_f32_e32 v29, v28
	v_fma_f32 v30, -v28, v29, 1.0
	v_fmac_f32_e32 v29, v30, v29
	v_div_scale_f32 v30, vcc_lo, v27, v26, v27
	v_mul_f32_e32 v31, v30, v29
	v_fma_f32 v32, -v28, v31, v30
	v_fmac_f32_e32 v31, v32, v29
	v_fma_f32 v28, -v28, v31, v30
	v_div_fmas_f32 v28, v28, v29, v31
	v_div_fixup_f32 v26, v28, v26, v27
	v_add_f32_e32 v5, v5, v26
	v_fma_mixlo_f16 v5, v4, v5, 0
	v_mul_f32_e32 v4, v24, v24
	v_add_f32_e32 v24, 1.0, v24
	v_div_scale_f32 v26, null, v4, v4, 1.0
	v_rcp_f32_e32 v27, v26
	v_fma_f32 v28, -v26, v27, 1.0
	v_fmac_f32_e32 v27, v28, v27
	v_div_scale_f32 v28, vcc_lo, 1.0, v4, 1.0
	v_mul_f32_e32 v29, v28, v27
	v_fma_f32 v30, -v26, v29, v28
	v_fmac_f32_e32 v29, v30, v27
	v_fma_f32 v26, -v26, v29, v28
	v_div_fmas_f32 v26, v26, v27, v29
	v_div_fixup_f32 v4, v26, v4, 1.0
	v_add_f32_e32 v4, v25, v4
	v_mul_f32_e32 v25, v24, v24
	v_add_f32_e32 v24, 1.0, v24
	v_div_scale_f32 v26, null, v25, v25, 1.0
	v_rcp_f32_e32 v27, v26
	v_fma_f32 v28, -v26, v27, 1.0
	v_fmac_f32_e32 v27, v28, v27
	v_div_scale_f32 v28, vcc_lo, 1.0, v25, 1.0
	v_mul_f32_e32 v29, v28, v27
	v_fma_f32 v30, -v26, v29, v28
	v_fmac_f32_e32 v29, v30, v27
	v_fma_f32 v26, -v26, v29, v28
	v_div_fmas_f32 v26, v26, v27, v29
	v_div_fixup_f32 v25, v26, v25, 1.0
	v_add_f32_e32 v4, v4, v25
	;; [unrolled: 14-line block ×6, first 2 shown]
	v_add_f32_e32 v25, v24, v24
	v_div_scale_f32 v26, null, v25, v25, 1.0
	v_rcp_f32_e32 v27, v26
	v_fma_f32 v28, -v26, v27, 1.0
	v_fmac_f32_e32 v27, v28, v27
	v_div_scale_f32 v28, vcc_lo, 1.0, v25, 1.0
	v_mul_f32_e32 v29, v28, v27
	v_fma_f32 v30, -v26, v29, v28
	v_fmac_f32_e32 v29, v30, v27
	v_fma_f32 v26, -v26, v29, v28
	v_div_fmas_f32 v26, v26, v27, v29
	v_div_fixup_f32 v25, v26, v25, 1.0
	v_mul_f32_e32 v26, v24, v24
	v_add_f32_e32 v25, 1.0, v25
	v_div_scale_f32 v27, null, v26, v26, 1.0
	v_rcp_f32_e32 v28, v27
	v_fma_f32 v29, -v27, v28, 1.0
	v_fmac_f32_e32 v28, v29, v28
	v_div_scale_f32 v29, vcc_lo, 1.0, v26, 1.0
	v_mul_f32_e32 v30, v29, v28
	v_fma_f32 v31, -v27, v30, v29
	v_fmac_f32_e32 v30, v31, v28
	v_fma_f32 v27, -v27, v30, v29
	v_div_fmas_f32 v27, v27, v28, v30
	v_div_fixup_f32 v26, v27, v26, 1.0
	v_fmaak_f32 v27, s4, v26, 0x3d088889
	v_fma_f32 v27, -v26, v27, 0x3e2aaaab
	v_fmac_f32_e32 v25, v26, v27
	v_div_scale_f32 v26, null, v24, v24, v25
	v_rcp_f32_e32 v27, v26
	v_fma_f32 v28, -v26, v27, 1.0
	v_fmac_f32_e32 v27, v28, v27
	v_div_scale_f32 v28, vcc_lo, v25, v24, v25
	v_mul_f32_e32 v29, v28, v27
	v_fma_f32 v30, -v26, v29, v28
	v_fmac_f32_e32 v29, v30, v27
	v_fma_f32 v26, -v26, v29, v28
	v_div_fmas_f32 v26, v26, v27, v29
	v_div_fixup_f32 v24, v26, v24, v25
	v_add_f32_e32 v24, v4, v24
	v_mul_f32_e32 v4, v3, v3
	v_add_f32_e32 v3, 1.0, v3
	v_div_scale_f32 v25, null, v4, v4, 1.0
	v_rcp_f32_e32 v26, v25
	v_fma_f32 v27, -v25, v26, 1.0
	v_fmac_f32_e32 v26, v27, v26
	v_div_scale_f32 v27, vcc_lo, 1.0, v4, 1.0
	v_mul_f32_e32 v28, v27, v26
	v_fma_f32 v29, -v25, v28, v27
	v_fmac_f32_e32 v28, v29, v26
	v_fma_f32 v25, -v25, v28, v27
	v_div_fmas_f32 v25, v25, v26, v28
	v_div_fixup_f32 v4, v25, v4, 1.0
	v_add_f32_e32 v4, v23, v4
	v_mul_f32_e32 v23, v3, v3
	v_add_f32_e32 v3, 1.0, v3
	v_div_scale_f32 v25, null, v23, v23, 1.0
	v_rcp_f32_e32 v26, v25
	v_fma_f32 v27, -v25, v26, 1.0
	v_fmac_f32_e32 v26, v27, v26
	v_div_scale_f32 v27, vcc_lo, 1.0, v23, 1.0
	v_mul_f32_e32 v28, v27, v26
	v_fma_f32 v29, -v25, v28, v27
	v_fmac_f32_e32 v28, v29, v26
	v_fma_f32 v25, -v25, v28, v27
	v_div_fmas_f32 v25, v25, v26, v28
	v_div_fixup_f32 v23, v25, v23, 1.0
	;; [unrolled: 14-line block ×6, first 2 shown]
	v_add_f32_e32 v4, v4, v23
	v_add_f32_e32 v23, v3, v3
	v_div_scale_f32 v25, null, v23, v23, 1.0
	v_rcp_f32_e32 v26, v25
	v_fma_f32 v27, -v25, v26, 1.0
	v_fmac_f32_e32 v26, v27, v26
	v_div_scale_f32 v27, vcc_lo, 1.0, v23, 1.0
	v_mul_f32_e32 v28, v27, v26
	v_fma_f32 v29, -v25, v28, v27
	v_fmac_f32_e32 v28, v29, v26
	v_fma_f32 v25, -v25, v28, v27
	v_div_fmas_f32 v25, v25, v26, v28
	v_div_fixup_f32 v23, v25, v23, 1.0
	v_mul_f32_e32 v25, v3, v3
	v_add_f32_e32 v23, 1.0, v23
	v_div_scale_f32 v26, null, v25, v25, 1.0
	v_rcp_f32_e32 v27, v26
	v_fma_f32 v28, -v26, v27, 1.0
	v_fmac_f32_e32 v27, v28, v27
	v_div_scale_f32 v28, vcc_lo, 1.0, v25, 1.0
	v_mul_f32_e32 v29, v28, v27
	v_fma_f32 v30, -v26, v29, v28
	v_fmac_f32_e32 v29, v30, v27
	v_fma_f32 v26, -v26, v29, v28
	v_div_fmas_f32 v26, v26, v27, v29
	v_div_fixup_f32 v25, v26, v25, 1.0
	v_fmaak_f32 v26, s4, v25, 0x3d088889
	v_fma_f32 v26, -v25, v26, 0x3e2aaaab
	v_fmac_f32_e32 v23, v25, v26
	v_div_scale_f32 v25, null, v3, v3, v23
	v_rcp_f32_e32 v26, v25
	v_fma_f32 v27, -v25, v26, 1.0
	v_fmac_f32_e32 v26, v27, v26
	v_div_scale_f32 v27, vcc_lo, v23, v3, v23
	v_mul_f32_e32 v28, v27, v26
	v_fma_f32 v29, -v25, v28, v27
	v_fmac_f32_e32 v28, v29, v26
	v_fma_f32 v25, -v25, v28, v27
	v_div_fmas_f32 v25, v25, v26, v28
	v_div_fixup_f32 v3, v25, v3, v23
	v_add_f32_e32 v3, v4, v3
	v_fma_mixlo_f16 v4, v21, v3, 0
	v_mul_f32_e32 v3, v17, v17
	v_add_f32_e32 v17, 1.0, v17
	v_fma_mixhi_f16 v4, v15, v24, 0
	v_div_scale_f32 v21, null, v3, v3, 1.0
	v_rcp_f32_e32 v23, v21
	v_fma_f32 v25, -v21, v23, 1.0
	v_fmac_f32_e32 v23, v25, v23
	v_div_scale_f32 v25, vcc_lo, 1.0, v3, 1.0
	v_mul_f32_e32 v26, v25, v23
	v_fma_f32 v27, -v21, v26, v25
	v_fmac_f32_e32 v26, v27, v23
	v_fma_f32 v21, -v21, v26, v25
	v_div_fmas_f32 v21, v21, v23, v26
	v_div_fixup_f32 v3, v21, v3, 1.0
	v_add_f32_e32 v3, v18, v3
	v_mul_f32_e32 v18, v17, v17
	v_add_f32_e32 v17, 1.0, v17
	v_div_scale_f32 v21, null, v18, v18, 1.0
	v_rcp_f32_e32 v23, v21
	v_fma_f32 v25, -v21, v23, 1.0
	v_fmac_f32_e32 v23, v25, v23
	v_div_scale_f32 v25, vcc_lo, 1.0, v18, 1.0
	v_mul_f32_e32 v26, v25, v23
	v_fma_f32 v27, -v21, v26, v25
	v_fmac_f32_e32 v26, v27, v23
	v_fma_f32 v21, -v21, v26, v25
	v_div_fmas_f32 v21, v21, v23, v26
	v_div_fixup_f32 v18, v21, v18, 1.0
	v_add_f32_e32 v3, v3, v18
	v_mul_f32_e32 v18, v17, v17
	v_add_f32_e32 v17, 1.0, v17
	;; [unrolled: 14-line block ×5, first 2 shown]
	v_div_scale_f32 v21, null, v18, v18, 1.0
	v_rcp_f32_e32 v23, v21
	v_fma_f32 v25, -v21, v23, 1.0
	v_fmac_f32_e32 v23, v25, v23
	v_div_scale_f32 v25, vcc_lo, 1.0, v18, 1.0
	v_mul_f32_e32 v26, v25, v23
	v_fma_f32 v27, -v21, v26, v25
	v_fmac_f32_e32 v26, v27, v23
	v_fma_f32 v21, -v21, v26, v25
	v_div_fmas_f32 v21, v21, v23, v26
	v_div_fixup_f32 v18, v21, v18, 1.0
	v_add_f32_e32 v3, v3, v18
	v_add_f32_e32 v18, v17, v17
	v_div_scale_f32 v21, null, v18, v18, 1.0
	v_rcp_f32_e32 v23, v21
	v_fma_f32 v25, -v21, v23, 1.0
	v_fmac_f32_e32 v23, v25, v23
	v_div_scale_f32 v25, vcc_lo, 1.0, v18, 1.0
	v_mul_f32_e32 v26, v25, v23
	v_fma_f32 v27, -v21, v26, v25
	v_fmac_f32_e32 v26, v27, v23
	v_fma_f32 v21, -v21, v26, v25
	v_div_fmas_f32 v21, v21, v23, v26
	v_div_fixup_f32 v18, v21, v18, 1.0
	v_mul_f32_e32 v21, v17, v17
	v_add_f32_e32 v18, 1.0, v18
	v_div_scale_f32 v23, null, v21, v21, 1.0
	v_rcp_f32_e32 v25, v23
	v_fma_f32 v26, -v23, v25, 1.0
	v_fmac_f32_e32 v25, v26, v25
	v_div_scale_f32 v26, vcc_lo, 1.0, v21, 1.0
	v_mul_f32_e32 v27, v26, v25
	v_fma_f32 v28, -v23, v27, v26
	v_fmac_f32_e32 v27, v28, v25
	v_fma_f32 v23, -v23, v27, v26
	v_div_fmas_f32 v23, v23, v25, v27
	v_div_fixup_f32 v21, v23, v21, 1.0
	v_fmaak_f32 v23, s4, v21, 0x3d088889
	v_fma_f32 v23, -v21, v23, 0x3e2aaaab
	v_fmac_f32_e32 v18, v21, v23
	v_div_scale_f32 v21, null, v17, v17, v18
	v_rcp_f32_e32 v23, v21
	v_fma_f32 v25, -v21, v23, 1.0
	v_fmac_f32_e32 v23, v25, v23
	v_div_scale_f32 v25, vcc_lo, v18, v17, v18
	v_mul_f32_e32 v26, v25, v23
	v_fma_f32 v27, -v21, v26, v25
	v_fmac_f32_e32 v26, v27, v23
	v_fma_f32 v21, -v21, v26, v25
	v_div_fmas_f32 v21, v21, v23, v26
	v_div_fixup_f32 v17, v21, v17, v18
	v_add_f32_e32 v17, v3, v17
	v_mul_f32_e32 v3, v2, v2
	v_add_f32_e32 v2, 1.0, v2
	v_div_scale_f32 v18, null, v3, v3, 1.0
	v_rcp_f32_e32 v21, v18
	v_fma_f32 v23, -v18, v21, 1.0
	v_fmac_f32_e32 v21, v23, v21
	v_div_scale_f32 v23, vcc_lo, 1.0, v3, 1.0
	v_mul_f32_e32 v25, v23, v21
	v_fma_f32 v26, -v18, v25, v23
	v_fmac_f32_e32 v25, v26, v21
	v_fma_f32 v18, -v18, v25, v23
	v_div_fmas_f32 v18, v18, v21, v25
	v_div_fixup_f32 v3, v18, v3, 1.0
	v_add_f32_e32 v3, v16, v3
	v_mul_f32_e32 v16, v2, v2
	v_add_f32_e32 v2, 1.0, v2
	v_div_scale_f32 v18, null, v16, v16, 1.0
	v_rcp_f32_e32 v21, v18
	v_fma_f32 v23, -v18, v21, 1.0
	v_fmac_f32_e32 v21, v23, v21
	v_div_scale_f32 v23, vcc_lo, 1.0, v16, 1.0
	v_mul_f32_e32 v25, v23, v21
	v_fma_f32 v26, -v18, v25, v23
	v_fmac_f32_e32 v25, v26, v21
	v_fma_f32 v18, -v18, v25, v23
	v_div_fmas_f32 v18, v18, v21, v25
	v_div_fixup_f32 v16, v18, v16, 1.0
	;; [unrolled: 14-line block ×6, first 2 shown]
	v_add_f32_e32 v3, v3, v16
	v_add_f32_e32 v16, v2, v2
	v_div_scale_f32 v18, null, v16, v16, 1.0
	v_rcp_f32_e32 v21, v18
	v_fma_f32 v23, -v18, v21, 1.0
	v_fmac_f32_e32 v21, v23, v21
	v_div_scale_f32 v23, vcc_lo, 1.0, v16, 1.0
	v_mul_f32_e32 v25, v23, v21
	v_fma_f32 v26, -v18, v25, v23
	v_fmac_f32_e32 v25, v26, v21
	v_fma_f32 v18, -v18, v25, v23
	v_div_fmas_f32 v18, v18, v21, v25
	v_div_fixup_f32 v16, v18, v16, 1.0
	v_mul_f32_e32 v18, v2, v2
	v_add_f32_e32 v16, 1.0, v16
	v_div_scale_f32 v21, null, v18, v18, 1.0
	v_rcp_f32_e32 v23, v21
	v_fma_f32 v25, -v21, v23, 1.0
	v_fmac_f32_e32 v23, v25, v23
	v_div_scale_f32 v25, vcc_lo, 1.0, v18, 1.0
	v_mul_f32_e32 v26, v25, v23
	v_fma_f32 v27, -v21, v26, v25
	v_fmac_f32_e32 v26, v27, v23
	v_fma_f32 v21, -v21, v26, v25
	v_div_fmas_f32 v21, v21, v23, v26
	v_div_fixup_f32 v18, v21, v18, 1.0
	v_fmaak_f32 v21, s4, v18, 0x3d088889
	v_fma_f32 v21, -v18, v21, 0x3e2aaaab
	v_fmac_f32_e32 v16, v18, v21
	v_div_scale_f32 v18, null, v2, v2, v16
	v_rcp_f32_e32 v21, v18
	v_fma_f32 v23, -v18, v21, 1.0
	v_fmac_f32_e32 v21, v23, v21
	v_div_scale_f32 v23, vcc_lo, v16, v2, v16
	v_mul_f32_e32 v25, v23, v21
	v_fma_f32 v26, -v18, v25, v23
	v_fmac_f32_e32 v25, v26, v21
	v_fma_f32 v18, -v18, v25, v23
	v_div_fmas_f32 v18, v18, v21, v25
	v_div_fixup_f32 v2, v18, v2, v16
	v_add_f32_e32 v2, v3, v2
	v_fma_mixlo_f16 v3, v14, v2, 0
	v_mul_f32_e32 v2, v11, v11
	v_add_f32_e32 v11, 1.0, v11
	v_fma_mixhi_f16 v3, v12, v17, 0
	v_div_scale_f32 v14, null, v2, v2, 1.0
	v_rcp_f32_e32 v16, v14
	v_fma_f32 v18, -v14, v16, 1.0
	v_fmac_f32_e32 v16, v18, v16
	v_div_scale_f32 v18, vcc_lo, 1.0, v2, 1.0
	v_mul_f32_e32 v21, v18, v16
	v_fma_f32 v23, -v14, v21, v18
	v_fmac_f32_e32 v21, v23, v16
	v_fma_f32 v14, -v14, v21, v18
	v_div_fmas_f32 v14, v14, v16, v21
	v_div_fixup_f32 v2, v14, v2, 1.0
	v_add_f32_e32 v2, v13, v2
	v_mul_f32_e32 v13, v11, v11
	v_add_f32_e32 v11, 1.0, v11
	v_div_scale_f32 v14, null, v13, v13, 1.0
	v_rcp_f32_e32 v16, v14
	v_fma_f32 v18, -v14, v16, 1.0
	v_fmac_f32_e32 v16, v18, v16
	v_div_scale_f32 v18, vcc_lo, 1.0, v13, 1.0
	v_mul_f32_e32 v21, v18, v16
	v_fma_f32 v23, -v14, v21, v18
	v_fmac_f32_e32 v21, v23, v16
	v_fma_f32 v14, -v14, v21, v18
	v_div_fmas_f32 v14, v14, v16, v21
	v_div_fixup_f32 v13, v14, v13, 1.0
	v_add_f32_e32 v2, v2, v13
	v_mul_f32_e32 v13, v11, v11
	v_add_f32_e32 v11, 1.0, v11
	;; [unrolled: 14-line block ×5, first 2 shown]
	v_div_scale_f32 v14, null, v13, v13, 1.0
	v_rcp_f32_e32 v16, v14
	v_fma_f32 v18, -v14, v16, 1.0
	v_fmac_f32_e32 v16, v18, v16
	v_div_scale_f32 v18, vcc_lo, 1.0, v13, 1.0
	v_mul_f32_e32 v21, v18, v16
	v_fma_f32 v23, -v14, v21, v18
	v_fmac_f32_e32 v21, v23, v16
	v_fma_f32 v14, -v14, v21, v18
	v_div_fmas_f32 v14, v14, v16, v21
	v_div_fixup_f32 v13, v14, v13, 1.0
	v_add_f32_e32 v2, v2, v13
	v_add_f32_e32 v13, v11, v11
	v_div_scale_f32 v14, null, v13, v13, 1.0
	v_rcp_f32_e32 v16, v14
	v_fma_f32 v18, -v14, v16, 1.0
	v_fmac_f32_e32 v16, v18, v16
	v_div_scale_f32 v18, vcc_lo, 1.0, v13, 1.0
	v_mul_f32_e32 v21, v18, v16
	v_fma_f32 v23, -v14, v21, v18
	v_fmac_f32_e32 v21, v23, v16
	v_fma_f32 v14, -v14, v21, v18
	v_div_fmas_f32 v14, v14, v16, v21
	v_div_fixup_f32 v13, v14, v13, 1.0
	v_mul_f32_e32 v14, v11, v11
	v_add_f32_e32 v13, 1.0, v13
	v_div_scale_f32 v16, null, v14, v14, 1.0
	v_rcp_f32_e32 v18, v16
	v_fma_f32 v21, -v16, v18, 1.0
	v_fmac_f32_e32 v18, v21, v18
	v_div_scale_f32 v21, vcc_lo, 1.0, v14, 1.0
	v_mul_f32_e32 v23, v21, v18
	v_fma_f32 v25, -v16, v23, v21
	v_fmac_f32_e32 v23, v25, v18
	v_fma_f32 v16, -v16, v23, v21
	v_div_fmas_f32 v16, v16, v18, v23
	v_div_fixup_f32 v14, v16, v14, 1.0
	v_fmaak_f32 v16, s4, v14, 0x3d088889
	v_fma_f32 v16, -v14, v16, 0x3e2aaaab
	v_fmac_f32_e32 v13, v14, v16
	v_div_scale_f32 v14, null, v11, v11, v13
	v_rcp_f32_e32 v16, v14
	v_fma_f32 v18, -v14, v16, 1.0
	v_fmac_f32_e32 v16, v18, v16
	v_div_scale_f32 v18, vcc_lo, v13, v11, v13
	v_mul_f32_e32 v21, v18, v16
	v_fma_f32 v23, -v14, v21, v18
	v_fmac_f32_e32 v21, v23, v16
	v_fma_f32 v14, -v14, v21, v18
	v_div_fmas_f32 v14, v14, v16, v21
	v_div_fixup_f32 v11, v14, v11, v13
	v_add_f32_e32 v11, v2, v11
	v_mul_f32_e32 v2, v7, v7
	v_add_f32_e32 v7, 1.0, v7
	v_div_scale_f32 v13, null, v2, v2, 1.0
	v_rcp_f32_e32 v14, v13
	v_fma_f32 v16, -v13, v14, 1.0
	v_fmac_f32_e32 v14, v16, v14
	v_div_scale_f32 v16, vcc_lo, 1.0, v2, 1.0
	v_mul_f32_e32 v18, v16, v14
	v_fma_f32 v21, -v13, v18, v16
	v_fmac_f32_e32 v18, v21, v14
	v_fma_f32 v13, -v13, v18, v16
	v_div_fmas_f32 v13, v13, v14, v18
	v_div_fixup_f32 v2, v13, v2, 1.0
	v_add_f32_e32 v2, v10, v2
	v_mul_f32_e32 v10, v7, v7
	v_add_f32_e32 v7, 1.0, v7
	v_div_scale_f32 v13, null, v10, v10, 1.0
	v_rcp_f32_e32 v14, v13
	v_fma_f32 v16, -v13, v14, 1.0
	v_fmac_f32_e32 v14, v16, v14
	v_div_scale_f32 v16, vcc_lo, 1.0, v10, 1.0
	v_mul_f32_e32 v18, v16, v14
	v_fma_f32 v21, -v13, v18, v16
	v_fmac_f32_e32 v18, v21, v14
	v_fma_f32 v13, -v13, v18, v16
	v_div_fmas_f32 v13, v13, v14, v18
	v_div_fixup_f32 v10, v13, v10, 1.0
	;; [unrolled: 14-line block ×6, first 2 shown]
	v_add_f32_e32 v2, v2, v10
	v_add_f32_e32 v10, v7, v7
	v_div_scale_f32 v13, null, v10, v10, 1.0
	v_rcp_f32_e32 v14, v13
	v_fma_f32 v16, -v13, v14, 1.0
	v_fmac_f32_e32 v14, v16, v14
	v_div_scale_f32 v16, vcc_lo, 1.0, v10, 1.0
	v_mul_f32_e32 v18, v16, v14
	v_fma_f32 v21, -v13, v18, v16
	v_fmac_f32_e32 v18, v21, v14
	v_fma_f32 v13, -v13, v18, v16
	v_div_fmas_f32 v13, v13, v14, v18
	v_div_fixup_f32 v10, v13, v10, 1.0
	v_mul_f32_e32 v13, v7, v7
	v_add_f32_e32 v10, 1.0, v10
	v_div_scale_f32 v14, null, v13, v13, 1.0
	v_rcp_f32_e32 v16, v14
	v_fma_f32 v18, -v14, v16, 1.0
	v_fmac_f32_e32 v16, v18, v16
	v_div_scale_f32 v18, vcc_lo, 1.0, v13, 1.0
	v_mul_f32_e32 v21, v18, v16
	v_fma_f32 v23, -v14, v21, v18
	v_fmac_f32_e32 v21, v23, v16
	v_fma_f32 v14, -v14, v21, v18
	v_div_fmas_f32 v14, v14, v16, v21
	v_div_fixup_f32 v13, v14, v13, 1.0
	v_fmaak_f32 v14, s4, v13, 0x3d088889
	v_fma_f32 v14, -v13, v14, 0x3e2aaaab
	v_fmac_f32_e32 v10, v13, v14
	v_div_scale_f32 v13, null, v7, v7, v10
	v_rcp_f32_e32 v14, v13
	v_fma_f32 v16, -v13, v14, 1.0
	v_fmac_f32_e32 v14, v16, v14
	v_div_scale_f32 v16, vcc_lo, v10, v7, v10
	v_mul_f32_e32 v18, v16, v14
	v_fma_f32 v21, -v13, v18, v16
	v_fmac_f32_e32 v18, v21, v14
	v_fma_f32 v13, -v13, v18, v16
	v_div_fmas_f32 v13, v13, v14, v18
	v_div_fixup_f32 v7, v13, v7, v10
	v_add_f32_e32 v2, v2, v7
	v_mul_f32_e32 v7, v20, v20
	v_fma_mixlo_f16 v2, v9, v2, 0
	v_div_scale_f32 v9, null, v7, v7, 1.0
	v_fma_mixhi_f16 v2, v8, v11, 0
	v_rcp_f32_e32 v10, v9
	v_fma_f32 v13, -v9, v10, 1.0
	v_fmac_f32_e32 v10, v13, v10
	v_div_scale_f32 v13, vcc_lo, 1.0, v7, 1.0
	v_mul_f32_e32 v14, v13, v10
	v_fma_f32 v16, -v9, v14, v13
	v_fmac_f32_e32 v14, v16, v10
	v_fma_f32 v9, -v9, v14, v13
	v_div_fmas_f32 v9, v9, v10, v14
	v_div_fixup_f32 v7, v9, v7, 1.0
	v_add_f32_e32 v9, 1.0, v20
	v_add_f32_e32 v7, v22, v7
	v_mul_f32_e32 v10, v9, v9
	v_add_f32_e32 v9, 1.0, v9
	v_div_scale_f32 v13, null, v10, v10, 1.0
	v_rcp_f32_e32 v14, v13
	v_fma_f32 v16, -v13, v14, 1.0
	v_fmac_f32_e32 v14, v16, v14
	v_div_scale_f32 v16, vcc_lo, 1.0, v10, 1.0
	v_mul_f32_e32 v18, v16, v14
	v_fma_f32 v20, -v13, v18, v16
	v_fmac_f32_e32 v18, v20, v14
	v_fma_f32 v13, -v13, v18, v16
	v_div_fmas_f32 v13, v13, v14, v18
	v_div_fixup_f32 v10, v13, v10, 1.0
	v_add_f32_e32 v7, v7, v10
	v_mul_f32_e32 v10, v9, v9
	v_add_f32_e32 v9, 1.0, v9
	v_div_scale_f32 v13, null, v10, v10, 1.0
	v_rcp_f32_e32 v14, v13
	v_fma_f32 v16, -v13, v14, 1.0
	v_fmac_f32_e32 v14, v16, v14
	v_div_scale_f32 v16, vcc_lo, 1.0, v10, 1.0
	v_mul_f32_e32 v18, v16, v14
	v_fma_f32 v20, -v13, v18, v16
	v_fmac_f32_e32 v18, v20, v14
	v_fma_f32 v13, -v13, v18, v16
	v_div_fmas_f32 v13, v13, v14, v18
	v_div_fixup_f32 v10, v13, v10, 1.0
	;; [unrolled: 14-line block ×5, first 2 shown]
	v_add_f32_e32 v7, v7, v10
	v_mul_f32_e32 v10, v9, v9
	v_div_scale_f32 v13, null, v10, v10, 1.0
	v_rcp_f32_e32 v14, v13
	v_fma_f32 v16, -v13, v14, 1.0
	v_fmac_f32_e32 v14, v16, v14
	v_div_scale_f32 v16, vcc_lo, 1.0, v10, 1.0
	v_mul_f32_e32 v18, v16, v14
	v_fma_f32 v20, -v13, v18, v16
	v_fmac_f32_e32 v18, v20, v14
	v_fma_f32 v13, -v13, v18, v16
	v_div_fmas_f32 v13, v13, v14, v18
	v_div_fixup_f32 v10, v13, v10, 1.0
	v_add_f32_e32 v13, v9, v9
	v_div_scale_f32 v14, null, v13, v13, 1.0
	v_rcp_f32_e32 v16, v14
	v_fma_f32 v18, -v14, v16, 1.0
	v_fmac_f32_e32 v16, v18, v16
	v_div_scale_f32 v18, vcc_lo, 1.0, v13, 1.0
	v_mul_f32_e32 v20, v18, v16
	v_fma_f32 v21, -v14, v20, v18
	v_fmac_f32_e32 v20, v21, v16
	v_fma_f32 v14, -v14, v20, v18
	v_div_fmas_f32 v14, v14, v16, v20
	v_div_fixup_f32 v13, v14, v13, 1.0
	v_fmaak_f32 v14, s4, v10, 0x3d088889
	v_add_f32_e32 v13, 1.0, v13
	v_fma_f32 v14, -v10, v14, 0x3e2aaaab
	v_fmac_f32_e32 v13, v10, v14
	v_div_scale_f32 v10, null, v9, v9, v13
	v_rcp_f32_e32 v14, v10
	v_fma_f32 v16, -v10, v14, 1.0
	v_fmac_f32_e32 v14, v16, v14
	v_div_scale_f32 v16, vcc_lo, v13, v9, v13
	v_mul_f32_e32 v18, v16, v14
	v_fma_f32 v20, -v10, v18, v16
	v_fmac_f32_e32 v18, v20, v14
	v_fma_f32 v10, -v10, v18, v16
	v_div_fmas_f32 v10, v10, v14, v18
	v_add_co_u32 v0, vcc_lo, v0, s6
	v_add_co_ci_u32_e64 v1, null, s7, v1, vcc_lo
	v_div_fixup_f32 v9, v10, v9, v13
	v_add_co_u32 v0, vcc_lo, v0, v6
	v_add_co_ci_u32_e64 v1, null, 0, v1, vcc_lo
	v_add_f32_e32 v7, v7, v9
	v_fma_mixhi_f16 v5, v19, v7, 0
	flat_store_dwordx4 v[0:1], v[2:5]
	s_waitcnt lgkmcnt(0)
	s_setpc_b64 s[30:31]
.Lfunc_end59:
	.size	_ZN2at6native25elementwise_kernel_helperILb0EZZZNS0_20trigamma_kernel_cudaERNS_18TensorIteratorBaseEENKUlvE_clEvENKUlvE1_clEvEUlN3c104HalfEE_NS0_6memory8policies10vectorizedILi8ESt5arrayIPcLm2EELi8EEEEEvT0_T1_, .Lfunc_end59-_ZN2at6native25elementwise_kernel_helperILb0EZZZNS0_20trigamma_kernel_cudaERNS_18TensorIteratorBaseEENKUlvE_clEvENKUlvE1_clEvEUlN3c104HalfEE_NS0_6memory8policies10vectorizedILi8ESt5arrayIPcLm2EELi8EEEEEvT0_T1_
                                        ; -- End function
	.set .L_ZN2at6native25elementwise_kernel_helperILb0EZZZNS0_20trigamma_kernel_cudaERNS_18TensorIteratorBaseEENKUlvE_clEvENKUlvE1_clEvEUlN3c104HalfEE_NS0_6memory8policies10vectorizedILi8ESt5arrayIPcLm2EELi8EEEEEvT0_T1_.num_vgpr, 39
	.set .L_ZN2at6native25elementwise_kernel_helperILb0EZZZNS0_20trigamma_kernel_cudaERNS_18TensorIteratorBaseEENKUlvE_clEvENKUlvE1_clEvEUlN3c104HalfEE_NS0_6memory8policies10vectorizedILi8ESt5arrayIPcLm2EELi8EEEEEvT0_T1_.num_agpr, 0
	.set .L_ZN2at6native25elementwise_kernel_helperILb0EZZZNS0_20trigamma_kernel_cudaERNS_18TensorIteratorBaseEENKUlvE_clEvENKUlvE1_clEvEUlN3c104HalfEE_NS0_6memory8policies10vectorizedILi8ESt5arrayIPcLm2EELi8EEEEEvT0_T1_.numbered_sgpr, 32
	.set .L_ZN2at6native25elementwise_kernel_helperILb0EZZZNS0_20trigamma_kernel_cudaERNS_18TensorIteratorBaseEENKUlvE_clEvENKUlvE1_clEvEUlN3c104HalfEE_NS0_6memory8policies10vectorizedILi8ESt5arrayIPcLm2EELi8EEEEEvT0_T1_.num_named_barrier, 0
	.set .L_ZN2at6native25elementwise_kernel_helperILb0EZZZNS0_20trigamma_kernel_cudaERNS_18TensorIteratorBaseEENKUlvE_clEvENKUlvE1_clEvEUlN3c104HalfEE_NS0_6memory8policies10vectorizedILi8ESt5arrayIPcLm2EELi8EEEEEvT0_T1_.private_seg_size, 0
	.set .L_ZN2at6native25elementwise_kernel_helperILb0EZZZNS0_20trigamma_kernel_cudaERNS_18TensorIteratorBaseEENKUlvE_clEvENKUlvE1_clEvEUlN3c104HalfEE_NS0_6memory8policies10vectorizedILi8ESt5arrayIPcLm2EELi8EEEEEvT0_T1_.uses_vcc, 1
	.set .L_ZN2at6native25elementwise_kernel_helperILb0EZZZNS0_20trigamma_kernel_cudaERNS_18TensorIteratorBaseEENKUlvE_clEvENKUlvE1_clEvEUlN3c104HalfEE_NS0_6memory8policies10vectorizedILi8ESt5arrayIPcLm2EELi8EEEEEvT0_T1_.uses_flat_scratch, 0
	.set .L_ZN2at6native25elementwise_kernel_helperILb0EZZZNS0_20trigamma_kernel_cudaERNS_18TensorIteratorBaseEENKUlvE_clEvENKUlvE1_clEvEUlN3c104HalfEE_NS0_6memory8policies10vectorizedILi8ESt5arrayIPcLm2EELi8EEEEEvT0_T1_.has_dyn_sized_stack, 0
	.set .L_ZN2at6native25elementwise_kernel_helperILb0EZZZNS0_20trigamma_kernel_cudaERNS_18TensorIteratorBaseEENKUlvE_clEvENKUlvE1_clEvEUlN3c104HalfEE_NS0_6memory8policies10vectorizedILi8ESt5arrayIPcLm2EELi8EEEEEvT0_T1_.has_recursion, 0
	.set .L_ZN2at6native25elementwise_kernel_helperILb0EZZZNS0_20trigamma_kernel_cudaERNS_18TensorIteratorBaseEENKUlvE_clEvENKUlvE1_clEvEUlN3c104HalfEE_NS0_6memory8policies10vectorizedILi8ESt5arrayIPcLm2EELi8EEEEEvT0_T1_.has_indirect_call, 0
	.section	.AMDGPU.csdata,"",@progbits
; Function info:
; codeLenInByte = 13636
; TotalNumSgprs: 34
; NumVgprs: 39
; ScratchSize: 0
; MemoryBound: 0
	.section	.text._ZN2at6native29vectorized_elementwise_kernelILi16EZZZNS0_20trigamma_kernel_cudaERNS_18TensorIteratorBaseEENKUlvE_clEvENKUlvE1_clEvEUlN3c104HalfEE_St5arrayIPcLm2EEEEviT0_T1_,"axG",@progbits,_ZN2at6native29vectorized_elementwise_kernelILi16EZZZNS0_20trigamma_kernel_cudaERNS_18TensorIteratorBaseEENKUlvE_clEvENKUlvE1_clEvEUlN3c104HalfEE_St5arrayIPcLm2EEEEviT0_T1_,comdat
	.globl	_ZN2at6native29vectorized_elementwise_kernelILi16EZZZNS0_20trigamma_kernel_cudaERNS_18TensorIteratorBaseEENKUlvE_clEvENKUlvE1_clEvEUlN3c104HalfEE_St5arrayIPcLm2EEEEviT0_T1_ ; -- Begin function _ZN2at6native29vectorized_elementwise_kernelILi16EZZZNS0_20trigamma_kernel_cudaERNS_18TensorIteratorBaseEENKUlvE_clEvENKUlvE1_clEvEUlN3c104HalfEE_St5arrayIPcLm2EEEEviT0_T1_
	.p2align	8
	.type	_ZN2at6native29vectorized_elementwise_kernelILi16EZZZNS0_20trigamma_kernel_cudaERNS_18TensorIteratorBaseEENKUlvE_clEvENKUlvE1_clEvEUlN3c104HalfEE_St5arrayIPcLm2EEEEviT0_T1_,@function
_ZN2at6native29vectorized_elementwise_kernelILi16EZZZNS0_20trigamma_kernel_cudaERNS_18TensorIteratorBaseEENKUlvE_clEvENKUlvE1_clEvEUlN3c104HalfEE_St5arrayIPcLm2EEEEviT0_T1_: ; @_ZN2at6native29vectorized_elementwise_kernelILi16EZZZNS0_20trigamma_kernel_cudaERNS_18TensorIteratorBaseEENKUlvE_clEvENKUlvE1_clEvEUlN3c104HalfEE_St5arrayIPcLm2EEEEviT0_T1_
; %bb.0:
	s_mov_b32 s12, s6
	s_clause 0x1
	s_load_dword s6, s[4:5], 0x0
	s_load_dwordx4 s[16:19], s[4:5], 0x8
	s_add_u32 s0, s0, s7
	s_addc_u32 s1, s1, 0
	s_lshl_b32 s4, s12, 11
	v_mov_b32_e32 v39, v0
	s_mov_b32 s32, 0
	s_waitcnt lgkmcnt(0)
	s_sub_i32 s10, s6, s4
	s_mov_b32 s4, -1
	s_cmpk_gt_i32 s10, 0x7ff
	s_cbranch_scc1 .LBB60_3
; %bb.1:
	s_andn2_b32 vcc_lo, exec_lo, s4
	s_cbranch_vccz .LBB60_4
.LBB60_2:
	s_endpgm
.LBB60_3:
	v_mov_b32_e32 v31, v39
	v_mov_b32_e32 v0, s16
	;; [unrolled: 1-line block ×5, first 2 shown]
	s_getpc_b64 s[4:5]
	s_add_u32 s4, s4, _ZN2at6native25elementwise_kernel_helperILb0EZZZNS0_20trigamma_kernel_cudaERNS_18TensorIteratorBaseEENKUlvE_clEvENKUlvE1_clEvEUlN3c104HalfEE_NS0_6memory8policies10vectorizedILi8ESt5arrayIPcLm2EELi8EEEEEvT0_T1_@rel32@lo+4
	s_addc_u32 s5, s5, _ZN2at6native25elementwise_kernel_helperILb0EZZZNS0_20trigamma_kernel_cudaERNS_18TensorIteratorBaseEENKUlvE_clEvENKUlvE1_clEvEUlN3c104HalfEE_NS0_6memory8policies10vectorizedILi8ESt5arrayIPcLm2EELi8EEEEEvT0_T1_@rel32@hi+12
	s_swappc_b64 s[30:31], s[4:5]
	s_cbranch_execnz .LBB60_2
.LBB60_4:
	v_mov_b32_e32 v31, v39
	v_mov_b32_e32 v0, s16
	;; [unrolled: 1-line block ×6, first 2 shown]
	s_getpc_b64 s[4:5]
	s_add_u32 s4, s4, _ZN2at6native25elementwise_kernel_helperILb0EZZZNS0_20trigamma_kernel_cudaERNS_18TensorIteratorBaseEENKUlvE_clEvENKUlvE1_clEvEUlN3c104HalfEE_NS0_6memory8policies11unroll_baseILi256ESt5arrayIPcLm2EE23TrivialOffsetCalculatorILi1EjESG_NS9_15LoadWithoutCastENS9_16StoreWithoutCastELi8ELi1EEEEEvT0_T1_@rel32@lo+4
	s_addc_u32 s5, s5, _ZN2at6native25elementwise_kernel_helperILb0EZZZNS0_20trigamma_kernel_cudaERNS_18TensorIteratorBaseEENKUlvE_clEvENKUlvE1_clEvEUlN3c104HalfEE_NS0_6memory8policies11unroll_baseILi256ESt5arrayIPcLm2EE23TrivialOffsetCalculatorILi1EjESG_NS9_15LoadWithoutCastENS9_16StoreWithoutCastELi8ELi1EEEEEvT0_T1_@rel32@hi+12
	s_swappc_b64 s[30:31], s[4:5]
	s_endpgm
	.section	.rodata,"a",@progbits
	.p2align	6, 0x0
	.amdhsa_kernel _ZN2at6native29vectorized_elementwise_kernelILi16EZZZNS0_20trigamma_kernel_cudaERNS_18TensorIteratorBaseEENKUlvE_clEvENKUlvE1_clEvEUlN3c104HalfEE_St5arrayIPcLm2EEEEviT0_T1_
		.amdhsa_group_segment_fixed_size 0
		.amdhsa_private_segment_fixed_size 0
		.amdhsa_kernarg_size 24
		.amdhsa_user_sgpr_count 6
		.amdhsa_user_sgpr_private_segment_buffer 1
		.amdhsa_user_sgpr_dispatch_ptr 0
		.amdhsa_user_sgpr_queue_ptr 0
		.amdhsa_user_sgpr_kernarg_segment_ptr 1
		.amdhsa_user_sgpr_dispatch_id 0
		.amdhsa_user_sgpr_flat_scratch_init 0
		.amdhsa_user_sgpr_private_segment_size 0
		.amdhsa_wavefront_size32 1
		.amdhsa_uses_dynamic_stack 0
		.amdhsa_system_sgpr_private_segment_wavefront_offset 0
		.amdhsa_system_sgpr_workgroup_id_x 1
		.amdhsa_system_sgpr_workgroup_id_y 0
		.amdhsa_system_sgpr_workgroup_id_z 0
		.amdhsa_system_sgpr_workgroup_info 0
		.amdhsa_system_vgpr_workitem_id 0
		.amdhsa_next_free_vgpr 56
		.amdhsa_next_free_sgpr 33
		.amdhsa_reserve_vcc 1
		.amdhsa_reserve_flat_scratch 0
		.amdhsa_float_round_mode_32 0
		.amdhsa_float_round_mode_16_64 0
		.amdhsa_float_denorm_mode_32 3
		.amdhsa_float_denorm_mode_16_64 3
		.amdhsa_dx10_clamp 1
		.amdhsa_ieee_mode 1
		.amdhsa_fp16_overflow 0
		.amdhsa_workgroup_processor_mode 1
		.amdhsa_memory_ordered 1
		.amdhsa_forward_progress 1
		.amdhsa_shared_vgpr_count 0
		.amdhsa_exception_fp_ieee_invalid_op 0
		.amdhsa_exception_fp_denorm_src 0
		.amdhsa_exception_fp_ieee_div_zero 0
		.amdhsa_exception_fp_ieee_overflow 0
		.amdhsa_exception_fp_ieee_underflow 0
		.amdhsa_exception_fp_ieee_inexact 0
		.amdhsa_exception_int_div_zero 0
	.end_amdhsa_kernel
	.section	.text._ZN2at6native29vectorized_elementwise_kernelILi16EZZZNS0_20trigamma_kernel_cudaERNS_18TensorIteratorBaseEENKUlvE_clEvENKUlvE1_clEvEUlN3c104HalfEE_St5arrayIPcLm2EEEEviT0_T1_,"axG",@progbits,_ZN2at6native29vectorized_elementwise_kernelILi16EZZZNS0_20trigamma_kernel_cudaERNS_18TensorIteratorBaseEENKUlvE_clEvENKUlvE1_clEvEUlN3c104HalfEE_St5arrayIPcLm2EEEEviT0_T1_,comdat
.Lfunc_end60:
	.size	_ZN2at6native29vectorized_elementwise_kernelILi16EZZZNS0_20trigamma_kernel_cudaERNS_18TensorIteratorBaseEENKUlvE_clEvENKUlvE1_clEvEUlN3c104HalfEE_St5arrayIPcLm2EEEEviT0_T1_, .Lfunc_end60-_ZN2at6native29vectorized_elementwise_kernelILi16EZZZNS0_20trigamma_kernel_cudaERNS_18TensorIteratorBaseEENKUlvE_clEvENKUlvE1_clEvEUlN3c104HalfEE_St5arrayIPcLm2EEEEviT0_T1_
                                        ; -- End function
	.set _ZN2at6native29vectorized_elementwise_kernelILi16EZZZNS0_20trigamma_kernel_cudaERNS_18TensorIteratorBaseEENKUlvE_clEvENKUlvE1_clEvEUlN3c104HalfEE_St5arrayIPcLm2EEEEviT0_T1_.num_vgpr, max(40, .L_ZN2at6native25elementwise_kernel_helperILb0EZZZNS0_20trigamma_kernel_cudaERNS_18TensorIteratorBaseEENKUlvE_clEvENKUlvE1_clEvEUlN3c104HalfEE_NS0_6memory8policies10vectorizedILi8ESt5arrayIPcLm2EELi8EEEEEvT0_T1_.num_vgpr, .L_ZN2at6native25elementwise_kernel_helperILb0EZZZNS0_20trigamma_kernel_cudaERNS_18TensorIteratorBaseEENKUlvE_clEvENKUlvE1_clEvEUlN3c104HalfEE_NS0_6memory8policies11unroll_baseILi256ESt5arrayIPcLm2EE23TrivialOffsetCalculatorILi1EjESG_NS9_15LoadWithoutCastENS9_16StoreWithoutCastELi8ELi1EEEEEvT0_T1_.num_vgpr)
	.set _ZN2at6native29vectorized_elementwise_kernelILi16EZZZNS0_20trigamma_kernel_cudaERNS_18TensorIteratorBaseEENKUlvE_clEvENKUlvE1_clEvEUlN3c104HalfEE_St5arrayIPcLm2EEEEviT0_T1_.num_agpr, max(0, .L_ZN2at6native25elementwise_kernel_helperILb0EZZZNS0_20trigamma_kernel_cudaERNS_18TensorIteratorBaseEENKUlvE_clEvENKUlvE1_clEvEUlN3c104HalfEE_NS0_6memory8policies10vectorizedILi8ESt5arrayIPcLm2EELi8EEEEEvT0_T1_.num_agpr, .L_ZN2at6native25elementwise_kernel_helperILb0EZZZNS0_20trigamma_kernel_cudaERNS_18TensorIteratorBaseEENKUlvE_clEvENKUlvE1_clEvEUlN3c104HalfEE_NS0_6memory8policies11unroll_baseILi256ESt5arrayIPcLm2EE23TrivialOffsetCalculatorILi1EjESG_NS9_15LoadWithoutCastENS9_16StoreWithoutCastELi8ELi1EEEEEvT0_T1_.num_agpr)
	.set _ZN2at6native29vectorized_elementwise_kernelILi16EZZZNS0_20trigamma_kernel_cudaERNS_18TensorIteratorBaseEENKUlvE_clEvENKUlvE1_clEvEUlN3c104HalfEE_St5arrayIPcLm2EEEEviT0_T1_.numbered_sgpr, max(33, .L_ZN2at6native25elementwise_kernel_helperILb0EZZZNS0_20trigamma_kernel_cudaERNS_18TensorIteratorBaseEENKUlvE_clEvENKUlvE1_clEvEUlN3c104HalfEE_NS0_6memory8policies10vectorizedILi8ESt5arrayIPcLm2EELi8EEEEEvT0_T1_.numbered_sgpr, .L_ZN2at6native25elementwise_kernel_helperILb0EZZZNS0_20trigamma_kernel_cudaERNS_18TensorIteratorBaseEENKUlvE_clEvENKUlvE1_clEvEUlN3c104HalfEE_NS0_6memory8policies11unroll_baseILi256ESt5arrayIPcLm2EE23TrivialOffsetCalculatorILi1EjESG_NS9_15LoadWithoutCastENS9_16StoreWithoutCastELi8ELi1EEEEEvT0_T1_.numbered_sgpr)
	.set _ZN2at6native29vectorized_elementwise_kernelILi16EZZZNS0_20trigamma_kernel_cudaERNS_18TensorIteratorBaseEENKUlvE_clEvENKUlvE1_clEvEUlN3c104HalfEE_St5arrayIPcLm2EEEEviT0_T1_.num_named_barrier, max(0, .L_ZN2at6native25elementwise_kernel_helperILb0EZZZNS0_20trigamma_kernel_cudaERNS_18TensorIteratorBaseEENKUlvE_clEvENKUlvE1_clEvEUlN3c104HalfEE_NS0_6memory8policies10vectorizedILi8ESt5arrayIPcLm2EELi8EEEEEvT0_T1_.num_named_barrier, .L_ZN2at6native25elementwise_kernel_helperILb0EZZZNS0_20trigamma_kernel_cudaERNS_18TensorIteratorBaseEENKUlvE_clEvENKUlvE1_clEvEUlN3c104HalfEE_NS0_6memory8policies11unroll_baseILi256ESt5arrayIPcLm2EE23TrivialOffsetCalculatorILi1EjESG_NS9_15LoadWithoutCastENS9_16StoreWithoutCastELi8ELi1EEEEEvT0_T1_.num_named_barrier)
	.set _ZN2at6native29vectorized_elementwise_kernelILi16EZZZNS0_20trigamma_kernel_cudaERNS_18TensorIteratorBaseEENKUlvE_clEvENKUlvE1_clEvEUlN3c104HalfEE_St5arrayIPcLm2EEEEviT0_T1_.private_seg_size, 0+max(.L_ZN2at6native25elementwise_kernel_helperILb0EZZZNS0_20trigamma_kernel_cudaERNS_18TensorIteratorBaseEENKUlvE_clEvENKUlvE1_clEvEUlN3c104HalfEE_NS0_6memory8policies10vectorizedILi8ESt5arrayIPcLm2EELi8EEEEEvT0_T1_.private_seg_size, .L_ZN2at6native25elementwise_kernel_helperILb0EZZZNS0_20trigamma_kernel_cudaERNS_18TensorIteratorBaseEENKUlvE_clEvENKUlvE1_clEvEUlN3c104HalfEE_NS0_6memory8policies11unroll_baseILi256ESt5arrayIPcLm2EE23TrivialOffsetCalculatorILi1EjESG_NS9_15LoadWithoutCastENS9_16StoreWithoutCastELi8ELi1EEEEEvT0_T1_.private_seg_size)
	.set _ZN2at6native29vectorized_elementwise_kernelILi16EZZZNS0_20trigamma_kernel_cudaERNS_18TensorIteratorBaseEENKUlvE_clEvENKUlvE1_clEvEUlN3c104HalfEE_St5arrayIPcLm2EEEEviT0_T1_.uses_vcc, or(1, .L_ZN2at6native25elementwise_kernel_helperILb0EZZZNS0_20trigamma_kernel_cudaERNS_18TensorIteratorBaseEENKUlvE_clEvENKUlvE1_clEvEUlN3c104HalfEE_NS0_6memory8policies10vectorizedILi8ESt5arrayIPcLm2EELi8EEEEEvT0_T1_.uses_vcc, .L_ZN2at6native25elementwise_kernel_helperILb0EZZZNS0_20trigamma_kernel_cudaERNS_18TensorIteratorBaseEENKUlvE_clEvENKUlvE1_clEvEUlN3c104HalfEE_NS0_6memory8policies11unroll_baseILi256ESt5arrayIPcLm2EE23TrivialOffsetCalculatorILi1EjESG_NS9_15LoadWithoutCastENS9_16StoreWithoutCastELi8ELi1EEEEEvT0_T1_.uses_vcc)
	.set _ZN2at6native29vectorized_elementwise_kernelILi16EZZZNS0_20trigamma_kernel_cudaERNS_18TensorIteratorBaseEENKUlvE_clEvENKUlvE1_clEvEUlN3c104HalfEE_St5arrayIPcLm2EEEEviT0_T1_.uses_flat_scratch, or(0, .L_ZN2at6native25elementwise_kernel_helperILb0EZZZNS0_20trigamma_kernel_cudaERNS_18TensorIteratorBaseEENKUlvE_clEvENKUlvE1_clEvEUlN3c104HalfEE_NS0_6memory8policies10vectorizedILi8ESt5arrayIPcLm2EELi8EEEEEvT0_T1_.uses_flat_scratch, .L_ZN2at6native25elementwise_kernel_helperILb0EZZZNS0_20trigamma_kernel_cudaERNS_18TensorIteratorBaseEENKUlvE_clEvENKUlvE1_clEvEUlN3c104HalfEE_NS0_6memory8policies11unroll_baseILi256ESt5arrayIPcLm2EE23TrivialOffsetCalculatorILi1EjESG_NS9_15LoadWithoutCastENS9_16StoreWithoutCastELi8ELi1EEEEEvT0_T1_.uses_flat_scratch)
	.set _ZN2at6native29vectorized_elementwise_kernelILi16EZZZNS0_20trigamma_kernel_cudaERNS_18TensorIteratorBaseEENKUlvE_clEvENKUlvE1_clEvEUlN3c104HalfEE_St5arrayIPcLm2EEEEviT0_T1_.has_dyn_sized_stack, or(0, .L_ZN2at6native25elementwise_kernel_helperILb0EZZZNS0_20trigamma_kernel_cudaERNS_18TensorIteratorBaseEENKUlvE_clEvENKUlvE1_clEvEUlN3c104HalfEE_NS0_6memory8policies10vectorizedILi8ESt5arrayIPcLm2EELi8EEEEEvT0_T1_.has_dyn_sized_stack, .L_ZN2at6native25elementwise_kernel_helperILb0EZZZNS0_20trigamma_kernel_cudaERNS_18TensorIteratorBaseEENKUlvE_clEvENKUlvE1_clEvEUlN3c104HalfEE_NS0_6memory8policies11unroll_baseILi256ESt5arrayIPcLm2EE23TrivialOffsetCalculatorILi1EjESG_NS9_15LoadWithoutCastENS9_16StoreWithoutCastELi8ELi1EEEEEvT0_T1_.has_dyn_sized_stack)
	.set _ZN2at6native29vectorized_elementwise_kernelILi16EZZZNS0_20trigamma_kernel_cudaERNS_18TensorIteratorBaseEENKUlvE_clEvENKUlvE1_clEvEUlN3c104HalfEE_St5arrayIPcLm2EEEEviT0_T1_.has_recursion, or(0, .L_ZN2at6native25elementwise_kernel_helperILb0EZZZNS0_20trigamma_kernel_cudaERNS_18TensorIteratorBaseEENKUlvE_clEvENKUlvE1_clEvEUlN3c104HalfEE_NS0_6memory8policies10vectorizedILi8ESt5arrayIPcLm2EELi8EEEEEvT0_T1_.has_recursion, .L_ZN2at6native25elementwise_kernel_helperILb0EZZZNS0_20trigamma_kernel_cudaERNS_18TensorIteratorBaseEENKUlvE_clEvENKUlvE1_clEvEUlN3c104HalfEE_NS0_6memory8policies11unroll_baseILi256ESt5arrayIPcLm2EE23TrivialOffsetCalculatorILi1EjESG_NS9_15LoadWithoutCastENS9_16StoreWithoutCastELi8ELi1EEEEEvT0_T1_.has_recursion)
	.set _ZN2at6native29vectorized_elementwise_kernelILi16EZZZNS0_20trigamma_kernel_cudaERNS_18TensorIteratorBaseEENKUlvE_clEvENKUlvE1_clEvEUlN3c104HalfEE_St5arrayIPcLm2EEEEviT0_T1_.has_indirect_call, or(0, .L_ZN2at6native25elementwise_kernel_helperILb0EZZZNS0_20trigamma_kernel_cudaERNS_18TensorIteratorBaseEENKUlvE_clEvENKUlvE1_clEvEUlN3c104HalfEE_NS0_6memory8policies10vectorizedILi8ESt5arrayIPcLm2EELi8EEEEEvT0_T1_.has_indirect_call, .L_ZN2at6native25elementwise_kernel_helperILb0EZZZNS0_20trigamma_kernel_cudaERNS_18TensorIteratorBaseEENKUlvE_clEvENKUlvE1_clEvEUlN3c104HalfEE_NS0_6memory8policies11unroll_baseILi256ESt5arrayIPcLm2EE23TrivialOffsetCalculatorILi1EjESG_NS9_15LoadWithoutCastENS9_16StoreWithoutCastELi8ELi1EEEEEvT0_T1_.has_indirect_call)
	.section	.AMDGPU.csdata,"",@progbits
; Kernel info:
; codeLenInByte = 176
; TotalNumSgprs: 35
; NumVgprs: 56
; ScratchSize: 0
; MemoryBound: 0
; FloatMode: 240
; IeeeMode: 1
; LDSByteSize: 0 bytes/workgroup (compile time only)
; SGPRBlocks: 0
; VGPRBlocks: 6
; NumSGPRsForWavesPerEU: 35
; NumVGPRsForWavesPerEU: 56
; Occupancy: 16
; WaveLimiterHint : 0
; COMPUTE_PGM_RSRC2:SCRATCH_EN: 0
; COMPUTE_PGM_RSRC2:USER_SGPR: 6
; COMPUTE_PGM_RSRC2:TRAP_HANDLER: 0
; COMPUTE_PGM_RSRC2:TGID_X_EN: 1
; COMPUTE_PGM_RSRC2:TGID_Y_EN: 0
; COMPUTE_PGM_RSRC2:TGID_Z_EN: 0
; COMPUTE_PGM_RSRC2:TIDIG_COMP_CNT: 0
	.section	.text._ZN2at6native29vectorized_elementwise_kernelILi8EZZZNS0_20trigamma_kernel_cudaERNS_18TensorIteratorBaseEENKUlvE_clEvENKUlvE1_clEvEUlN3c104HalfEE_St5arrayIPcLm2EEEEviT0_T1_,"axG",@progbits,_ZN2at6native29vectorized_elementwise_kernelILi8EZZZNS0_20trigamma_kernel_cudaERNS_18TensorIteratorBaseEENKUlvE_clEvENKUlvE1_clEvEUlN3c104HalfEE_St5arrayIPcLm2EEEEviT0_T1_,comdat
	.globl	_ZN2at6native29vectorized_elementwise_kernelILi8EZZZNS0_20trigamma_kernel_cudaERNS_18TensorIteratorBaseEENKUlvE_clEvENKUlvE1_clEvEUlN3c104HalfEE_St5arrayIPcLm2EEEEviT0_T1_ ; -- Begin function _ZN2at6native29vectorized_elementwise_kernelILi8EZZZNS0_20trigamma_kernel_cudaERNS_18TensorIteratorBaseEENKUlvE_clEvENKUlvE1_clEvEUlN3c104HalfEE_St5arrayIPcLm2EEEEviT0_T1_
	.p2align	8
	.type	_ZN2at6native29vectorized_elementwise_kernelILi8EZZZNS0_20trigamma_kernel_cudaERNS_18TensorIteratorBaseEENKUlvE_clEvENKUlvE1_clEvEUlN3c104HalfEE_St5arrayIPcLm2EEEEviT0_T1_,@function
_ZN2at6native29vectorized_elementwise_kernelILi8EZZZNS0_20trigamma_kernel_cudaERNS_18TensorIteratorBaseEENKUlvE_clEvENKUlvE1_clEvEUlN3c104HalfEE_St5arrayIPcLm2EEEEviT0_T1_: ; @_ZN2at6native29vectorized_elementwise_kernelILi8EZZZNS0_20trigamma_kernel_cudaERNS_18TensorIteratorBaseEENKUlvE_clEvENKUlvE1_clEvEUlN3c104HalfEE_St5arrayIPcLm2EEEEviT0_T1_
; %bb.0:
	s_mov_b32 s12, s6
	s_clause 0x1
	s_load_dword s6, s[4:5], 0x0
	s_load_dwordx4 s[16:19], s[4:5], 0x8
	s_add_u32 s0, s0, s7
	s_addc_u32 s1, s1, 0
	s_lshl_b32 s4, s12, 11
	v_mov_b32_e32 v39, v0
	s_mov_b32 s32, 0
	s_waitcnt lgkmcnt(0)
	s_sub_i32 s10, s6, s4
	s_mov_b32 s4, -1
	s_cmpk_gt_i32 s10, 0x7ff
	s_cbranch_scc1 .LBB61_3
; %bb.1:
	s_andn2_b32 vcc_lo, exec_lo, s4
	s_cbranch_vccz .LBB61_4
.LBB61_2:
	s_endpgm
.LBB61_3:
	v_mov_b32_e32 v31, v39
	v_mov_b32_e32 v0, s16
	;; [unrolled: 1-line block ×5, first 2 shown]
	s_getpc_b64 s[4:5]
	s_add_u32 s4, s4, _ZN2at6native25elementwise_kernel_helperILb0EZZZNS0_20trigamma_kernel_cudaERNS_18TensorIteratorBaseEENKUlvE_clEvENKUlvE1_clEvEUlN3c104HalfEE_NS0_6memory8policies10vectorizedILi8ESt5arrayIPcLm2EELi8EEEEEvT0_T1_@rel32@lo+4
	s_addc_u32 s5, s5, _ZN2at6native25elementwise_kernel_helperILb0EZZZNS0_20trigamma_kernel_cudaERNS_18TensorIteratorBaseEENKUlvE_clEvENKUlvE1_clEvEUlN3c104HalfEE_NS0_6memory8policies10vectorizedILi8ESt5arrayIPcLm2EELi8EEEEEvT0_T1_@rel32@hi+12
	s_swappc_b64 s[30:31], s[4:5]
	s_cbranch_execnz .LBB61_2
.LBB61_4:
	v_mov_b32_e32 v31, v39
	v_mov_b32_e32 v0, s16
	;; [unrolled: 1-line block ×6, first 2 shown]
	s_getpc_b64 s[4:5]
	s_add_u32 s4, s4, _ZN2at6native25elementwise_kernel_helperILb0EZZZNS0_20trigamma_kernel_cudaERNS_18TensorIteratorBaseEENKUlvE_clEvENKUlvE1_clEvEUlN3c104HalfEE_NS0_6memory8policies11unroll_baseILi256ESt5arrayIPcLm2EE23TrivialOffsetCalculatorILi1EjESG_NS9_15LoadWithoutCastENS9_16StoreWithoutCastELi8ELi1EEEEEvT0_T1_@rel32@lo+4
	s_addc_u32 s5, s5, _ZN2at6native25elementwise_kernel_helperILb0EZZZNS0_20trigamma_kernel_cudaERNS_18TensorIteratorBaseEENKUlvE_clEvENKUlvE1_clEvEUlN3c104HalfEE_NS0_6memory8policies11unroll_baseILi256ESt5arrayIPcLm2EE23TrivialOffsetCalculatorILi1EjESG_NS9_15LoadWithoutCastENS9_16StoreWithoutCastELi8ELi1EEEEEvT0_T1_@rel32@hi+12
	s_swappc_b64 s[30:31], s[4:5]
	s_endpgm
	.section	.rodata,"a",@progbits
	.p2align	6, 0x0
	.amdhsa_kernel _ZN2at6native29vectorized_elementwise_kernelILi8EZZZNS0_20trigamma_kernel_cudaERNS_18TensorIteratorBaseEENKUlvE_clEvENKUlvE1_clEvEUlN3c104HalfEE_St5arrayIPcLm2EEEEviT0_T1_
		.amdhsa_group_segment_fixed_size 0
		.amdhsa_private_segment_fixed_size 0
		.amdhsa_kernarg_size 24
		.amdhsa_user_sgpr_count 6
		.amdhsa_user_sgpr_private_segment_buffer 1
		.amdhsa_user_sgpr_dispatch_ptr 0
		.amdhsa_user_sgpr_queue_ptr 0
		.amdhsa_user_sgpr_kernarg_segment_ptr 1
		.amdhsa_user_sgpr_dispatch_id 0
		.amdhsa_user_sgpr_flat_scratch_init 0
		.amdhsa_user_sgpr_private_segment_size 0
		.amdhsa_wavefront_size32 1
		.amdhsa_uses_dynamic_stack 0
		.amdhsa_system_sgpr_private_segment_wavefront_offset 0
		.amdhsa_system_sgpr_workgroup_id_x 1
		.amdhsa_system_sgpr_workgroup_id_y 0
		.amdhsa_system_sgpr_workgroup_id_z 0
		.amdhsa_system_sgpr_workgroup_info 0
		.amdhsa_system_vgpr_workitem_id 0
		.amdhsa_next_free_vgpr 56
		.amdhsa_next_free_sgpr 33
		.amdhsa_reserve_vcc 1
		.amdhsa_reserve_flat_scratch 0
		.amdhsa_float_round_mode_32 0
		.amdhsa_float_round_mode_16_64 0
		.amdhsa_float_denorm_mode_32 3
		.amdhsa_float_denorm_mode_16_64 3
		.amdhsa_dx10_clamp 1
		.amdhsa_ieee_mode 1
		.amdhsa_fp16_overflow 0
		.amdhsa_workgroup_processor_mode 1
		.amdhsa_memory_ordered 1
		.amdhsa_forward_progress 1
		.amdhsa_shared_vgpr_count 0
		.amdhsa_exception_fp_ieee_invalid_op 0
		.amdhsa_exception_fp_denorm_src 0
		.amdhsa_exception_fp_ieee_div_zero 0
		.amdhsa_exception_fp_ieee_overflow 0
		.amdhsa_exception_fp_ieee_underflow 0
		.amdhsa_exception_fp_ieee_inexact 0
		.amdhsa_exception_int_div_zero 0
	.end_amdhsa_kernel
	.section	.text._ZN2at6native29vectorized_elementwise_kernelILi8EZZZNS0_20trigamma_kernel_cudaERNS_18TensorIteratorBaseEENKUlvE_clEvENKUlvE1_clEvEUlN3c104HalfEE_St5arrayIPcLm2EEEEviT0_T1_,"axG",@progbits,_ZN2at6native29vectorized_elementwise_kernelILi8EZZZNS0_20trigamma_kernel_cudaERNS_18TensorIteratorBaseEENKUlvE_clEvENKUlvE1_clEvEUlN3c104HalfEE_St5arrayIPcLm2EEEEviT0_T1_,comdat
.Lfunc_end61:
	.size	_ZN2at6native29vectorized_elementwise_kernelILi8EZZZNS0_20trigamma_kernel_cudaERNS_18TensorIteratorBaseEENKUlvE_clEvENKUlvE1_clEvEUlN3c104HalfEE_St5arrayIPcLm2EEEEviT0_T1_, .Lfunc_end61-_ZN2at6native29vectorized_elementwise_kernelILi8EZZZNS0_20trigamma_kernel_cudaERNS_18TensorIteratorBaseEENKUlvE_clEvENKUlvE1_clEvEUlN3c104HalfEE_St5arrayIPcLm2EEEEviT0_T1_
                                        ; -- End function
	.set _ZN2at6native29vectorized_elementwise_kernelILi8EZZZNS0_20trigamma_kernel_cudaERNS_18TensorIteratorBaseEENKUlvE_clEvENKUlvE1_clEvEUlN3c104HalfEE_St5arrayIPcLm2EEEEviT0_T1_.num_vgpr, max(40, .L_ZN2at6native25elementwise_kernel_helperILb0EZZZNS0_20trigamma_kernel_cudaERNS_18TensorIteratorBaseEENKUlvE_clEvENKUlvE1_clEvEUlN3c104HalfEE_NS0_6memory8policies10vectorizedILi8ESt5arrayIPcLm2EELi8EEEEEvT0_T1_.num_vgpr, .L_ZN2at6native25elementwise_kernel_helperILb0EZZZNS0_20trigamma_kernel_cudaERNS_18TensorIteratorBaseEENKUlvE_clEvENKUlvE1_clEvEUlN3c104HalfEE_NS0_6memory8policies11unroll_baseILi256ESt5arrayIPcLm2EE23TrivialOffsetCalculatorILi1EjESG_NS9_15LoadWithoutCastENS9_16StoreWithoutCastELi8ELi1EEEEEvT0_T1_.num_vgpr)
	.set _ZN2at6native29vectorized_elementwise_kernelILi8EZZZNS0_20trigamma_kernel_cudaERNS_18TensorIteratorBaseEENKUlvE_clEvENKUlvE1_clEvEUlN3c104HalfEE_St5arrayIPcLm2EEEEviT0_T1_.num_agpr, max(0, .L_ZN2at6native25elementwise_kernel_helperILb0EZZZNS0_20trigamma_kernel_cudaERNS_18TensorIteratorBaseEENKUlvE_clEvENKUlvE1_clEvEUlN3c104HalfEE_NS0_6memory8policies10vectorizedILi8ESt5arrayIPcLm2EELi8EEEEEvT0_T1_.num_agpr, .L_ZN2at6native25elementwise_kernel_helperILb0EZZZNS0_20trigamma_kernel_cudaERNS_18TensorIteratorBaseEENKUlvE_clEvENKUlvE1_clEvEUlN3c104HalfEE_NS0_6memory8policies11unroll_baseILi256ESt5arrayIPcLm2EE23TrivialOffsetCalculatorILi1EjESG_NS9_15LoadWithoutCastENS9_16StoreWithoutCastELi8ELi1EEEEEvT0_T1_.num_agpr)
	.set _ZN2at6native29vectorized_elementwise_kernelILi8EZZZNS0_20trigamma_kernel_cudaERNS_18TensorIteratorBaseEENKUlvE_clEvENKUlvE1_clEvEUlN3c104HalfEE_St5arrayIPcLm2EEEEviT0_T1_.numbered_sgpr, max(33, .L_ZN2at6native25elementwise_kernel_helperILb0EZZZNS0_20trigamma_kernel_cudaERNS_18TensorIteratorBaseEENKUlvE_clEvENKUlvE1_clEvEUlN3c104HalfEE_NS0_6memory8policies10vectorizedILi8ESt5arrayIPcLm2EELi8EEEEEvT0_T1_.numbered_sgpr, .L_ZN2at6native25elementwise_kernel_helperILb0EZZZNS0_20trigamma_kernel_cudaERNS_18TensorIteratorBaseEENKUlvE_clEvENKUlvE1_clEvEUlN3c104HalfEE_NS0_6memory8policies11unroll_baseILi256ESt5arrayIPcLm2EE23TrivialOffsetCalculatorILi1EjESG_NS9_15LoadWithoutCastENS9_16StoreWithoutCastELi8ELi1EEEEEvT0_T1_.numbered_sgpr)
	.set _ZN2at6native29vectorized_elementwise_kernelILi8EZZZNS0_20trigamma_kernel_cudaERNS_18TensorIteratorBaseEENKUlvE_clEvENKUlvE1_clEvEUlN3c104HalfEE_St5arrayIPcLm2EEEEviT0_T1_.num_named_barrier, max(0, .L_ZN2at6native25elementwise_kernel_helperILb0EZZZNS0_20trigamma_kernel_cudaERNS_18TensorIteratorBaseEENKUlvE_clEvENKUlvE1_clEvEUlN3c104HalfEE_NS0_6memory8policies10vectorizedILi8ESt5arrayIPcLm2EELi8EEEEEvT0_T1_.num_named_barrier, .L_ZN2at6native25elementwise_kernel_helperILb0EZZZNS0_20trigamma_kernel_cudaERNS_18TensorIteratorBaseEENKUlvE_clEvENKUlvE1_clEvEUlN3c104HalfEE_NS0_6memory8policies11unroll_baseILi256ESt5arrayIPcLm2EE23TrivialOffsetCalculatorILi1EjESG_NS9_15LoadWithoutCastENS9_16StoreWithoutCastELi8ELi1EEEEEvT0_T1_.num_named_barrier)
	.set _ZN2at6native29vectorized_elementwise_kernelILi8EZZZNS0_20trigamma_kernel_cudaERNS_18TensorIteratorBaseEENKUlvE_clEvENKUlvE1_clEvEUlN3c104HalfEE_St5arrayIPcLm2EEEEviT0_T1_.private_seg_size, 0+max(.L_ZN2at6native25elementwise_kernel_helperILb0EZZZNS0_20trigamma_kernel_cudaERNS_18TensorIteratorBaseEENKUlvE_clEvENKUlvE1_clEvEUlN3c104HalfEE_NS0_6memory8policies10vectorizedILi8ESt5arrayIPcLm2EELi8EEEEEvT0_T1_.private_seg_size, .L_ZN2at6native25elementwise_kernel_helperILb0EZZZNS0_20trigamma_kernel_cudaERNS_18TensorIteratorBaseEENKUlvE_clEvENKUlvE1_clEvEUlN3c104HalfEE_NS0_6memory8policies11unroll_baseILi256ESt5arrayIPcLm2EE23TrivialOffsetCalculatorILi1EjESG_NS9_15LoadWithoutCastENS9_16StoreWithoutCastELi8ELi1EEEEEvT0_T1_.private_seg_size)
	.set _ZN2at6native29vectorized_elementwise_kernelILi8EZZZNS0_20trigamma_kernel_cudaERNS_18TensorIteratorBaseEENKUlvE_clEvENKUlvE1_clEvEUlN3c104HalfEE_St5arrayIPcLm2EEEEviT0_T1_.uses_vcc, or(1, .L_ZN2at6native25elementwise_kernel_helperILb0EZZZNS0_20trigamma_kernel_cudaERNS_18TensorIteratorBaseEENKUlvE_clEvENKUlvE1_clEvEUlN3c104HalfEE_NS0_6memory8policies10vectorizedILi8ESt5arrayIPcLm2EELi8EEEEEvT0_T1_.uses_vcc, .L_ZN2at6native25elementwise_kernel_helperILb0EZZZNS0_20trigamma_kernel_cudaERNS_18TensorIteratorBaseEENKUlvE_clEvENKUlvE1_clEvEUlN3c104HalfEE_NS0_6memory8policies11unroll_baseILi256ESt5arrayIPcLm2EE23TrivialOffsetCalculatorILi1EjESG_NS9_15LoadWithoutCastENS9_16StoreWithoutCastELi8ELi1EEEEEvT0_T1_.uses_vcc)
	.set _ZN2at6native29vectorized_elementwise_kernelILi8EZZZNS0_20trigamma_kernel_cudaERNS_18TensorIteratorBaseEENKUlvE_clEvENKUlvE1_clEvEUlN3c104HalfEE_St5arrayIPcLm2EEEEviT0_T1_.uses_flat_scratch, or(0, .L_ZN2at6native25elementwise_kernel_helperILb0EZZZNS0_20trigamma_kernel_cudaERNS_18TensorIteratorBaseEENKUlvE_clEvENKUlvE1_clEvEUlN3c104HalfEE_NS0_6memory8policies10vectorizedILi8ESt5arrayIPcLm2EELi8EEEEEvT0_T1_.uses_flat_scratch, .L_ZN2at6native25elementwise_kernel_helperILb0EZZZNS0_20trigamma_kernel_cudaERNS_18TensorIteratorBaseEENKUlvE_clEvENKUlvE1_clEvEUlN3c104HalfEE_NS0_6memory8policies11unroll_baseILi256ESt5arrayIPcLm2EE23TrivialOffsetCalculatorILi1EjESG_NS9_15LoadWithoutCastENS9_16StoreWithoutCastELi8ELi1EEEEEvT0_T1_.uses_flat_scratch)
	.set _ZN2at6native29vectorized_elementwise_kernelILi8EZZZNS0_20trigamma_kernel_cudaERNS_18TensorIteratorBaseEENKUlvE_clEvENKUlvE1_clEvEUlN3c104HalfEE_St5arrayIPcLm2EEEEviT0_T1_.has_dyn_sized_stack, or(0, .L_ZN2at6native25elementwise_kernel_helperILb0EZZZNS0_20trigamma_kernel_cudaERNS_18TensorIteratorBaseEENKUlvE_clEvENKUlvE1_clEvEUlN3c104HalfEE_NS0_6memory8policies10vectorizedILi8ESt5arrayIPcLm2EELi8EEEEEvT0_T1_.has_dyn_sized_stack, .L_ZN2at6native25elementwise_kernel_helperILb0EZZZNS0_20trigamma_kernel_cudaERNS_18TensorIteratorBaseEENKUlvE_clEvENKUlvE1_clEvEUlN3c104HalfEE_NS0_6memory8policies11unroll_baseILi256ESt5arrayIPcLm2EE23TrivialOffsetCalculatorILi1EjESG_NS9_15LoadWithoutCastENS9_16StoreWithoutCastELi8ELi1EEEEEvT0_T1_.has_dyn_sized_stack)
	.set _ZN2at6native29vectorized_elementwise_kernelILi8EZZZNS0_20trigamma_kernel_cudaERNS_18TensorIteratorBaseEENKUlvE_clEvENKUlvE1_clEvEUlN3c104HalfEE_St5arrayIPcLm2EEEEviT0_T1_.has_recursion, or(0, .L_ZN2at6native25elementwise_kernel_helperILb0EZZZNS0_20trigamma_kernel_cudaERNS_18TensorIteratorBaseEENKUlvE_clEvENKUlvE1_clEvEUlN3c104HalfEE_NS0_6memory8policies10vectorizedILi8ESt5arrayIPcLm2EELi8EEEEEvT0_T1_.has_recursion, .L_ZN2at6native25elementwise_kernel_helperILb0EZZZNS0_20trigamma_kernel_cudaERNS_18TensorIteratorBaseEENKUlvE_clEvENKUlvE1_clEvEUlN3c104HalfEE_NS0_6memory8policies11unroll_baseILi256ESt5arrayIPcLm2EE23TrivialOffsetCalculatorILi1EjESG_NS9_15LoadWithoutCastENS9_16StoreWithoutCastELi8ELi1EEEEEvT0_T1_.has_recursion)
	.set _ZN2at6native29vectorized_elementwise_kernelILi8EZZZNS0_20trigamma_kernel_cudaERNS_18TensorIteratorBaseEENKUlvE_clEvENKUlvE1_clEvEUlN3c104HalfEE_St5arrayIPcLm2EEEEviT0_T1_.has_indirect_call, or(0, .L_ZN2at6native25elementwise_kernel_helperILb0EZZZNS0_20trigamma_kernel_cudaERNS_18TensorIteratorBaseEENKUlvE_clEvENKUlvE1_clEvEUlN3c104HalfEE_NS0_6memory8policies10vectorizedILi8ESt5arrayIPcLm2EELi8EEEEEvT0_T1_.has_indirect_call, .L_ZN2at6native25elementwise_kernel_helperILb0EZZZNS0_20trigamma_kernel_cudaERNS_18TensorIteratorBaseEENKUlvE_clEvENKUlvE1_clEvEUlN3c104HalfEE_NS0_6memory8policies11unroll_baseILi256ESt5arrayIPcLm2EE23TrivialOffsetCalculatorILi1EjESG_NS9_15LoadWithoutCastENS9_16StoreWithoutCastELi8ELi1EEEEEvT0_T1_.has_indirect_call)
	.section	.AMDGPU.csdata,"",@progbits
; Kernel info:
; codeLenInByte = 176
; TotalNumSgprs: 35
; NumVgprs: 56
; ScratchSize: 0
; MemoryBound: 0
; FloatMode: 240
; IeeeMode: 1
; LDSByteSize: 0 bytes/workgroup (compile time only)
; SGPRBlocks: 0
; VGPRBlocks: 6
; NumSGPRsForWavesPerEU: 35
; NumVGPRsForWavesPerEU: 56
; Occupancy: 16
; WaveLimiterHint : 0
; COMPUTE_PGM_RSRC2:SCRATCH_EN: 0
; COMPUTE_PGM_RSRC2:USER_SGPR: 6
; COMPUTE_PGM_RSRC2:TRAP_HANDLER: 0
; COMPUTE_PGM_RSRC2:TGID_X_EN: 1
; COMPUTE_PGM_RSRC2:TGID_Y_EN: 0
; COMPUTE_PGM_RSRC2:TGID_Z_EN: 0
; COMPUTE_PGM_RSRC2:TIDIG_COMP_CNT: 0
	.section	.text._ZN2at6native29vectorized_elementwise_kernelILi4EZZZNS0_20trigamma_kernel_cudaERNS_18TensorIteratorBaseEENKUlvE_clEvENKUlvE1_clEvEUlN3c104HalfEE_St5arrayIPcLm2EEEEviT0_T1_,"axG",@progbits,_ZN2at6native29vectorized_elementwise_kernelILi4EZZZNS0_20trigamma_kernel_cudaERNS_18TensorIteratorBaseEENKUlvE_clEvENKUlvE1_clEvEUlN3c104HalfEE_St5arrayIPcLm2EEEEviT0_T1_,comdat
	.globl	_ZN2at6native29vectorized_elementwise_kernelILi4EZZZNS0_20trigamma_kernel_cudaERNS_18TensorIteratorBaseEENKUlvE_clEvENKUlvE1_clEvEUlN3c104HalfEE_St5arrayIPcLm2EEEEviT0_T1_ ; -- Begin function _ZN2at6native29vectorized_elementwise_kernelILi4EZZZNS0_20trigamma_kernel_cudaERNS_18TensorIteratorBaseEENKUlvE_clEvENKUlvE1_clEvEUlN3c104HalfEE_St5arrayIPcLm2EEEEviT0_T1_
	.p2align	8
	.type	_ZN2at6native29vectorized_elementwise_kernelILi4EZZZNS0_20trigamma_kernel_cudaERNS_18TensorIteratorBaseEENKUlvE_clEvENKUlvE1_clEvEUlN3c104HalfEE_St5arrayIPcLm2EEEEviT0_T1_,@function
_ZN2at6native29vectorized_elementwise_kernelILi4EZZZNS0_20trigamma_kernel_cudaERNS_18TensorIteratorBaseEENKUlvE_clEvENKUlvE1_clEvEUlN3c104HalfEE_St5arrayIPcLm2EEEEviT0_T1_: ; @_ZN2at6native29vectorized_elementwise_kernelILi4EZZZNS0_20trigamma_kernel_cudaERNS_18TensorIteratorBaseEENKUlvE_clEvENKUlvE1_clEvEUlN3c104HalfEE_St5arrayIPcLm2EEEEviT0_T1_
; %bb.0:
	s_add_u32 s0, s0, s7
	s_clause 0x1
	s_load_dword s7, s[4:5], 0x0
	s_load_dwordx4 s[12:15], s[4:5], 0x8
	s_addc_u32 s1, s1, 0
	s_lshl_b32 s4, s6, 11
	s_mov_b32 s5, -1
	s_mov_b32 s32, 0
	s_waitcnt lgkmcnt(0)
	s_sub_i32 s16, s7, s4
	s_cmpk_gt_i32 s16, 0x7ff
	s_cbranch_scc1 .LBB62_3
; %bb.1:
	s_and_b32 vcc_lo, exec_lo, s5
	s_cbranch_vccnz .LBB62_52
.LBB62_2:
	s_endpgm
.LBB62_3:
	s_ashr_i32 s5, s4, 31
	v_lshlrev_b32_e32 v5, 3, v0
	s_lshl_b64 s[10:11], s[4:5], 1
	v_mov_b32_e32 v7, 0
	s_add_u32 s4, s14, s10
	s_addc_u32 s5, s15, s11
	v_add_co_u32 v1, s7, s4, v5
	v_add_co_ci_u32_e64 v2, null, s5, 0, s7
	global_load_dwordx2 v[3:4], v5, s[4:5]
	v_add_co_u32 v1, vcc_lo, 0x800, v1
	v_add_co_ci_u32_e64 v2, null, 0, v2, vcc_lo
	v_mov_b32_e32 v6, 1.0
	s_mov_b32 s7, exec_lo
	global_load_dwordx2 v[1:2], v[1:2], off
	s_waitcnt vmcnt(1)
	v_cvt_f32_f16_e32 v9, v3
	v_cmpx_gt_f16_e32 0.5, v3
	s_cbranch_execz .LBB62_9
; %bb.4:
	v_mul_f32_e32 v6, 0x40490fdb, v9
                                        ; implicit-def: $vgpr10
                                        ; implicit-def: $vgpr8
	s_mov_b32 s5, exec_lo
	v_and_b32_e32 v7, 0x7fffffff, v6
	v_cmpx_ngt_f32_e64 0x48000000, |v6|
	s_xor_b32 s8, exec_lo, s5
	s_cbranch_execz .LBB62_6
; %bb.5:
	s_mov_b32 s4, 0x7fffff
	v_mov_b32_e32 v12, 0
	v_and_or_b32 v8, v7, s4, 0x800000
	v_lshrrev_b32_e32 v17, 23, v7
	v_mad_u64_u32 v[10:11], null, 0xfe5163ab, v8, 0
	v_add_nc_u32_e32 v18, 0xffffff88, v17
	v_cmp_lt_u32_e32 vcc_lo, 63, v18
	v_mad_u64_u32 v[13:14], null, 0x3c439041, v8, v[11:12]
	v_cndmask_b32_e64 v19, 0, 0xffffffc0, vcc_lo
	v_mov_b32_e32 v11, v14
	v_add_nc_u32_e32 v19, v19, v18
	v_mad_u64_u32 v[14:15], null, 0xdb629599, v8, v[11:12]
	v_cmp_lt_u32_e64 s4, 31, v19
	v_cndmask_b32_e64 v20, 0, 0xffffffe0, s4
	v_mov_b32_e32 v11, v15
	v_cndmask_b32_e32 v10, v14, v10, vcc_lo
	v_mad_u64_u32 v[15:16], null, 0xf534ddc0, v8, v[11:12]
	v_mov_b32_e32 v11, v16
	v_cndmask_b32_e32 v13, v15, v13, vcc_lo
	v_mad_u64_u32 v[16:17], null, 0xfc2757d1, v8, v[11:12]
	v_cndmask_b32_e64 v10, v13, v10, s4
	v_mov_b32_e32 v11, v17
	v_mad_u64_u32 v[17:18], null, 0x4e441529, v8, v[11:12]
	v_mov_b32_e32 v11, v18
	v_add_nc_u32_e32 v18, v20, v19
	v_cndmask_b32_e32 v19, v17, v15, vcc_lo
	v_mad_u64_u32 v[11:12], null, 0xa2f9836e, v8, v[11:12]
	v_cmp_lt_u32_e64 s5, 31, v18
	v_cndmask_b32_e64 v8, 0, 0xffffffe0, s5
	v_cndmask_b32_e32 v11, v11, v16, vcc_lo
	v_cndmask_b32_e32 v12, v12, v17, vcc_lo
	;; [unrolled: 1-line block ×3, first 2 shown]
	v_add_nc_u32_e32 v8, v8, v18
	v_cndmask_b32_e64 v15, v11, v19, s4
	v_cndmask_b32_e64 v11, v12, v11, s4
	;; [unrolled: 1-line block ×4, first 2 shown]
	v_sub_nc_u32_e32 v17, 32, v8
	v_cmp_eq_u32_e32 vcc_lo, 0, v8
	v_cndmask_b32_e64 v11, v11, v15, s5
	v_cndmask_b32_e64 v15, v15, v12, s5
	;; [unrolled: 1-line block ×4, first 2 shown]
	v_alignbit_b32 v18, v11, v15, v17
	v_alignbit_b32 v14, v15, v12, v17
	;; [unrolled: 1-line block ×3, first 2 shown]
	v_cndmask_b32_e32 v8, v18, v11, vcc_lo
	v_cndmask_b32_e32 v11, v14, v15, vcc_lo
	;; [unrolled: 1-line block ×3, first 2 shown]
	v_bfe_u32 v13, v8, 29, 1
	v_alignbit_b32 v14, v8, v11, 30
	v_alignbit_b32 v11, v11, v12, 30
	;; [unrolled: 1-line block ×3, first 2 shown]
	v_sub_nc_u32_e32 v15, 0, v13
	v_xor_b32_e32 v14, v14, v15
	v_xor_b32_e32 v11, v11, v15
	;; [unrolled: 1-line block ×3, first 2 shown]
	v_lshrrev_b32_e32 v15, 29, v8
	v_ffbh_u32_e32 v16, v14
	v_min_u32_e32 v16, 32, v16
	v_sub_nc_u32_e32 v12, 31, v16
	v_lshlrev_b32_e32 v17, 23, v16
	v_alignbit_b32 v14, v14, v11, v12
	v_alignbit_b32 v10, v11, v10, v12
	v_lshlrev_b32_e32 v11, 31, v15
	v_alignbit_b32 v12, v14, v10, 9
	v_or_b32_e32 v15, 0.5, v11
	v_lshrrev_b32_e32 v14, 9, v14
	v_or_b32_e32 v11, 0x33000000, v11
	v_ffbh_u32_e32 v18, v12
	v_sub_nc_u32_e32 v15, v15, v17
	v_min_u32_e32 v17, 32, v18
	v_or_b32_e32 v14, v14, v15
	v_not_b32_e32 v15, v17
	v_mul_f32_e32 v18, 0x3fc90fda, v14
	v_add_lshl_u32 v16, v17, v16, 23
	v_alignbit_b32 v10, v12, v10, v15
	v_fma_f32 v12, 0x3fc90fda, v14, -v18
	v_sub_nc_u32_e32 v11, v11, v16
	v_lshrrev_b32_e32 v10, 9, v10
	v_fmamk_f32 v12, v14, 0x33a22168, v12
	v_or_b32_e32 v10, v11, v10
	v_fmac_f32_e32 v12, 0x3fc90fda, v10
	v_lshrrev_b32_e32 v10, 30, v8
	v_add_f32_e32 v8, v18, v12
	v_add_nc_u32_e32 v10, v13, v10
.LBB62_6:
	s_andn2_saveexec_b32 s4, s8
; %bb.7:
	v_mul_f32_e64 v8, 0x3f22f983, |v6|
	v_rndne_f32_e32 v10, v8
	v_fma_f32 v8, 0xbfc90fda, v10, |v6|
	v_fmamk_f32 v8, v10, 0xb3a22168, v8
	v_fmamk_f32 v8, v10, 0xa7c234c4, v8
	v_cvt_i32_f32_e32 v10, v10
; %bb.8:
	s_or_b32 exec_lo, exec_lo, s4
	v_mul_f32_e32 v11, v8, v8
	s_mov_b32 s4, 0xb94c1982
	s_mov_b32 s5, 0x37d75334
	v_and_b32_e32 v14, 1, v10
	v_lshlrev_b32_e32 v10, 30, v10
	v_fmaak_f32 v12, s4, v11, 0x3c0881c4
	v_fmaak_f32 v13, s5, v11, 0xbab64f3b
	v_xor_b32_e32 v7, v7, v6
	v_cmp_eq_u32_e32 vcc_lo, 0, v14
	v_and_b32_e32 v10, 0x80000000, v10
	v_fmaak_f32 v12, v11, v12, 0xbe2aaa9d
	v_fmaak_f32 v13, v11, v13, 0x3d2aabf7
	v_sub_f32_e32 v9, 1.0, v9
	v_mul_f32_e32 v12, v11, v12
	v_fmaak_f32 v13, v11, v13, 0xbf000004
	v_fmac_f32_e32 v8, v8, v12
	v_fma_f32 v11, v11, v13, 1.0
	v_cndmask_b32_e32 v8, v11, v8, vcc_lo
	v_cmp_class_f32_e64 vcc_lo, v6, 0x1f8
	v_xor3_b32 v7, v7, v10, v8
	v_cndmask_b32_e32 v6, 0x7fc00000, v7, vcc_lo
	v_mul_f32_e32 v6, v6, v6
	v_div_scale_f32 v7, null, v6, v6, 0xc11de9e7
	v_div_scale_f32 v11, vcc_lo, 0xc11de9e7, v6, 0xc11de9e7
	v_rcp_f32_e32 v8, v7
	v_fma_f32 v10, -v7, v8, 1.0
	v_fmac_f32_e32 v8, v10, v8
	v_mul_f32_e32 v10, v11, v8
	v_fma_f32 v12, -v7, v10, v11
	v_fmac_f32_e32 v10, v12, v8
	v_fma_f32 v7, -v7, v10, v11
	v_div_fmas_f32 v7, v7, v8, v10
	v_div_fixup_f32 v6, v7, v6, 0xc11de9e7
	v_add_f32_e32 v7, 0, v6
	v_mov_b32_e32 v6, -1.0
.LBB62_9:
	s_or_b32 exec_lo, exec_lo, s7
	v_mov_b32_e32 v10, 0x3800
	v_cvt_f32_f16_sdwa v13, v3 dst_sel:DWORD dst_unused:UNUSED_PAD src0_sel:WORD_1
	v_mov_b32_e32 v8, 0
	v_cmp_lt_f16_sdwa s4, v3, v10 src0_sel:WORD_1 src1_sel:DWORD
	v_mov_b32_e32 v3, 1.0
	s_and_saveexec_b32 s7, s4
	s_cbranch_execz .LBB62_15
; %bb.10:
	v_mul_f32_e32 v3, 0x40490fdb, v13
                                        ; implicit-def: $vgpr11
                                        ; implicit-def: $vgpr10
	s_mov_b32 s5, exec_lo
	v_and_b32_e32 v8, 0x7fffffff, v3
	v_cmpx_ngt_f32_e64 0x48000000, |v3|
	s_xor_b32 s8, exec_lo, s5
	s_cbranch_execz .LBB62_12
; %bb.11:
	s_mov_b32 s4, 0x7fffff
	v_mov_b32_e32 v12, 0
	v_and_or_b32 v20, v8, s4, 0x800000
	v_lshrrev_b32_e32 v18, 23, v8
	v_mad_u64_u32 v[10:11], null, 0xfe5163ab, v20, 0
	v_add_nc_u32_e32 v19, 0xffffff88, v18
	v_cmp_lt_u32_e32 vcc_lo, 63, v19
	v_mad_u64_u32 v[14:15], null, 0x3c439041, v20, v[11:12]
	v_cndmask_b32_e64 v21, 0, 0xffffffc0, vcc_lo
	v_mov_b32_e32 v11, v15
	v_add_nc_u32_e32 v21, v21, v19
	v_mad_u64_u32 v[15:16], null, 0xdb629599, v20, v[11:12]
	v_cmp_lt_u32_e64 s4, 31, v21
	v_cndmask_b32_e64 v22, 0, 0xffffffe0, s4
	v_mov_b32_e32 v11, v16
	v_cndmask_b32_e32 v10, v15, v10, vcc_lo
	v_mad_u64_u32 v[16:17], null, 0xf534ddc0, v20, v[11:12]
	v_mov_b32_e32 v11, v17
	v_cndmask_b32_e32 v14, v16, v14, vcc_lo
	v_mad_u64_u32 v[17:18], null, 0xfc2757d1, v20, v[11:12]
	v_cndmask_b32_e64 v10, v14, v10, s4
	v_mov_b32_e32 v11, v18
	v_mad_u64_u32 v[18:19], null, 0x4e441529, v20, v[11:12]
	v_mov_b32_e32 v11, v19
	v_add_nc_u32_e32 v19, v22, v21
	v_cndmask_b32_e32 v21, v18, v16, vcc_lo
	v_mad_u64_u32 v[11:12], null, 0xa2f9836e, v20, v[11:12]
	v_cmp_lt_u32_e64 s5, 31, v19
	v_cndmask_b32_e64 v20, 0, 0xffffffe0, s5
	v_cndmask_b32_e32 v11, v11, v17, vcc_lo
	v_cndmask_b32_e32 v12, v12, v18, vcc_lo
	;; [unrolled: 1-line block ×3, first 2 shown]
	v_add_nc_u32_e32 v18, v20, v19
	v_cndmask_b32_e64 v16, v11, v21, s4
	v_cndmask_b32_e64 v11, v12, v11, s4
	;; [unrolled: 1-line block ×4, first 2 shown]
	v_sub_nc_u32_e32 v19, 32, v18
	v_cmp_eq_u32_e32 vcc_lo, 0, v18
	v_cndmask_b32_e64 v11, v11, v16, s5
	v_cndmask_b32_e64 v16, v16, v12, s5
	v_cndmask_b32_e64 v12, v12, v17, s5
	v_cndmask_b32_e64 v10, v17, v10, s5
	v_alignbit_b32 v20, v11, v16, v19
	v_alignbit_b32 v15, v16, v12, v19
	;; [unrolled: 1-line block ×3, first 2 shown]
	v_cndmask_b32_e32 v11, v20, v11, vcc_lo
	v_cndmask_b32_e32 v14, v15, v16, vcc_lo
	;; [unrolled: 1-line block ×3, first 2 shown]
	v_bfe_u32 v15, v11, 29, 1
	v_alignbit_b32 v16, v11, v14, 30
	v_alignbit_b32 v14, v14, v12, 30
	;; [unrolled: 1-line block ×3, first 2 shown]
	v_sub_nc_u32_e32 v17, 0, v15
	v_xor_b32_e32 v16, v16, v17
	v_xor_b32_e32 v12, v14, v17
	;; [unrolled: 1-line block ×3, first 2 shown]
	v_lshrrev_b32_e32 v17, 29, v11
	v_lshrrev_b32_e32 v11, 30, v11
	v_ffbh_u32_e32 v18, v16
	v_add_nc_u32_e32 v11, v15, v11
	v_min_u32_e32 v18, 32, v18
	v_sub_nc_u32_e32 v14, 31, v18
	v_lshlrev_b32_e32 v19, 23, v18
	v_alignbit_b32 v16, v16, v12, v14
	v_alignbit_b32 v10, v12, v10, v14
	v_lshlrev_b32_e32 v12, 31, v17
	v_alignbit_b32 v14, v16, v10, 9
	v_or_b32_e32 v17, 0.5, v12
	v_lshrrev_b32_e32 v16, 9, v16
	v_or_b32_e32 v12, 0x33000000, v12
	v_ffbh_u32_e32 v20, v14
	v_sub_nc_u32_e32 v17, v17, v19
	v_min_u32_e32 v19, 32, v20
	v_or_b32_e32 v16, v16, v17
	v_not_b32_e32 v17, v19
	v_mul_f32_e32 v20, 0x3fc90fda, v16
	v_add_lshl_u32 v18, v19, v18, 23
	v_alignbit_b32 v10, v14, v10, v17
	v_fma_f32 v14, 0x3fc90fda, v16, -v20
	v_sub_nc_u32_e32 v12, v12, v18
	v_lshrrev_b32_e32 v10, 9, v10
	v_fmamk_f32 v14, v16, 0x33a22168, v14
	v_or_b32_e32 v10, v12, v10
	v_fmac_f32_e32 v14, 0x3fc90fda, v10
	v_add_f32_e32 v10, v20, v14
.LBB62_12:
	s_andn2_saveexec_b32 s4, s8
; %bb.13:
	v_mul_f32_e64 v10, 0x3f22f983, |v3|
	v_rndne_f32_e32 v11, v10
	v_fma_f32 v10, 0xbfc90fda, v11, |v3|
	v_fmamk_f32 v10, v11, 0xb3a22168, v10
	v_fmamk_f32 v10, v11, 0xa7c234c4, v10
	v_cvt_i32_f32_e32 v11, v11
; %bb.14:
	s_or_b32 exec_lo, exec_lo, s4
	v_mul_f32_e32 v12, v10, v10
	s_mov_b32 s4, 0xb94c1982
	s_mov_b32 s5, 0x37d75334
	v_and_b32_e32 v16, 1, v11
	v_lshlrev_b32_e32 v11, 30, v11
	v_fmaak_f32 v14, s4, v12, 0x3c0881c4
	v_fmaak_f32 v15, s5, v12, 0xbab64f3b
	v_xor_b32_e32 v8, v8, v3
	v_cmp_eq_u32_e32 vcc_lo, 0, v16
	v_and_b32_e32 v11, 0x80000000, v11
	v_fmaak_f32 v14, v12, v14, 0xbe2aaa9d
	v_fmaak_f32 v15, v12, v15, 0x3d2aabf7
	v_sub_f32_e32 v13, 1.0, v13
	v_mul_f32_e32 v14, v12, v14
	v_fmaak_f32 v15, v12, v15, 0xbf000004
	v_fmac_f32_e32 v10, v10, v14
	v_fma_f32 v12, v12, v15, 1.0
	v_cndmask_b32_e32 v10, v12, v10, vcc_lo
	v_cmp_class_f32_e64 vcc_lo, v3, 0x1f8
	v_xor3_b32 v8, v8, v11, v10
	v_cndmask_b32_e32 v3, 0x7fc00000, v8, vcc_lo
	v_mul_f32_e32 v3, v3, v3
	v_div_scale_f32 v8, null, v3, v3, 0xc11de9e7
	v_div_scale_f32 v12, vcc_lo, 0xc11de9e7, v3, 0xc11de9e7
	v_rcp_f32_e32 v10, v8
	v_fma_f32 v11, -v8, v10, 1.0
	v_fmac_f32_e32 v10, v11, v10
	v_mul_f32_e32 v11, v12, v10
	v_fma_f32 v14, -v8, v11, v12
	v_fmac_f32_e32 v11, v14, v10
	v_fma_f32 v8, -v8, v11, v12
	v_div_fmas_f32 v8, v8, v10, v11
	v_div_fixup_f32 v3, v8, v3, 0xc11de9e7
	v_add_f32_e32 v8, 0, v3
	v_mov_b32_e32 v3, -1.0
.LBB62_15:
	s_or_b32 exec_lo, exec_lo, s7
	v_cvt_f32_f16_e32 v17, v4
	v_mov_b32_e32 v11, 0
	v_mov_b32_e32 v10, 1.0
	s_mov_b32 s7, exec_lo
	v_cmpx_gt_f16_e32 0.5, v4
	s_cbranch_execz .LBB62_21
; %bb.16:
	v_mul_f32_e32 v10, 0x40490fdb, v17
                                        ; implicit-def: $vgpr14
                                        ; implicit-def: $vgpr12
	s_mov_b32 s5, exec_lo
	v_and_b32_e32 v11, 0x7fffffff, v10
	v_cmpx_ngt_f32_e64 0x48000000, |v10|
	s_xor_b32 s8, exec_lo, s5
	s_cbranch_execz .LBB62_18
; %bb.17:
	s_mov_b32 s4, 0x7fffff
	v_mov_b32_e32 v16, 0
	v_and_or_b32 v12, v11, s4, 0x800000
	v_lshrrev_b32_e32 v22, 23, v11
	v_mad_u64_u32 v[14:15], null, 0xfe5163ab, v12, 0
	v_add_nc_u32_e32 v23, 0xffffff88, v22
	v_cmp_lt_u32_e32 vcc_lo, 63, v23
	v_mad_u64_u32 v[18:19], null, 0x3c439041, v12, v[15:16]
	v_cndmask_b32_e64 v24, 0, 0xffffffc0, vcc_lo
	v_mov_b32_e32 v15, v19
	v_add_nc_u32_e32 v24, v24, v23
	v_mad_u64_u32 v[19:20], null, 0xdb629599, v12, v[15:16]
	v_cmp_lt_u32_e64 s4, 31, v24
	v_cndmask_b32_e64 v25, 0, 0xffffffe0, s4
	v_mov_b32_e32 v15, v20
	v_cndmask_b32_e32 v14, v19, v14, vcc_lo
	v_mad_u64_u32 v[20:21], null, 0xf534ddc0, v12, v[15:16]
	v_mov_b32_e32 v15, v21
	v_cndmask_b32_e32 v18, v20, v18, vcc_lo
	v_mad_u64_u32 v[21:22], null, 0xfc2757d1, v12, v[15:16]
	v_cndmask_b32_e64 v14, v18, v14, s4
	v_mov_b32_e32 v15, v22
	v_mad_u64_u32 v[22:23], null, 0x4e441529, v12, v[15:16]
	v_mov_b32_e32 v15, v23
	v_add_nc_u32_e32 v23, v25, v24
	v_cndmask_b32_e32 v24, v22, v20, vcc_lo
	v_mad_u64_u32 v[15:16], null, 0xa2f9836e, v12, v[15:16]
	v_cmp_lt_u32_e64 s5, 31, v23
	v_cndmask_b32_e64 v12, 0, 0xffffffe0, s5
	v_cndmask_b32_e32 v15, v15, v21, vcc_lo
	v_cndmask_b32_e32 v16, v16, v22, vcc_lo
	;; [unrolled: 1-line block ×3, first 2 shown]
	v_add_nc_u32_e32 v12, v12, v23
	v_cndmask_b32_e64 v20, v15, v24, s4
	v_cndmask_b32_e64 v15, v16, v15, s4
	;; [unrolled: 1-line block ×4, first 2 shown]
	v_sub_nc_u32_e32 v22, 32, v12
	v_cmp_eq_u32_e32 vcc_lo, 0, v12
	v_cndmask_b32_e64 v15, v15, v20, s5
	v_cndmask_b32_e64 v20, v20, v16, s5
	;; [unrolled: 1-line block ×4, first 2 shown]
	v_alignbit_b32 v23, v15, v20, v22
	v_alignbit_b32 v19, v20, v16, v22
	;; [unrolled: 1-line block ×3, first 2 shown]
	v_cndmask_b32_e32 v12, v23, v15, vcc_lo
	v_cndmask_b32_e32 v15, v19, v20, vcc_lo
	;; [unrolled: 1-line block ×3, first 2 shown]
	v_bfe_u32 v18, v12, 29, 1
	v_alignbit_b32 v19, v12, v15, 30
	v_alignbit_b32 v15, v15, v16, 30
	v_alignbit_b32 v14, v16, v14, 30
	v_sub_nc_u32_e32 v20, 0, v18
	v_xor_b32_e32 v19, v19, v20
	v_xor_b32_e32 v15, v15, v20
	;; [unrolled: 1-line block ×3, first 2 shown]
	v_lshrrev_b32_e32 v20, 29, v12
	v_ffbh_u32_e32 v21, v19
	v_min_u32_e32 v21, 32, v21
	v_sub_nc_u32_e32 v16, 31, v21
	v_lshlrev_b32_e32 v22, 23, v21
	v_alignbit_b32 v19, v19, v15, v16
	v_alignbit_b32 v14, v15, v14, v16
	v_lshlrev_b32_e32 v15, 31, v20
	v_alignbit_b32 v16, v19, v14, 9
	v_or_b32_e32 v20, 0.5, v15
	v_lshrrev_b32_e32 v19, 9, v19
	v_or_b32_e32 v15, 0x33000000, v15
	v_ffbh_u32_e32 v23, v16
	v_sub_nc_u32_e32 v20, v20, v22
	v_min_u32_e32 v22, 32, v23
	v_or_b32_e32 v19, v19, v20
	v_not_b32_e32 v20, v22
	v_mul_f32_e32 v23, 0x3fc90fda, v19
	v_add_lshl_u32 v21, v22, v21, 23
	v_alignbit_b32 v14, v16, v14, v20
	v_fma_f32 v16, 0x3fc90fda, v19, -v23
	v_sub_nc_u32_e32 v15, v15, v21
	v_lshrrev_b32_e32 v14, 9, v14
	v_fmamk_f32 v16, v19, 0x33a22168, v16
	v_or_b32_e32 v14, v15, v14
	v_fmac_f32_e32 v16, 0x3fc90fda, v14
	v_lshrrev_b32_e32 v14, 30, v12
	v_add_f32_e32 v12, v23, v16
	v_add_nc_u32_e32 v14, v18, v14
.LBB62_18:
	s_andn2_saveexec_b32 s4, s8
; %bb.19:
	v_mul_f32_e64 v12, 0x3f22f983, |v10|
	v_rndne_f32_e32 v14, v12
	v_fma_f32 v12, 0xbfc90fda, v14, |v10|
	v_fmamk_f32 v12, v14, 0xb3a22168, v12
	v_fmamk_f32 v12, v14, 0xa7c234c4, v12
	v_cvt_i32_f32_e32 v14, v14
; %bb.20:
	s_or_b32 exec_lo, exec_lo, s4
	v_mul_f32_e32 v15, v12, v12
	s_mov_b32 s4, 0xb94c1982
	s_mov_b32 s5, 0x37d75334
	v_and_b32_e32 v19, 1, v14
	v_lshlrev_b32_e32 v14, 30, v14
	v_fmaak_f32 v16, s4, v15, 0x3c0881c4
	v_fmaak_f32 v18, s5, v15, 0xbab64f3b
	v_xor_b32_e32 v11, v11, v10
	v_cmp_eq_u32_e32 vcc_lo, 0, v19
	v_and_b32_e32 v14, 0x80000000, v14
	v_fmaak_f32 v16, v15, v16, 0xbe2aaa9d
	v_fmaak_f32 v18, v15, v18, 0x3d2aabf7
	v_sub_f32_e32 v17, 1.0, v17
	v_mul_f32_e32 v16, v15, v16
	v_fmaak_f32 v18, v15, v18, 0xbf000004
	v_fmac_f32_e32 v12, v12, v16
	v_fma_f32 v15, v15, v18, 1.0
	v_cndmask_b32_e32 v12, v15, v12, vcc_lo
	v_cmp_class_f32_e64 vcc_lo, v10, 0x1f8
	v_xor3_b32 v11, v11, v14, v12
	v_cndmask_b32_e32 v10, 0x7fc00000, v11, vcc_lo
	v_mul_f32_e32 v10, v10, v10
	v_div_scale_f32 v11, null, v10, v10, 0xc11de9e7
	v_div_scale_f32 v15, vcc_lo, 0xc11de9e7, v10, 0xc11de9e7
	v_rcp_f32_e32 v12, v11
	v_fma_f32 v14, -v11, v12, 1.0
	v_fmac_f32_e32 v12, v14, v12
	v_mul_f32_e32 v14, v15, v12
	v_fma_f32 v16, -v11, v14, v15
	v_fmac_f32_e32 v14, v16, v12
	v_fma_f32 v11, -v11, v14, v15
	v_div_fmas_f32 v11, v11, v12, v14
	v_div_fixup_f32 v10, v11, v10, 0xc11de9e7
	v_add_f32_e32 v11, 0, v10
	v_mov_b32_e32 v10, -1.0
.LBB62_21:
	s_or_b32 exec_lo, exec_lo, s7
	v_mov_b32_e32 v14, 0x3800
	v_cvt_f32_f16_sdwa v21, v4 dst_sel:DWORD dst_unused:UNUSED_PAD src0_sel:WORD_1
	v_mov_b32_e32 v12, 0
	v_cmp_lt_f16_sdwa s4, v4, v14 src0_sel:WORD_1 src1_sel:DWORD
	v_mov_b32_e32 v4, 1.0
	s_and_saveexec_b32 s7, s4
	s_cbranch_execz .LBB62_27
; %bb.22:
	v_mul_f32_e32 v4, 0x40490fdb, v21
                                        ; implicit-def: $vgpr15
                                        ; implicit-def: $vgpr14
	s_mov_b32 s5, exec_lo
	v_and_b32_e32 v12, 0x7fffffff, v4
	v_cmpx_ngt_f32_e64 0x48000000, |v4|
	s_xor_b32 s8, exec_lo, s5
	s_cbranch_execz .LBB62_24
; %bb.23:
	s_mov_b32 s4, 0x7fffff
	v_mov_b32_e32 v16, 0
	v_and_or_b32 v26, v12, s4, 0x800000
	v_mad_u64_u32 v[14:15], null, 0xfe5163ab, v26, 0
	v_mad_u64_u32 v[18:19], null, 0x3c439041, v26, v[15:16]
	v_mov_b32_e32 v15, v19
	v_mad_u64_u32 v[19:20], null, 0xdb629599, v26, v[15:16]
	v_mov_b32_e32 v15, v20
	v_lshrrev_b32_e32 v20, 23, v12
	v_mad_u64_u32 v[22:23], null, 0xf534ddc0, v26, v[15:16]
	v_add_nc_u32_e32 v20, 0xffffff88, v20
	v_cmp_lt_u32_e32 vcc_lo, 63, v20
	v_mov_b32_e32 v15, v23
	v_cndmask_b32_e64 v25, 0, 0xffffffc0, vcc_lo
	v_mad_u64_u32 v[23:24], null, 0xfc2757d1, v26, v[15:16]
	v_cndmask_b32_e32 v18, v22, v18, vcc_lo
	v_cndmask_b32_e32 v14, v19, v14, vcc_lo
	v_add_nc_u32_e32 v20, v25, v20
	v_mov_b32_e32 v15, v24
	v_cmp_lt_u32_e64 s4, 31, v20
	v_mad_u64_u32 v[24:25], null, 0x4e441529, v26, v[15:16]
	v_cndmask_b32_e64 v27, 0, 0xffffffe0, s4
	v_cndmask_b32_e64 v14, v18, v14, s4
	v_add_nc_u32_e32 v20, v27, v20
	v_mov_b32_e32 v15, v25
	v_cmp_lt_u32_e64 s5, 31, v20
	v_mad_u64_u32 v[15:16], null, 0xa2f9836e, v26, v[15:16]
	v_cndmask_b32_e32 v26, v24, v22, vcc_lo
	v_cndmask_b32_e64 v25, 0, 0xffffffe0, s5
	v_cndmask_b32_e32 v15, v15, v23, vcc_lo
	v_cndmask_b32_e32 v16, v16, v24, vcc_lo
	v_cndmask_b32_e32 v23, v23, v19, vcc_lo
	v_add_nc_u32_e32 v20, v25, v20
	v_cndmask_b32_e64 v22, v15, v26, s4
	v_cndmask_b32_e64 v15, v16, v15, s4
	;; [unrolled: 1-line block ×3, first 2 shown]
	v_sub_nc_u32_e32 v24, 32, v20
	v_cndmask_b32_e64 v23, v23, v18, s4
	v_cmp_eq_u32_e32 vcc_lo, 0, v20
	v_cndmask_b32_e64 v15, v15, v22, s5
	v_cndmask_b32_e64 v22, v22, v16, s5
	;; [unrolled: 1-line block ×4, first 2 shown]
	v_alignbit_b32 v25, v15, v22, v24
	v_alignbit_b32 v19, v22, v16, v24
	;; [unrolled: 1-line block ×3, first 2 shown]
	v_cndmask_b32_e32 v15, v25, v15, vcc_lo
	v_cndmask_b32_e32 v18, v19, v22, vcc_lo
	;; [unrolled: 1-line block ×3, first 2 shown]
	v_bfe_u32 v19, v15, 29, 1
	v_alignbit_b32 v20, v15, v18, 30
	v_alignbit_b32 v18, v18, v16, 30
	;; [unrolled: 1-line block ×3, first 2 shown]
	v_sub_nc_u32_e32 v22, 0, v19
	v_xor_b32_e32 v20, v20, v22
	v_xor_b32_e32 v16, v18, v22
	;; [unrolled: 1-line block ×3, first 2 shown]
	v_lshrrev_b32_e32 v22, 29, v15
	v_lshrrev_b32_e32 v15, 30, v15
	v_ffbh_u32_e32 v23, v20
	v_add_nc_u32_e32 v15, v19, v15
	v_min_u32_e32 v23, 32, v23
	v_sub_nc_u32_e32 v18, 31, v23
	v_lshlrev_b32_e32 v24, 23, v23
	v_alignbit_b32 v20, v20, v16, v18
	v_alignbit_b32 v14, v16, v14, v18
	v_lshlrev_b32_e32 v16, 31, v22
	v_alignbit_b32 v18, v20, v14, 9
	v_or_b32_e32 v22, 0.5, v16
	v_lshrrev_b32_e32 v20, 9, v20
	v_or_b32_e32 v16, 0x33000000, v16
	v_ffbh_u32_e32 v25, v18
	v_sub_nc_u32_e32 v22, v22, v24
	v_min_u32_e32 v24, 32, v25
	v_or_b32_e32 v20, v20, v22
	v_not_b32_e32 v22, v24
	v_mul_f32_e32 v25, 0x3fc90fda, v20
	v_add_lshl_u32 v23, v24, v23, 23
	v_alignbit_b32 v14, v18, v14, v22
	v_fma_f32 v18, 0x3fc90fda, v20, -v25
	v_sub_nc_u32_e32 v16, v16, v23
	v_lshrrev_b32_e32 v14, 9, v14
	v_fmamk_f32 v18, v20, 0x33a22168, v18
	v_or_b32_e32 v14, v16, v14
	v_fmac_f32_e32 v18, 0x3fc90fda, v14
	v_add_f32_e32 v14, v25, v18
.LBB62_24:
	s_andn2_saveexec_b32 s4, s8
; %bb.25:
	v_mul_f32_e64 v14, 0x3f22f983, |v4|
	v_rndne_f32_e32 v15, v14
	v_fma_f32 v14, 0xbfc90fda, v15, |v4|
	v_fmamk_f32 v14, v15, 0xb3a22168, v14
	v_fmamk_f32 v14, v15, 0xa7c234c4, v14
	v_cvt_i32_f32_e32 v15, v15
; %bb.26:
	s_or_b32 exec_lo, exec_lo, s4
	v_mul_f32_e32 v16, v14, v14
	s_mov_b32 s4, 0xb94c1982
	s_mov_b32 s5, 0x37d75334
	v_and_b32_e32 v20, 1, v15
	v_lshlrev_b32_e32 v15, 30, v15
	v_fmaak_f32 v18, s4, v16, 0x3c0881c4
	v_fmaak_f32 v19, s5, v16, 0xbab64f3b
	v_xor_b32_e32 v12, v12, v4
	v_cmp_eq_u32_e32 vcc_lo, 0, v20
	v_and_b32_e32 v15, 0x80000000, v15
	v_fmaak_f32 v18, v16, v18, 0xbe2aaa9d
	v_fmaak_f32 v19, v16, v19, 0x3d2aabf7
	v_sub_f32_e32 v21, 1.0, v21
	v_mul_f32_e32 v18, v16, v18
	v_fmaak_f32 v19, v16, v19, 0xbf000004
	v_fmac_f32_e32 v14, v14, v18
	v_fma_f32 v16, v16, v19, 1.0
	v_cndmask_b32_e32 v14, v16, v14, vcc_lo
	v_cmp_class_f32_e64 vcc_lo, v4, 0x1f8
	v_xor3_b32 v12, v12, v15, v14
	v_cndmask_b32_e32 v4, 0x7fc00000, v12, vcc_lo
	v_mul_f32_e32 v4, v4, v4
	v_div_scale_f32 v12, null, v4, v4, 0xc11de9e7
	v_div_scale_f32 v16, vcc_lo, 0xc11de9e7, v4, 0xc11de9e7
	v_rcp_f32_e32 v14, v12
	v_fma_f32 v15, -v12, v14, 1.0
	v_fmac_f32_e32 v14, v15, v14
	v_mul_f32_e32 v15, v16, v14
	v_fma_f32 v18, -v12, v15, v16
	v_fmac_f32_e32 v15, v18, v14
	v_fma_f32 v12, -v12, v15, v16
	v_div_fmas_f32 v12, v12, v14, v15
	v_div_fixup_f32 v4, v12, v4, 0xc11de9e7
	v_add_f32_e32 v12, 0, v4
	v_mov_b32_e32 v4, -1.0
.LBB62_27:
	s_or_b32 exec_lo, exec_lo, s7
	s_waitcnt vmcnt(0)
	v_cvt_f32_f16_e32 v49, v1
	v_mov_b32_e32 v15, 0
	v_mov_b32_e32 v14, 1.0
	s_mov_b32 s7, exec_lo
	v_cmpx_gt_f16_e32 0.5, v1
	s_cbranch_execz .LBB62_33
; %bb.28:
	v_mul_f32_e32 v14, 0x40490fdb, v49
                                        ; implicit-def: $vgpr18
                                        ; implicit-def: $vgpr16
	s_mov_b32 s5, exec_lo
	v_and_b32_e32 v15, 0x7fffffff, v14
	v_cmpx_ngt_f32_e64 0x48000000, |v14|
	s_xor_b32 s8, exec_lo, s5
	s_cbranch_execz .LBB62_30
; %bb.29:
	s_mov_b32 s4, 0x7fffff
	v_mov_b32_e32 v20, 0
	v_and_or_b32 v16, v15, s4, 0x800000
	v_lshrrev_b32_e32 v26, 23, v15
	v_mad_u64_u32 v[18:19], null, 0xfe5163ab, v16, 0
	v_add_nc_u32_e32 v27, 0xffffff88, v26
	v_cmp_lt_u32_e32 vcc_lo, 63, v27
	v_mad_u64_u32 v[22:23], null, 0x3c439041, v16, v[19:20]
	v_cndmask_b32_e64 v28, 0, 0xffffffc0, vcc_lo
	v_mov_b32_e32 v19, v23
	v_add_nc_u32_e32 v28, v28, v27
	v_mad_u64_u32 v[23:24], null, 0xdb629599, v16, v[19:20]
	v_cmp_lt_u32_e64 s4, 31, v28
	v_cndmask_b32_e64 v29, 0, 0xffffffe0, s4
	v_mov_b32_e32 v19, v24
	v_cndmask_b32_e32 v18, v23, v18, vcc_lo
	v_mad_u64_u32 v[24:25], null, 0xf534ddc0, v16, v[19:20]
	v_mov_b32_e32 v19, v25
	v_cndmask_b32_e32 v22, v24, v22, vcc_lo
	v_mad_u64_u32 v[25:26], null, 0xfc2757d1, v16, v[19:20]
	v_cndmask_b32_e64 v18, v22, v18, s4
	v_mov_b32_e32 v19, v26
	v_mad_u64_u32 v[26:27], null, 0x4e441529, v16, v[19:20]
	v_mov_b32_e32 v19, v27
	v_add_nc_u32_e32 v27, v29, v28
	v_cndmask_b32_e32 v28, v26, v24, vcc_lo
	v_mad_u64_u32 v[19:20], null, 0xa2f9836e, v16, v[19:20]
	v_cmp_lt_u32_e64 s5, 31, v27
	v_cndmask_b32_e64 v16, 0, 0xffffffe0, s5
	v_cndmask_b32_e32 v19, v19, v25, vcc_lo
	v_cndmask_b32_e32 v20, v20, v26, vcc_lo
	v_cndmask_b32_e32 v25, v25, v23, vcc_lo
	v_add_nc_u32_e32 v16, v16, v27
	v_cndmask_b32_e64 v24, v19, v28, s4
	v_cndmask_b32_e64 v19, v20, v19, s4
	;; [unrolled: 1-line block ×4, first 2 shown]
	v_sub_nc_u32_e32 v26, 32, v16
	v_cmp_eq_u32_e32 vcc_lo, 0, v16
	v_cndmask_b32_e64 v19, v19, v24, s5
	v_cndmask_b32_e64 v24, v24, v20, s5
	;; [unrolled: 1-line block ×4, first 2 shown]
	v_alignbit_b32 v27, v19, v24, v26
	v_alignbit_b32 v23, v24, v20, v26
	;; [unrolled: 1-line block ×3, first 2 shown]
	v_cndmask_b32_e32 v16, v27, v19, vcc_lo
	v_cndmask_b32_e32 v19, v23, v24, vcc_lo
	;; [unrolled: 1-line block ×3, first 2 shown]
	v_bfe_u32 v22, v16, 29, 1
	v_alignbit_b32 v23, v16, v19, 30
	v_alignbit_b32 v19, v19, v20, 30
	;; [unrolled: 1-line block ×3, first 2 shown]
	v_sub_nc_u32_e32 v24, 0, v22
	v_xor_b32_e32 v23, v23, v24
	v_xor_b32_e32 v19, v19, v24
	;; [unrolled: 1-line block ×3, first 2 shown]
	v_lshrrev_b32_e32 v24, 29, v16
	v_ffbh_u32_e32 v25, v23
	v_min_u32_e32 v25, 32, v25
	v_sub_nc_u32_e32 v20, 31, v25
	v_lshlrev_b32_e32 v26, 23, v25
	v_alignbit_b32 v23, v23, v19, v20
	v_alignbit_b32 v18, v19, v18, v20
	v_lshlrev_b32_e32 v19, 31, v24
	v_alignbit_b32 v20, v23, v18, 9
	v_or_b32_e32 v24, 0.5, v19
	v_lshrrev_b32_e32 v23, 9, v23
	v_or_b32_e32 v19, 0x33000000, v19
	v_ffbh_u32_e32 v27, v20
	v_sub_nc_u32_e32 v24, v24, v26
	v_min_u32_e32 v26, 32, v27
	v_or_b32_e32 v23, v23, v24
	v_not_b32_e32 v24, v26
	v_mul_f32_e32 v27, 0x3fc90fda, v23
	v_add_lshl_u32 v25, v26, v25, 23
	v_alignbit_b32 v18, v20, v18, v24
	v_fma_f32 v20, 0x3fc90fda, v23, -v27
	v_sub_nc_u32_e32 v19, v19, v25
	v_lshrrev_b32_e32 v18, 9, v18
	v_fmamk_f32 v20, v23, 0x33a22168, v20
	v_or_b32_e32 v18, v19, v18
	v_fmac_f32_e32 v20, 0x3fc90fda, v18
	v_lshrrev_b32_e32 v18, 30, v16
	v_add_f32_e32 v16, v27, v20
	v_add_nc_u32_e32 v18, v22, v18
.LBB62_30:
	s_andn2_saveexec_b32 s4, s8
; %bb.31:
	v_mul_f32_e64 v16, 0x3f22f983, |v14|
	v_rndne_f32_e32 v18, v16
	v_fma_f32 v16, 0xbfc90fda, v18, |v14|
	v_fmamk_f32 v16, v18, 0xb3a22168, v16
	v_fmamk_f32 v16, v18, 0xa7c234c4, v16
	v_cvt_i32_f32_e32 v18, v18
; %bb.32:
	s_or_b32 exec_lo, exec_lo, s4
	v_mul_f32_e32 v19, v16, v16
	s_mov_b32 s4, 0xb94c1982
	s_mov_b32 s5, 0x37d75334
	v_and_b32_e32 v23, 1, v18
	v_lshlrev_b32_e32 v18, 30, v18
	v_fmaak_f32 v20, s4, v19, 0x3c0881c4
	v_fmaak_f32 v22, s5, v19, 0xbab64f3b
	v_xor_b32_e32 v15, v15, v14
	v_cmp_eq_u32_e32 vcc_lo, 0, v23
	v_and_b32_e32 v18, 0x80000000, v18
	v_fmaak_f32 v20, v19, v20, 0xbe2aaa9d
	v_fmaak_f32 v22, v19, v22, 0x3d2aabf7
	v_sub_f32_e32 v49, 1.0, v49
	v_mul_f32_e32 v20, v19, v20
	v_fmaak_f32 v22, v19, v22, 0xbf000004
	v_fmac_f32_e32 v16, v16, v20
	v_fma_f32 v19, v19, v22, 1.0
	v_cndmask_b32_e32 v16, v19, v16, vcc_lo
	v_cmp_class_f32_e64 vcc_lo, v14, 0x1f8
	v_xor3_b32 v15, v15, v18, v16
	v_cndmask_b32_e32 v14, 0x7fc00000, v15, vcc_lo
	v_mul_f32_e32 v14, v14, v14
	v_div_scale_f32 v15, null, v14, v14, 0xc11de9e7
	v_div_scale_f32 v19, vcc_lo, 0xc11de9e7, v14, 0xc11de9e7
	v_rcp_f32_e32 v16, v15
	v_fma_f32 v18, -v15, v16, 1.0
	v_fmac_f32_e32 v16, v18, v16
	v_mul_f32_e32 v18, v19, v16
	v_fma_f32 v20, -v15, v18, v19
	v_fmac_f32_e32 v18, v20, v16
	v_fma_f32 v15, -v15, v18, v19
	v_div_fmas_f32 v15, v15, v16, v18
	v_div_fixup_f32 v14, v15, v14, 0xc11de9e7
	v_add_f32_e32 v15, 0, v14
	v_mov_b32_e32 v14, -1.0
.LBB62_33:
	s_or_b32 exec_lo, exec_lo, s7
	v_mov_b32_e32 v18, 0x3800
	v_cvt_f32_f16_sdwa v36, v1 dst_sel:DWORD dst_unused:UNUSED_PAD src0_sel:WORD_1
	v_mov_b32_e32 v16, 0
	v_cmp_lt_f16_sdwa s4, v1, v18 src0_sel:WORD_1 src1_sel:DWORD
	v_mov_b32_e32 v1, 1.0
	s_and_saveexec_b32 s7, s4
	s_cbranch_execz .LBB62_39
; %bb.34:
	v_mul_f32_e32 v1, 0x40490fdb, v36
                                        ; implicit-def: $vgpr19
                                        ; implicit-def: $vgpr18
	s_mov_b32 s5, exec_lo
	v_and_b32_e32 v16, 0x7fffffff, v1
	v_cmpx_ngt_f32_e64 0x48000000, |v1|
	s_xor_b32 s8, exec_lo, s5
	s_cbranch_execz .LBB62_36
; %bb.35:
	s_mov_b32 s4, 0x7fffff
	v_mov_b32_e32 v20, 0
	v_and_or_b32 v28, v16, s4, 0x800000
	v_lshrrev_b32_e32 v26, 23, v16
	v_mad_u64_u32 v[18:19], null, 0xfe5163ab, v28, 0
	v_add_nc_u32_e32 v27, 0xffffff88, v26
	v_cmp_lt_u32_e32 vcc_lo, 63, v27
	v_mad_u64_u32 v[22:23], null, 0x3c439041, v28, v[19:20]
	v_cndmask_b32_e64 v29, 0, 0xffffffc0, vcc_lo
	v_mov_b32_e32 v19, v23
	v_add_nc_u32_e32 v29, v29, v27
	v_mad_u64_u32 v[23:24], null, 0xdb629599, v28, v[19:20]
	v_cmp_lt_u32_e64 s4, 31, v29
	v_cndmask_b32_e64 v30, 0, 0xffffffe0, s4
	v_mov_b32_e32 v19, v24
	v_cndmask_b32_e32 v18, v23, v18, vcc_lo
	v_mad_u64_u32 v[24:25], null, 0xf534ddc0, v28, v[19:20]
	v_mov_b32_e32 v19, v25
	v_cndmask_b32_e32 v22, v24, v22, vcc_lo
	v_mad_u64_u32 v[25:26], null, 0xfc2757d1, v28, v[19:20]
	v_cndmask_b32_e64 v18, v22, v18, s4
	v_mov_b32_e32 v19, v26
	v_mad_u64_u32 v[26:27], null, 0x4e441529, v28, v[19:20]
	v_mov_b32_e32 v19, v27
	v_add_nc_u32_e32 v27, v30, v29
	v_cndmask_b32_e32 v29, v26, v24, vcc_lo
	v_mad_u64_u32 v[19:20], null, 0xa2f9836e, v28, v[19:20]
	v_cmp_lt_u32_e64 s5, 31, v27
	v_cndmask_b32_e64 v28, 0, 0xffffffe0, s5
	v_cndmask_b32_e32 v19, v19, v25, vcc_lo
	v_cndmask_b32_e32 v20, v20, v26, vcc_lo
	;; [unrolled: 1-line block ×3, first 2 shown]
	v_add_nc_u32_e32 v26, v28, v27
	v_cndmask_b32_e64 v24, v19, v29, s4
	v_cndmask_b32_e64 v19, v20, v19, s4
	;; [unrolled: 1-line block ×4, first 2 shown]
	v_sub_nc_u32_e32 v27, 32, v26
	v_cmp_eq_u32_e32 vcc_lo, 0, v26
	v_cndmask_b32_e64 v19, v19, v24, s5
	v_cndmask_b32_e64 v24, v24, v20, s5
	;; [unrolled: 1-line block ×4, first 2 shown]
	v_alignbit_b32 v28, v19, v24, v27
	v_alignbit_b32 v23, v24, v20, v27
	;; [unrolled: 1-line block ×3, first 2 shown]
	v_cndmask_b32_e32 v19, v28, v19, vcc_lo
	v_cndmask_b32_e32 v22, v23, v24, vcc_lo
	;; [unrolled: 1-line block ×3, first 2 shown]
	v_bfe_u32 v23, v19, 29, 1
	v_alignbit_b32 v24, v19, v22, 30
	v_alignbit_b32 v22, v22, v20, 30
	;; [unrolled: 1-line block ×3, first 2 shown]
	v_sub_nc_u32_e32 v25, 0, v23
	v_xor_b32_e32 v24, v24, v25
	v_xor_b32_e32 v20, v22, v25
	;; [unrolled: 1-line block ×3, first 2 shown]
	v_lshrrev_b32_e32 v25, 29, v19
	v_lshrrev_b32_e32 v19, 30, v19
	v_ffbh_u32_e32 v26, v24
	v_add_nc_u32_e32 v19, v23, v19
	v_min_u32_e32 v26, 32, v26
	v_sub_nc_u32_e32 v22, 31, v26
	v_lshlrev_b32_e32 v27, 23, v26
	v_alignbit_b32 v24, v24, v20, v22
	v_alignbit_b32 v18, v20, v18, v22
	v_lshlrev_b32_e32 v20, 31, v25
	v_alignbit_b32 v22, v24, v18, 9
	v_or_b32_e32 v25, 0.5, v20
	v_lshrrev_b32_e32 v24, 9, v24
	v_or_b32_e32 v20, 0x33000000, v20
	v_ffbh_u32_e32 v28, v22
	v_sub_nc_u32_e32 v25, v25, v27
	v_min_u32_e32 v27, 32, v28
	v_or_b32_e32 v24, v24, v25
	v_not_b32_e32 v25, v27
	v_mul_f32_e32 v28, 0x3fc90fda, v24
	v_add_lshl_u32 v26, v27, v26, 23
	v_alignbit_b32 v18, v22, v18, v25
	v_fma_f32 v22, 0x3fc90fda, v24, -v28
	v_sub_nc_u32_e32 v20, v20, v26
	v_lshrrev_b32_e32 v18, 9, v18
	v_fmamk_f32 v22, v24, 0x33a22168, v22
	v_or_b32_e32 v18, v20, v18
	v_fmac_f32_e32 v22, 0x3fc90fda, v18
	v_add_f32_e32 v18, v28, v22
.LBB62_36:
	s_andn2_saveexec_b32 s4, s8
; %bb.37:
	v_mul_f32_e64 v18, 0x3f22f983, |v1|
	v_rndne_f32_e32 v19, v18
	v_fma_f32 v18, 0xbfc90fda, v19, |v1|
	v_fmamk_f32 v18, v19, 0xb3a22168, v18
	v_fmamk_f32 v18, v19, 0xa7c234c4, v18
	v_cvt_i32_f32_e32 v19, v19
; %bb.38:
	s_or_b32 exec_lo, exec_lo, s4
	v_mul_f32_e32 v20, v18, v18
	s_mov_b32 s4, 0xb94c1982
	s_mov_b32 s5, 0x37d75334
	v_and_b32_e32 v24, 1, v19
	v_lshlrev_b32_e32 v19, 30, v19
	v_fmaak_f32 v22, s4, v20, 0x3c0881c4
	v_fmaak_f32 v23, s5, v20, 0xbab64f3b
	v_xor_b32_e32 v16, v16, v1
	v_cmp_eq_u32_e32 vcc_lo, 0, v24
	v_and_b32_e32 v19, 0x80000000, v19
	v_fmaak_f32 v22, v20, v22, 0xbe2aaa9d
	v_fmaak_f32 v23, v20, v23, 0x3d2aabf7
	v_sub_f32_e32 v36, 1.0, v36
	v_mul_f32_e32 v22, v20, v22
	v_fmaak_f32 v23, v20, v23, 0xbf000004
	v_fmac_f32_e32 v18, v18, v22
	v_fma_f32 v20, v20, v23, 1.0
	v_cndmask_b32_e32 v18, v20, v18, vcc_lo
	v_cmp_class_f32_e64 vcc_lo, v1, 0x1f8
	v_xor3_b32 v16, v16, v19, v18
	v_cndmask_b32_e32 v1, 0x7fc00000, v16, vcc_lo
	v_mul_f32_e32 v1, v1, v1
	v_div_scale_f32 v16, null, v1, v1, 0xc11de9e7
	v_div_scale_f32 v20, vcc_lo, 0xc11de9e7, v1, 0xc11de9e7
	v_rcp_f32_e32 v18, v16
	v_fma_f32 v19, -v16, v18, 1.0
	v_fmac_f32_e32 v18, v19, v18
	v_mul_f32_e32 v19, v20, v18
	v_fma_f32 v22, -v16, v19, v20
	v_fmac_f32_e32 v19, v22, v18
	v_fma_f32 v16, -v16, v19, v20
	v_div_fmas_f32 v16, v16, v18, v19
	v_div_fixup_f32 v1, v16, v1, 0xc11de9e7
	v_add_f32_e32 v16, 0, v1
	v_mov_b32_e32 v1, -1.0
.LBB62_39:
	s_or_b32 exec_lo, exec_lo, s7
	v_cvt_f32_f16_e32 v23, v2
	v_mov_b32_e32 v19, 0
	v_mov_b32_e32 v18, 1.0
	s_mov_b32 s7, exec_lo
	v_cmpx_gt_f16_e32 0.5, v2
	s_cbranch_execz .LBB62_45
; %bb.40:
	v_mul_f32_e32 v18, 0x40490fdb, v23
                                        ; implicit-def: $vgpr22
                                        ; implicit-def: $vgpr20
	s_mov_b32 s5, exec_lo
	v_and_b32_e32 v19, 0x7fffffff, v18
	v_cmpx_ngt_f32_e64 0x48000000, |v18|
	s_xor_b32 s8, exec_lo, s5
	s_cbranch_execz .LBB62_42
; %bb.41:
	s_mov_b32 s4, 0x7fffff
	v_mov_b32_e32 v26, 0
	v_and_or_b32 v20, v19, s4, 0x800000
	v_lshrrev_b32_e32 v22, 23, v19
	v_mad_u64_u32 v[24:25], null, 0xfe5163ab, v20, 0
	v_add_nc_u32_e32 v22, 0xffffff88, v22
	v_cmp_lt_u32_e32 vcc_lo, 63, v22
	v_mad_u64_u32 v[27:28], null, 0x3c439041, v20, v[25:26]
	v_cndmask_b32_e64 v32, 0, 0xffffffc0, vcc_lo
	v_mov_b32_e32 v25, v28
	v_add_nc_u32_e32 v22, v32, v22
	v_mad_u64_u32 v[28:29], null, 0xdb629599, v20, v[25:26]
	v_cmp_lt_u32_e64 s4, 31, v22
	v_cndmask_b32_e64 v33, 0, 0xffffffe0, s4
	v_mov_b32_e32 v25, v29
	v_cndmask_b32_e32 v24, v28, v24, vcc_lo
	v_add_nc_u32_e32 v22, v33, v22
	v_mad_u64_u32 v[29:30], null, 0xf534ddc0, v20, v[25:26]
	v_cmp_lt_u32_e64 s5, 31, v22
	v_mov_b32_e32 v25, v30
	v_mad_u64_u32 v[30:31], null, 0xfc2757d1, v20, v[25:26]
	v_mov_b32_e32 v25, v31
	v_mad_u64_u32 v[31:32], null, 0x4e441529, v20, v[25:26]
	v_mov_b32_e32 v25, v32
	v_cndmask_b32_e32 v32, v31, v29, vcc_lo
	v_mad_u64_u32 v[25:26], null, 0xa2f9836e, v20, v[25:26]
	v_cndmask_b32_e64 v20, 0, 0xffffffe0, s5
	v_add_nc_u32_e32 v20, v20, v22
	v_cndmask_b32_e32 v25, v25, v30, vcc_lo
	v_cndmask_b32_e32 v26, v26, v31, vcc_lo
	;; [unrolled: 1-line block ×4, first 2 shown]
	v_sub_nc_u32_e32 v29, 32, v20
	v_cndmask_b32_e64 v27, v25, v32, s4
	v_cndmask_b32_e64 v25, v26, v25, s4
	;; [unrolled: 1-line block ×4, first 2 shown]
	v_cmp_eq_u32_e32 vcc_lo, 0, v20
	v_cndmask_b32_e64 v22, v22, v24, s4
	v_cndmask_b32_e64 v25, v25, v27, s5
	;; [unrolled: 1-line block ×5, first 2 shown]
	v_alignbit_b32 v31, v25, v27, v29
	v_alignbit_b32 v28, v27, v26, v29
	;; [unrolled: 1-line block ×3, first 2 shown]
	v_cndmask_b32_e32 v20, v31, v25, vcc_lo
	v_cndmask_b32_e32 v24, v28, v27, vcc_lo
	;; [unrolled: 1-line block ×3, first 2 shown]
	v_bfe_u32 v25, v20, 29, 1
	v_alignbit_b32 v27, v20, v24, 30
	v_alignbit_b32 v24, v24, v26, 30
	;; [unrolled: 1-line block ×3, first 2 shown]
	v_sub_nc_u32_e32 v28, 0, v25
	v_xor_b32_e32 v27, v27, v28
	v_xor_b32_e32 v24, v24, v28
	;; [unrolled: 1-line block ×3, first 2 shown]
	v_lshrrev_b32_e32 v28, 29, v20
	v_ffbh_u32_e32 v29, v27
	v_min_u32_e32 v29, 32, v29
	v_sub_nc_u32_e32 v26, 31, v29
	v_lshlrev_b32_e32 v30, 23, v29
	v_alignbit_b32 v27, v27, v24, v26
	v_alignbit_b32 v22, v24, v22, v26
	v_lshlrev_b32_e32 v24, 31, v28
	v_alignbit_b32 v26, v27, v22, 9
	v_or_b32_e32 v28, 0.5, v24
	v_lshrrev_b32_e32 v27, 9, v27
	v_or_b32_e32 v24, 0x33000000, v24
	v_ffbh_u32_e32 v31, v26
	v_sub_nc_u32_e32 v28, v28, v30
	v_min_u32_e32 v30, 32, v31
	v_or_b32_e32 v27, v27, v28
	v_not_b32_e32 v28, v30
	v_mul_f32_e32 v31, 0x3fc90fda, v27
	v_add_lshl_u32 v29, v30, v29, 23
	v_alignbit_b32 v22, v26, v22, v28
	v_fma_f32 v26, 0x3fc90fda, v27, -v31
	v_sub_nc_u32_e32 v24, v24, v29
	v_lshrrev_b32_e32 v22, 9, v22
	v_fmamk_f32 v26, v27, 0x33a22168, v26
	v_or_b32_e32 v22, v24, v22
	v_fmac_f32_e32 v26, 0x3fc90fda, v22
	v_lshrrev_b32_e32 v22, 30, v20
	v_add_f32_e32 v20, v31, v26
	v_add_nc_u32_e32 v22, v25, v22
.LBB62_42:
	s_andn2_saveexec_b32 s4, s8
; %bb.43:
	v_mul_f32_e64 v20, 0x3f22f983, |v18|
	v_rndne_f32_e32 v22, v20
	v_fma_f32 v20, 0xbfc90fda, v22, |v18|
	v_fmamk_f32 v20, v22, 0xb3a22168, v20
	v_fmamk_f32 v20, v22, 0xa7c234c4, v20
	v_cvt_i32_f32_e32 v22, v22
; %bb.44:
	s_or_b32 exec_lo, exec_lo, s4
	v_mul_f32_e32 v24, v20, v20
	s_mov_b32 s4, 0xb94c1982
	s_mov_b32 s5, 0x37d75334
	v_and_b32_e32 v27, 1, v22
	v_lshlrev_b32_e32 v22, 30, v22
	v_fmaak_f32 v25, s4, v24, 0x3c0881c4
	v_fmaak_f32 v26, s5, v24, 0xbab64f3b
	v_xor_b32_e32 v19, v19, v18
	v_cmp_eq_u32_e32 vcc_lo, 0, v27
	v_and_b32_e32 v22, 0x80000000, v22
	v_fmaak_f32 v25, v24, v25, 0xbe2aaa9d
	v_fmaak_f32 v26, v24, v26, 0x3d2aabf7
	v_sub_f32_e32 v23, 1.0, v23
	v_mul_f32_e32 v25, v24, v25
	v_fmaak_f32 v26, v24, v26, 0xbf000004
	v_fmac_f32_e32 v20, v20, v25
	v_fma_f32 v24, v24, v26, 1.0
	v_cndmask_b32_e32 v20, v24, v20, vcc_lo
	v_cmp_class_f32_e64 vcc_lo, v18, 0x1f8
	v_xor3_b32 v19, v19, v22, v20
	v_cndmask_b32_e32 v18, 0x7fc00000, v19, vcc_lo
	v_mul_f32_e32 v18, v18, v18
	v_div_scale_f32 v19, null, v18, v18, 0xc11de9e7
	v_div_scale_f32 v24, vcc_lo, 0xc11de9e7, v18, 0xc11de9e7
	v_rcp_f32_e32 v20, v19
	v_fma_f32 v22, -v19, v20, 1.0
	v_fmac_f32_e32 v20, v22, v20
	v_mul_f32_e32 v22, v24, v20
	v_fma_f32 v25, -v19, v22, v24
	v_fmac_f32_e32 v22, v25, v20
	v_fma_f32 v19, -v19, v22, v24
	v_div_fmas_f32 v19, v19, v20, v22
	v_div_fixup_f32 v18, v19, v18, 0xc11de9e7
	v_add_f32_e32 v19, 0, v18
	v_mov_b32_e32 v18, -1.0
.LBB62_45:
	s_or_b32 exec_lo, exec_lo, s7
	v_mov_b32_e32 v24, 0x3800
	v_cvt_f32_f16_sdwa v22, v2 dst_sel:DWORD dst_unused:UNUSED_PAD src0_sel:WORD_1
	v_mov_b32_e32 v20, 0
	v_cmp_lt_f16_sdwa s4, v2, v24 src0_sel:WORD_1 src1_sel:DWORD
	v_mov_b32_e32 v2, 1.0
	s_and_saveexec_b32 s7, s4
	s_cbranch_execz .LBB62_51
; %bb.46:
	v_mul_f32_e32 v2, 0x40490fdb, v22
                                        ; implicit-def: $vgpr25
                                        ; implicit-def: $vgpr24
	s_mov_b32 s5, exec_lo
	v_and_b32_e32 v20, 0x7fffffff, v2
	v_cmpx_ngt_f32_e64 0x48000000, |v2|
	s_xor_b32 s8, exec_lo, s5
	s_cbranch_execz .LBB62_48
; %bb.47:
	s_mov_b32 s4, 0x7fffff
	v_mov_b32_e32 v26, 0
	v_and_or_b32 v33, v20, s4, 0x800000
	v_lshrrev_b32_e32 v31, 23, v20
	v_mad_u64_u32 v[24:25], null, 0xfe5163ab, v33, 0
	v_add_nc_u32_e32 v32, 0xffffff88, v31
	v_cmp_lt_u32_e32 vcc_lo, 63, v32
	v_mad_u64_u32 v[27:28], null, 0x3c439041, v33, v[25:26]
	v_cndmask_b32_e64 v34, 0, 0xffffffc0, vcc_lo
	v_mov_b32_e32 v25, v28
	v_add_nc_u32_e32 v34, v34, v32
	v_mad_u64_u32 v[28:29], null, 0xdb629599, v33, v[25:26]
	v_cmp_lt_u32_e64 s4, 31, v34
	v_cndmask_b32_e64 v35, 0, 0xffffffe0, s4
	v_mov_b32_e32 v25, v29
	v_cndmask_b32_e32 v24, v28, v24, vcc_lo
	v_mad_u64_u32 v[29:30], null, 0xf534ddc0, v33, v[25:26]
	v_mov_b32_e32 v25, v30
	v_cndmask_b32_e32 v27, v29, v27, vcc_lo
	v_mad_u64_u32 v[30:31], null, 0xfc2757d1, v33, v[25:26]
	v_cndmask_b32_e64 v24, v27, v24, s4
	v_mov_b32_e32 v25, v31
	v_mad_u64_u32 v[31:32], null, 0x4e441529, v33, v[25:26]
	v_mov_b32_e32 v25, v32
	v_add_nc_u32_e32 v32, v35, v34
	v_cndmask_b32_e32 v34, v31, v29, vcc_lo
	v_mad_u64_u32 v[25:26], null, 0xa2f9836e, v33, v[25:26]
	v_cmp_lt_u32_e64 s5, 31, v32
	v_cndmask_b32_e64 v33, 0, 0xffffffe0, s5
	v_cndmask_b32_e32 v25, v25, v30, vcc_lo
	v_cndmask_b32_e32 v26, v26, v31, vcc_lo
	;; [unrolled: 1-line block ×3, first 2 shown]
	v_add_nc_u32_e32 v31, v33, v32
	v_cndmask_b32_e64 v29, v25, v34, s4
	v_cndmask_b32_e64 v25, v26, v25, s4
	;; [unrolled: 1-line block ×4, first 2 shown]
	v_sub_nc_u32_e32 v32, 32, v31
	v_cmp_eq_u32_e32 vcc_lo, 0, v31
	v_cndmask_b32_e64 v25, v25, v29, s5
	v_cndmask_b32_e64 v29, v29, v26, s5
	;; [unrolled: 1-line block ×4, first 2 shown]
	v_alignbit_b32 v33, v25, v29, v32
	v_alignbit_b32 v28, v29, v26, v32
	;; [unrolled: 1-line block ×3, first 2 shown]
	v_cndmask_b32_e32 v25, v33, v25, vcc_lo
	v_cndmask_b32_e32 v27, v28, v29, vcc_lo
	;; [unrolled: 1-line block ×3, first 2 shown]
	v_bfe_u32 v28, v25, 29, 1
	v_alignbit_b32 v29, v25, v27, 30
	v_alignbit_b32 v27, v27, v26, 30
	;; [unrolled: 1-line block ×3, first 2 shown]
	v_sub_nc_u32_e32 v30, 0, v28
	v_xor_b32_e32 v29, v29, v30
	v_xor_b32_e32 v26, v27, v30
	;; [unrolled: 1-line block ×3, first 2 shown]
	v_lshrrev_b32_e32 v30, 29, v25
	v_lshrrev_b32_e32 v25, 30, v25
	v_ffbh_u32_e32 v31, v29
	v_add_nc_u32_e32 v25, v28, v25
	v_min_u32_e32 v31, 32, v31
	v_sub_nc_u32_e32 v27, 31, v31
	v_lshlrev_b32_e32 v32, 23, v31
	v_alignbit_b32 v29, v29, v26, v27
	v_alignbit_b32 v24, v26, v24, v27
	v_lshlrev_b32_e32 v26, 31, v30
	v_alignbit_b32 v27, v29, v24, 9
	v_or_b32_e32 v30, 0.5, v26
	v_lshrrev_b32_e32 v29, 9, v29
	v_or_b32_e32 v26, 0x33000000, v26
	v_ffbh_u32_e32 v33, v27
	v_sub_nc_u32_e32 v30, v30, v32
	v_min_u32_e32 v32, 32, v33
	v_or_b32_e32 v29, v29, v30
	v_not_b32_e32 v30, v32
	v_mul_f32_e32 v33, 0x3fc90fda, v29
	v_add_lshl_u32 v31, v32, v31, 23
	v_alignbit_b32 v24, v27, v24, v30
	v_fma_f32 v27, 0x3fc90fda, v29, -v33
	v_sub_nc_u32_e32 v26, v26, v31
	v_lshrrev_b32_e32 v24, 9, v24
	v_fmamk_f32 v27, v29, 0x33a22168, v27
	v_or_b32_e32 v24, v26, v24
	v_fmac_f32_e32 v27, 0x3fc90fda, v24
	v_add_f32_e32 v24, v33, v27
.LBB62_48:
	s_andn2_saveexec_b32 s4, s8
; %bb.49:
	v_mul_f32_e64 v24, 0x3f22f983, |v2|
	v_rndne_f32_e32 v25, v24
	v_fma_f32 v24, 0xbfc90fda, v25, |v2|
	v_fmamk_f32 v24, v25, 0xb3a22168, v24
	v_fmamk_f32 v24, v25, 0xa7c234c4, v24
	v_cvt_i32_f32_e32 v25, v25
; %bb.50:
	s_or_b32 exec_lo, exec_lo, s4
	v_mul_f32_e32 v26, v24, v24
	s_mov_b32 s4, 0xb94c1982
	s_mov_b32 s5, 0x37d75334
	v_and_b32_e32 v29, 1, v25
	v_lshlrev_b32_e32 v25, 30, v25
	v_fmaak_f32 v27, s4, v26, 0x3c0881c4
	v_fmaak_f32 v28, s5, v26, 0xbab64f3b
	v_xor_b32_e32 v20, v20, v2
	v_cmp_eq_u32_e32 vcc_lo, 0, v29
	v_and_b32_e32 v25, 0x80000000, v25
	v_fmaak_f32 v27, v26, v27, 0xbe2aaa9d
	v_fmaak_f32 v28, v26, v28, 0x3d2aabf7
	v_sub_f32_e32 v22, 1.0, v22
	v_mul_f32_e32 v27, v26, v27
	v_fmaak_f32 v28, v26, v28, 0xbf000004
	v_fmac_f32_e32 v24, v24, v27
	v_fma_f32 v26, v26, v28, 1.0
	v_cndmask_b32_e32 v24, v26, v24, vcc_lo
	v_cmp_class_f32_e64 vcc_lo, v2, 0x1f8
	v_xor3_b32 v20, v20, v25, v24
	v_cndmask_b32_e32 v2, 0x7fc00000, v20, vcc_lo
	v_mul_f32_e32 v2, v2, v2
	v_div_scale_f32 v20, null, v2, v2, 0xc11de9e7
	v_div_scale_f32 v26, vcc_lo, 0xc11de9e7, v2, 0xc11de9e7
	v_rcp_f32_e32 v24, v20
	v_fma_f32 v25, -v20, v24, 1.0
	v_fmac_f32_e32 v24, v25, v24
	v_mul_f32_e32 v25, v26, v24
	v_fma_f32 v27, -v20, v25, v26
	v_fmac_f32_e32 v25, v27, v24
	v_fma_f32 v20, -v20, v25, v26
	v_div_fmas_f32 v20, v20, v24, v25
	v_div_fixup_f32 v2, v20, v2, 0xc11de9e7
	v_add_f32_e32 v20, 0, v2
	v_mov_b32_e32 v2, -1.0
.LBB62_51:
	s_or_b32 exec_lo, exec_lo, s7
	v_add_f32_e32 v24, 1.0, v23
	v_mul_f32_e32 v25, v23, v23
	s_mov_b32 s17, 0xbcc30c31
	v_add_f32_e32 v26, 1.0, v24
	v_mul_f32_e32 v23, v24, v24
	v_div_scale_f32 v28, null, v25, v25, 1.0
	v_div_scale_f32 v30, vcc_lo, 1.0, v25, 1.0
	v_mul_f32_e32 v24, v26, v26
	v_div_scale_f32 v29, null, v23, v23, 1.0
	v_rcp_f32_e32 v31, v28
	v_div_scale_f32 v34, s4, 1.0, v23, 1.0
	v_div_scale_f32 v33, null, v24, v24, 1.0
	v_rcp_f32_e32 v32, v29
	v_add_f32_e32 v27, 1.0, v26
	v_div_scale_f32 v35, s5, 1.0, v24, 1.0
	v_rcp_f32_e32 v37, v33
	v_fma_f32 v39, -v28, v31, 1.0
	v_add_f32_e32 v38, 1.0, v27
	v_mul_f32_e32 v26, v27, v27
	v_fma_f32 v40, -v29, v32, 1.0
	v_fmac_f32_e32 v31, v39, v31
	v_mul_f32_e32 v27, v38, v38
	v_add_f32_e32 v38, 1.0, v38
	v_fma_f32 v39, -v33, v37, 1.0
	v_fmac_f32_e32 v32, v40, v32
	v_mul_f32_e32 v43, v30, v31
	v_div_scale_f32 v41, null, v26, v26, 1.0
	v_fmac_f32_e32 v37, v39, v37
	v_mul_f32_e32 v44, v34, v32
	v_fma_f32 v45, -v28, v43, v30
	v_add_f32_e32 v42, 1.0, v38
	v_rcp_f32_e32 v40, v41
	v_mul_f32_e32 v47, v35, v37
	v_fma_f32 v46, -v29, v44, v34
	v_fmac_f32_e32 v43, v45, v31
	v_div_scale_f32 v39, null, v27, v27, 1.0
	v_fma_f32 v45, -v33, v47, v35
	v_fmac_f32_e32 v44, v46, v32
	v_fma_f32 v30, -v28, v43, v30
	v_mul_f32_e32 v28, v38, v38
	v_rcp_f32_e32 v46, v39
	v_fmac_f32_e32 v47, v45, v37
	v_fma_f32 v29, -v29, v44, v34
	v_add_f32_e32 v34, v42, v42
	v_div_fmas_f32 v31, v30, v31, v43
	s_mov_b32 vcc_lo, s4
	v_fma_f32 v33, -v33, v47, v35
	v_div_fmas_f32 v30, v29, v32, v44
	v_div_scale_f32 v32, null, v28, v28, 1.0
	v_mul_f32_e32 v43, v42, v42
	s_mov_b32 vcc_lo, s5
	v_fma_f32 v48, -v41, v40, 1.0
	v_div_fmas_f32 v29, v33, v37, v47
	v_div_scale_f32 v37, null, v34, v34, 1.0
	v_rcp_f32_e32 v38, v32
	v_div_scale_f32 v47, null, v43, v43, 1.0
	v_rcp_f32_e32 v44, v37
	v_fmac_f32_e32 v40, v48, v40
	v_div_scale_f32 v33, vcc_lo, 1.0, v26, 1.0
	v_fma_f32 v35, -v39, v46, 1.0
	v_rcp_f32_e32 v50, v47
	v_div_scale_f32 v48, s4, 1.0, v27, 1.0
	v_mul_f32_e32 v45, v33, v40
	v_fmac_f32_e32 v46, v35, v46
	v_fma_f32 v35, -v32, v38, 1.0
	v_fma_f32 v52, -v37, v44, 1.0
	v_div_scale_f32 v54, s5, 1.0, v28, 1.0
	v_fma_f32 v51, -v41, v45, v33
	v_mul_f32_e32 v53, v48, v46
	v_fmac_f32_e32 v38, v35, v38
	v_fma_f32 v35, -v47, v50, 1.0
	v_fmac_f32_e32 v44, v52, v44
	v_div_scale_f32 v52, s7, 1.0, v34, 1.0
	v_fmac_f32_e32 v45, v51, v40
	v_fma_f32 v51, -v39, v53, v48
	v_mul_f32_e32 v55, v54, v38
	v_fmac_f32_e32 v50, v35, v50
	v_div_scale_f32 v57, s8, 1.0, v43, 1.0
	v_mul_f32_e32 v56, v52, v44
	v_fma_f32 v33, -v41, v45, v33
	v_fmac_f32_e32 v53, v51, v46
	v_fma_f32 v41, -v32, v55, v54
	v_mul_f32_e32 v58, v57, v50
	v_fma_f32 v51, -v37, v56, v52
	v_div_fmas_f32 v35, v33, v40, v45
	v_fma_f32 v33, -v39, v53, v48
	v_fmac_f32_e32 v55, v41, v38
	v_fma_f32 v39, -v47, v58, v57
	v_fmac_f32_e32 v56, v51, v44
	s_mov_b32 vcc_lo, s4
	v_div_fixup_f32 v25, v31, v25, 1.0
	v_fma_f32 v32, -v32, v55, v54
	v_fmac_f32_e32 v58, v39, v50
	v_div_fmas_f32 v33, v33, v46, v53
	v_fma_f32 v37, -v37, v56, v52
	s_mov_b32 vcc_lo, s5
	v_add_f32_e32 v19, v19, v25
	v_div_fmas_f32 v32, v32, v38, v55
	v_fma_f32 v38, -v47, v58, v57
	s_mov_b32 vcc_lo, s7
	v_div_fixup_f32 v23, v30, v23, 1.0
	v_div_fmas_f32 v37, v37, v44, v56
	s_mov_b32 vcc_lo, s8
	v_div_fmas_f32 v38, v38, v50, v58
	v_add_f32_e32 v19, v19, v23
	v_div_fixup_f32 v34, v37, v34, 1.0
	v_div_fixup_f32 v23, v29, v24, 1.0
	;; [unrolled: 1-line block ×3, first 2 shown]
	v_add_f32_e32 v48, 1.0, v34
	v_add_f32_e32 v19, v19, v23
	v_div_fixup_f32 v23, v35, v26, 1.0
	v_fmaak_f32 v37, s17, v38, 0x3d088889
	v_add_f32_e32 v19, v19, v23
	v_fma_f32 v34, -v38, v37, 0x3e2aaaab
	v_fmac_f32_e32 v48, v38, v34
	v_mul_f32_e32 v34, v36, v36
	v_add_f32_e32 v38, 1.0, v36
	v_div_scale_f32 v39, null, v42, v42, v48
	v_div_scale_f32 v41, null, v34, v34, 1.0
	v_mul_f32_e32 v36, v38, v38
	v_rcp_f32_e32 v40, v39
	v_div_scale_f32 v44, vcc_lo, v48, v42, v48
	v_rcp_f32_e32 v43, v41
	v_div_scale_f32 v45, null, v36, v36, 1.0
	v_add_f32_e32 v38, 1.0, v38
	v_div_scale_f32 v51, s4, 1.0, v34, 1.0
	v_rcp_f32_e32 v47, v45
	v_fma_f32 v37, -v39, v40, 1.0
	v_add_f32_e32 v53, 1.0, v38
	v_fmac_f32_e32 v40, v37, v40
	v_fma_f32 v37, -v41, v43, 1.0
	v_fma_f32 v55, -v45, v47, 1.0
	v_mul_f32_e32 v46, v44, v40
	v_fmac_f32_e32 v43, v37, v43
	v_mul_f32_e32 v37, v38, v38
	v_mul_f32_e32 v38, v53, v53
	v_fmac_f32_e32 v47, v55, v47
	v_fma_f32 v50, -v39, v46, v44
	v_mul_f32_e32 v52, v51, v43
	v_div_scale_f32 v54, null, v37, v37, 1.0
	v_div_scale_f32 v55, s5, 1.0, v36, 1.0
	v_fmac_f32_e32 v46, v50, v40
	v_fma_f32 v50, -v41, v52, v51
	v_rcp_f32_e32 v56, v54
	v_div_scale_f32 v57, null, v38, v38, 1.0
	v_fma_f32 v39, -v39, v46, v44
	v_fmac_f32_e32 v52, v50, v43
	v_mul_f32_e32 v44, v55, v47
	v_rcp_f32_e32 v59, v57
	v_div_fmas_f32 v50, v39, v40, v46
	v_fma_f32 v39, -v41, v52, v51
	v_fma_f32 v58, -v54, v56, 1.0
	v_fma_f32 v41, -v45, v44, v55
	v_add_f32_e32 v51, 1.0, v53
	v_div_scale_f32 v46, s7, 1.0, v37, 1.0
	v_fmac_f32_e32 v56, v58, v56
	v_fma_f32 v53, -v57, v59, 1.0
	v_fmac_f32_e32 v44, v41, v47
	v_add_f32_e32 v41, 1.0, v51
	s_mov_b32 vcc_lo, s4
	v_div_scale_f32 v60, s4, 1.0, v38, 1.0
	v_div_fmas_f32 v40, v39, v43, v52
	v_mul_f32_e32 v39, v51, v51
	v_mul_f32_e32 v52, v46, v56
	v_fmac_f32_e32 v59, v53, v59
	v_add_f32_e32 v53, 1.0, v41
	v_fma_f32 v43, -v45, v44, v55
	v_div_scale_f32 v58, null, v39, v39, 1.0
	v_fma_f32 v45, -v54, v52, v46
	v_mul_f32_e32 v41, v41, v41
	v_add_f32_e32 v61, v53, v53
	s_mov_b32 vcc_lo, s5
	v_rcp_f32_e32 v51, v58
	v_div_fmas_f32 v43, v43, v47, v44
	v_div_scale_f32 v47, null, v41, v41, 1.0
	v_fmac_f32_e32 v52, v45, v56
	v_div_scale_f32 v62, null, v61, v61, 1.0
	v_mul_f32_e32 v64, v53, v53
	v_mul_f32_e32 v55, v60, v59
	v_rcp_f32_e32 v63, v47
	v_rcp_f32_e32 v65, v62
	v_fma_f32 v46, -v54, v52, v46
	v_div_scale_f32 v54, null, v64, v64, 1.0
	v_fma_f32 v44, -v57, v55, v60
	v_fma_f32 v45, -v58, v51, 1.0
	v_div_scale_f32 v66, s5, 1.0, v39, 1.0
	v_rcp_f32_e32 v67, v54
	v_fmac_f32_e32 v55, v44, v59
	v_fmac_f32_e32 v51, v45, v51
	v_fma_f32 v45, -v47, v63, 1.0
	v_fma_f32 v44, -v62, v65, 1.0
	v_div_scale_f32 v69, s8, 1.0, v41, 1.0
	v_mul_f32_e32 v68, v66, v51
	v_fmac_f32_e32 v63, v45, v63
	v_fmac_f32_e32 v65, v44, v65
	v_div_scale_f32 v70, s9, 1.0, v61, 1.0
	v_fma_f32 v45, -v54, v67, 1.0
	s_mov_b32 vcc_lo, s7
	v_div_scale_f32 v71, s7, 1.0, v64, 1.0
	v_div_fmas_f32 v44, v46, v56, v52
	v_fma_f32 v46, -v58, v68, v66
	v_mul_f32_e32 v52, v69, v63
	v_mul_f32_e32 v56, v70, v65
	v_fmac_f32_e32 v67, v45, v67
	v_fma_f32 v45, -v57, v55, v60
	v_fmac_f32_e32 v68, v46, v51
	v_fma_f32 v46, -v47, v52, v69
	v_fma_f32 v57, -v62, v56, v70
	v_mul_f32_e32 v60, v71, v67
	s_mov_b32 vcc_lo, s4
	v_div_fixup_f32 v42, v50, v42, v48
	v_fmac_f32_e32 v52, v46, v63
	v_fmac_f32_e32 v56, v57, v65
	v_fma_f32 v57, -v54, v60, v71
	v_div_fmas_f32 v45, v45, v59, v55
	v_fma_f32 v55, -v58, v68, v66
	v_fma_f32 v47, -v47, v52, v69
	s_mov_b32 vcc_lo, s5
	v_fmac_f32_e32 v60, v57, v67
	v_div_fmas_f32 v46, v55, v51, v68
	v_fma_f32 v51, -v62, v56, v70
	s_mov_b32 vcc_lo, s8
	v_div_fmas_f32 v47, v47, v63, v52
	v_fma_f32 v52, -v54, v60, v71
	s_mov_b32 vcc_lo, s9
	v_div_fmas_f32 v51, v51, v65, v56
	s_mov_b32 vcc_lo, s7
	v_div_fmas_f32 v52, v52, v67, v60
	v_div_fixup_f32 v51, v51, v61, 1.0
	v_div_fixup_f32 v52, v52, v64, 1.0
	v_add_f32_e32 v60, 1.0, v51
	v_fmaak_f32 v54, s17, v52, 0x3d088889
	v_fma_f32 v51, -v52, v54, 0x3e2aaaab
	v_fmac_f32_e32 v60, v52, v51
	v_mul_f32_e32 v51, v49, v49
	v_add_f32_e32 v52, 1.0, v49
	v_div_scale_f32 v54, null, v53, v53, v60
	v_div_scale_f32 v56, null, v51, v51, 1.0
	v_mul_f32_e32 v49, v52, v52
	v_rcp_f32_e32 v55, v54
	v_div_scale_f32 v61, vcc_lo, v60, v53, v60
	v_rcp_f32_e32 v58, v56
	v_div_scale_f32 v59, null, v49, v49, 1.0
	v_div_scale_f32 v65, s4, 1.0, v51, 1.0
	v_rcp_f32_e32 v63, v59
	v_fma_f32 v57, -v54, v55, 1.0
	v_fma_f32 v62, -v56, v58, 1.0
	v_fmac_f32_e32 v55, v57, v55
	v_add_f32_e32 v57, 1.0, v52
	v_fmac_f32_e32 v58, v62, v58
	v_fma_f32 v66, -v59, v63, 1.0
	v_mul_f32_e32 v64, v61, v55
	v_mul_f32_e32 v52, v57, v57
	;; [unrolled: 1-line block ×3, first 2 shown]
	v_fmac_f32_e32 v63, v66, v63
	v_fma_f32 v67, -v54, v64, v61
	v_div_scale_f32 v62, null, v52, v52, 1.0
	v_div_scale_f32 v66, s5, 1.0, v49, 1.0
	v_fmac_f32_e32 v64, v67, v55
	v_rcp_f32_e32 v68, v62
	v_fma_f32 v67, -v56, v70, v65
	v_mul_f32_e32 v71, v66, v63
	v_div_scale_f32 v72, s7, 1.0, v52, 1.0
	v_fma_f32 v54, -v54, v64, v61
	v_fmac_f32_e32 v70, v67, v58
	v_add_f32_e32 v67, 1.0, v57
	v_fma_f32 v61, -v59, v71, v66
	v_fma_f32 v69, -v62, v68, 1.0
	v_fmac_f32_e32 v71, v61, v63
	v_fmac_f32_e32 v68, v69, v68
	v_div_fmas_f32 v69, v54, v55, v64
	v_mul_f32_e32 v54, v67, v67
	v_fma_f32 v55, -v56, v70, v65
	s_mov_b32 vcc_lo, s4
	v_mul_f32_e32 v64, v72, v68
	v_div_fixup_f32 v53, v69, v53, v60
	v_div_scale_f32 v61, null, v54, v54, 1.0
	v_div_fmas_f32 v57, v55, v58, v70
	v_fma_f32 v56, -v62, v64, v72
	v_fma_f32 v55, -v59, v71, v66
	v_add_f32_e32 v58, 1.0, v67
	v_rcp_f32_e32 v65, v61
	s_mov_b32 vcc_lo, s5
	v_fmac_f32_e32 v64, v56, v68
	v_div_fmas_f32 v56, v55, v63, v71
	v_mul_f32_e32 v55, v58, v58
	v_add_f32_e32 v58, 1.0, v58
	s_mov_b32 vcc_lo, s7
	v_fma_f32 v59, -v62, v64, v72
	v_div_fixup_f32 v31, v57, v51, 1.0
	v_div_scale_f32 v63, null, v55, v55, 1.0
	v_add_f32_e32 v74, 1.0, v58
	v_fma_f32 v62, -v61, v65, 1.0
	v_mul_f32_e32 v58, v58, v58
	v_rcp_f32_e32 v66, v63
	v_div_fmas_f32 v59, v59, v68, v64
	v_add_f32_e32 v67, v74, v74
	v_fmac_f32_e32 v65, v62, v65
	v_div_scale_f32 v62, null, v58, v58, 1.0
	v_mul_f32_e32 v71, v74, v74
	v_div_scale_f32 v68, null, v67, v67, 1.0
	v_rcp_f32_e32 v70, v62
	v_div_scale_f32 v64, vcc_lo, 1.0, v54, 1.0
	v_div_scale_f32 v76, null, v71, v71, 1.0
	v_rcp_f32_e32 v73, v68
	v_fma_f32 v72, -v63, v66, 1.0
	v_mul_f32_e32 v75, v64, v65
	v_rcp_f32_e32 v78, v76
	v_add_f32_e32 v15, v15, v31
	v_fma_f32 v77, -v62, v70, 1.0
	v_fmac_f32_e32 v66, v72, v66
	v_div_scale_f32 v72, s4, 1.0, v55, 1.0
	v_fma_f32 v79, -v61, v75, v64
	v_fma_f32 v80, -v68, v73, 1.0
	v_fmac_f32_e32 v70, v77, v70
	v_mul_f32_e32 v81, v72, v66
	v_div_scale_f32 v77, s5, 1.0, v58, 1.0
	v_fma_f32 v82, -v76, v78, 1.0
	v_fmac_f32_e32 v73, v80, v73
	v_div_scale_f32 v80, s7, 1.0, v67, 1.0
	v_fmac_f32_e32 v75, v79, v65
	v_fma_f32 v79, -v63, v81, v72
	v_mul_f32_e32 v83, v77, v70
	v_fmac_f32_e32 v78, v82, v78
	v_div_scale_f32 v82, s8, 1.0, v71, 1.0
	v_mul_f32_e32 v84, v80, v73
	v_fma_f32 v61, -v61, v75, v64
	v_fmac_f32_e32 v81, v79, v66
	v_fma_f32 v79, -v62, v83, v77
	v_mul_f32_e32 v86, v82, v78
	v_fma_f32 v85, -v68, v84, v80
	v_div_fmas_f32 v64, v61, v65, v75
	v_fma_f32 v61, -v63, v81, v72
	v_fmac_f32_e32 v83, v79, v70
	v_fma_f32 v65, -v76, v86, v82
	v_fmac_f32_e32 v84, v85, v73
	s_mov_b32 vcc_lo, s4
	v_div_fixup_f32 v49, v56, v49, 1.0
	v_div_fmas_f32 v63, v61, v66, v81
	v_fma_f32 v61, -v62, v83, v77
	v_fmac_f32_e32 v86, v65, v78
	v_fma_f32 v65, -v68, v84, v80
	s_mov_b32 vcc_lo, s5
	v_add_f32_e32 v15, v15, v49
	v_div_fmas_f32 v62, v61, v70, v83
	v_fma_f32 v61, -v76, v86, v82
	s_mov_b32 vcc_lo, s7
	v_div_fixup_f32 v49, v59, v52, 1.0
	v_div_fmas_f32 v65, v65, v73, v84
	s_mov_b32 vcc_lo, s8
	v_div_fmas_f32 v61, v61, v78, v86
	v_add_f32_e32 v15, v15, v49
	v_div_fixup_f32 v65, v65, v67, 1.0
	v_div_fixup_f32 v49, v64, v54, 1.0
	;; [unrolled: 1-line block ×3, first 2 shown]
	v_add_f32_e32 v80, 1.0, v65
	v_add_f32_e32 v15, v15, v49
	v_fmaak_f32 v66, s17, v61, 0x3d088889
	v_fma_f32 v65, -v61, v66, 0x3e2aaaab
	v_fmac_f32_e32 v80, v61, v65
	v_mul_f32_e32 v61, v21, v21
	v_add_f32_e32 v65, 1.0, v21
	v_div_scale_f32 v66, null, v74, v74, v80
	v_div_scale_f32 v68, null, v61, v61, 1.0
	v_mul_f32_e32 v21, v65, v65
	v_rcp_f32_e32 v67, v66
	v_add_f32_e32 v72, 1.0, v65
	v_rcp_f32_e32 v71, v68
	v_div_scale_f32 v73, vcc_lo, v80, v74, v80
	v_div_scale_f32 v78, s4, 1.0, v61, 1.0
	v_mul_f32_e32 v65, v72, v72
	v_add_f32_e32 v72, 1.0, v72
	v_fma_f32 v70, -v66, v67, 1.0
	v_fma_f32 v75, -v68, v71, 1.0
	v_fmac_f32_e32 v67, v70, v67
	v_div_scale_f32 v70, null, v21, v21, 1.0
	v_fmac_f32_e32 v71, v75, v71
	v_div_scale_f32 v75, null, v65, v65, 1.0
	v_rcp_f32_e32 v76, v70
	v_mul_f32_e32 v77, v73, v67
	v_mul_f32_e32 v83, v78, v71
	v_rcp_f32_e32 v82, v75
	v_fma_f32 v81, -v66, v77, v73
	v_fma_f32 v79, -v70, v76, 1.0
	v_fmac_f32_e32 v77, v81, v67
	v_fma_f32 v81, -v68, v83, v78
	v_fma_f32 v85, -v75, v82, 1.0
	v_fmac_f32_e32 v76, v79, v76
	v_div_scale_f32 v79, s5, 1.0, v21, 1.0
	v_fma_f32 v66, -v66, v77, v73
	v_fmac_f32_e32 v83, v81, v71
	v_fmac_f32_e32 v82, v85, v82
	v_mul_f32_e32 v84, v79, v76
	v_div_scale_f32 v81, s7, 1.0, v65, 1.0
	v_div_fmas_f32 v86, v66, v67, v77
	v_fma_f32 v67, -v68, v83, v78
	v_fma_f32 v73, -v70, v84, v79
	v_mul_f32_e32 v77, v81, v82
	s_mov_b32 vcc_lo, s4
	v_mul_f32_e32 v66, v72, v72
	v_div_fmas_f32 v68, v67, v71, v83
	v_fmac_f32_e32 v84, v73, v76
	v_add_f32_e32 v71, 1.0, v72
	v_fma_f32 v73, -v75, v77, v81
	s_mov_b32 vcc_lo, s5
	v_div_scale_f32 v78, null, v66, v66, 1.0
	v_fma_f32 v67, -v70, v84, v79
	v_fmac_f32_e32 v77, v73, v82
	v_div_fixup_f32 v60, v86, v74, v80
	v_rcp_f32_e32 v83, v78
	v_div_fmas_f32 v70, v67, v76, v84
	v_mul_f32_e32 v67, v71, v71
	v_add_f32_e32 v71, 1.0, v71
	v_fma_f32 v72, -v75, v77, v81
	s_mov_b32 vcc_lo, s7
	v_div_fixup_f32 v21, v70, v21, 1.0
	v_div_scale_f32 v76, null, v67, v67, 1.0
	v_add_f32_e32 v73, 1.0, v71
	v_mul_f32_e32 v71, v71, v71
	v_div_fmas_f32 v72, v72, v82, v77
	v_rcp_f32_e32 v77, v76
	v_fma_f32 v75, -v78, v83, 1.0
	v_add_f32_e32 v79, v73, v73
	v_div_scale_f32 v81, null, v71, v71, 1.0
	v_mul_f32_e32 v85, v73, v73
	v_fmac_f32_e32 v83, v75, v83
	v_div_scale_f32 v82, null, v79, v79, 1.0
	v_rcp_f32_e32 v84, v81
	v_div_scale_f32 v90, null, v85, v85, 1.0
	v_rcp_f32_e32 v88, v82
	v_div_scale_f32 v75, vcc_lo, 1.0, v66, 1.0
	v_rcp_f32_e32 v92, v90
	v_fma_f32 v87, -v76, v77, 1.0
	v_mul_f32_e32 v89, v75, v83
	v_fma_f32 v91, -v81, v84, 1.0
	v_fmac_f32_e32 v77, v87, v77
	v_div_scale_f32 v87, s4, 1.0, v67, 1.0
	v_fma_f32 v94, -v82, v88, 1.0
	v_fma_f32 v93, -v78, v89, v75
	v_fmac_f32_e32 v84, v91, v84
	v_div_scale_f32 v91, s5, 1.0, v71, 1.0
	v_fma_f32 v96, -v90, v92, 1.0
	v_mul_f32_e32 v95, v87, v77
	v_fmac_f32_e32 v88, v94, v88
	v_div_scale_f32 v94, s7, 1.0, v79, 1.0
	v_fmac_f32_e32 v89, v93, v83
	v_mul_f32_e32 v97, v91, v84
	v_fmac_f32_e32 v92, v96, v92
	v_div_scale_f32 v96, s8, 1.0, v85, 1.0
	v_fma_f32 v93, -v76, v95, v87
	v_mul_f32_e32 v98, v94, v88
	v_fma_f32 v75, -v78, v89, v75
	v_fma_f32 v78, -v81, v97, v91
	v_mul_f32_e32 v99, v96, v92
	v_fmac_f32_e32 v95, v93, v77
	v_fma_f32 v93, -v82, v98, v94
	v_div_fmas_f32 v75, v75, v83, v89
	v_fmac_f32_e32 v97, v78, v84
	v_fma_f32 v78, -v90, v99, v96
	v_fma_f32 v76, -v76, v95, v87
	v_fmac_f32_e32 v98, v93, v88
	s_mov_b32 vcc_lo, s4
	v_fmac_f32_e32 v99, v78, v92
	v_div_fmas_f32 v76, v76, v77, v95
	v_fma_f32 v77, -v81, v97, v91
	v_fma_f32 v78, -v82, v98, v94
	s_mov_b32 vcc_lo, s5
	v_fma_f32 v81, -v90, v99, v96
	v_div_fmas_f32 v77, v77, v84, v97
	s_mov_b32 vcc_lo, s7
	v_div_fmas_f32 v78, v78, v88, v98
	s_mov_b32 vcc_lo, s8
	v_div_fmas_f32 v81, v81, v92, v99
	v_div_fixup_f32 v78, v78, v79, 1.0
	v_div_fixup_f32 v81, v81, v85, 1.0
	v_add_f32_e32 v78, 1.0, v78
	v_fmaak_f32 v79, s17, v81, 0x3d088889
	v_fma_f32 v79, -v81, v79, 0x3e2aaaab
	v_fmac_f32_e32 v78, v81, v79
	v_mul_f32_e32 v79, v17, v17
	v_add_f32_e32 v81, 1.0, v17
	v_div_scale_f32 v82, null, v73, v73, v78
	v_div_scale_f32 v84, null, v79, v79, 1.0
	v_mul_f32_e32 v17, v81, v81
	v_rcp_f32_e32 v83, v82
	v_div_scale_f32 v89, vcc_lo, v78, v73, v78
	v_rcp_f32_e32 v87, v84
	v_div_scale_f32 v88, null, v17, v17, 1.0
	v_div_scale_f32 v93, s4, 1.0, v79, 1.0
	v_rcp_f32_e32 v91, v88
	v_fma_f32 v85, -v82, v83, 1.0
	v_fma_f32 v90, -v84, v87, 1.0
	v_fmac_f32_e32 v83, v85, v83
	v_add_f32_e32 v85, 1.0, v81
	v_fmac_f32_e32 v87, v90, v87
	v_fma_f32 v94, -v88, v91, 1.0
	v_mul_f32_e32 v92, v89, v83
	v_mul_f32_e32 v81, v85, v85
	;; [unrolled: 1-line block ×3, first 2 shown]
	v_fmac_f32_e32 v91, v94, v91
	v_fma_f32 v95, -v82, v92, v89
	v_div_scale_f32 v90, null, v81, v81, 1.0
	v_div_scale_f32 v94, s5, 1.0, v17, 1.0
	v_fmac_f32_e32 v92, v95, v83
	v_rcp_f32_e32 v96, v90
	v_fma_f32 v95, -v84, v97, v93
	v_mul_f32_e32 v98, v94, v91
	v_fma_f32 v82, -v82, v92, v89
	v_fmac_f32_e32 v97, v95, v87
	v_add_f32_e32 v95, 1.0, v85
	v_fma_f32 v89, -v88, v98, v94
	v_div_fmas_f32 v85, v82, v83, v92
	v_fma_f32 v99, -v90, v96, 1.0
	v_fma_f32 v83, -v84, v97, v93
	v_mul_f32_e32 v82, v95, v95
	v_fmac_f32_e32 v98, v89, v91
	s_mov_b32 vcc_lo, s4
	v_fmac_f32_e32 v96, v99, v96
	v_div_scale_f32 v99, s7, 1.0, v81, 1.0
	v_div_scale_f32 v93, null, v82, v82, 1.0
	v_div_fmas_f32 v84, v83, v87, v97
	v_mul_f32_e32 v92, v99, v96
	v_fma_f32 v83, -v88, v98, v94
	v_add_f32_e32 v88, 1.0, v95
	v_rcp_f32_e32 v97, v93
	s_mov_b32 vcc_lo, s5
	v_fma_f32 v89, -v90, v92, v99
	v_div_fmas_f32 v87, v83, v91, v98
	v_mul_f32_e32 v83, v88, v88
	s_mov_b32 vcc_lo, s7
	v_fmac_f32_e32 v92, v89, v96
	v_add_f32_e32 v89, 1.0, v88
	v_div_scale_f32 v94, null, v83, v83, 1.0
	v_fma_f32 v91, -v93, v97, 1.0
	v_fma_f32 v90, -v90, v92, v99
	v_add_f32_e32 v88, 1.0, v89
	v_mul_f32_e32 v89, v89, v89
	v_rcp_f32_e32 v95, v94
	v_fmac_f32_e32 v97, v91, v97
	v_div_fmas_f32 v90, v90, v96, v92
	v_add_f32_e32 v96, v88, v88
	v_mul_f32_e32 v100, v88, v88
	v_div_scale_f32 v91, null, v89, v89, 1.0
	v_div_scale_f32 v92, vcc_lo, 1.0, v82, 1.0
	v_div_scale_f32 v98, null, v96, v96, 1.0
	v_div_scale_f32 v104, null, v100, v100, 1.0
	v_rcp_f32_e32 v99, v91
	v_rcp_f32_e32 v102, v98
	v_fma_f32 v101, -v94, v95, 1.0
	v_rcp_f32_e32 v106, v104
	v_mul_f32_e32 v103, v92, v97
	v_div_fixup_f32 v17, v87, v17, 1.0
	v_fmac_f32_e32 v95, v101, v95
	v_div_scale_f32 v101, s4, 1.0, v83, 1.0
	v_fma_f32 v105, -v91, v99, 1.0
	v_fma_f32 v108, -v98, v102, 1.0
	v_fma_f32 v107, -v93, v103, v92
	v_fma_f32 v110, -v104, v106, 1.0
	v_mul_f32_e32 v109, v101, v95
	v_fmac_f32_e32 v99, v105, v99
	v_div_scale_f32 v105, s5, 1.0, v89, 1.0
	v_fmac_f32_e32 v102, v108, v102
	v_div_scale_f32 v108, s7, 1.0, v96, 1.0
	v_fmac_f32_e32 v103, v107, v97
	v_fmac_f32_e32 v106, v110, v106
	v_div_scale_f32 v110, s8, 1.0, v100, 1.0
	v_mul_f32_e32 v111, v105, v99
	v_fma_f32 v107, -v94, v109, v101
	v_mul_f32_e32 v112, v108, v102
	v_fma_f32 v92, -v93, v103, v92
	;; [unrolled: 2-line block ×3, first 2 shown]
	v_fmac_f32_e32 v109, v107, v95
	v_fma_f32 v107, -v98, v112, v108
	v_div_fmas_f32 v92, v92, v97, v103
	v_fma_f32 v97, -v104, v113, v110
	v_fmac_f32_e32 v111, v93, v99
	v_fma_f32 v94, -v94, v109, v101
	v_fmac_f32_e32 v112, v107, v102
	s_mov_b32 vcc_lo, s4
	v_fmac_f32_e32 v113, v97, v106
	v_fma_f32 v91, -v91, v111, v105
	v_div_fmas_f32 v93, v94, v95, v109
	v_fma_f32 v94, -v98, v112, v108
	s_mov_b32 vcc_lo, s5
	v_fma_f32 v95, -v104, v113, v110
	v_div_fmas_f32 v91, v91, v99, v111
	s_mov_b32 vcc_lo, s7
	v_div_fmas_f32 v94, v94, v102, v112
	s_mov_b32 vcc_lo, s8
	v_div_fmas_f32 v95, v95, v106, v113
	v_div_fixup_f32 v94, v94, v96, 1.0
	v_div_fixup_f32 v95, v95, v100, 1.0
	v_add_f32_e32 v94, 1.0, v94
	v_fmaak_f32 v96, s17, v95, 0x3d088889
	v_fma_f32 v96, -v95, v96, 0x3e2aaaab
	v_fmac_f32_e32 v94, v95, v96
	v_mul_f32_e32 v95, v13, v13
	v_div_scale_f32 v97, null, v88, v88, v94
	v_div_scale_f32 v100, null, v95, v95, 1.0
	v_div_scale_f32 v99, vcc_lo, v94, v88, v94
	v_rcp_f32_e32 v98, v97
	v_rcp_f32_e32 v101, v100
	v_fma_f32 v96, -v97, v98, 1.0
	v_fma_f32 v105, -v100, v101, 1.0
	v_fmac_f32_e32 v98, v96, v98
	v_add_f32_e32 v96, 1.0, v13
	v_fmac_f32_e32 v101, v105, v101
	v_mul_f32_e32 v102, v99, v98
	v_mul_f32_e32 v13, v96, v96
	v_add_f32_e32 v106, 1.0, v96
	v_fma_f32 v104, -v97, v102, v99
	v_div_scale_f32 v103, null, v13, v13, 1.0
	v_mul_f32_e32 v96, v106, v106
	v_fmac_f32_e32 v102, v104, v98
	v_rcp_f32_e32 v107, v103
	v_div_scale_f32 v104, s4, 1.0, v95, 1.0
	v_div_scale_f32 v105, null, v96, v96, 1.0
	v_fma_f32 v97, -v97, v102, v99
	v_mul_f32_e32 v109, v104, v101
	v_add_f32_e32 v99, 1.0, v106
	v_rcp_f32_e32 v110, v105
	v_div_scale_f32 v106, s5, 1.0, v13, 1.0
	v_fma_f32 v108, -v103, v107, 1.0
	v_div_fmas_f32 v98, v97, v98, v102
	v_fma_f32 v102, -v100, v109, v104
	v_mul_f32_e32 v97, v99, v99
	v_add_f32_e32 v113, 1.0, v99
	v_fmac_f32_e32 v107, v108, v107
	s_mov_b32 vcc_lo, s4
	v_fma_f32 v108, -v105, v110, 1.0
	v_fmac_f32_e32 v109, v102, v101
	v_div_scale_f32 v112, null, v97, v97, 1.0
	v_mul_f32_e32 v111, v106, v107
	v_fmac_f32_e32 v110, v108, v110
	v_div_scale_f32 v108, s7, 1.0, v96, 1.0
	v_mul_f32_e32 v99, v113, v113
	v_fma_f32 v102, -v103, v111, v106
	v_fma_f32 v100, -v100, v109, v104
	v_add_f32_e32 v113, 1.0, v113
	v_rcp_f32_e32 v114, v112
	v_mul_f32_e32 v115, v108, v110
	v_div_scale_f32 v116, null, v99, v99, 1.0
	v_fmac_f32_e32 v111, v102, v107
	v_div_fmas_f32 v102, v100, v101, v109
	v_add_f32_e32 v101, 1.0, v113
	v_fma_f32 v104, -v105, v115, v108
	v_rcp_f32_e32 v118, v116
	v_mul_f32_e32 v100, v113, v113
	v_fma_f32 v103, -v103, v111, v106
	v_add_f32_e32 v113, v101, v101
	v_fma_f32 v117, -v112, v114, 1.0
	v_fmac_f32_e32 v115, v104, v110
	v_div_scale_f32 v109, null, v100, v100, 1.0
	v_mul_f32_e32 v119, v101, v101
	s_mov_b32 vcc_lo, s5
	v_fmac_f32_e32 v114, v117, v114
	v_div_fmas_f32 v103, v103, v107, v111
	v_div_scale_f32 v111, null, v113, v113, 1.0
	v_fma_f32 v104, -v116, v118, 1.0
	v_fma_f32 v105, -v105, v115, v108
	v_rcp_f32_e32 v117, v109
	v_div_scale_f32 v122, null, v119, v119, 1.0
	v_rcp_f32_e32 v120, v111
	s_mov_b32 vcc_lo, s7
	v_div_scale_f32 v106, s4, 1.0, v97, 1.0
	v_fmac_f32_e32 v118, v104, v118
	v_div_fmas_f32 v104, v105, v110, v115
	v_rcp_f32_e32 v110, v122
	v_mul_f32_e32 v107, v106, v114
	v_fma_f32 v105, -v109, v117, 1.0
	v_div_scale_f32 v121, s5, 1.0, v99, 1.0
	v_fma_f32 v115, -v111, v120, 1.0
	v_fma_f32 v108, -v112, v107, v106
	v_fmac_f32_e32 v117, v105, v117
	v_div_scale_f32 v105, s7, 1.0, v100, 1.0
	v_fma_f32 v124, -v122, v110, 1.0
	v_mul_f32_e32 v123, v121, v118
	v_fmac_f32_e32 v120, v115, v120
	v_div_scale_f32 v115, s8, 1.0, v113, 1.0
	v_fmac_f32_e32 v107, v108, v114
	v_mul_f32_e32 v125, v105, v117
	v_fmac_f32_e32 v110, v124, v110
	v_div_scale_f32 v124, s9, 1.0, v119, 1.0
	v_fma_f32 v108, -v116, v123, v121
	v_mul_f32_e32 v126, v115, v120
	v_fma_f32 v106, -v112, v107, v106
	v_fma_f32 v112, -v109, v125, v105
	v_mul_f32_e32 v128, v124, v110
	v_fmac_f32_e32 v123, v108, v118
	v_fma_f32 v127, -v111, v126, v115
	s_mov_b32 vcc_lo, s4
	v_fmac_f32_e32 v125, v112, v117
	v_fma_f32 v112, -v122, v128, v124
	v_div_fmas_f32 v108, v106, v114, v107
	v_fma_f32 v106, -v116, v123, v121
	v_fmac_f32_e32 v126, v127, v120
	s_mov_b32 vcc_lo, s5
	v_fmac_f32_e32 v128, v112, v110
	v_fma_f32 v105, -v109, v125, v105
	v_div_fmas_f32 v107, v106, v118, v123
	v_fma_f32 v106, -v111, v126, v115
	s_mov_b32 vcc_lo, s7
	v_fma_f32 v109, -v122, v128, v124
	v_div_fmas_f32 v105, v105, v117, v125
	s_mov_b32 vcc_lo, s8
	v_add_f32_e32 v112, 1.0, v9
	v_div_fmas_f32 v106, v106, v120, v126
	s_mov_b32 vcc_lo, s9
	v_div_fixup_f32 v13, v103, v13, 1.0
	v_div_fmas_f32 v109, v109, v110, v128
	v_div_fixup_f32 v106, v106, v113, 1.0
	v_div_fixup_f32 v109, v109, v119, 1.0
	v_add_f32_e32 v106, 1.0, v106
	v_fmaak_f32 v110, s17, v109, 0x3d088889
	v_fma_f32 v110, -v109, v110, 0x3e2aaaab
	v_fmac_f32_e32 v106, v109, v110
	v_mul_f32_e32 v109, v9, v9
	v_mul_f32_e32 v9, v112, v112
	v_add_f32_e32 v112, 1.0, v112
	v_div_scale_f32 v111, null, v101, v101, v106
	v_div_scale_f32 v114, null, v109, v109, 1.0
	v_div_scale_f32 v117, null, v9, v9, 1.0
	v_rcp_f32_e32 v113, v111
	v_rcp_f32_e32 v115, v114
	v_div_scale_f32 v116, vcc_lo, v106, v101, v106
	v_rcp_f32_e32 v120, v117
	v_div_scale_f32 v123, s4, 1.0, v109, 1.0
	v_add_f32_e32 v126, 1.0, v112
	v_fma_f32 v110, -v111, v113, 1.0
	v_fma_f32 v119, -v114, v115, 1.0
	v_fma_f32 v124, -v117, v120, 1.0
	v_fmac_f32_e32 v113, v110, v113
	v_mul_f32_e32 v110, v112, v112
	v_fmac_f32_e32 v115, v119, v115
	v_mul_f32_e32 v112, v126, v126
	;; [unrolled: 2-line block ×3, first 2 shown]
	v_div_scale_f32 v121, null, v110, v110, 1.0
	v_div_scale_f32 v124, s5, 1.0, v9, 1.0
	v_fma_f32 v122, -v111, v118, v116
	v_rcp_f32_e32 v119, v121
	v_div_scale_f32 v128, null, v112, v112, 1.0
	v_mul_f32_e32 v127, v124, v120
	v_fmac_f32_e32 v118, v122, v113
	v_mul_f32_e32 v122, v123, v115
	v_fma_f32 v111, -v111, v118, v116
	v_fma_f32 v125, -v121, v119, 1.0
	v_fma_f32 v116, -v114, v122, v123
	v_div_fmas_f32 v111, v111, v113, v118
	v_fmac_f32_e32 v119, v125, v119
	v_div_scale_f32 v125, s7, 1.0, v110, 1.0
	v_fmac_f32_e32 v122, v116, v115
	v_fma_f32 v116, -v117, v127, v124
	v_rcp_f32_e32 v113, v128
	v_mul_f32_e32 v129, v125, v119
	s_mov_b32 vcc_lo, s4
	v_fma_f32 v114, -v114, v122, v123
	v_fmac_f32_e32 v127, v116, v120
	v_fma_f32 v116, -v121, v129, v125
	v_div_fmas_f32 v114, v114, v115, v122
	v_fma_f32 v115, -v117, v127, v124
	v_fma_f32 v117, -v128, v113, 1.0
	v_fmac_f32_e32 v129, v116, v119
	v_add_f32_e32 v116, 1.0, v126
	s_mov_b32 vcc_lo, s5
	v_div_scale_f32 v122, s4, 1.0, v112, 1.0
	v_div_fmas_f32 v115, v115, v120, v127
	v_mul_f32_e32 v118, v116, v116
	v_add_f32_e32 v116, 1.0, v116
	v_fma_f32 v120, -v121, v129, v125
	v_fmac_f32_e32 v113, v117, v113
	s_mov_b32 vcc_lo, s7
	v_div_scale_f32 v117, null, v118, v118, 1.0
	v_mul_f32_e32 v121, v116, v116
	v_add_f32_e32 v116, 1.0, v116
	v_div_fmas_f32 v119, v120, v119, v129
	v_rcp_f32_e32 v123, v117
	v_mul_f32_e32 v126, v122, v113
	v_div_scale_f32 v124, null, v121, v121, 1.0
	v_add_f32_e32 v125, v116, v116
	v_mul_f32_e32 v129, v116, v116
	v_fma_f32 v132, -v128, v126, v122
	v_rcp_f32_e32 v127, v124
	s_mov_b32 vcc_lo, s4
	v_div_scale_f32 v120, null, v125, v125, 1.0
	v_div_scale_f32 v133, null, v129, v129, 1.0
	v_fma_f32 v130, -v117, v123, 1.0
	v_rcp_f32_e32 v131, v120
	v_fmac_f32_e32 v126, v132, v113
	v_rcp_f32_e32 v135, v133
	v_fma_f32 v134, -v124, v127, 1.0
	v_fmac_f32_e32 v123, v130, v123
	v_div_scale_f32 v130, s5, 1.0, v118, 1.0
	v_fma_f32 v122, -v128, v126, v122
	v_fmac_f32_e32 v127, v134, v127
	v_div_scale_f32 v134, s7, 1.0, v121, 1.0
	v_fma_f32 v132, -v120, v131, 1.0
	v_mul_f32_e32 v136, v130, v123
	v_fma_f32 v137, -v133, v135, 1.0
	v_mul_f32_e32 v138, v134, v127
	v_div_fmas_f32 v113, v122, v113, v126
	v_fmac_f32_e32 v131, v132, v131
	v_div_scale_f32 v132, s8, 1.0, v125, 1.0
	v_fma_f32 v128, -v117, v136, v130
	v_fmac_f32_e32 v135, v137, v135
	v_div_scale_f32 v137, s9, 1.0, v129, 1.0
	v_mul_f32_e32 v139, v132, v131
	v_fmac_f32_e32 v136, v128, v123
	v_fma_f32 v122, -v124, v138, v134
	v_mul_f32_e32 v128, v137, v135
	s_mov_b32 vcc_lo, s5
	v_fma_f32 v126, -v120, v139, v132
	v_fma_f32 v117, -v117, v136, v130
	v_fmac_f32_e32 v138, v122, v127
	v_fma_f32 v122, -v133, v128, v137
	v_div_fixup_f32 v9, v115, v9, 1.0
	v_fmac_f32_e32 v139, v126, v131
	v_div_fmas_f32 v117, v117, v123, v136
	v_fma_f32 v123, -v124, v138, v134
	v_fmac_f32_e32 v128, v122, v135
	s_mov_b32 vcc_lo, s7
	v_fma_f32 v120, -v120, v139, v132
	v_div_fmas_f32 v122, v123, v127, v138
	v_fma_f32 v123, -v133, v128, v137
	s_mov_b32 vcc_lo, s8
	v_div_fmas_f32 v120, v120, v131, v139
	s_mov_b32 vcc_lo, s9
	v_div_fmas_f32 v123, v123, v135, v128
	v_div_fixup_f32 v120, v120, v125, 1.0
	v_mul_f32_e32 v125, v22, v22
	v_add_f32_e32 v22, 1.0, v22
	v_div_fixup_f32 v123, v123, v129, 1.0
	v_add_f32_e32 v120, 1.0, v120
	v_div_scale_f32 v127, null, v125, v125, 1.0
	v_fmaak_f32 v124, s17, v123, 0x3d088889
	v_mul_f32_e32 v128, v22, v22
	v_add_f32_e32 v22, 1.0, v22
	v_fma_f32 v124, -v123, v124, 0x3e2aaaab
	v_div_scale_f32 v130, null, v128, v128, 1.0
	v_mul_f32_e32 v131, v22, v22
	v_add_f32_e32 v22, 1.0, v22
	v_fmac_f32_e32 v120, v123, v124
	v_rcp_f32_e32 v134, v130
	v_div_scale_f32 v69, s5, 1.0, v128, 1.0
	v_div_scale_f32 v135, null, v131, v131, 1.0
	v_div_scale_f32 v123, null, v116, v116, v120
	v_div_scale_f32 v129, vcc_lo, v120, v116, v120
	v_rcp_f32_e32 v50, v135
	v_rcp_f32_e32 v124, v123
	v_fma_f32 v136, -v130, v134, 1.0
	v_fmac_f32_e32 v134, v136, v134
	v_fma_f32 v74, -v135, v50, 1.0
	v_fma_f32 v126, -v123, v124, 1.0
	v_fmac_f32_e32 v50, v74, v50
	v_fmac_f32_e32 v124, v126, v124
	v_rcp_f32_e32 v126, v127
	v_mul_f32_e32 v74, v22, v22
	v_add_f32_e32 v22, 1.0, v22
	v_mul_f32_e32 v132, v129, v124
	v_div_scale_f32 v136, null, v74, v74, 1.0
	v_fma_f32 v48, -v123, v132, v129
	v_fma_f32 v133, -v127, v126, 1.0
	v_rcp_f32_e32 v139, v136
	v_fmac_f32_e32 v132, v48, v124
	v_fmac_f32_e32 v126, v133, v126
	v_div_scale_f32 v133, s4, 1.0, v125, 1.0
	v_fma_f32 v80, -v123, v132, v129
	v_mul_f32_e32 v123, v69, v134
	v_mul_f32_e32 v48, v133, v126
	v_div_scale_f32 v129, s7, 1.0, v131, 1.0
	v_div_fmas_f32 v80, v80, v124, v132
	s_mov_b32 vcc_lo, s4
	v_fma_f32 v86, -v127, v48, v133
	v_fma_f32 v137, -v130, v123, v69
	v_mul_f32_e32 v138, v129, v50
	v_fmac_f32_e32 v48, v86, v126
	v_mul_f32_e32 v86, v22, v22
	v_add_f32_e32 v22, 1.0, v22
	v_fmac_f32_e32 v123, v137, v134
	v_fma_f32 v132, -v135, v138, v129
	v_fma_f32 v124, -v127, v48, v133
	v_div_scale_f32 v140, null, v86, v86, 1.0
	v_fma_f32 v69, -v130, v123, v69
	v_fmac_f32_e32 v138, v132, v50
	v_div_fmas_f32 v48, v124, v126, v48
	v_rcp_f32_e32 v127, v140
	v_fma_f32 v124, -v136, v139, 1.0
	v_div_scale_f32 v130, s4, 1.0, v74, 1.0
	s_mov_b32 vcc_lo, s5
	v_fma_f32 v129, -v135, v138, v129
	v_fmac_f32_e32 v139, v124, v139
	v_mul_f32_e32 v124, v22, v22
	v_div_fmas_f32 v69, v69, v134, v123
	s_mov_b32 vcc_lo, s7
	v_fma_f32 v126, -v140, v127, 1.0
	v_mul_f32_e32 v133, v130, v139
	v_div_fmas_f32 v50, v129, v50, v138
	v_add_f32_e32 v22, 1.0, v22
	v_div_scale_f32 v132, s8, 1.0, v86, 1.0
	v_fmac_f32_e32 v127, v126, v127
	v_div_scale_f32 v126, null, v124, v124, 1.0
	v_fma_f32 v129, -v136, v133, v130
	v_add_f32_e32 v51, v22, v22
	v_mul_f32_e32 v134, v132, v127
	v_rcp_f32_e32 v123, v126
	s_mov_b32 vcc_lo, s4
	v_fmac_f32_e32 v133, v129, v139
	v_mul_f32_e32 v129, v22, v22
	v_div_scale_f32 v25, null, v51, v51, 1.0
	v_fma_f32 v135, -v140, v134, v132
	v_fma_f32 v130, -v136, v133, v130
	v_div_scale_f32 v30, s4, 1.0, v129, 1.0
	v_fma_f32 v137, -v126, v123, 1.0
	v_rcp_f32_e32 v31, v25
	v_fmac_f32_e32 v134, v135, v127
	v_div_scale_f32 v135, s5, 1.0, v124, 1.0
	v_fmac_f32_e32 v123, v137, v123
	v_div_scale_f32 v137, null, v129, v129, 1.0
	v_div_scale_f32 v23, s7, 1.0, v51, 1.0
	v_mul_f32_e32 v136, v135, v123
	v_rcp_f32_e32 v138, v137
	v_fma_f32 v26, -v25, v31, 1.0
	v_div_fmas_f32 v130, v130, v139, v133
	v_fma_f32 v132, -v140, v134, v132
	v_fma_f32 v133, -v126, v136, v135
	s_mov_b32 vcc_lo, s8
	v_fmac_f32_e32 v31, v26, v31
	v_div_fixup_f32 v26, v33, v27, 1.0
	v_div_fixup_f32 v27, v63, v55, 1.0
	v_fmac_f32_e32 v136, v133, v123
	v_fma_f32 v57, -v137, v138, 1.0
	v_mul_f32_e32 v33, v23, v31
	v_add_f32_e32 v19, v19, v26
	v_div_fixup_f32 v26, v32, v28, 1.0
	v_fma_f32 v24, -v126, v136, v135
	v_fmac_f32_e32 v138, v57, v138
	v_fma_f32 v28, -v25, v33, v23
	v_div_fmas_f32 v127, v132, v127, v134
	s_mov_b32 vcc_lo, s5
	v_add_f32_e32 v15, v15, v27
	v_mul_f32_e32 v29, v30, v138
	v_fmac_f32_e32 v33, v28, v31
	v_div_fmas_f32 v24, v24, v123, v136
	s_mov_b32 vcc_lo, s4
	v_div_fixup_f32 v27, v62, v58, 1.0
	v_fma_f32 v35, -v137, v29, v30
	v_add_f32_e32 v19, v19, v26
	v_fma_f32 v23, -v25, v33, v23
	s_add_u32 s4, s12, s10
	v_add_f32_e32 v15, v15, v27
	v_fmac_f32_e32 v29, v35, v138
	v_add_f32_e32 v19, v19, v42
	v_div_fixup_f32 v27, v40, v34, 1.0
	s_addc_u32 s5, s13, s11
	v_add_f32_e32 v25, v15, v60
	v_fma_f32 v30, -v137, v29, v30
	v_fma_mixlo_f16 v15, v18, v19, 0
	v_add_f32_e32 v16, v16, v27
	v_div_fixup_f32 v27, v68, v61, 1.0
	v_fma_mixlo_f16 v14, v14, v25, 0
	v_div_fmas_f32 v26, v30, v138, v29
	s_mov_b32 vcc_lo, s7
	v_div_fixup_f32 v25, v85, v73, v78
	v_div_fmas_f32 v23, v23, v31, v33
	v_add_f32_e32 v12, v12, v27
	v_div_fixup_f32 v26, v26, v129, 1.0
	v_div_fixup_f32 v18, v23, v51, 1.0
	;; [unrolled: 1-line block ×3, first 2 shown]
	v_fmaak_f32 v19, s17, v26, 0x3d088889
	v_add_f32_e32 v12, v12, v21
	v_div_fixup_f32 v21, v72, v65, 1.0
	v_add_f32_e32 v18, 1.0, v18
	v_add_f32_e32 v16, v16, v23
	v_fma_f32 v19, -v26, v19, 0x3e2aaaab
	v_div_fixup_f32 v23, v44, v37, 1.0
	v_add_f32_e32 v12, v12, v21
	v_div_fixup_f32 v21, v75, v66, 1.0
	v_fmac_f32_e32 v18, v26, v19
	v_div_fixup_f32 v19, v84, v79, 1.0
	v_add_f32_e32 v16, v16, v23
	v_div_fixup_f32 v23, v45, v38, 1.0
	v_add_f32_e32 v12, v12, v21
	;; [unrolled: 2-line block ×5, first 2 shown]
	v_add_f32_e32 v11, v11, v17
	v_div_fixup_f32 v17, v90, v81, 1.0
	v_add_f32_e32 v16, v16, v19
	v_div_fixup_f32 v19, v47, v41, 1.0
	v_div_fixup_f32 v21, v77, v71, 1.0
	v_add_f32_e32 v11, v11, v17
	v_div_fixup_f32 v17, v92, v82, 1.0
	v_add_f32_e32 v16, v16, v19
	;; [unrolled: 2-line block ×5, first 2 shown]
	v_div_scale_f32 v19, null, v22, v22, v18
	v_add_f32_e32 v16, v16, v53
	v_add_f32_e32 v11, v11, v17
	v_div_fixup_f32 v17, v114, v109, 1.0
	v_add_f32_e32 v8, v8, v13
	v_div_fixup_f32 v13, v104, v96, 1.0
	v_add_f32_e32 v12, v12, v25
	v_add_f32_e32 v11, v11, v21
	;; [unrolled: 1-line block ×3, first 2 shown]
	v_rcp_f32_e32 v17, v19
	v_div_fixup_f32 v21, v98, v88, v94
	v_add_f32_e32 v8, v8, v13
	v_div_fixup_f32 v13, v108, v97, 1.0
	v_add_f32_e32 v7, v7, v9
	v_div_fixup_f32 v9, v119, v110, 1.0
	v_add_f32_e32 v11, v11, v21
	v_fma_mixhi_f16 v14, v1, v16, 0
	v_add_f32_e32 v8, v8, v13
	v_div_fixup_f32 v13, v69, v128, 1.0
	v_fma_f32 v21, -v19, v17, 1.0
	v_add_f32_e32 v7, v7, v9
	v_add_f32_e32 v9, v20, v23
	v_div_scale_f32 v20, vcc_lo, v18, v22, v18
	v_fmac_f32_e32 v17, v21, v17
	v_div_fixup_f32 v21, v113, v112, 1.0
	v_add_f32_e32 v9, v9, v13
	v_div_fixup_f32 v13, v50, v131, 1.0
	v_div_fixup_f32 v23, v107, v99, 1.0
	v_mul_f32_e32 v26, v20, v17
	v_add_f32_e32 v7, v7, v21
	v_div_fixup_f32 v21, v117, v118, 1.0
	v_add_f32_e32 v9, v9, v13
	v_div_fixup_f32 v13, v130, v74, 1.0
	v_fma_f32 v27, -v19, v26, v20
	v_add_f32_e32 v8, v8, v23
	v_add_f32_e32 v7, v7, v21
	v_div_fixup_f32 v21, v122, v121, 1.0
	v_add_f32_e32 v9, v9, v13
	v_fmac_f32_e32 v26, v27, v17
	v_div_fixup_f32 v13, v127, v86, 1.0
	v_div_fixup_f32 v23, v105, v100, 1.0
	v_add_f32_e32 v7, v7, v21
	v_div_fixup_f32 v21, v80, v116, v120
	v_fma_f32 v19, -v19, v26, v20
	v_add_f32_e32 v9, v9, v13
	v_div_fixup_f32 v13, v24, v124, 1.0
	v_add_f32_e32 v8, v8, v23
	v_add_f32_e32 v20, v7, v21
	v_div_fmas_f32 v17, v19, v17, v26
	v_div_fixup_f32 v19, v111, v101, v106
	v_add_f32_e32 v9, v9, v13
	v_fma_mixlo_f16 v7, v10, v11, 0
	v_fma_mixlo_f16 v6, v6, v20, 0
	v_div_fixup_f32 v13, v17, v22, v18
	v_add_f32_e32 v8, v8, v19
	v_add_co_u32 v10, s7, s4, v5
	v_add_co_ci_u32_e64 v11, null, s5, 0, s7
	v_add_f32_e32 v9, v9, v13
	v_fma_mixhi_f16 v7, v4, v12, 0
	v_fma_mixhi_f16 v6, v3, v8, 0
	v_add_co_u32 v1, vcc_lo, 0x800, v10
	v_fma_mixhi_f16 v15, v2, v9, 0
	v_add_co_ci_u32_e64 v2, null, 0, v11, vcc_lo
	global_store_dwordx2 v5, v[6:7], s[4:5]
	global_store_dwordx2 v[1:2], v[14:15], off
	s_branch .LBB62_2
.LBB62_52:
	v_mov_b32_e32 v31, v0
	v_mov_b32_e32 v0, s12
	;; [unrolled: 1-line block ×6, first 2 shown]
	s_getpc_b64 s[4:5]
	s_add_u32 s4, s4, _ZN2at6native25elementwise_kernel_helperILb0EZZZNS0_20trigamma_kernel_cudaERNS_18TensorIteratorBaseEENKUlvE_clEvENKUlvE1_clEvEUlN3c104HalfEE_NS0_6memory8policies11unroll_baseILi256ESt5arrayIPcLm2EE23TrivialOffsetCalculatorILi1EjESG_NS9_15LoadWithoutCastENS9_16StoreWithoutCastELi8ELi1EEEEEvT0_T1_@rel32@lo+4
	s_addc_u32 s5, s5, _ZN2at6native25elementwise_kernel_helperILb0EZZZNS0_20trigamma_kernel_cudaERNS_18TensorIteratorBaseEENKUlvE_clEvENKUlvE1_clEvEUlN3c104HalfEE_NS0_6memory8policies11unroll_baseILi256ESt5arrayIPcLm2EE23TrivialOffsetCalculatorILi1EjESG_NS9_15LoadWithoutCastENS9_16StoreWithoutCastELi8ELi1EEEEEvT0_T1_@rel32@hi+12
	s_mov_b32 s12, s6
	s_swappc_b64 s[30:31], s[4:5]
	s_endpgm
	.section	.rodata,"a",@progbits
	.p2align	6, 0x0
	.amdhsa_kernel _ZN2at6native29vectorized_elementwise_kernelILi4EZZZNS0_20trigamma_kernel_cudaERNS_18TensorIteratorBaseEENKUlvE_clEvENKUlvE1_clEvEUlN3c104HalfEE_St5arrayIPcLm2EEEEviT0_T1_
		.amdhsa_group_segment_fixed_size 0
		.amdhsa_private_segment_fixed_size 0
		.amdhsa_kernarg_size 24
		.amdhsa_user_sgpr_count 6
		.amdhsa_user_sgpr_private_segment_buffer 1
		.amdhsa_user_sgpr_dispatch_ptr 0
		.amdhsa_user_sgpr_queue_ptr 0
		.amdhsa_user_sgpr_kernarg_segment_ptr 1
		.amdhsa_user_sgpr_dispatch_id 0
		.amdhsa_user_sgpr_flat_scratch_init 0
		.amdhsa_user_sgpr_private_segment_size 0
		.amdhsa_wavefront_size32 1
		.amdhsa_uses_dynamic_stack 0
		.amdhsa_system_sgpr_private_segment_wavefront_offset 0
		.amdhsa_system_sgpr_workgroup_id_x 1
		.amdhsa_system_sgpr_workgroup_id_y 0
		.amdhsa_system_sgpr_workgroup_id_z 0
		.amdhsa_system_sgpr_workgroup_info 0
		.amdhsa_system_vgpr_workitem_id 0
		.amdhsa_next_free_vgpr 141
		.amdhsa_next_free_sgpr 33
		.amdhsa_reserve_vcc 1
		.amdhsa_reserve_flat_scratch 0
		.amdhsa_float_round_mode_32 0
		.amdhsa_float_round_mode_16_64 0
		.amdhsa_float_denorm_mode_32 3
		.amdhsa_float_denorm_mode_16_64 3
		.amdhsa_dx10_clamp 1
		.amdhsa_ieee_mode 1
		.amdhsa_fp16_overflow 0
		.amdhsa_workgroup_processor_mode 1
		.amdhsa_memory_ordered 1
		.amdhsa_forward_progress 1
		.amdhsa_shared_vgpr_count 0
		.amdhsa_exception_fp_ieee_invalid_op 0
		.amdhsa_exception_fp_denorm_src 0
		.amdhsa_exception_fp_ieee_div_zero 0
		.amdhsa_exception_fp_ieee_overflow 0
		.amdhsa_exception_fp_ieee_underflow 0
		.amdhsa_exception_fp_ieee_inexact 0
		.amdhsa_exception_int_div_zero 0
	.end_amdhsa_kernel
	.section	.text._ZN2at6native29vectorized_elementwise_kernelILi4EZZZNS0_20trigamma_kernel_cudaERNS_18TensorIteratorBaseEENKUlvE_clEvENKUlvE1_clEvEUlN3c104HalfEE_St5arrayIPcLm2EEEEviT0_T1_,"axG",@progbits,_ZN2at6native29vectorized_elementwise_kernelILi4EZZZNS0_20trigamma_kernel_cudaERNS_18TensorIteratorBaseEENKUlvE_clEvENKUlvE1_clEvEUlN3c104HalfEE_St5arrayIPcLm2EEEEviT0_T1_,comdat
.Lfunc_end62:
	.size	_ZN2at6native29vectorized_elementwise_kernelILi4EZZZNS0_20trigamma_kernel_cudaERNS_18TensorIteratorBaseEENKUlvE_clEvENKUlvE1_clEvEUlN3c104HalfEE_St5arrayIPcLm2EEEEviT0_T1_, .Lfunc_end62-_ZN2at6native29vectorized_elementwise_kernelILi4EZZZNS0_20trigamma_kernel_cudaERNS_18TensorIteratorBaseEENKUlvE_clEvENKUlvE1_clEvEUlN3c104HalfEE_St5arrayIPcLm2EEEEviT0_T1_
                                        ; -- End function
	.set _ZN2at6native29vectorized_elementwise_kernelILi4EZZZNS0_20trigamma_kernel_cudaERNS_18TensorIteratorBaseEENKUlvE_clEvENKUlvE1_clEvEUlN3c104HalfEE_St5arrayIPcLm2EEEEviT0_T1_.num_vgpr, max(141, .L_ZN2at6native25elementwise_kernel_helperILb0EZZZNS0_20trigamma_kernel_cudaERNS_18TensorIteratorBaseEENKUlvE_clEvENKUlvE1_clEvEUlN3c104HalfEE_NS0_6memory8policies11unroll_baseILi256ESt5arrayIPcLm2EE23TrivialOffsetCalculatorILi1EjESG_NS9_15LoadWithoutCastENS9_16StoreWithoutCastELi8ELi1EEEEEvT0_T1_.num_vgpr)
	.set _ZN2at6native29vectorized_elementwise_kernelILi4EZZZNS0_20trigamma_kernel_cudaERNS_18TensorIteratorBaseEENKUlvE_clEvENKUlvE1_clEvEUlN3c104HalfEE_St5arrayIPcLm2EEEEviT0_T1_.num_agpr, max(0, .L_ZN2at6native25elementwise_kernel_helperILb0EZZZNS0_20trigamma_kernel_cudaERNS_18TensorIteratorBaseEENKUlvE_clEvENKUlvE1_clEvEUlN3c104HalfEE_NS0_6memory8policies11unroll_baseILi256ESt5arrayIPcLm2EE23TrivialOffsetCalculatorILi1EjESG_NS9_15LoadWithoutCastENS9_16StoreWithoutCastELi8ELi1EEEEEvT0_T1_.num_agpr)
	.set _ZN2at6native29vectorized_elementwise_kernelILi4EZZZNS0_20trigamma_kernel_cudaERNS_18TensorIteratorBaseEENKUlvE_clEvENKUlvE1_clEvEUlN3c104HalfEE_St5arrayIPcLm2EEEEviT0_T1_.numbered_sgpr, max(33, .L_ZN2at6native25elementwise_kernel_helperILb0EZZZNS0_20trigamma_kernel_cudaERNS_18TensorIteratorBaseEENKUlvE_clEvENKUlvE1_clEvEUlN3c104HalfEE_NS0_6memory8policies11unroll_baseILi256ESt5arrayIPcLm2EE23TrivialOffsetCalculatorILi1EjESG_NS9_15LoadWithoutCastENS9_16StoreWithoutCastELi8ELi1EEEEEvT0_T1_.numbered_sgpr)
	.set _ZN2at6native29vectorized_elementwise_kernelILi4EZZZNS0_20trigamma_kernel_cudaERNS_18TensorIteratorBaseEENKUlvE_clEvENKUlvE1_clEvEUlN3c104HalfEE_St5arrayIPcLm2EEEEviT0_T1_.num_named_barrier, max(0, .L_ZN2at6native25elementwise_kernel_helperILb0EZZZNS0_20trigamma_kernel_cudaERNS_18TensorIteratorBaseEENKUlvE_clEvENKUlvE1_clEvEUlN3c104HalfEE_NS0_6memory8policies11unroll_baseILi256ESt5arrayIPcLm2EE23TrivialOffsetCalculatorILi1EjESG_NS9_15LoadWithoutCastENS9_16StoreWithoutCastELi8ELi1EEEEEvT0_T1_.num_named_barrier)
	.set _ZN2at6native29vectorized_elementwise_kernelILi4EZZZNS0_20trigamma_kernel_cudaERNS_18TensorIteratorBaseEENKUlvE_clEvENKUlvE1_clEvEUlN3c104HalfEE_St5arrayIPcLm2EEEEviT0_T1_.private_seg_size, 0+max(.L_ZN2at6native25elementwise_kernel_helperILb0EZZZNS0_20trigamma_kernel_cudaERNS_18TensorIteratorBaseEENKUlvE_clEvENKUlvE1_clEvEUlN3c104HalfEE_NS0_6memory8policies11unroll_baseILi256ESt5arrayIPcLm2EE23TrivialOffsetCalculatorILi1EjESG_NS9_15LoadWithoutCastENS9_16StoreWithoutCastELi8ELi1EEEEEvT0_T1_.private_seg_size)
	.set _ZN2at6native29vectorized_elementwise_kernelILi4EZZZNS0_20trigamma_kernel_cudaERNS_18TensorIteratorBaseEENKUlvE_clEvENKUlvE1_clEvEUlN3c104HalfEE_St5arrayIPcLm2EEEEviT0_T1_.uses_vcc, or(1, .L_ZN2at6native25elementwise_kernel_helperILb0EZZZNS0_20trigamma_kernel_cudaERNS_18TensorIteratorBaseEENKUlvE_clEvENKUlvE1_clEvEUlN3c104HalfEE_NS0_6memory8policies11unroll_baseILi256ESt5arrayIPcLm2EE23TrivialOffsetCalculatorILi1EjESG_NS9_15LoadWithoutCastENS9_16StoreWithoutCastELi8ELi1EEEEEvT0_T1_.uses_vcc)
	.set _ZN2at6native29vectorized_elementwise_kernelILi4EZZZNS0_20trigamma_kernel_cudaERNS_18TensorIteratorBaseEENKUlvE_clEvENKUlvE1_clEvEUlN3c104HalfEE_St5arrayIPcLm2EEEEviT0_T1_.uses_flat_scratch, or(0, .L_ZN2at6native25elementwise_kernel_helperILb0EZZZNS0_20trigamma_kernel_cudaERNS_18TensorIteratorBaseEENKUlvE_clEvENKUlvE1_clEvEUlN3c104HalfEE_NS0_6memory8policies11unroll_baseILi256ESt5arrayIPcLm2EE23TrivialOffsetCalculatorILi1EjESG_NS9_15LoadWithoutCastENS9_16StoreWithoutCastELi8ELi1EEEEEvT0_T1_.uses_flat_scratch)
	.set _ZN2at6native29vectorized_elementwise_kernelILi4EZZZNS0_20trigamma_kernel_cudaERNS_18TensorIteratorBaseEENKUlvE_clEvENKUlvE1_clEvEUlN3c104HalfEE_St5arrayIPcLm2EEEEviT0_T1_.has_dyn_sized_stack, or(0, .L_ZN2at6native25elementwise_kernel_helperILb0EZZZNS0_20trigamma_kernel_cudaERNS_18TensorIteratorBaseEENKUlvE_clEvENKUlvE1_clEvEUlN3c104HalfEE_NS0_6memory8policies11unroll_baseILi256ESt5arrayIPcLm2EE23TrivialOffsetCalculatorILi1EjESG_NS9_15LoadWithoutCastENS9_16StoreWithoutCastELi8ELi1EEEEEvT0_T1_.has_dyn_sized_stack)
	.set _ZN2at6native29vectorized_elementwise_kernelILi4EZZZNS0_20trigamma_kernel_cudaERNS_18TensorIteratorBaseEENKUlvE_clEvENKUlvE1_clEvEUlN3c104HalfEE_St5arrayIPcLm2EEEEviT0_T1_.has_recursion, or(0, .L_ZN2at6native25elementwise_kernel_helperILb0EZZZNS0_20trigamma_kernel_cudaERNS_18TensorIteratorBaseEENKUlvE_clEvENKUlvE1_clEvEUlN3c104HalfEE_NS0_6memory8policies11unroll_baseILi256ESt5arrayIPcLm2EE23TrivialOffsetCalculatorILi1EjESG_NS9_15LoadWithoutCastENS9_16StoreWithoutCastELi8ELi1EEEEEvT0_T1_.has_recursion)
	.set _ZN2at6native29vectorized_elementwise_kernelILi4EZZZNS0_20trigamma_kernel_cudaERNS_18TensorIteratorBaseEENKUlvE_clEvENKUlvE1_clEvEUlN3c104HalfEE_St5arrayIPcLm2EEEEviT0_T1_.has_indirect_call, or(0, .L_ZN2at6native25elementwise_kernel_helperILb0EZZZNS0_20trigamma_kernel_cudaERNS_18TensorIteratorBaseEENKUlvE_clEvENKUlvE1_clEvEUlN3c104HalfEE_NS0_6memory8policies11unroll_baseILi256ESt5arrayIPcLm2EE23TrivialOffsetCalculatorILi1EjESG_NS9_15LoadWithoutCastENS9_16StoreWithoutCastELi8ELi1EEEEEvT0_T1_.has_indirect_call)
	.section	.AMDGPU.csdata,"",@progbits
; Kernel info:
; codeLenInByte = 14016
; TotalNumSgprs: 35
; NumVgprs: 141
; ScratchSize: 0
; MemoryBound: 0
; FloatMode: 240
; IeeeMode: 1
; LDSByteSize: 0 bytes/workgroup (compile time only)
; SGPRBlocks: 0
; VGPRBlocks: 17
; NumSGPRsForWavesPerEU: 35
; NumVGPRsForWavesPerEU: 141
; Occupancy: 7
; WaveLimiterHint : 1
; COMPUTE_PGM_RSRC2:SCRATCH_EN: 0
; COMPUTE_PGM_RSRC2:USER_SGPR: 6
; COMPUTE_PGM_RSRC2:TRAP_HANDLER: 0
; COMPUTE_PGM_RSRC2:TGID_X_EN: 1
; COMPUTE_PGM_RSRC2:TGID_Y_EN: 0
; COMPUTE_PGM_RSRC2:TGID_Z_EN: 0
; COMPUTE_PGM_RSRC2:TIDIG_COMP_CNT: 0
	.section	.text._ZN2at6native29vectorized_elementwise_kernelILi2EZZZNS0_20trigamma_kernel_cudaERNS_18TensorIteratorBaseEENKUlvE_clEvENKUlvE1_clEvEUlN3c104HalfEE_St5arrayIPcLm2EEEEviT0_T1_,"axG",@progbits,_ZN2at6native29vectorized_elementwise_kernelILi2EZZZNS0_20trigamma_kernel_cudaERNS_18TensorIteratorBaseEENKUlvE_clEvENKUlvE1_clEvEUlN3c104HalfEE_St5arrayIPcLm2EEEEviT0_T1_,comdat
	.globl	_ZN2at6native29vectorized_elementwise_kernelILi2EZZZNS0_20trigamma_kernel_cudaERNS_18TensorIteratorBaseEENKUlvE_clEvENKUlvE1_clEvEUlN3c104HalfEE_St5arrayIPcLm2EEEEviT0_T1_ ; -- Begin function _ZN2at6native29vectorized_elementwise_kernelILi2EZZZNS0_20trigamma_kernel_cudaERNS_18TensorIteratorBaseEENKUlvE_clEvENKUlvE1_clEvEUlN3c104HalfEE_St5arrayIPcLm2EEEEviT0_T1_
	.p2align	8
	.type	_ZN2at6native29vectorized_elementwise_kernelILi2EZZZNS0_20trigamma_kernel_cudaERNS_18TensorIteratorBaseEENKUlvE_clEvENKUlvE1_clEvEUlN3c104HalfEE_St5arrayIPcLm2EEEEviT0_T1_,@function
_ZN2at6native29vectorized_elementwise_kernelILi2EZZZNS0_20trigamma_kernel_cudaERNS_18TensorIteratorBaseEENKUlvE_clEvENKUlvE1_clEvEUlN3c104HalfEE_St5arrayIPcLm2EEEEviT0_T1_: ; @_ZN2at6native29vectorized_elementwise_kernelILi2EZZZNS0_20trigamma_kernel_cudaERNS_18TensorIteratorBaseEENKUlvE_clEvENKUlvE1_clEvEUlN3c104HalfEE_St5arrayIPcLm2EEEEviT0_T1_
; %bb.0:
	s_add_u32 s0, s0, s7
	s_clause 0x1
	s_load_dword s7, s[4:5], 0x0
	s_load_dwordx4 s[12:15], s[4:5], 0x8
	s_addc_u32 s1, s1, 0
	s_lshl_b32 s4, s6, 11
	s_mov_b32 s5, -1
	s_mov_b32 s32, 0
	s_waitcnt lgkmcnt(0)
	s_sub_i32 s16, s7, s4
	s_cmpk_gt_i32 s16, 0x7ff
	s_cbranch_scc1 .LBB63_3
; %bb.1:
	s_and_b32 vcc_lo, exec_lo, s5
	s_cbranch_vccnz .LBB63_52
.LBB63_2:
	s_endpgm
.LBB63_3:
	s_ashr_i32 s5, s4, 31
	v_lshlrev_b32_e32 v1, 2, v0
	s_lshl_b64 s[10:11], s[4:5], 1
	s_add_u32 s4, s14, s10
	s_addc_u32 s5, s15, s11
	v_add_co_u32 v2, s7, s4, v1
	v_add_co_ci_u32_e64 v3, null, s5, 0, s7
	global_load_dword v4, v1, s[4:5]
	v_add_co_u32 v2, vcc_lo, 0x800, v2
	v_add_co_ci_u32_e64 v3, null, 0, v3, vcc_lo
	s_mov_b32 s7, exec_lo
	s_clause 0x2
	global_load_dword v9, v1, s[4:5] offset:1024
	global_load_dword v14, v[2:3], off
	global_load_dword v19, v[2:3], off offset:1024
	v_mov_b32_e32 v3, 0
	v_mov_b32_e32 v2, 1.0
	s_waitcnt vmcnt(3)
	v_cvt_f32_f16_e32 v6, v4
	v_cmpx_gt_f16_e32 0.5, v4
	s_cbranch_execz .LBB63_9
; %bb.4:
	v_mul_f32_e32 v2, 0x40490fdb, v6
                                        ; implicit-def: $vgpr7
                                        ; implicit-def: $vgpr5
	s_mov_b32 s5, exec_lo
	v_and_b32_e32 v3, 0x7fffffff, v2
	v_cmpx_ngt_f32_e64 0x48000000, |v2|
	s_xor_b32 s8, exec_lo, s5
	s_cbranch_execz .LBB63_6
; %bb.5:
	s_mov_b32 s4, 0x7fffff
	v_mov_b32_e32 v11, 0
	v_and_or_b32 v5, v3, s4, 0x800000
	v_mad_u64_u32 v[7:8], null, 0xfe5163ab, v5, 0
	v_mov_b32_e32 v10, v8
	v_lshrrev_b32_e32 v8, 23, v3
	v_mad_u64_u32 v[12:13], null, 0x3c439041, v5, v[10:11]
	v_add_nc_u32_e32 v8, 0xffffff88, v8
	v_cmp_lt_u32_e32 vcc_lo, 63, v8
	v_mov_b32_e32 v10, v13
	v_cndmask_b32_e64 v13, 0, 0xffffffc0, vcc_lo
	v_mad_u64_u32 v[15:16], null, 0xdb629599, v5, v[10:11]
	v_add_nc_u32_e32 v8, v13, v8
	v_mov_b32_e32 v10, v16
	v_cmp_lt_u32_e64 s4, 31, v8
	v_cndmask_b32_e32 v7, v15, v7, vcc_lo
	v_mad_u64_u32 v[16:17], null, 0xf534ddc0, v5, v[10:11]
	v_cndmask_b32_e64 v13, 0, 0xffffffe0, s4
	v_add_nc_u32_e32 v8, v13, v8
	v_mov_b32_e32 v10, v17
	v_cmp_lt_u32_e64 s5, 31, v8
	v_mad_u64_u32 v[17:18], null, 0xfc2757d1, v5, v[10:11]
	v_mov_b32_e32 v10, v18
	v_mad_u64_u32 v[20:21], null, 0x4e441529, v5, v[10:11]
	v_mov_b32_e32 v10, v21
	v_cndmask_b32_e32 v13, v20, v16, vcc_lo
	v_mad_u64_u32 v[10:11], null, 0xa2f9836e, v5, v[10:11]
	v_cndmask_b32_e64 v5, 0, 0xffffffe0, s5
	v_add_nc_u32_e32 v5, v5, v8
	v_cndmask_b32_e32 v10, v10, v17, vcc_lo
	v_cndmask_b32_e32 v11, v11, v20, vcc_lo
	;; [unrolled: 1-line block ×4, first 2 shown]
	v_cmp_eq_u32_e32 vcc_lo, 0, v5
	v_cndmask_b32_e64 v12, v10, v13, s4
	v_cndmask_b32_e64 v10, v11, v10, s4
	;; [unrolled: 1-line block ×3, first 2 shown]
	v_sub_nc_u32_e32 v13, 32, v5
	v_cndmask_b32_e64 v16, v17, v8, s4
	v_cndmask_b32_e64 v7, v8, v7, s4
	;; [unrolled: 1-line block ×6, first 2 shown]
	v_alignbit_b32 v17, v10, v12, v13
	v_alignbit_b32 v15, v12, v11, v13
	v_alignbit_b32 v13, v11, v7, v13
	v_cndmask_b32_e32 v5, v17, v10, vcc_lo
	v_cndmask_b32_e32 v8, v15, v12, vcc_lo
	;; [unrolled: 1-line block ×3, first 2 shown]
	v_bfe_u32 v10, v5, 29, 1
	v_alignbit_b32 v12, v5, v8, 30
	v_alignbit_b32 v8, v8, v11, 30
	;; [unrolled: 1-line block ×3, first 2 shown]
	v_sub_nc_u32_e32 v15, 0, v10
	v_xor_b32_e32 v12, v12, v15
	v_xor_b32_e32 v8, v8, v15
	;; [unrolled: 1-line block ×3, first 2 shown]
	v_lshrrev_b32_e32 v15, 29, v5
	v_ffbh_u32_e32 v13, v12
	v_min_u32_e32 v13, 32, v13
	v_sub_nc_u32_e32 v11, 31, v13
	v_lshlrev_b32_e32 v16, 23, v13
	v_alignbit_b32 v12, v12, v8, v11
	v_alignbit_b32 v7, v8, v7, v11
	v_lshlrev_b32_e32 v8, 31, v15
	v_alignbit_b32 v11, v12, v7, 9
	v_or_b32_e32 v15, 0.5, v8
	v_lshrrev_b32_e32 v12, 9, v12
	v_or_b32_e32 v8, 0x33000000, v8
	v_ffbh_u32_e32 v17, v11
	v_sub_nc_u32_e32 v15, v15, v16
	v_min_u32_e32 v16, 32, v17
	v_or_b32_e32 v12, v12, v15
	v_not_b32_e32 v15, v16
	v_mul_f32_e32 v17, 0x3fc90fda, v12
	v_add_lshl_u32 v13, v16, v13, 23
	v_alignbit_b32 v7, v11, v7, v15
	v_fma_f32 v11, 0x3fc90fda, v12, -v17
	v_sub_nc_u32_e32 v8, v8, v13
	v_lshrrev_b32_e32 v7, 9, v7
	v_fmamk_f32 v11, v12, 0x33a22168, v11
	v_or_b32_e32 v7, v8, v7
	v_fmac_f32_e32 v11, 0x3fc90fda, v7
	v_lshrrev_b32_e32 v7, 30, v5
	v_add_f32_e32 v5, v17, v11
	v_add_nc_u32_e32 v7, v10, v7
.LBB63_6:
	s_andn2_saveexec_b32 s4, s8
; %bb.7:
	v_mul_f32_e64 v5, 0x3f22f983, |v2|
	v_rndne_f32_e32 v7, v5
	v_fma_f32 v5, 0xbfc90fda, v7, |v2|
	v_fmamk_f32 v5, v7, 0xb3a22168, v5
	v_fmamk_f32 v5, v7, 0xa7c234c4, v5
	v_cvt_i32_f32_e32 v7, v7
; %bb.8:
	s_or_b32 exec_lo, exec_lo, s4
	v_mul_f32_e32 v8, v5, v5
	s_mov_b32 s4, 0xb94c1982
	s_mov_b32 s5, 0x37d75334
	v_and_b32_e32 v12, 1, v7
	v_lshlrev_b32_e32 v7, 30, v7
	v_fmaak_f32 v10, s4, v8, 0x3c0881c4
	v_fmaak_f32 v11, s5, v8, 0xbab64f3b
	v_xor_b32_e32 v3, v3, v2
	v_cmp_eq_u32_e32 vcc_lo, 0, v12
	v_and_b32_e32 v7, 0x80000000, v7
	v_fmaak_f32 v10, v8, v10, 0xbe2aaa9d
	v_fmaak_f32 v11, v8, v11, 0x3d2aabf7
	v_sub_f32_e32 v6, 1.0, v6
	v_mul_f32_e32 v10, v8, v10
	v_fmaak_f32 v11, v8, v11, 0xbf000004
	v_fmac_f32_e32 v5, v5, v10
	v_fma_f32 v8, v8, v11, 1.0
	v_cndmask_b32_e32 v5, v8, v5, vcc_lo
	v_cmp_class_f32_e64 vcc_lo, v2, 0x1f8
	v_xor3_b32 v3, v3, v7, v5
	v_cndmask_b32_e32 v2, 0x7fc00000, v3, vcc_lo
	v_mul_f32_e32 v2, v2, v2
	v_div_scale_f32 v3, null, v2, v2, 0xc11de9e7
	v_div_scale_f32 v8, vcc_lo, 0xc11de9e7, v2, 0xc11de9e7
	v_rcp_f32_e32 v5, v3
	v_fma_f32 v7, -v3, v5, 1.0
	v_fmac_f32_e32 v5, v7, v5
	v_mul_f32_e32 v7, v8, v5
	v_fma_f32 v10, -v3, v7, v8
	v_fmac_f32_e32 v7, v10, v5
	v_fma_f32 v3, -v3, v7, v8
	v_div_fmas_f32 v3, v3, v5, v7
	v_div_fixup_f32 v2, v3, v2, 0xc11de9e7
	v_add_f32_e32 v3, 0, v2
	v_mov_b32_e32 v2, -1.0
.LBB63_9:
	s_or_b32 exec_lo, exec_lo, s7
	v_mov_b32_e32 v7, 0x3800
	v_cvt_f32_f16_sdwa v10, v4 dst_sel:DWORD dst_unused:UNUSED_PAD src0_sel:WORD_1
	v_mov_b32_e32 v5, 0
	v_cmp_lt_f16_sdwa s4, v4, v7 src0_sel:WORD_1 src1_sel:DWORD
	v_mov_b32_e32 v4, 1.0
	s_and_saveexec_b32 s7, s4
	s_cbranch_execz .LBB63_15
; %bb.10:
	v_mul_f32_e32 v4, 0x40490fdb, v10
                                        ; implicit-def: $vgpr8
                                        ; implicit-def: $vgpr7
	s_mov_b32 s5, exec_lo
	v_and_b32_e32 v5, 0x7fffffff, v4
	v_cmpx_ngt_f32_e64 0x48000000, |v4|
	s_xor_b32 s8, exec_lo, s5
	s_cbranch_execz .LBB63_12
; %bb.11:
	s_mov_b32 s4, 0x7fffff
	v_mov_b32_e32 v12, 0
	v_and_or_b32 v13, v5, s4, 0x800000
	v_mad_u64_u32 v[7:8], null, 0xfe5163ab, v13, 0
	v_mov_b32_e32 v11, v8
	v_lshrrev_b32_e32 v8, 23, v5
	v_mad_u64_u32 v[15:16], null, 0x3c439041, v13, v[11:12]
	v_add_nc_u32_e32 v8, 0xffffff88, v8
	v_cmp_lt_u32_e32 vcc_lo, 63, v8
	v_mov_b32_e32 v11, v16
	v_mad_u64_u32 v[16:17], null, 0xdb629599, v13, v[11:12]
	v_mov_b32_e32 v11, v17
	v_cndmask_b32_e32 v7, v16, v7, vcc_lo
	v_mad_u64_u32 v[17:18], null, 0xf534ddc0, v13, v[11:12]
	v_mov_b32_e32 v11, v18
	v_cndmask_b32_e64 v18, 0, 0xffffffc0, vcc_lo
	v_mad_u64_u32 v[20:21], null, 0xfc2757d1, v13, v[11:12]
	v_add_nc_u32_e32 v8, v18, v8
	v_cmp_lt_u32_e64 s4, 31, v8
	v_mov_b32_e32 v11, v21
	v_cndmask_b32_e64 v18, 0, 0xffffffe0, s4
	v_mad_u64_u32 v[21:22], null, 0x4e441529, v13, v[11:12]
	v_add_nc_u32_e32 v8, v18, v8
	v_mov_b32_e32 v11, v22
	v_cmp_lt_u32_e64 s5, 31, v8
	v_cndmask_b32_e32 v18, v21, v17, vcc_lo
	v_mad_u64_u32 v[11:12], null, 0xa2f9836e, v13, v[11:12]
	v_cndmask_b32_e64 v13, 0, 0xffffffe0, s5
	v_add_nc_u32_e32 v8, v13, v8
	v_cndmask_b32_e32 v11, v11, v20, vcc_lo
	v_cndmask_b32_e32 v12, v12, v21, vcc_lo
	;; [unrolled: 1-line block ×4, first 2 shown]
	v_sub_nc_u32_e32 v17, 32, v8
	v_cndmask_b32_e64 v15, v11, v18, s4
	v_cndmask_b32_e64 v11, v12, v11, s4
	;; [unrolled: 1-line block ×4, first 2 shown]
	v_cmp_eq_u32_e32 vcc_lo, 0, v8
	v_cndmask_b32_e64 v7, v13, v7, s4
	v_cndmask_b32_e64 v11, v11, v15, s5
	v_cndmask_b32_e64 v15, v15, v12, s5
	v_cndmask_b32_e64 v12, v12, v18, s5
	v_cndmask_b32_e64 v7, v18, v7, s5
	v_alignbit_b32 v20, v11, v15, v17
	v_alignbit_b32 v16, v15, v12, v17
	;; [unrolled: 1-line block ×3, first 2 shown]
	v_cndmask_b32_e32 v8, v20, v11, vcc_lo
	v_cndmask_b32_e32 v11, v16, v15, vcc_lo
	;; [unrolled: 1-line block ×3, first 2 shown]
	v_bfe_u32 v13, v8, 29, 1
	v_alignbit_b32 v15, v8, v11, 30
	v_alignbit_b32 v11, v11, v12, 30
	;; [unrolled: 1-line block ×3, first 2 shown]
	v_sub_nc_u32_e32 v16, 0, v13
	v_xor_b32_e32 v15, v15, v16
	v_xor_b32_e32 v11, v11, v16
	;; [unrolled: 1-line block ×3, first 2 shown]
	v_lshrrev_b32_e32 v16, 29, v8
	v_lshrrev_b32_e32 v8, 30, v8
	v_ffbh_u32_e32 v17, v15
	v_add_nc_u32_e32 v8, v13, v8
	v_min_u32_e32 v17, 32, v17
	v_sub_nc_u32_e32 v12, 31, v17
	v_lshlrev_b32_e32 v18, 23, v17
	v_alignbit_b32 v15, v15, v11, v12
	v_alignbit_b32 v7, v11, v7, v12
	v_lshlrev_b32_e32 v11, 31, v16
	v_alignbit_b32 v12, v15, v7, 9
	v_or_b32_e32 v16, 0.5, v11
	v_lshrrev_b32_e32 v15, 9, v15
	v_or_b32_e32 v11, 0x33000000, v11
	v_ffbh_u32_e32 v20, v12
	v_sub_nc_u32_e32 v16, v16, v18
	v_min_u32_e32 v18, 32, v20
	v_or_b32_e32 v15, v15, v16
	v_not_b32_e32 v16, v18
	v_mul_f32_e32 v20, 0x3fc90fda, v15
	v_add_lshl_u32 v17, v18, v17, 23
	v_alignbit_b32 v7, v12, v7, v16
	v_fma_f32 v12, 0x3fc90fda, v15, -v20
	v_sub_nc_u32_e32 v11, v11, v17
	v_lshrrev_b32_e32 v7, 9, v7
	v_fmamk_f32 v12, v15, 0x33a22168, v12
	v_or_b32_e32 v7, v11, v7
	v_fmac_f32_e32 v12, 0x3fc90fda, v7
	v_add_f32_e32 v7, v20, v12
.LBB63_12:
	s_andn2_saveexec_b32 s4, s8
; %bb.13:
	v_mul_f32_e64 v7, 0x3f22f983, |v4|
	v_rndne_f32_e32 v8, v7
	v_fma_f32 v7, 0xbfc90fda, v8, |v4|
	v_fmamk_f32 v7, v8, 0xb3a22168, v7
	v_fmamk_f32 v7, v8, 0xa7c234c4, v7
	v_cvt_i32_f32_e32 v8, v8
; %bb.14:
	s_or_b32 exec_lo, exec_lo, s4
	v_mul_f32_e32 v11, v7, v7
	s_mov_b32 s4, 0xb94c1982
	s_mov_b32 s5, 0x37d75334
	v_and_b32_e32 v15, 1, v8
	v_lshlrev_b32_e32 v8, 30, v8
	v_fmaak_f32 v12, s4, v11, 0x3c0881c4
	v_fmaak_f32 v13, s5, v11, 0xbab64f3b
	v_xor_b32_e32 v5, v5, v4
	v_cmp_eq_u32_e32 vcc_lo, 0, v15
	v_and_b32_e32 v8, 0x80000000, v8
	v_fmaak_f32 v12, v11, v12, 0xbe2aaa9d
	v_fmaak_f32 v13, v11, v13, 0x3d2aabf7
	v_sub_f32_e32 v10, 1.0, v10
	v_mul_f32_e32 v12, v11, v12
	v_fmaak_f32 v13, v11, v13, 0xbf000004
	v_fmac_f32_e32 v7, v7, v12
	v_fma_f32 v11, v11, v13, 1.0
	v_cndmask_b32_e32 v7, v11, v7, vcc_lo
	v_cmp_class_f32_e64 vcc_lo, v4, 0x1f8
	v_xor3_b32 v5, v5, v8, v7
	v_cndmask_b32_e32 v4, 0x7fc00000, v5, vcc_lo
	v_mul_f32_e32 v4, v4, v4
	v_div_scale_f32 v5, null, v4, v4, 0xc11de9e7
	v_div_scale_f32 v11, vcc_lo, 0xc11de9e7, v4, 0xc11de9e7
	v_rcp_f32_e32 v7, v5
	v_fma_f32 v8, -v5, v7, 1.0
	v_fmac_f32_e32 v7, v8, v7
	v_mul_f32_e32 v8, v11, v7
	v_fma_f32 v12, -v5, v8, v11
	v_fmac_f32_e32 v8, v12, v7
	v_fma_f32 v5, -v5, v8, v11
	v_div_fmas_f32 v5, v5, v7, v8
	v_div_fixup_f32 v4, v5, v4, 0xc11de9e7
	v_add_f32_e32 v5, 0, v4
	v_mov_b32_e32 v4, -1.0
.LBB63_15:
	s_or_b32 exec_lo, exec_lo, s7
	s_waitcnt vmcnt(2)
	v_cvt_f32_f16_e32 v15, v9
	v_mov_b32_e32 v8, 0
	v_mov_b32_e32 v7, 1.0
	s_mov_b32 s7, exec_lo
	v_cmpx_gt_f16_e32 0.5, v9
	s_cbranch_execz .LBB63_21
; %bb.16:
	v_mul_f32_e32 v7, 0x40490fdb, v15
                                        ; implicit-def: $vgpr12
                                        ; implicit-def: $vgpr11
	s_mov_b32 s5, exec_lo
	v_and_b32_e32 v8, 0x7fffffff, v7
	v_cmpx_ngt_f32_e64 0x48000000, |v7|
	s_xor_b32 s8, exec_lo, s5
	s_cbranch_execz .LBB63_18
; %bb.17:
	s_mov_b32 s4, 0x7fffff
	v_mov_b32_e32 v13, 0
	v_and_or_b32 v24, v8, s4, 0x800000
	v_mad_u64_u32 v[11:12], null, 0xfe5163ab, v24, 0
	v_mad_u64_u32 v[16:17], null, 0x3c439041, v24, v[12:13]
	v_mov_b32_e32 v12, v17
	v_mad_u64_u32 v[17:18], null, 0xdb629599, v24, v[12:13]
	v_mov_b32_e32 v12, v18
	v_lshrrev_b32_e32 v18, 23, v8
	v_mad_u64_u32 v[20:21], null, 0xf534ddc0, v24, v[12:13]
	v_add_nc_u32_e32 v18, 0xffffff88, v18
	v_cmp_lt_u32_e32 vcc_lo, 63, v18
	v_mov_b32_e32 v12, v21
	v_cndmask_b32_e64 v23, 0, 0xffffffc0, vcc_lo
	v_mad_u64_u32 v[21:22], null, 0xfc2757d1, v24, v[12:13]
	v_cndmask_b32_e32 v16, v20, v16, vcc_lo
	v_cndmask_b32_e32 v11, v17, v11, vcc_lo
	v_add_nc_u32_e32 v18, v23, v18
	v_mov_b32_e32 v12, v22
	v_cmp_lt_u32_e64 s4, 31, v18
	v_mad_u64_u32 v[22:23], null, 0x4e441529, v24, v[12:13]
	v_cndmask_b32_e64 v25, 0, 0xffffffe0, s4
	v_cndmask_b32_e64 v11, v16, v11, s4
	v_add_nc_u32_e32 v18, v25, v18
	v_mov_b32_e32 v12, v23
	v_cmp_lt_u32_e64 s5, 31, v18
	v_mad_u64_u32 v[12:13], null, 0xa2f9836e, v24, v[12:13]
	v_cndmask_b32_e32 v24, v22, v20, vcc_lo
	v_cndmask_b32_e64 v23, 0, 0xffffffe0, s5
	v_cndmask_b32_e32 v12, v12, v21, vcc_lo
	v_cndmask_b32_e32 v13, v13, v22, vcc_lo
	;; [unrolled: 1-line block ×3, first 2 shown]
	v_add_nc_u32_e32 v18, v23, v18
	v_cndmask_b32_e64 v20, v12, v24, s4
	v_cndmask_b32_e64 v12, v13, v12, s4
	;; [unrolled: 1-line block ×3, first 2 shown]
	v_sub_nc_u32_e32 v22, 32, v18
	v_cndmask_b32_e64 v21, v21, v16, s4
	v_cmp_eq_u32_e32 vcc_lo, 0, v18
	v_cndmask_b32_e64 v12, v12, v20, s5
	v_cndmask_b32_e64 v20, v20, v13, s5
	;; [unrolled: 1-line block ×4, first 2 shown]
	v_alignbit_b32 v23, v12, v20, v22
	v_alignbit_b32 v17, v20, v13, v22
	;; [unrolled: 1-line block ×3, first 2 shown]
	v_cndmask_b32_e32 v12, v23, v12, vcc_lo
	v_cndmask_b32_e32 v16, v17, v20, vcc_lo
	;; [unrolled: 1-line block ×3, first 2 shown]
	v_bfe_u32 v17, v12, 29, 1
	v_alignbit_b32 v18, v12, v16, 30
	v_alignbit_b32 v16, v16, v13, 30
	;; [unrolled: 1-line block ×3, first 2 shown]
	v_sub_nc_u32_e32 v20, 0, v17
	v_xor_b32_e32 v18, v18, v20
	v_xor_b32_e32 v13, v16, v20
	;; [unrolled: 1-line block ×3, first 2 shown]
	v_lshrrev_b32_e32 v20, 29, v12
	v_lshrrev_b32_e32 v12, 30, v12
	v_ffbh_u32_e32 v21, v18
	v_add_nc_u32_e32 v12, v17, v12
	v_min_u32_e32 v21, 32, v21
	v_sub_nc_u32_e32 v16, 31, v21
	v_lshlrev_b32_e32 v22, 23, v21
	v_alignbit_b32 v18, v18, v13, v16
	v_alignbit_b32 v11, v13, v11, v16
	v_lshlrev_b32_e32 v13, 31, v20
	v_alignbit_b32 v16, v18, v11, 9
	v_or_b32_e32 v20, 0.5, v13
	v_lshrrev_b32_e32 v18, 9, v18
	v_or_b32_e32 v13, 0x33000000, v13
	v_ffbh_u32_e32 v23, v16
	v_sub_nc_u32_e32 v20, v20, v22
	v_min_u32_e32 v22, 32, v23
	v_or_b32_e32 v18, v18, v20
	v_not_b32_e32 v20, v22
	v_mul_f32_e32 v23, 0x3fc90fda, v18
	v_add_lshl_u32 v21, v22, v21, 23
	v_alignbit_b32 v11, v16, v11, v20
	v_fma_f32 v16, 0x3fc90fda, v18, -v23
	v_sub_nc_u32_e32 v13, v13, v21
	v_lshrrev_b32_e32 v11, 9, v11
	v_fmamk_f32 v16, v18, 0x33a22168, v16
	v_or_b32_e32 v11, v13, v11
	v_fmac_f32_e32 v16, 0x3fc90fda, v11
	v_add_f32_e32 v11, v23, v16
.LBB63_18:
	s_andn2_saveexec_b32 s4, s8
; %bb.19:
	v_mul_f32_e64 v11, 0x3f22f983, |v7|
	v_rndne_f32_e32 v12, v11
	v_fma_f32 v11, 0xbfc90fda, v12, |v7|
	v_fmamk_f32 v11, v12, 0xb3a22168, v11
	v_fmamk_f32 v11, v12, 0xa7c234c4, v11
	v_cvt_i32_f32_e32 v12, v12
; %bb.20:
	s_or_b32 exec_lo, exec_lo, s4
	v_mul_f32_e32 v13, v11, v11
	s_mov_b32 s4, 0xb94c1982
	s_mov_b32 s5, 0x37d75334
	v_and_b32_e32 v18, 1, v12
	v_lshlrev_b32_e32 v12, 30, v12
	v_fmaak_f32 v16, s4, v13, 0x3c0881c4
	v_fmaak_f32 v17, s5, v13, 0xbab64f3b
	v_xor_b32_e32 v8, v8, v7
	v_cmp_eq_u32_e32 vcc_lo, 0, v18
	v_and_b32_e32 v12, 0x80000000, v12
	v_fmaak_f32 v16, v13, v16, 0xbe2aaa9d
	v_fmaak_f32 v17, v13, v17, 0x3d2aabf7
	v_sub_f32_e32 v15, 1.0, v15
	v_mul_f32_e32 v16, v13, v16
	v_fmaak_f32 v17, v13, v17, 0xbf000004
	v_fmac_f32_e32 v11, v11, v16
	v_fma_f32 v13, v13, v17, 1.0
	v_cndmask_b32_e32 v11, v13, v11, vcc_lo
	v_cmp_class_f32_e64 vcc_lo, v7, 0x1f8
	v_xor3_b32 v8, v8, v12, v11
	v_cndmask_b32_e32 v7, 0x7fc00000, v8, vcc_lo
	v_mul_f32_e32 v7, v7, v7
	v_div_scale_f32 v8, null, v7, v7, 0xc11de9e7
	v_div_scale_f32 v13, vcc_lo, 0xc11de9e7, v7, 0xc11de9e7
	v_rcp_f32_e32 v11, v8
	v_fma_f32 v12, -v8, v11, 1.0
	v_fmac_f32_e32 v11, v12, v11
	v_mul_f32_e32 v12, v13, v11
	v_fma_f32 v16, -v8, v12, v13
	v_fmac_f32_e32 v12, v16, v11
	v_fma_f32 v8, -v8, v12, v13
	v_div_fmas_f32 v8, v8, v11, v12
	v_div_fixup_f32 v7, v8, v7, 0xc11de9e7
	v_add_f32_e32 v8, 0, v7
	v_mov_b32_e32 v7, -1.0
.LBB63_21:
	s_or_b32 exec_lo, exec_lo, s7
	v_mov_b32_e32 v12, 0x3800
	v_cvt_f32_f16_sdwa v21, v9 dst_sel:DWORD dst_unused:UNUSED_PAD src0_sel:WORD_1
	v_mov_b32_e32 v11, 0
	v_cmp_lt_f16_sdwa s4, v9, v12 src0_sel:WORD_1 src1_sel:DWORD
	v_mov_b32_e32 v9, 1.0
	s_and_saveexec_b32 s7, s4
	s_cbranch_execz .LBB63_27
; %bb.22:
	v_mul_f32_e32 v9, 0x40490fdb, v21
                                        ; implicit-def: $vgpr13
                                        ; implicit-def: $vgpr12
	s_mov_b32 s5, exec_lo
	v_and_b32_e32 v11, 0x7fffffff, v9
	v_cmpx_ngt_f32_e64 0x48000000, |v9|
	s_xor_b32 s8, exec_lo, s5
	s_cbranch_execz .LBB63_24
; %bb.23:
	s_mov_b32 s4, 0x7fffff
	v_mov_b32_e32 v17, 0
	v_and_or_b32 v18, v11, s4, 0x800000
	v_mad_u64_u32 v[12:13], null, 0xfe5163ab, v18, 0
	v_mov_b32_e32 v16, v13
	v_lshrrev_b32_e32 v13, 23, v11
	v_mad_u64_u32 v[22:23], null, 0x3c439041, v18, v[16:17]
	v_add_nc_u32_e32 v13, 0xffffff88, v13
	v_cmp_lt_u32_e32 vcc_lo, 63, v13
	v_mov_b32_e32 v16, v23
	v_cndmask_b32_e64 v20, 0, 0xffffffc0, vcc_lo
	v_mad_u64_u32 v[23:24], null, 0xdb629599, v18, v[16:17]
	v_add_nc_u32_e32 v13, v20, v13
	v_mov_b32_e32 v16, v24
	v_cmp_lt_u32_e64 s4, 31, v13
	v_cndmask_b32_e32 v12, v23, v12, vcc_lo
	v_mad_u64_u32 v[24:25], null, 0xf534ddc0, v18, v[16:17]
	v_cndmask_b32_e64 v20, 0, 0xffffffe0, s4
	v_add_nc_u32_e32 v13, v20, v13
	v_mov_b32_e32 v16, v25
	v_cmp_lt_u32_e64 s5, 31, v13
	v_mad_u64_u32 v[25:26], null, 0xfc2757d1, v18, v[16:17]
	v_mov_b32_e32 v16, v26
	v_mad_u64_u32 v[26:27], null, 0x4e441529, v18, v[16:17]
	v_mov_b32_e32 v16, v27
	v_cndmask_b32_e32 v20, v26, v24, vcc_lo
	v_mad_u64_u32 v[16:17], null, 0xa2f9836e, v18, v[16:17]
	v_cndmask_b32_e64 v18, 0, 0xffffffe0, s5
	v_add_nc_u32_e32 v13, v18, v13
	v_cndmask_b32_e32 v16, v16, v25, vcc_lo
	v_cndmask_b32_e32 v17, v17, v26, vcc_lo
	;; [unrolled: 1-line block ×4, first 2 shown]
	v_cmp_eq_u32_e32 vcc_lo, 0, v13
	v_cndmask_b32_e64 v22, v16, v20, s4
	v_cndmask_b32_e64 v16, v17, v16, s4
	;; [unrolled: 1-line block ×3, first 2 shown]
	v_sub_nc_u32_e32 v20, 32, v13
	v_cndmask_b32_e64 v24, v25, v18, s4
	v_cndmask_b32_e64 v12, v18, v12, s4
	;; [unrolled: 1-line block ×6, first 2 shown]
	v_alignbit_b32 v25, v16, v22, v20
	v_alignbit_b32 v23, v22, v17, v20
	;; [unrolled: 1-line block ×3, first 2 shown]
	v_cndmask_b32_e32 v13, v25, v16, vcc_lo
	v_cndmask_b32_e32 v16, v23, v22, vcc_lo
	;; [unrolled: 1-line block ×3, first 2 shown]
	v_bfe_u32 v18, v13, 29, 1
	v_alignbit_b32 v22, v13, v16, 30
	v_alignbit_b32 v16, v16, v17, 30
	;; [unrolled: 1-line block ×3, first 2 shown]
	v_sub_nc_u32_e32 v23, 0, v18
	v_xor_b32_e32 v22, v22, v23
	v_xor_b32_e32 v16, v16, v23
	;; [unrolled: 1-line block ×3, first 2 shown]
	v_lshrrev_b32_e32 v23, 29, v13
	v_lshrrev_b32_e32 v13, 30, v13
	v_ffbh_u32_e32 v20, v22
	v_add_nc_u32_e32 v13, v18, v13
	v_min_u32_e32 v20, 32, v20
	v_sub_nc_u32_e32 v17, 31, v20
	v_lshlrev_b32_e32 v24, 23, v20
	v_alignbit_b32 v22, v22, v16, v17
	v_alignbit_b32 v12, v16, v12, v17
	v_lshlrev_b32_e32 v16, 31, v23
	v_alignbit_b32 v17, v22, v12, 9
	v_or_b32_e32 v23, 0.5, v16
	v_lshrrev_b32_e32 v22, 9, v22
	v_or_b32_e32 v16, 0x33000000, v16
	v_ffbh_u32_e32 v25, v17
	v_sub_nc_u32_e32 v23, v23, v24
	v_min_u32_e32 v24, 32, v25
	v_or_b32_e32 v22, v22, v23
	v_not_b32_e32 v23, v24
	v_mul_f32_e32 v25, 0x3fc90fda, v22
	v_add_lshl_u32 v20, v24, v20, 23
	v_alignbit_b32 v12, v17, v12, v23
	v_fma_f32 v17, 0x3fc90fda, v22, -v25
	v_sub_nc_u32_e32 v16, v16, v20
	v_lshrrev_b32_e32 v12, 9, v12
	v_fmamk_f32 v17, v22, 0x33a22168, v17
	v_or_b32_e32 v12, v16, v12
	v_fmac_f32_e32 v17, 0x3fc90fda, v12
	v_add_f32_e32 v12, v25, v17
.LBB63_24:
	s_andn2_saveexec_b32 s4, s8
; %bb.25:
	v_mul_f32_e64 v12, 0x3f22f983, |v9|
	v_rndne_f32_e32 v13, v12
	v_fma_f32 v12, 0xbfc90fda, v13, |v9|
	v_fmamk_f32 v12, v13, 0xb3a22168, v12
	v_fmamk_f32 v12, v13, 0xa7c234c4, v12
	v_cvt_i32_f32_e32 v13, v13
; %bb.26:
	s_or_b32 exec_lo, exec_lo, s4
	v_mul_f32_e32 v16, v12, v12
	s_mov_b32 s4, 0xb94c1982
	s_mov_b32 s5, 0x37d75334
	v_and_b32_e32 v20, 1, v13
	v_lshlrev_b32_e32 v13, 30, v13
	v_fmaak_f32 v17, s4, v16, 0x3c0881c4
	v_fmaak_f32 v18, s5, v16, 0xbab64f3b
	v_xor_b32_e32 v11, v11, v9
	v_cmp_eq_u32_e32 vcc_lo, 0, v20
	v_and_b32_e32 v13, 0x80000000, v13
	v_fmaak_f32 v17, v16, v17, 0xbe2aaa9d
	v_fmaak_f32 v18, v16, v18, 0x3d2aabf7
	v_sub_f32_e32 v21, 1.0, v21
	v_mul_f32_e32 v17, v16, v17
	v_fmaak_f32 v18, v16, v18, 0xbf000004
	v_fmac_f32_e32 v12, v12, v17
	v_fma_f32 v16, v16, v18, 1.0
	v_cndmask_b32_e32 v12, v16, v12, vcc_lo
	v_cmp_class_f32_e64 vcc_lo, v9, 0x1f8
	v_xor3_b32 v11, v11, v13, v12
	v_cndmask_b32_e32 v9, 0x7fc00000, v11, vcc_lo
	v_mul_f32_e32 v9, v9, v9
	v_div_scale_f32 v11, null, v9, v9, 0xc11de9e7
	v_div_scale_f32 v16, vcc_lo, 0xc11de9e7, v9, 0xc11de9e7
	v_rcp_f32_e32 v12, v11
	v_fma_f32 v13, -v11, v12, 1.0
	v_fmac_f32_e32 v12, v13, v12
	v_mul_f32_e32 v13, v16, v12
	v_fma_f32 v17, -v11, v13, v16
	v_fmac_f32_e32 v13, v17, v12
	v_fma_f32 v11, -v11, v13, v16
	v_div_fmas_f32 v11, v11, v12, v13
	v_div_fixup_f32 v9, v11, v9, 0xc11de9e7
	v_add_f32_e32 v11, 0, v9
	v_mov_b32_e32 v9, -1.0
.LBB63_27:
	s_or_b32 exec_lo, exec_lo, s7
	s_waitcnt vmcnt(1)
	v_cvt_f32_f16_e32 v47, v14
	v_mov_b32_e32 v13, 0
	v_mov_b32_e32 v12, 1.0
	s_mov_b32 s7, exec_lo
	v_cmpx_gt_f16_e32 0.5, v14
	s_cbranch_execz .LBB63_33
; %bb.28:
	v_mul_f32_e32 v12, 0x40490fdb, v47
                                        ; implicit-def: $vgpr17
                                        ; implicit-def: $vgpr16
	s_mov_b32 s5, exec_lo
	v_and_b32_e32 v13, 0x7fffffff, v12
	v_cmpx_ngt_f32_e64 0x48000000, |v12|
	s_xor_b32 s8, exec_lo, s5
	s_cbranch_execz .LBB63_30
; %bb.29:
	s_mov_b32 s4, 0x7fffff
	v_mov_b32_e32 v18, 0
	v_and_or_b32 v20, v13, s4, 0x800000
	v_lshrrev_b32_e32 v26, 23, v13
	v_mad_u64_u32 v[16:17], null, 0xfe5163ab, v20, 0
	v_add_nc_u32_e32 v27, 0xffffff88, v26
	v_cmp_lt_u32_e32 vcc_lo, 63, v27
	v_mad_u64_u32 v[22:23], null, 0x3c439041, v20, v[17:18]
	v_cndmask_b32_e64 v28, 0, 0xffffffc0, vcc_lo
	v_mov_b32_e32 v17, v23
	v_add_nc_u32_e32 v28, v28, v27
	v_mad_u64_u32 v[23:24], null, 0xdb629599, v20, v[17:18]
	v_cmp_lt_u32_e64 s4, 31, v28
	v_cndmask_b32_e64 v29, 0, 0xffffffe0, s4
	v_mov_b32_e32 v17, v24
	v_cndmask_b32_e32 v16, v23, v16, vcc_lo
	v_mad_u64_u32 v[24:25], null, 0xf534ddc0, v20, v[17:18]
	v_mov_b32_e32 v17, v25
	v_cndmask_b32_e32 v22, v24, v22, vcc_lo
	v_mad_u64_u32 v[25:26], null, 0xfc2757d1, v20, v[17:18]
	v_cndmask_b32_e64 v16, v22, v16, s4
	v_mov_b32_e32 v17, v26
	v_mad_u64_u32 v[26:27], null, 0x4e441529, v20, v[17:18]
	v_mov_b32_e32 v17, v27
	v_add_nc_u32_e32 v27, v29, v28
	v_cndmask_b32_e32 v28, v26, v24, vcc_lo
	v_mad_u64_u32 v[17:18], null, 0xa2f9836e, v20, v[17:18]
	v_cmp_lt_u32_e64 s5, 31, v27
	v_cndmask_b32_e64 v20, 0, 0xffffffe0, s5
	v_cndmask_b32_e32 v17, v17, v25, vcc_lo
	v_cndmask_b32_e32 v18, v18, v26, vcc_lo
	;; [unrolled: 1-line block ×3, first 2 shown]
	v_add_nc_u32_e32 v20, v20, v27
	v_cndmask_b32_e64 v24, v17, v28, s4
	v_cndmask_b32_e64 v17, v18, v17, s4
	;; [unrolled: 1-line block ×4, first 2 shown]
	v_sub_nc_u32_e32 v26, 32, v20
	v_cmp_eq_u32_e32 vcc_lo, 0, v20
	v_cndmask_b32_e64 v17, v17, v24, s5
	v_cndmask_b32_e64 v24, v24, v18, s5
	;; [unrolled: 1-line block ×4, first 2 shown]
	v_alignbit_b32 v27, v17, v24, v26
	v_alignbit_b32 v23, v24, v18, v26
	;; [unrolled: 1-line block ×3, first 2 shown]
	v_cndmask_b32_e32 v17, v27, v17, vcc_lo
	v_cndmask_b32_e32 v20, v23, v24, vcc_lo
	;; [unrolled: 1-line block ×3, first 2 shown]
	v_bfe_u32 v22, v17, 29, 1
	v_alignbit_b32 v23, v17, v20, 30
	v_alignbit_b32 v20, v20, v18, 30
	;; [unrolled: 1-line block ×3, first 2 shown]
	v_sub_nc_u32_e32 v24, 0, v22
	v_xor_b32_e32 v23, v23, v24
	v_xor_b32_e32 v18, v20, v24
	;; [unrolled: 1-line block ×3, first 2 shown]
	v_lshrrev_b32_e32 v24, 29, v17
	v_lshrrev_b32_e32 v17, 30, v17
	v_ffbh_u32_e32 v25, v23
	v_add_nc_u32_e32 v17, v22, v17
	v_min_u32_e32 v25, 32, v25
	v_sub_nc_u32_e32 v20, 31, v25
	v_lshlrev_b32_e32 v26, 23, v25
	v_alignbit_b32 v23, v23, v18, v20
	v_alignbit_b32 v16, v18, v16, v20
	v_lshlrev_b32_e32 v18, 31, v24
	v_alignbit_b32 v20, v23, v16, 9
	v_or_b32_e32 v24, 0.5, v18
	v_lshrrev_b32_e32 v23, 9, v23
	v_or_b32_e32 v18, 0x33000000, v18
	v_ffbh_u32_e32 v27, v20
	v_sub_nc_u32_e32 v24, v24, v26
	v_min_u32_e32 v26, 32, v27
	v_or_b32_e32 v23, v23, v24
	v_not_b32_e32 v24, v26
	v_mul_f32_e32 v27, 0x3fc90fda, v23
	v_add_lshl_u32 v25, v26, v25, 23
	v_alignbit_b32 v16, v20, v16, v24
	v_fma_f32 v20, 0x3fc90fda, v23, -v27
	v_sub_nc_u32_e32 v18, v18, v25
	v_lshrrev_b32_e32 v16, 9, v16
	v_fmamk_f32 v20, v23, 0x33a22168, v20
	v_or_b32_e32 v16, v18, v16
	v_fmac_f32_e32 v20, 0x3fc90fda, v16
	v_add_f32_e32 v16, v27, v20
.LBB63_30:
	s_andn2_saveexec_b32 s4, s8
; %bb.31:
	v_mul_f32_e64 v16, 0x3f22f983, |v12|
	v_rndne_f32_e32 v17, v16
	v_fma_f32 v16, 0xbfc90fda, v17, |v12|
	v_fmamk_f32 v16, v17, 0xb3a22168, v16
	v_fmamk_f32 v16, v17, 0xa7c234c4, v16
	v_cvt_i32_f32_e32 v17, v17
; %bb.32:
	s_or_b32 exec_lo, exec_lo, s4
	v_mul_f32_e32 v18, v16, v16
	s_mov_b32 s4, 0xb94c1982
	s_mov_b32 s5, 0x37d75334
	v_and_b32_e32 v23, 1, v17
	v_lshlrev_b32_e32 v17, 30, v17
	v_fmaak_f32 v20, s4, v18, 0x3c0881c4
	v_fmaak_f32 v22, s5, v18, 0xbab64f3b
	v_xor_b32_e32 v13, v13, v12
	v_cmp_eq_u32_e32 vcc_lo, 0, v23
	v_and_b32_e32 v17, 0x80000000, v17
	v_fmaak_f32 v20, v18, v20, 0xbe2aaa9d
	v_fmaak_f32 v22, v18, v22, 0x3d2aabf7
	v_sub_f32_e32 v47, 1.0, v47
	v_mul_f32_e32 v20, v18, v20
	v_fmaak_f32 v22, v18, v22, 0xbf000004
	v_fmac_f32_e32 v16, v16, v20
	v_fma_f32 v18, v18, v22, 1.0
	v_cndmask_b32_e32 v16, v18, v16, vcc_lo
	v_cmp_class_f32_e64 vcc_lo, v12, 0x1f8
	v_xor3_b32 v13, v13, v17, v16
	v_cndmask_b32_e32 v12, 0x7fc00000, v13, vcc_lo
	v_mul_f32_e32 v12, v12, v12
	v_div_scale_f32 v13, null, v12, v12, 0xc11de9e7
	v_div_scale_f32 v18, vcc_lo, 0xc11de9e7, v12, 0xc11de9e7
	v_rcp_f32_e32 v16, v13
	v_fma_f32 v17, -v13, v16, 1.0
	v_fmac_f32_e32 v16, v17, v16
	v_mul_f32_e32 v17, v18, v16
	v_fma_f32 v20, -v13, v17, v18
	v_fmac_f32_e32 v17, v20, v16
	v_fma_f32 v13, -v13, v17, v18
	v_div_fmas_f32 v13, v13, v16, v17
	v_div_fixup_f32 v12, v13, v12, 0xc11de9e7
	v_add_f32_e32 v13, 0, v12
	v_mov_b32_e32 v12, -1.0
.LBB63_33:
	s_or_b32 exec_lo, exec_lo, s7
	v_mov_b32_e32 v17, 0x3800
	v_cvt_f32_f16_sdwa v38, v14 dst_sel:DWORD dst_unused:UNUSED_PAD src0_sel:WORD_1
	v_mov_b32_e32 v16, 0
	v_cmp_lt_f16_sdwa s4, v14, v17 src0_sel:WORD_1 src1_sel:DWORD
	v_mov_b32_e32 v14, 1.0
	s_and_saveexec_b32 s7, s4
	s_cbranch_execz .LBB63_39
; %bb.34:
	v_mul_f32_e32 v14, 0x40490fdb, v38
                                        ; implicit-def: $vgpr18
                                        ; implicit-def: $vgpr17
	s_mov_b32 s5, exec_lo
	v_and_b32_e32 v16, 0x7fffffff, v14
	v_cmpx_ngt_f32_e64 0x48000000, |v14|
	s_xor_b32 s8, exec_lo, s5
	s_cbranch_execz .LBB63_36
; %bb.35:
	s_mov_b32 s4, 0x7fffff
	v_mov_b32_e32 v23, 0
	v_and_or_b32 v20, v16, s4, 0x800000
	v_mad_u64_u32 v[17:18], null, 0xfe5163ab, v20, 0
	v_mov_b32_e32 v22, v18
	v_lshrrev_b32_e32 v18, 23, v16
	v_mad_u64_u32 v[24:25], null, 0x3c439041, v20, v[22:23]
	v_add_nc_u32_e32 v18, 0xffffff88, v18
	v_cmp_lt_u32_e32 vcc_lo, 63, v18
	v_mov_b32_e32 v22, v25
	v_cndmask_b32_e64 v29, 0, 0xffffffc0, vcc_lo
	v_mad_u64_u32 v[25:26], null, 0xdb629599, v20, v[22:23]
	v_add_nc_u32_e32 v18, v29, v18
	v_mov_b32_e32 v22, v26
	v_cmp_lt_u32_e64 s4, 31, v18
	v_cndmask_b32_e32 v17, v25, v17, vcc_lo
	v_mad_u64_u32 v[26:27], null, 0xf534ddc0, v20, v[22:23]
	v_cndmask_b32_e64 v30, 0, 0xffffffe0, s4
	v_add_nc_u32_e32 v18, v30, v18
	v_mov_b32_e32 v22, v27
	v_cmp_lt_u32_e64 s5, 31, v18
	v_mad_u64_u32 v[27:28], null, 0xfc2757d1, v20, v[22:23]
	v_mov_b32_e32 v22, v28
	v_mad_u64_u32 v[28:29], null, 0x4e441529, v20, v[22:23]
	v_mov_b32_e32 v22, v29
	v_cndmask_b32_e32 v29, v28, v26, vcc_lo
	v_mad_u64_u32 v[22:23], null, 0xa2f9836e, v20, v[22:23]
	v_cndmask_b32_e64 v20, 0, 0xffffffe0, s5
	v_add_nc_u32_e32 v18, v20, v18
	v_cndmask_b32_e32 v22, v22, v27, vcc_lo
	v_cndmask_b32_e32 v23, v23, v28, vcc_lo
	;; [unrolled: 1-line block ×4, first 2 shown]
	v_sub_nc_u32_e32 v26, 32, v18
	v_cndmask_b32_e64 v24, v22, v29, s4
	v_cndmask_b32_e64 v22, v23, v22, s4
	;; [unrolled: 1-line block ×4, first 2 shown]
	v_cmp_eq_u32_e32 vcc_lo, 0, v18
	v_cndmask_b32_e64 v17, v20, v17, s4
	v_cndmask_b32_e64 v22, v22, v24, s5
	;; [unrolled: 1-line block ×5, first 2 shown]
	v_alignbit_b32 v28, v22, v24, v26
	v_alignbit_b32 v25, v24, v23, v26
	;; [unrolled: 1-line block ×3, first 2 shown]
	v_cndmask_b32_e32 v18, v28, v22, vcc_lo
	v_cndmask_b32_e32 v20, v25, v24, vcc_lo
	;; [unrolled: 1-line block ×3, first 2 shown]
	v_bfe_u32 v22, v18, 29, 1
	v_alignbit_b32 v24, v18, v20, 30
	v_alignbit_b32 v20, v20, v23, 30
	;; [unrolled: 1-line block ×3, first 2 shown]
	v_sub_nc_u32_e32 v25, 0, v22
	v_xor_b32_e32 v24, v24, v25
	v_xor_b32_e32 v20, v20, v25
	;; [unrolled: 1-line block ×3, first 2 shown]
	v_lshrrev_b32_e32 v25, 29, v18
	v_lshrrev_b32_e32 v18, 30, v18
	v_ffbh_u32_e32 v26, v24
	v_add_nc_u32_e32 v18, v22, v18
	v_min_u32_e32 v26, 32, v26
	v_sub_nc_u32_e32 v23, 31, v26
	v_lshlrev_b32_e32 v27, 23, v26
	v_alignbit_b32 v24, v24, v20, v23
	v_alignbit_b32 v17, v20, v17, v23
	v_lshlrev_b32_e32 v20, 31, v25
	v_alignbit_b32 v23, v24, v17, 9
	v_or_b32_e32 v25, 0.5, v20
	v_lshrrev_b32_e32 v24, 9, v24
	v_or_b32_e32 v20, 0x33000000, v20
	v_ffbh_u32_e32 v28, v23
	v_sub_nc_u32_e32 v25, v25, v27
	v_min_u32_e32 v27, 32, v28
	v_or_b32_e32 v24, v24, v25
	v_not_b32_e32 v25, v27
	v_mul_f32_e32 v28, 0x3fc90fda, v24
	v_add_lshl_u32 v26, v27, v26, 23
	v_alignbit_b32 v17, v23, v17, v25
	v_fma_f32 v23, 0x3fc90fda, v24, -v28
	v_sub_nc_u32_e32 v20, v20, v26
	v_lshrrev_b32_e32 v17, 9, v17
	v_fmamk_f32 v23, v24, 0x33a22168, v23
	v_or_b32_e32 v17, v20, v17
	v_fmac_f32_e32 v23, 0x3fc90fda, v17
	v_add_f32_e32 v17, v28, v23
.LBB63_36:
	s_andn2_saveexec_b32 s4, s8
; %bb.37:
	v_mul_f32_e64 v17, 0x3f22f983, |v14|
	v_rndne_f32_e32 v18, v17
	v_fma_f32 v17, 0xbfc90fda, v18, |v14|
	v_fmamk_f32 v17, v18, 0xb3a22168, v17
	v_fmamk_f32 v17, v18, 0xa7c234c4, v17
	v_cvt_i32_f32_e32 v18, v18
; %bb.38:
	s_or_b32 exec_lo, exec_lo, s4
	v_mul_f32_e32 v20, v17, v17
	s_mov_b32 s4, 0xb94c1982
	s_mov_b32 s5, 0x37d75334
	v_and_b32_e32 v24, 1, v18
	v_lshlrev_b32_e32 v18, 30, v18
	v_fmaak_f32 v22, s4, v20, 0x3c0881c4
	v_fmaak_f32 v23, s5, v20, 0xbab64f3b
	v_xor_b32_e32 v16, v16, v14
	v_cmp_eq_u32_e32 vcc_lo, 0, v24
	v_and_b32_e32 v18, 0x80000000, v18
	v_fmaak_f32 v22, v20, v22, 0xbe2aaa9d
	v_fmaak_f32 v23, v20, v23, 0x3d2aabf7
	v_sub_f32_e32 v38, 1.0, v38
	v_mul_f32_e32 v22, v20, v22
	v_fmaak_f32 v23, v20, v23, 0xbf000004
	v_fmac_f32_e32 v17, v17, v22
	v_fma_f32 v20, v20, v23, 1.0
	v_cndmask_b32_e32 v17, v20, v17, vcc_lo
	v_cmp_class_f32_e64 vcc_lo, v14, 0x1f8
	v_xor3_b32 v16, v16, v18, v17
	v_cndmask_b32_e32 v14, 0x7fc00000, v16, vcc_lo
	v_mul_f32_e32 v14, v14, v14
	v_div_scale_f32 v16, null, v14, v14, 0xc11de9e7
	v_div_scale_f32 v20, vcc_lo, 0xc11de9e7, v14, 0xc11de9e7
	v_rcp_f32_e32 v17, v16
	v_fma_f32 v18, -v16, v17, 1.0
	v_fmac_f32_e32 v17, v18, v17
	v_mul_f32_e32 v18, v20, v17
	v_fma_f32 v22, -v16, v18, v20
	v_fmac_f32_e32 v18, v22, v17
	v_fma_f32 v16, -v16, v18, v20
	v_div_fmas_f32 v16, v16, v17, v18
	v_div_fixup_f32 v14, v16, v14, 0xc11de9e7
	v_add_f32_e32 v16, 0, v14
	v_mov_b32_e32 v14, -1.0
.LBB63_39:
	s_or_b32 exec_lo, exec_lo, s7
	s_waitcnt vmcnt(0)
	v_cvt_f32_f16_e32 v23, v19
	v_mov_b32_e32 v18, 0
	v_mov_b32_e32 v17, 1.0
	s_mov_b32 s7, exec_lo
	v_cmpx_gt_f16_e32 0.5, v19
	s_cbranch_execz .LBB63_45
; %bb.40:
	v_mul_f32_e32 v17, 0x40490fdb, v23
                                        ; implicit-def: $vgpr22
                                        ; implicit-def: $vgpr20
	s_mov_b32 s5, exec_lo
	v_and_b32_e32 v18, 0x7fffffff, v17
	v_cmpx_ngt_f32_e64 0x48000000, |v17|
	s_xor_b32 s8, exec_lo, s5
	s_cbranch_execz .LBB63_42
; %bb.41:
	s_mov_b32 s4, 0x7fffff
	v_mov_b32_e32 v26, 0
	v_and_or_b32 v20, v18, s4, 0x800000
	v_lshrrev_b32_e32 v22, 23, v18
	v_mad_u64_u32 v[24:25], null, 0xfe5163ab, v20, 0
	v_add_nc_u32_e32 v22, 0xffffff88, v22
	v_cmp_lt_u32_e32 vcc_lo, 63, v22
	v_mad_u64_u32 v[27:28], null, 0x3c439041, v20, v[25:26]
	v_cndmask_b32_e64 v32, 0, 0xffffffc0, vcc_lo
	v_mov_b32_e32 v25, v28
	v_add_nc_u32_e32 v22, v32, v22
	v_mad_u64_u32 v[28:29], null, 0xdb629599, v20, v[25:26]
	v_cmp_lt_u32_e64 s4, 31, v22
	v_cndmask_b32_e64 v33, 0, 0xffffffe0, s4
	v_mov_b32_e32 v25, v29
	v_cndmask_b32_e32 v24, v28, v24, vcc_lo
	v_add_nc_u32_e32 v22, v33, v22
	v_mad_u64_u32 v[29:30], null, 0xf534ddc0, v20, v[25:26]
	v_cmp_lt_u32_e64 s5, 31, v22
	v_mov_b32_e32 v25, v30
	v_mad_u64_u32 v[30:31], null, 0xfc2757d1, v20, v[25:26]
	v_mov_b32_e32 v25, v31
	v_mad_u64_u32 v[31:32], null, 0x4e441529, v20, v[25:26]
	v_mov_b32_e32 v25, v32
	v_cndmask_b32_e32 v32, v31, v29, vcc_lo
	v_mad_u64_u32 v[25:26], null, 0xa2f9836e, v20, v[25:26]
	v_cndmask_b32_e64 v20, 0, 0xffffffe0, s5
	v_add_nc_u32_e32 v20, v20, v22
	v_cndmask_b32_e32 v25, v25, v30, vcc_lo
	v_cndmask_b32_e32 v26, v26, v31, vcc_lo
	v_cndmask_b32_e32 v30, v30, v28, vcc_lo
	v_cndmask_b32_e32 v22, v29, v27, vcc_lo
	v_sub_nc_u32_e32 v29, 32, v20
	v_cndmask_b32_e64 v27, v25, v32, s4
	v_cndmask_b32_e64 v25, v26, v25, s4
	;; [unrolled: 1-line block ×4, first 2 shown]
	v_cmp_eq_u32_e32 vcc_lo, 0, v20
	v_cndmask_b32_e64 v22, v22, v24, s4
	v_cndmask_b32_e64 v25, v25, v27, s5
	;; [unrolled: 1-line block ×5, first 2 shown]
	v_alignbit_b32 v31, v25, v27, v29
	v_alignbit_b32 v28, v27, v26, v29
	v_alignbit_b32 v29, v26, v22, v29
	v_cndmask_b32_e32 v20, v31, v25, vcc_lo
	v_cndmask_b32_e32 v24, v28, v27, vcc_lo
	;; [unrolled: 1-line block ×3, first 2 shown]
	v_bfe_u32 v25, v20, 29, 1
	v_alignbit_b32 v27, v20, v24, 30
	v_alignbit_b32 v24, v24, v26, 30
	v_alignbit_b32 v22, v26, v22, 30
	v_sub_nc_u32_e32 v28, 0, v25
	v_xor_b32_e32 v27, v27, v28
	v_xor_b32_e32 v24, v24, v28
	;; [unrolled: 1-line block ×3, first 2 shown]
	v_lshrrev_b32_e32 v28, 29, v20
	v_ffbh_u32_e32 v29, v27
	v_min_u32_e32 v29, 32, v29
	v_sub_nc_u32_e32 v26, 31, v29
	v_lshlrev_b32_e32 v30, 23, v29
	v_alignbit_b32 v27, v27, v24, v26
	v_alignbit_b32 v22, v24, v22, v26
	v_lshlrev_b32_e32 v24, 31, v28
	v_alignbit_b32 v26, v27, v22, 9
	v_or_b32_e32 v28, 0.5, v24
	v_lshrrev_b32_e32 v27, 9, v27
	v_or_b32_e32 v24, 0x33000000, v24
	v_ffbh_u32_e32 v31, v26
	v_sub_nc_u32_e32 v28, v28, v30
	v_min_u32_e32 v30, 32, v31
	v_or_b32_e32 v27, v27, v28
	v_not_b32_e32 v28, v30
	v_mul_f32_e32 v31, 0x3fc90fda, v27
	v_add_lshl_u32 v29, v30, v29, 23
	v_alignbit_b32 v22, v26, v22, v28
	v_fma_f32 v26, 0x3fc90fda, v27, -v31
	v_sub_nc_u32_e32 v24, v24, v29
	v_lshrrev_b32_e32 v22, 9, v22
	v_fmamk_f32 v26, v27, 0x33a22168, v26
	v_or_b32_e32 v22, v24, v22
	v_fmac_f32_e32 v26, 0x3fc90fda, v22
	v_lshrrev_b32_e32 v22, 30, v20
	v_add_f32_e32 v20, v31, v26
	v_add_nc_u32_e32 v22, v25, v22
.LBB63_42:
	s_andn2_saveexec_b32 s4, s8
; %bb.43:
	v_mul_f32_e64 v20, 0x3f22f983, |v17|
	v_rndne_f32_e32 v22, v20
	v_fma_f32 v20, 0xbfc90fda, v22, |v17|
	v_fmamk_f32 v20, v22, 0xb3a22168, v20
	v_fmamk_f32 v20, v22, 0xa7c234c4, v20
	v_cvt_i32_f32_e32 v22, v22
; %bb.44:
	s_or_b32 exec_lo, exec_lo, s4
	v_mul_f32_e32 v24, v20, v20
	s_mov_b32 s4, 0xb94c1982
	s_mov_b32 s5, 0x37d75334
	v_and_b32_e32 v27, 1, v22
	v_lshlrev_b32_e32 v22, 30, v22
	v_fmaak_f32 v25, s4, v24, 0x3c0881c4
	v_fmaak_f32 v26, s5, v24, 0xbab64f3b
	v_xor_b32_e32 v18, v18, v17
	v_cmp_eq_u32_e32 vcc_lo, 0, v27
	v_and_b32_e32 v22, 0x80000000, v22
	v_fmaak_f32 v25, v24, v25, 0xbe2aaa9d
	v_fmaak_f32 v26, v24, v26, 0x3d2aabf7
	v_sub_f32_e32 v23, 1.0, v23
	v_mul_f32_e32 v25, v24, v25
	v_fmaak_f32 v26, v24, v26, 0xbf000004
	v_fmac_f32_e32 v20, v20, v25
	v_fma_f32 v24, v24, v26, 1.0
	v_cndmask_b32_e32 v20, v24, v20, vcc_lo
	v_cmp_class_f32_e64 vcc_lo, v17, 0x1f8
	v_xor3_b32 v18, v18, v22, v20
	v_cndmask_b32_e32 v17, 0x7fc00000, v18, vcc_lo
	v_mul_f32_e32 v17, v17, v17
	v_div_scale_f32 v18, null, v17, v17, 0xc11de9e7
	v_div_scale_f32 v24, vcc_lo, 0xc11de9e7, v17, 0xc11de9e7
	v_rcp_f32_e32 v20, v18
	v_fma_f32 v22, -v18, v20, 1.0
	v_fmac_f32_e32 v20, v22, v20
	v_mul_f32_e32 v22, v24, v20
	v_fma_f32 v25, -v18, v22, v24
	v_fmac_f32_e32 v22, v25, v20
	v_fma_f32 v18, -v18, v22, v24
	v_div_fmas_f32 v18, v18, v20, v22
	v_div_fixup_f32 v17, v18, v17, 0xc11de9e7
	v_add_f32_e32 v18, 0, v17
	v_mov_b32_e32 v17, -1.0
.LBB63_45:
	s_or_b32 exec_lo, exec_lo, s7
	v_mov_b32_e32 v24, 0x3800
	v_cvt_f32_f16_sdwa v22, v19 dst_sel:DWORD dst_unused:UNUSED_PAD src0_sel:WORD_1
	v_mov_b32_e32 v20, 0
	v_cmp_lt_f16_sdwa s4, v19, v24 src0_sel:WORD_1 src1_sel:DWORD
	v_mov_b32_e32 v19, 1.0
	s_and_saveexec_b32 s7, s4
	s_cbranch_execz .LBB63_51
; %bb.46:
	v_mul_f32_e32 v19, 0x40490fdb, v22
                                        ; implicit-def: $vgpr25
                                        ; implicit-def: $vgpr24
	s_mov_b32 s5, exec_lo
	v_and_b32_e32 v20, 0x7fffffff, v19
	v_cmpx_ngt_f32_e64 0x48000000, |v19|
	s_xor_b32 s8, exec_lo, s5
	s_cbranch_execz .LBB63_48
; %bb.47:
	s_mov_b32 s4, 0x7fffff
	v_mov_b32_e32 v26, 0
	v_and_or_b32 v33, v20, s4, 0x800000
	v_lshrrev_b32_e32 v31, 23, v20
	v_mad_u64_u32 v[24:25], null, 0xfe5163ab, v33, 0
	v_add_nc_u32_e32 v32, 0xffffff88, v31
	v_cmp_lt_u32_e32 vcc_lo, 63, v32
	v_mad_u64_u32 v[27:28], null, 0x3c439041, v33, v[25:26]
	v_cndmask_b32_e64 v34, 0, 0xffffffc0, vcc_lo
	v_mov_b32_e32 v25, v28
	v_add_nc_u32_e32 v34, v34, v32
	v_mad_u64_u32 v[28:29], null, 0xdb629599, v33, v[25:26]
	v_cmp_lt_u32_e64 s4, 31, v34
	v_cndmask_b32_e64 v35, 0, 0xffffffe0, s4
	v_mov_b32_e32 v25, v29
	v_cndmask_b32_e32 v24, v28, v24, vcc_lo
	v_mad_u64_u32 v[29:30], null, 0xf534ddc0, v33, v[25:26]
	v_mov_b32_e32 v25, v30
	v_cndmask_b32_e32 v27, v29, v27, vcc_lo
	v_mad_u64_u32 v[30:31], null, 0xfc2757d1, v33, v[25:26]
	v_cndmask_b32_e64 v24, v27, v24, s4
	v_mov_b32_e32 v25, v31
	v_mad_u64_u32 v[31:32], null, 0x4e441529, v33, v[25:26]
	v_mov_b32_e32 v25, v32
	v_add_nc_u32_e32 v32, v35, v34
	v_cndmask_b32_e32 v34, v31, v29, vcc_lo
	v_mad_u64_u32 v[25:26], null, 0xa2f9836e, v33, v[25:26]
	v_cmp_lt_u32_e64 s5, 31, v32
	v_cndmask_b32_e64 v33, 0, 0xffffffe0, s5
	v_cndmask_b32_e32 v25, v25, v30, vcc_lo
	v_cndmask_b32_e32 v26, v26, v31, vcc_lo
	;; [unrolled: 1-line block ×3, first 2 shown]
	v_add_nc_u32_e32 v31, v33, v32
	v_cndmask_b32_e64 v29, v25, v34, s4
	v_cndmask_b32_e64 v25, v26, v25, s4
	;; [unrolled: 1-line block ×4, first 2 shown]
	v_sub_nc_u32_e32 v32, 32, v31
	v_cmp_eq_u32_e32 vcc_lo, 0, v31
	v_cndmask_b32_e64 v25, v25, v29, s5
	v_cndmask_b32_e64 v29, v29, v26, s5
	;; [unrolled: 1-line block ×4, first 2 shown]
	v_alignbit_b32 v33, v25, v29, v32
	v_alignbit_b32 v28, v29, v26, v32
	;; [unrolled: 1-line block ×3, first 2 shown]
	v_cndmask_b32_e32 v25, v33, v25, vcc_lo
	v_cndmask_b32_e32 v27, v28, v29, vcc_lo
	;; [unrolled: 1-line block ×3, first 2 shown]
	v_bfe_u32 v28, v25, 29, 1
	v_alignbit_b32 v29, v25, v27, 30
	v_alignbit_b32 v27, v27, v26, 30
	;; [unrolled: 1-line block ×3, first 2 shown]
	v_sub_nc_u32_e32 v30, 0, v28
	v_xor_b32_e32 v29, v29, v30
	v_xor_b32_e32 v26, v27, v30
	v_xor_b32_e32 v24, v24, v30
	v_lshrrev_b32_e32 v30, 29, v25
	v_lshrrev_b32_e32 v25, 30, v25
	v_ffbh_u32_e32 v31, v29
	v_add_nc_u32_e32 v25, v28, v25
	v_min_u32_e32 v31, 32, v31
	v_sub_nc_u32_e32 v27, 31, v31
	v_lshlrev_b32_e32 v32, 23, v31
	v_alignbit_b32 v29, v29, v26, v27
	v_alignbit_b32 v24, v26, v24, v27
	v_lshlrev_b32_e32 v26, 31, v30
	v_alignbit_b32 v27, v29, v24, 9
	v_or_b32_e32 v30, 0.5, v26
	v_lshrrev_b32_e32 v29, 9, v29
	v_or_b32_e32 v26, 0x33000000, v26
	v_ffbh_u32_e32 v33, v27
	v_sub_nc_u32_e32 v30, v30, v32
	v_min_u32_e32 v32, 32, v33
	v_or_b32_e32 v29, v29, v30
	v_not_b32_e32 v30, v32
	v_mul_f32_e32 v33, 0x3fc90fda, v29
	v_add_lshl_u32 v31, v32, v31, 23
	v_alignbit_b32 v24, v27, v24, v30
	v_fma_f32 v27, 0x3fc90fda, v29, -v33
	v_sub_nc_u32_e32 v26, v26, v31
	v_lshrrev_b32_e32 v24, 9, v24
	v_fmamk_f32 v27, v29, 0x33a22168, v27
	v_or_b32_e32 v24, v26, v24
	v_fmac_f32_e32 v27, 0x3fc90fda, v24
	v_add_f32_e32 v24, v33, v27
.LBB63_48:
	s_andn2_saveexec_b32 s4, s8
; %bb.49:
	v_mul_f32_e64 v24, 0x3f22f983, |v19|
	v_rndne_f32_e32 v25, v24
	v_fma_f32 v24, 0xbfc90fda, v25, |v19|
	v_fmamk_f32 v24, v25, 0xb3a22168, v24
	v_fmamk_f32 v24, v25, 0xa7c234c4, v24
	v_cvt_i32_f32_e32 v25, v25
; %bb.50:
	s_or_b32 exec_lo, exec_lo, s4
	v_mul_f32_e32 v26, v24, v24
	s_mov_b32 s4, 0xb94c1982
	s_mov_b32 s5, 0x37d75334
	v_and_b32_e32 v29, 1, v25
	v_lshlrev_b32_e32 v25, 30, v25
	v_fmaak_f32 v27, s4, v26, 0x3c0881c4
	v_fmaak_f32 v28, s5, v26, 0xbab64f3b
	v_xor_b32_e32 v20, v20, v19
	v_cmp_eq_u32_e32 vcc_lo, 0, v29
	v_and_b32_e32 v25, 0x80000000, v25
	v_fmaak_f32 v27, v26, v27, 0xbe2aaa9d
	v_fmaak_f32 v28, v26, v28, 0x3d2aabf7
	v_sub_f32_e32 v22, 1.0, v22
	v_mul_f32_e32 v27, v26, v27
	v_fmaak_f32 v28, v26, v28, 0xbf000004
	v_fmac_f32_e32 v24, v24, v27
	v_fma_f32 v26, v26, v28, 1.0
	v_cndmask_b32_e32 v24, v26, v24, vcc_lo
	v_cmp_class_f32_e64 vcc_lo, v19, 0x1f8
	v_xor3_b32 v20, v20, v25, v24
	v_cndmask_b32_e32 v19, 0x7fc00000, v20, vcc_lo
	v_mul_f32_e32 v19, v19, v19
	v_div_scale_f32 v20, null, v19, v19, 0xc11de9e7
	v_div_scale_f32 v26, vcc_lo, 0xc11de9e7, v19, 0xc11de9e7
	v_rcp_f32_e32 v24, v20
	v_fma_f32 v25, -v20, v24, 1.0
	v_fmac_f32_e32 v24, v25, v24
	v_mul_f32_e32 v25, v26, v24
	v_fma_f32 v27, -v20, v25, v26
	v_fmac_f32_e32 v25, v27, v24
	v_fma_f32 v20, -v20, v25, v26
	v_div_fmas_f32 v20, v20, v24, v25
	v_div_fixup_f32 v19, v20, v19, 0xc11de9e7
	v_add_f32_e32 v20, 0, v19
	v_mov_b32_e32 v19, -1.0
.LBB63_51:
	s_or_b32 exec_lo, exec_lo, s7
	v_add_f32_e32 v25, 1.0, v23
	v_mul_f32_e32 v24, v23, v23
	s_mov_b32 s17, 0xbcc30c31
	v_mul_f32_e32 v23, v25, v25
	v_add_f32_e32 v26, 1.0, v25
	v_div_scale_f32 v28, null, v24, v24, 1.0
	v_div_scale_f32 v31, vcc_lo, 1.0, v24, 1.0
	v_div_scale_f32 v30, null, v23, v23, 1.0
	v_mul_f32_e32 v25, v26, v26
	v_rcp_f32_e32 v32, v28
	v_div_scale_f32 v35, s4, 1.0, v23, 1.0
	v_rcp_f32_e32 v33, v30
	v_div_scale_f32 v34, null, v25, v25, 1.0
	v_add_f32_e32 v27, 1.0, v26
	v_div_scale_f32 v36, s5, 1.0, v25, 1.0
	v_rcp_f32_e32 v37, v34
	v_fma_f32 v39, -v28, v32, 1.0
	v_add_f32_e32 v29, 1.0, v27
	v_mul_f32_e32 v26, v27, v27
	v_fma_f32 v40, -v30, v33, 1.0
	v_fmac_f32_e32 v32, v39, v32
	v_mul_f32_e32 v27, v29, v29
	v_div_scale_f32 v41, null, v26, v26, 1.0
	v_fmac_f32_e32 v33, v40, v33
	v_fma_f32 v39, -v34, v37, 1.0
	v_mul_f32_e32 v43, v31, v32
	v_add_f32_e32 v40, 1.0, v29
	v_rcp_f32_e32 v42, v41
	v_mul_f32_e32 v44, v35, v33
	v_fmac_f32_e32 v37, v39, v37
	v_fma_f32 v45, -v28, v43, v31
	v_add_f32_e32 v29, 1.0, v40
	v_div_scale_f32 v39, null, v27, v27, 1.0
	v_fma_f32 v46, -v30, v44, v35
	v_mul_f32_e32 v48, v36, v37
	v_fmac_f32_e32 v43, v45, v32
	v_fma_f32 v49, -v41, v42, 1.0
	v_fmac_f32_e32 v44, v46, v33
	v_fma_f32 v45, -v34, v48, v36
	v_fma_f32 v31, -v28, v43, v31
	v_mul_f32_e32 v28, v40, v40
	v_add_f32_e32 v40, v29, v29
	v_fma_f32 v30, -v30, v44, v35
	v_fmac_f32_e32 v48, v45, v37
	v_div_fmas_f32 v32, v31, v32, v43
	s_mov_b32 vcc_lo, s4
	v_rcp_f32_e32 v46, v39
	v_div_fmas_f32 v31, v30, v33, v44
	v_fma_f32 v34, -v34, v48, v36
	v_div_scale_f32 v33, null, v28, v28, 1.0
	v_mul_f32_e32 v43, v29, v29
	s_mov_b32 vcc_lo, s5
	v_div_scale_f32 v36, null, v40, v40, 1.0
	v_div_fmas_f32 v30, v34, v37, v48
	v_rcp_f32_e32 v37, v33
	v_div_scale_f32 v48, null, v43, v43, 1.0
	v_rcp_f32_e32 v44, v36
	v_fmac_f32_e32 v42, v49, v42
	v_div_scale_f32 v34, vcc_lo, 1.0, v26, 1.0
	v_fma_f32 v35, -v39, v46, 1.0
	v_rcp_f32_e32 v50, v48
	v_div_fixup_f32 v24, v32, v24, 1.0
	v_mul_f32_e32 v45, v34, v42
	v_fma_f32 v49, -v33, v37, 1.0
	v_fmac_f32_e32 v46, v35, v46
	v_div_scale_f32 v35, s4, 1.0, v27, 1.0
	v_fma_f32 v52, -v36, v44, 1.0
	v_fma_f32 v51, -v41, v45, v34
	v_fmac_f32_e32 v37, v49, v37
	v_mul_f32_e32 v53, v35, v46
	v_div_scale_f32 v49, s5, 1.0, v28, 1.0
	v_fma_f32 v54, -v48, v50, 1.0
	v_fmac_f32_e32 v44, v52, v44
	v_div_scale_f32 v52, s7, 1.0, v40, 1.0
	v_fmac_f32_e32 v45, v51, v42
	v_fma_f32 v51, -v39, v53, v35
	v_mul_f32_e32 v55, v49, v37
	v_fmac_f32_e32 v50, v54, v50
	v_div_scale_f32 v54, s8, 1.0, v43, 1.0
	v_mul_f32_e32 v56, v52, v44
	v_fma_f32 v34, -v41, v45, v34
	v_fmac_f32_e32 v53, v51, v46
	v_fma_f32 v41, -v33, v55, v49
	v_mul_f32_e32 v57, v54, v50
	v_fma_f32 v51, -v36, v56, v52
	v_div_fmas_f32 v34, v34, v42, v45
	v_fma_f32 v35, -v39, v53, v35
	v_fmac_f32_e32 v55, v41, v37
	v_fma_f32 v39, -v48, v57, v54
	v_fmac_f32_e32 v56, v51, v44
	s_mov_b32 vcc_lo, s4
	v_add_f32_e32 v18, v18, v24
	v_fma_f32 v33, -v33, v55, v49
	v_fmac_f32_e32 v57, v39, v50
	v_div_fmas_f32 v35, v35, v46, v53
	v_fma_f32 v36, -v36, v56, v52
	s_mov_b32 vcc_lo, s5
	v_div_fixup_f32 v23, v31, v23, 1.0
	v_div_fmas_f32 v33, v33, v37, v55
	v_fma_f32 v37, -v48, v57, v54
	s_mov_b32 vcc_lo, s7
	v_div_fmas_f32 v36, v36, v44, v56
	s_mov_b32 vcc_lo, s8
	v_add_f32_e32 v18, v18, v23
	v_div_fmas_f32 v37, v37, v50, v57
	v_div_fixup_f32 v23, v30, v25, 1.0
	v_div_fixup_f32 v36, v36, v40, 1.0
	v_add_f32_e32 v40, 1.0, v38
	v_div_fixup_f32 v28, v33, v28, 1.0
	v_div_fixup_f32 v37, v37, v43, 1.0
	v_add_f32_e32 v18, v18, v23
	v_add_f32_e32 v36, 1.0, v36
	v_div_fixup_f32 v23, v34, v26, 1.0
	v_fmaak_f32 v39, s17, v37, 0x3d088889
	v_add_f32_e32 v18, v18, v23
	v_div_fixup_f32 v23, v35, v27, 1.0
	v_fma_f32 v39, -v37, v39, 0x3e2aaaab
	v_add_f32_e32 v18, v18, v23
	v_fmac_f32_e32 v36, v37, v39
	v_mul_f32_e32 v37, v38, v38
	v_mul_f32_e32 v38, v40, v40
	v_add_f32_e32 v40, 1.0, v40
	v_add_f32_e32 v18, v18, v28
	v_div_scale_f32 v41, null, v29, v29, v36
	v_div_scale_f32 v43, null, v37, v37, 1.0
	v_div_scale_f32 v46, null, v38, v38, 1.0
	v_rcp_f32_e32 v42, v41
	v_rcp_f32_e32 v44, v43
	v_div_scale_f32 v45, vcc_lo, v36, v29, v36
	v_rcp_f32_e32 v49, v46
	v_div_scale_f32 v50, s4, 1.0, v37, 1.0
	v_add_f32_e32 v54, 1.0, v40
	v_fma_f32 v39, -v41, v42, 1.0
	v_fma_f32 v55, -v46, v49, 1.0
	v_fmac_f32_e32 v42, v39, v42
	v_fma_f32 v39, -v43, v44, 1.0
	v_fmac_f32_e32 v49, v55, v49
	v_mul_f32_e32 v48, v45, v42
	v_fmac_f32_e32 v44, v39, v44
	v_mul_f32_e32 v39, v40, v40
	v_div_scale_f32 v55, s5, 1.0, v38, 1.0
	v_fma_f32 v51, -v41, v48, v45
	v_mul_f32_e32 v52, v50, v44
	v_div_scale_f32 v53, null, v39, v39, 1.0
	v_mul_f32_e32 v40, v54, v54
	v_fmac_f32_e32 v48, v51, v42
	v_fma_f32 v51, -v43, v52, v50
	v_rcp_f32_e32 v56, v53
	v_div_scale_f32 v57, null, v40, v40, 1.0
	v_fma_f32 v41, -v41, v48, v45
	v_fmac_f32_e32 v52, v51, v44
	v_mul_f32_e32 v45, v55, v49
	v_rcp_f32_e32 v58, v57
	v_div_fmas_f32 v42, v41, v42, v48
	v_fma_f32 v51, -v53, v56, 1.0
	v_fma_f32 v41, -v43, v52, v50
	v_fma_f32 v48, -v46, v45, v55
	s_mov_b32 vcc_lo, s4
	v_div_scale_f32 v50, s7, 1.0, v39, 1.0
	v_fmac_f32_e32 v56, v51, v56
	v_add_f32_e32 v51, 1.0, v54
	v_div_fmas_f32 v43, v41, v44, v52
	v_fmac_f32_e32 v45, v48, v49
	v_fma_f32 v54, -v57, v58, 1.0
	v_mul_f32_e32 v48, v50, v56
	v_add_f32_e32 v44, 1.0, v51
	v_mul_f32_e32 v41, v51, v51
	v_fma_f32 v51, -v46, v45, v55
	s_mov_b32 vcc_lo, s5
	v_fma_f32 v55, -v53, v48, v50
	v_add_f32_e32 v46, 1.0, v44
	v_div_scale_f32 v52, null, v41, v41, 1.0
	v_mul_f32_e32 v44, v44, v44
	v_fmac_f32_e32 v58, v54, v58
	v_add_f32_e32 v61, v46, v46
	v_div_scale_f32 v54, s4, 1.0, v40, 1.0
	v_fmac_f32_e32 v48, v55, v56
	v_mul_f32_e32 v63, v46, v46
	v_div_scale_f32 v55, null, v61, v61, 1.0
	v_rcp_f32_e32 v59, v52
	v_div_fmas_f32 v45, v51, v49, v45
	v_div_scale_f32 v51, null, v44, v44, 1.0
	v_mul_f32_e32 v60, v54, v58
	v_rcp_f32_e32 v65, v55
	v_fma_f32 v50, -v53, v48, v50
	v_div_scale_f32 v53, null, v63, v63, 1.0
	v_rcp_f32_e32 v62, v51
	v_fma_f32 v49, -v57, v60, v54
	v_fma_f32 v64, -v52, v59, 1.0
	v_rcp_f32_e32 v67, v53
	v_div_scale_f32 v69, s9, 1.0, v61, 1.0
	v_fmac_f32_e32 v60, v49, v58
	v_fma_f32 v49, -v55, v65, 1.0
	v_fmac_f32_e32 v59, v64, v59
	v_div_scale_f32 v64, s5, 1.0, v41, 1.0
	v_fma_f32 v66, -v51, v62, 1.0
	v_fmac_f32_e32 v65, v49, v65
	v_fma_f32 v49, -v53, v67, 1.0
	v_mul_f32_e32 v68, v64, v59
	s_mov_b32 vcc_lo, s7
	v_fmac_f32_e32 v62, v66, v62
	v_div_scale_f32 v66, s8, 1.0, v44, 1.0
	v_mul_f32_e32 v70, v69, v65
	v_fmac_f32_e32 v67, v49, v67
	v_div_scale_f32 v71, s7, 1.0, v63, 1.0
	v_div_fmas_f32 v48, v50, v56, v48
	v_fma_f32 v50, -v52, v68, v64
	v_mul_f32_e32 v56, v66, v62
	v_fma_f32 v49, -v57, v60, v54
	v_fma_f32 v54, -v55, v70, v69
	v_mul_f32_e32 v57, v71, v67
	v_fmac_f32_e32 v68, v50, v59
	v_fma_f32 v50, -v51, v56, v66
	s_mov_b32 vcc_lo, s4
	v_fmac_f32_e32 v70, v54, v65
	v_fma_f32 v54, -v53, v57, v71
	v_fma_f32 v52, -v52, v68, v64
	v_fmac_f32_e32 v56, v50, v62
	v_div_fmas_f32 v49, v49, v58, v60
	s_mov_b32 vcc_lo, s5
	v_fmac_f32_e32 v57, v54, v67
	v_div_fmas_f32 v50, v52, v59, v68
	v_fma_f32 v51, -v51, v56, v66
	v_fma_f32 v52, -v55, v70, v69
	s_mov_b32 vcc_lo, s8
	v_fma_f32 v53, -v53, v57, v71
	v_div_fixup_f32 v30, v43, v37, 1.0
	v_div_fmas_f32 v51, v51, v62, v56
	s_mov_b32 vcc_lo, s9
	v_div_fixup_f32 v25, v42, v29, v36
	v_div_fmas_f32 v52, v52, v65, v70
	s_mov_b32 vcc_lo, s7
	v_add_f32_e32 v16, v16, v30
	v_div_fmas_f32 v53, v53, v67, v57
	v_div_fixup_f32 v30, v45, v38, 1.0
	v_div_fixup_f32 v52, v52, v61, 1.0
	;; [unrolled: 1-line block ×3, first 2 shown]
	v_add_f32_e32 v18, v18, v25
	v_div_fixup_f32 v53, v53, v63, 1.0
	v_add_f32_e32 v16, v16, v30
	v_add_f32_e32 v52, 1.0, v52
	v_div_fixup_f32 v30, v48, v39, 1.0
	v_fma_mixlo_f16 v17, v17, v18, 0
	v_fmaak_f32 v54, s17, v53, 0x3d088889
	v_add_f32_e32 v16, v16, v30
	v_fma_f32 v54, -v53, v54, 0x3e2aaaab
	v_add_f32_e32 v16, v16, v28
	v_fmac_f32_e32 v52, v53, v54
	v_mul_f32_e32 v53, v47, v47
	v_add_f32_e32 v54, 1.0, v47
	v_div_scale_f32 v55, null, v46, v46, v52
	v_div_scale_f32 v57, null, v53, v53, 1.0
	v_mul_f32_e32 v47, v54, v54
	v_rcp_f32_e32 v56, v55
	v_div_scale_f32 v61, vcc_lo, v52, v46, v52
	v_rcp_f32_e32 v59, v57
	v_div_scale_f32 v60, null, v47, v47, 1.0
	v_div_scale_f32 v65, s4, 1.0, v53, 1.0
	v_rcp_f32_e32 v63, v60
	v_fma_f32 v58, -v55, v56, 1.0
	v_fma_f32 v62, -v57, v59, 1.0
	v_fmac_f32_e32 v56, v58, v56
	v_add_f32_e32 v58, 1.0, v54
	v_fmac_f32_e32 v59, v62, v59
	v_fma_f32 v66, -v60, v63, 1.0
	v_mul_f32_e32 v64, v61, v56
	v_mul_f32_e32 v54, v58, v58
	;; [unrolled: 1-line block ×3, first 2 shown]
	v_fmac_f32_e32 v63, v66, v63
	v_fma_f32 v67, -v55, v64, v61
	v_div_scale_f32 v62, null, v54, v54, 1.0
	v_div_scale_f32 v66, s5, 1.0, v47, 1.0
	v_fmac_f32_e32 v64, v67, v56
	v_rcp_f32_e32 v68, v62
	v_fma_f32 v67, -v57, v69, v65
	v_mul_f32_e32 v70, v66, v63
	v_fma_f32 v55, -v55, v64, v61
	v_fmac_f32_e32 v69, v67, v59
	v_fma_f32 v61, -v60, v70, v66
	v_add_f32_e32 v67, 1.0, v58
	v_div_fmas_f32 v58, v55, v56, v64
	v_fma_f32 v71, -v62, v68, 1.0
	v_fma_f32 v56, -v57, v69, v65
	v_fmac_f32_e32 v70, v61, v63
	s_mov_b32 vcc_lo, s4
	v_mul_f32_e32 v55, v67, v67
	v_fmac_f32_e32 v68, v71, v68
	v_div_scale_f32 v71, s7, 1.0, v54, 1.0
	v_div_fmas_f32 v57, v56, v59, v69
	v_fma_f32 v56, -v60, v70, v66
	v_add_f32_e32 v60, 1.0, v67
	v_mul_f32_e32 v64, v71, v68
	s_mov_b32 vcc_lo, s5
	v_div_scale_f32 v65, null, v55, v55, 1.0
	v_div_fmas_f32 v59, v56, v63, v70
	v_fma_f32 v61, -v62, v64, v71
	v_mul_f32_e32 v56, v60, v60
	v_add_f32_e32 v60, 1.0, v60
	v_rcp_f32_e32 v69, v65
	s_mov_b32 vcc_lo, s7
	v_fmac_f32_e32 v64, v61, v68
	v_div_scale_f32 v66, null, v56, v56, 1.0
	v_div_fixup_f32 v30, v59, v47, 1.0
	v_div_fixup_f32 v26, v58, v46, v52
	v_fma_f32 v61, -v62, v64, v71
	v_add_f32_e32 v62, 1.0, v60
	v_mul_f32_e32 v60, v60, v60
	v_fma_f32 v63, -v65, v69, 1.0
	v_div_fmas_f32 v61, v61, v68, v64
	v_add_f32_e32 v67, v62, v62
	v_rcp_f32_e32 v64, v66
	v_div_scale_f32 v68, null, v60, v60, 1.0
	v_mul_f32_e32 v72, v62, v62
	v_div_scale_f32 v70, null, v67, v67, 1.0
	v_rcp_f32_e32 v71, v68
	v_fmac_f32_e32 v69, v63, v69
	v_div_scale_f32 v76, null, v72, v72, 1.0
	v_rcp_f32_e32 v74, v70
	v_div_scale_f32 v63, vcc_lo, 1.0, v55, 1.0
	v_fma_f32 v73, -v66, v64, 1.0
	v_rcp_f32_e32 v78, v76
	v_div_fixup_f32 v25, v61, v54, 1.0
	v_mul_f32_e32 v75, v63, v69
	v_fma_f32 v77, -v68, v71, 1.0
	v_fmac_f32_e32 v64, v73, v64
	v_div_scale_f32 v73, s4, 1.0, v56, 1.0
	v_fma_f32 v80, -v70, v74, 1.0
	v_fma_f32 v79, -v65, v75, v63
	v_fmac_f32_e32 v71, v77, v71
	v_mul_f32_e32 v81, v73, v64
	v_div_scale_f32 v77, s5, 1.0, v60, 1.0
	v_fma_f32 v82, -v76, v78, 1.0
	v_fmac_f32_e32 v74, v80, v74
	v_div_scale_f32 v80, s7, 1.0, v67, 1.0
	v_fmac_f32_e32 v75, v79, v69
	v_fma_f32 v79, -v66, v81, v73
	v_mul_f32_e32 v83, v77, v71
	v_fmac_f32_e32 v78, v82, v78
	v_div_scale_f32 v82, s8, 1.0, v72, 1.0
	v_mul_f32_e32 v84, v80, v74
	v_fma_f32 v63, -v65, v75, v63
	v_fmac_f32_e32 v81, v79, v64
	v_fma_f32 v65, -v68, v83, v77
	v_mul_f32_e32 v85, v82, v78
	v_fma_f32 v79, -v70, v84, v80
	v_div_fmas_f32 v63, v63, v69, v75
	v_fma_f32 v66, -v66, v81, v73
	v_fmac_f32_e32 v83, v65, v71
	v_fma_f32 v65, -v76, v85, v82
	v_fmac_f32_e32 v84, v79, v74
	s_mov_b32 vcc_lo, s4
	v_div_fmas_f32 v64, v66, v64, v81
	v_fma_f32 v66, -v68, v83, v77
	v_fmac_f32_e32 v85, v65, v78
	v_fma_f32 v68, -v70, v84, v80
	s_mov_b32 vcc_lo, s5
	v_div_fmas_f32 v65, v66, v71, v83
	v_fma_f32 v66, -v76, v85, v82
	s_mov_b32 vcc_lo, s7
	v_div_fmas_f32 v68, v68, v74, v84
	s_mov_b32 vcc_lo, s8
	v_div_fmas_f32 v66, v66, v78, v85
	v_div_fixup_f32 v67, v68, v67, 1.0
	v_div_fixup_f32 v66, v66, v72, 1.0
	v_add_f32_e32 v67, 1.0, v67
	v_fmaak_f32 v68, s17, v66, 0x3d088889
	v_fma_f32 v68, -v66, v68, 0x3e2aaaab
	v_fmac_f32_e32 v67, v66, v68
	v_mul_f32_e32 v66, v21, v21
	v_add_f32_e32 v68, 1.0, v21
	v_div_scale_f32 v69, null, v62, v62, v67
	v_div_scale_f32 v71, null, v66, v66, 1.0
	v_mul_f32_e32 v21, v68, v68
	v_rcp_f32_e32 v70, v69
	v_add_f32_e32 v73, 1.0, v68
	v_rcp_f32_e32 v74, v71
	v_div_scale_f32 v75, vcc_lo, v67, v62, v67
	v_div_scale_f32 v79, s4, 1.0, v66, 1.0
	v_mul_f32_e32 v68, v73, v73
	v_fma_f32 v72, -v69, v70, 1.0
	v_fma_f32 v76, -v71, v74, 1.0
	v_fmac_f32_e32 v70, v72, v70
	v_div_scale_f32 v72, null, v21, v21, 1.0
	v_fmac_f32_e32 v74, v76, v74
	v_div_scale_f32 v76, null, v68, v68, 1.0
	v_rcp_f32_e32 v77, v72
	v_mul_f32_e32 v78, v75, v70
	v_mul_f32_e32 v83, v79, v74
	v_rcp_f32_e32 v82, v76
	v_fma_f32 v81, -v69, v78, v75
	v_fma_f32 v80, -v72, v77, 1.0
	v_fmac_f32_e32 v78, v81, v70
	v_fma_f32 v81, -v71, v83, v79
	v_fma_f32 v85, -v76, v82, 1.0
	v_fmac_f32_e32 v77, v80, v77
	v_div_scale_f32 v80, s5, 1.0, v21, 1.0
	v_fma_f32 v69, -v69, v78, v75
	v_fmac_f32_e32 v83, v81, v74
	v_fmac_f32_e32 v82, v85, v82
	v_mul_f32_e32 v84, v80, v77
	v_div_scale_f32 v85, s7, 1.0, v68, 1.0
	v_add_f32_e32 v81, 1.0, v73
	v_div_fmas_f32 v73, v69, v70, v78
	v_fma_f32 v75, -v72, v84, v80
	v_mul_f32_e32 v78, v85, v82
	v_fma_f32 v70, -v71, v83, v79
	s_mov_b32 vcc_lo, s4
	v_mul_f32_e32 v69, v81, v81
	v_fmac_f32_e32 v84, v75, v77
	v_fma_f32 v75, -v76, v78, v85
	v_div_fmas_f32 v71, v70, v74, v83
	v_add_f32_e32 v74, 1.0, v81
	s_mov_b32 vcc_lo, s5
	v_fma_f32 v70, -v72, v84, v80
	v_fmac_f32_e32 v78, v75, v82
	v_div_scale_f32 v79, null, v69, v69, 1.0
	v_div_fixup_f32 v18, v71, v66, 1.0
	v_div_fmas_f32 v72, v70, v77, v84
	v_mul_f32_e32 v70, v74, v74
	v_add_f32_e32 v74, 1.0, v74
	v_fma_f32 v75, -v76, v78, v85
	v_rcp_f32_e32 v83, v79
	s_mov_b32 vcc_lo, s7
	v_div_scale_f32 v80, null, v70, v70, 1.0
	v_add_f32_e32 v76, 1.0, v74
	v_mul_f32_e32 v74, v74, v74
	v_div_fmas_f32 v75, v75, v82, v78
	v_rcp_f32_e32 v78, v80
	v_add_f32_e32 v11, v11, v18
	v_add_f32_e32 v81, v76, v76
	v_div_scale_f32 v82, null, v74, v74, 1.0
	v_mul_f32_e32 v86, v76, v76
	v_fma_f32 v77, -v79, v83, 1.0
	v_div_scale_f32 v84, null, v81, v81, 1.0
	v_rcp_f32_e32 v85, v82
	v_div_scale_f32 v90, null, v86, v86, 1.0
	v_rcp_f32_e32 v88, v84
	v_fmac_f32_e32 v83, v77, v83
	v_div_scale_f32 v77, vcc_lo, 1.0, v69, 1.0
	v_fma_f32 v87, -v80, v78, 1.0
	v_rcp_f32_e32 v92, v90
	v_div_fixup_f32 v18, v72, v21, 1.0
	v_mul_f32_e32 v89, v77, v83
	v_fma_f32 v91, -v82, v85, 1.0
	v_fmac_f32_e32 v78, v87, v78
	v_div_scale_f32 v87, s4, 1.0, v70, 1.0
	v_fma_f32 v94, -v84, v88, 1.0
	v_fma_f32 v93, -v79, v89, v77
	v_fmac_f32_e32 v85, v91, v85
	v_mul_f32_e32 v95, v87, v78
	v_div_scale_f32 v91, s5, 1.0, v74, 1.0
	v_fma_f32 v96, -v90, v92, 1.0
	v_fmac_f32_e32 v88, v94, v88
	v_div_scale_f32 v94, s7, 1.0, v81, 1.0
	v_fmac_f32_e32 v89, v93, v83
	v_fma_f32 v93, -v80, v95, v87
	v_mul_f32_e32 v97, v91, v85
	v_fmac_f32_e32 v92, v96, v92
	v_div_scale_f32 v96, s8, 1.0, v86, 1.0
	v_mul_f32_e32 v98, v94, v88
	v_fma_f32 v77, -v79, v89, v77
	v_fmac_f32_e32 v95, v93, v78
	v_fma_f32 v79, -v82, v97, v91
	v_mul_f32_e32 v99, v96, v92
	v_fma_f32 v93, -v84, v98, v94
	v_div_fmas_f32 v77, v77, v83, v89
	v_fma_f32 v80, -v80, v95, v87
	v_fmac_f32_e32 v97, v79, v85
	v_fma_f32 v79, -v90, v99, v96
	v_fmac_f32_e32 v98, v93, v88
	s_mov_b32 vcc_lo, s4
	v_add_f32_e32 v11, v11, v18
	v_div_fmas_f32 v78, v80, v78, v95
	v_fma_f32 v80, -v82, v97, v91
	v_fmac_f32_e32 v99, v79, v92
	v_fma_f32 v82, -v84, v98, v94
	s_mov_b32 vcc_lo, s5
	v_div_fixup_f32 v18, v75, v68, 1.0
	v_div_fmas_f32 v79, v80, v85, v97
	v_fma_f32 v80, -v90, v99, v96
	s_mov_b32 vcc_lo, s7
	v_div_fixup_f32 v29, v73, v62, v67
	v_div_fmas_f32 v82, v82, v88, v98
	s_mov_b32 vcc_lo, s8
	v_add_f32_e32 v11, v11, v18
	v_div_fmas_f32 v80, v80, v92, v99
	v_div_fixup_f32 v18, v77, v69, 1.0
	v_div_fixup_f32 v81, v82, v81, 1.0
	v_div_fixup_f32 v80, v80, v86, 1.0
	v_add_f32_e32 v11, v11, v18
	v_add_f32_e32 v81, 1.0, v81
	v_div_fixup_f32 v18, v78, v70, 1.0
	v_fmaak_f32 v82, s17, v80, 0x3d088889
	v_add_f32_e32 v11, v11, v18
	v_div_fixup_f32 v18, v79, v74, 1.0
	v_fma_f32 v82, -v80, v82, 0x3e2aaaab
	v_add_f32_e32 v11, v11, v18
	v_fmac_f32_e32 v81, v80, v82
	v_mul_f32_e32 v80, v15, v15
	v_add_f32_e32 v82, 1.0, v15
	v_div_scale_f32 v83, null, v76, v76, v81
	v_div_scale_f32 v85, null, v80, v80, 1.0
	v_mul_f32_e32 v15, v82, v82
	v_rcp_f32_e32 v84, v83
	v_add_f32_e32 v88, 1.0, v82
	v_rcp_f32_e32 v87, v85
	v_div_scale_f32 v89, vcc_lo, v81, v76, v81
	v_div_scale_f32 v93, s4, 1.0, v80, 1.0
	v_mul_f32_e32 v82, v88, v88
	v_add_f32_e32 v88, 1.0, v88
	v_fma_f32 v86, -v83, v84, 1.0
	v_fma_f32 v90, -v85, v87, 1.0
	v_fmac_f32_e32 v84, v86, v84
	v_div_scale_f32 v86, null, v15, v15, 1.0
	v_fmac_f32_e32 v87, v90, v87
	v_div_scale_f32 v90, null, v82, v82, 1.0
	v_rcp_f32_e32 v91, v86
	v_mul_f32_e32 v92, v89, v84
	v_mul_f32_e32 v97, v93, v87
	v_rcp_f32_e32 v96, v90
	v_fma_f32 v95, -v83, v92, v89
	v_fma_f32 v94, -v86, v91, 1.0
	v_fmac_f32_e32 v92, v95, v84
	v_fma_f32 v95, -v85, v97, v93
	v_fma_f32 v99, -v90, v96, 1.0
	v_fmac_f32_e32 v91, v94, v91
	v_div_scale_f32 v94, s5, 1.0, v15, 1.0
	v_fma_f32 v83, -v83, v92, v89
	v_fmac_f32_e32 v97, v95, v87
	v_fmac_f32_e32 v96, v99, v96
	v_mul_f32_e32 v98, v94, v91
	v_div_scale_f32 v99, s7, 1.0, v82, 1.0
	v_div_fmas_f32 v89, v83, v84, v92
	v_mul_f32_e32 v83, v88, v88
	v_fma_f32 v95, -v86, v98, v94
	v_mul_f32_e32 v92, v99, v96
	v_fma_f32 v84, -v85, v97, v93
	s_mov_b32 vcc_lo, s4
	v_div_scale_f32 v93, null, v83, v83, 1.0
	v_fmac_f32_e32 v98, v95, v91
	v_fma_f32 v95, -v90, v92, v99
	v_div_fmas_f32 v85, v84, v87, v97
	v_add_f32_e32 v87, 1.0, v88
	v_rcp_f32_e32 v97, v93
	v_fma_f32 v84, -v86, v98, v94
	v_fmac_f32_e32 v92, v95, v96
	s_mov_b32 vcc_lo, s5
	v_add_f32_e32 v88, 1.0, v87
	v_div_fixup_f32 v21, v85, v80, 1.0
	v_div_fmas_f32 v86, v84, v91, v98
	v_mul_f32_e32 v84, v87, v87
	v_fma_f32 v90, -v90, v92, v99
	v_add_f32_e32 v87, 1.0, v88
	v_fma_f32 v91, -v93, v97, 1.0
	s_mov_b32 vcc_lo, s7
	v_mul_f32_e32 v88, v88, v88
	v_div_scale_f32 v94, null, v84, v84, 1.0
	v_div_fmas_f32 v90, v90, v96, v92
	v_add_f32_e32 v96, v87, v87
	v_mul_f32_e32 v100, v87, v87
	v_fmac_f32_e32 v97, v91, v97
	v_div_scale_f32 v91, null, v88, v88, 1.0
	v_rcp_f32_e32 v95, v94
	v_div_scale_f32 v98, null, v96, v96, 1.0
	v_div_scale_f32 v104, null, v100, v100, 1.0
	v_rcp_f32_e32 v99, v91
	v_rcp_f32_e32 v102, v98
	v_div_scale_f32 v92, vcc_lo, 1.0, v83, 1.0
	v_rcp_f32_e32 v106, v104
	v_fma_f32 v101, -v94, v95, 1.0
	v_add_f32_e32 v8, v8, v21
	v_mul_f32_e32 v103, v92, v97
	v_div_fixup_f32 v15, v86, v15, 1.0
	v_div_fixup_f32 v21, v65, v60, 1.0
	v_fma_f32 v105, -v91, v99, 1.0
	v_fmac_f32_e32 v95, v101, v95
	v_div_scale_f32 v101, s4, 1.0, v84, 1.0
	v_fma_f32 v108, -v98, v102, 1.0
	v_fma_f32 v107, -v93, v103, v92
	v_fma_f32 v110, -v104, v106, 1.0
	v_fmac_f32_e32 v99, v105, v99
	v_div_scale_f32 v105, s5, 1.0, v88, 1.0
	v_mul_f32_e32 v109, v101, v95
	v_fmac_f32_e32 v102, v108, v102
	v_div_scale_f32 v108, s7, 1.0, v96, 1.0
	v_fmac_f32_e32 v103, v107, v97
	v_fmac_f32_e32 v106, v110, v106
	v_div_scale_f32 v110, s8, 1.0, v100, 1.0
	v_mul_f32_e32 v111, v105, v99
	v_fma_f32 v107, -v94, v109, v101
	v_mul_f32_e32 v112, v108, v102
	v_fma_f32 v92, -v93, v103, v92
	;; [unrolled: 2-line block ×3, first 2 shown]
	v_fmac_f32_e32 v109, v107, v95
	v_fma_f32 v107, -v98, v112, v108
	v_div_fmas_f32 v92, v92, v97, v103
	v_fma_f32 v97, -v104, v113, v110
	v_fmac_f32_e32 v111, v93, v99
	v_fma_f32 v94, -v94, v109, v101
	v_fmac_f32_e32 v112, v107, v102
	s_mov_b32 vcc_lo, s4
	v_fmac_f32_e32 v113, v97, v106
	v_fma_f32 v91, -v91, v111, v105
	v_div_fmas_f32 v93, v94, v95, v109
	v_fma_f32 v94, -v98, v112, v108
	s_mov_b32 vcc_lo, s5
	v_fma_f32 v95, -v104, v113, v110
	v_div_fmas_f32 v91, v91, v99, v111
	s_mov_b32 vcc_lo, s7
	v_add_f32_e32 v8, v8, v15
	v_div_fmas_f32 v94, v94, v102, v112
	s_mov_b32 vcc_lo, s8
	v_div_fixup_f32 v15, v90, v82, 1.0
	v_div_fmas_f32 v95, v95, v106, v113
	v_div_fixup_f32 v18, v91, v88, 1.0
	v_div_fixup_f32 v94, v94, v96, 1.0
	v_div_fixup_f32 v31, v89, v76, v81
	v_add_f32_e32 v8, v8, v15
	v_div_fixup_f32 v95, v95, v100, 1.0
	v_div_fixup_f32 v15, v92, v83, 1.0
	v_add_f32_e32 v94, 1.0, v94
	v_add_f32_e32 v11, v11, v31
	v_fmaak_f32 v96, s17, v95, 0x3d088889
	v_add_f32_e32 v8, v8, v15
	v_div_fixup_f32 v15, v93, v84, 1.0
	v_fma_f32 v96, -v95, v96, 0x3e2aaaab
	v_add_f32_e32 v8, v8, v15
	v_fmac_f32_e32 v94, v95, v96
	v_mul_f32_e32 v95, v10, v10
	v_add_f32_e32 v8, v8, v18
	v_div_scale_f32 v97, null, v87, v87, v94
	v_div_scale_f32 v100, null, v95, v95, 1.0
	v_div_scale_f32 v99, vcc_lo, v94, v87, v94
	v_rcp_f32_e32 v98, v97
	v_rcp_f32_e32 v101, v100
	v_fma_f32 v96, -v97, v98, 1.0
	v_fma_f32 v105, -v100, v101, 1.0
	v_fmac_f32_e32 v98, v96, v98
	v_add_f32_e32 v96, 1.0, v10
	v_fmac_f32_e32 v101, v105, v101
	v_mul_f32_e32 v102, v99, v98
	v_mul_f32_e32 v10, v96, v96
	v_add_f32_e32 v106, 1.0, v96
	v_fma_f32 v104, -v97, v102, v99
	v_div_scale_f32 v103, null, v10, v10, 1.0
	v_mul_f32_e32 v96, v106, v106
	v_fmac_f32_e32 v102, v104, v98
	v_rcp_f32_e32 v107, v103
	v_div_scale_f32 v104, s4, 1.0, v95, 1.0
	v_div_scale_f32 v105, null, v96, v96, 1.0
	v_fma_f32 v97, -v97, v102, v99
	v_mul_f32_e32 v109, v104, v101
	v_add_f32_e32 v99, 1.0, v106
	v_rcp_f32_e32 v110, v105
	v_div_scale_f32 v106, s5, 1.0, v10, 1.0
	v_fma_f32 v108, -v103, v107, 1.0
	v_div_fmas_f32 v98, v97, v98, v102
	v_fma_f32 v102, -v100, v109, v104
	v_mul_f32_e32 v97, v99, v99
	v_add_f32_e32 v113, 1.0, v99
	v_fmac_f32_e32 v107, v108, v107
	s_mov_b32 vcc_lo, s4
	v_fma_f32 v108, -v105, v110, 1.0
	v_fmac_f32_e32 v109, v102, v101
	v_div_scale_f32 v112, null, v97, v97, 1.0
	v_mul_f32_e32 v111, v106, v107
	v_fmac_f32_e32 v110, v108, v110
	v_div_scale_f32 v108, s7, 1.0, v96, 1.0
	v_mul_f32_e32 v99, v113, v113
	v_fma_f32 v102, -v103, v111, v106
	v_fma_f32 v100, -v100, v109, v104
	v_add_f32_e32 v113, 1.0, v113
	v_rcp_f32_e32 v114, v112
	v_mul_f32_e32 v115, v108, v110
	v_div_scale_f32 v116, null, v99, v99, 1.0
	v_fmac_f32_e32 v111, v102, v107
	v_div_fmas_f32 v102, v100, v101, v109
	v_add_f32_e32 v101, 1.0, v113
	v_fma_f32 v104, -v105, v115, v108
	v_rcp_f32_e32 v118, v116
	v_mul_f32_e32 v100, v113, v113
	v_fma_f32 v103, -v103, v111, v106
	v_add_f32_e32 v113, v101, v101
	v_fma_f32 v117, -v112, v114, 1.0
	v_fmac_f32_e32 v115, v104, v110
	v_div_scale_f32 v109, null, v100, v100, 1.0
	v_mul_f32_e32 v119, v101, v101
	s_mov_b32 vcc_lo, s5
	v_fmac_f32_e32 v114, v117, v114
	v_div_fmas_f32 v103, v103, v107, v111
	v_div_scale_f32 v111, null, v113, v113, 1.0
	v_fma_f32 v104, -v116, v118, 1.0
	v_fma_f32 v105, -v105, v115, v108
	v_rcp_f32_e32 v117, v109
	v_div_scale_f32 v122, null, v119, v119, 1.0
	v_rcp_f32_e32 v120, v111
	s_mov_b32 vcc_lo, s7
	v_div_scale_f32 v106, s4, 1.0, v97, 1.0
	v_fmac_f32_e32 v118, v104, v118
	v_div_fmas_f32 v104, v105, v110, v115
	v_rcp_f32_e32 v110, v122
	v_mul_f32_e32 v107, v106, v114
	v_fma_f32 v105, -v109, v117, 1.0
	v_div_scale_f32 v121, s5, 1.0, v99, 1.0
	v_fma_f32 v115, -v111, v120, 1.0
	v_fma_f32 v108, -v112, v107, v106
	v_fmac_f32_e32 v117, v105, v117
	v_div_scale_f32 v105, s7, 1.0, v100, 1.0
	v_fma_f32 v124, -v122, v110, 1.0
	v_mul_f32_e32 v123, v121, v118
	v_fmac_f32_e32 v120, v115, v120
	v_div_scale_f32 v115, s8, 1.0, v113, 1.0
	v_fmac_f32_e32 v107, v108, v114
	v_mul_f32_e32 v125, v105, v117
	v_fmac_f32_e32 v110, v124, v110
	v_div_scale_f32 v124, s9, 1.0, v119, 1.0
	v_fma_f32 v108, -v116, v123, v121
	v_mul_f32_e32 v126, v115, v120
	v_fma_f32 v106, -v112, v107, v106
	v_fma_f32 v112, -v109, v125, v105
	v_mul_f32_e32 v128, v124, v110
	v_fmac_f32_e32 v123, v108, v118
	v_fma_f32 v127, -v111, v126, v115
	s_mov_b32 vcc_lo, s4
	v_fmac_f32_e32 v125, v112, v117
	v_fma_f32 v112, -v122, v128, v124
	v_div_fmas_f32 v108, v106, v114, v107
	v_fma_f32 v106, -v116, v123, v121
	v_fmac_f32_e32 v126, v127, v120
	s_mov_b32 vcc_lo, s5
	v_fmac_f32_e32 v128, v112, v110
	v_fma_f32 v105, -v109, v125, v105
	v_div_fmas_f32 v107, v106, v118, v123
	v_fma_f32 v106, -v111, v126, v115
	s_mov_b32 vcc_lo, s7
	v_fma_f32 v109, -v122, v128, v124
	v_div_fmas_f32 v105, v105, v117, v125
	s_mov_b32 vcc_lo, s8
	v_add_f32_e32 v114, 1.0, v6
	v_div_fmas_f32 v106, v106, v120, v126
	s_mov_b32 vcc_lo, s9
	v_div_fixup_f32 v10, v103, v10, 1.0
	v_div_fmas_f32 v109, v109, v110, v128
	v_div_fixup_f32 v18, v98, v87, v94
	v_div_fixup_f32 v106, v106, v113, 1.0
	v_div_fixup_f32 v109, v109, v119, 1.0
	v_add_f32_e32 v8, v8, v18
	v_add_f32_e32 v106, 1.0, v106
	v_fmaak_f32 v110, s17, v109, 0x3d088889
	v_fma_mixlo_f16 v7, v7, v8, 0
	v_fma_f32 v110, -v109, v110, 0x3e2aaaab
	v_fma_mixhi_f16 v7, v9, v11, 0
	v_fmac_f32_e32 v106, v109, v110
	v_mul_f32_e32 v109, v6, v6
	v_mul_f32_e32 v6, v114, v114
	v_add_f32_e32 v114, 1.0, v114
	v_div_scale_f32 v110, null, v101, v101, v106
	v_div_scale_f32 v113, null, v109, v109, 1.0
	v_mul_f32_e32 v117, v114, v114
	v_rcp_f32_e32 v111, v110
	v_div_scale_f32 v116, null, v6, v6, 1.0
	v_div_scale_f32 v115, vcc_lo, v106, v101, v106
	v_div_scale_f32 v121, null, v117, v117, 1.0
	v_rcp_f32_e32 v120, v116
	v_div_scale_f32 v123, s4, 1.0, v109, 1.0
	v_fma_f32 v112, -v110, v111, 1.0
	v_add_f32_e32 v114, 1.0, v114
	v_div_scale_f32 v127, s7, 1.0, v117, 1.0
	v_fmac_f32_e32 v111, v112, v111
	v_rcp_f32_e32 v112, v113
	v_fma_f32 v124, -v116, v120, 1.0
	v_mul_f32_e32 v118, v115, v111
	v_fmac_f32_e32 v120, v124, v120
	v_div_scale_f32 v124, s5, 1.0, v6, 1.0
	v_fma_f32 v122, -v110, v118, v115
	v_fma_f32 v119, -v113, v112, 1.0
	v_mul_f32_e32 v126, v124, v120
	v_fmac_f32_e32 v118, v122, v111
	v_fmac_f32_e32 v112, v119, v112
	v_rcp_f32_e32 v119, v121
	v_fma_f32 v110, -v110, v118, v115
	v_mul_f32_e32 v122, v123, v112
	v_div_fmas_f32 v110, v110, v111, v118
	v_fma_f32 v115, -v113, v122, v123
	v_fma_f32 v125, -v121, v119, 1.0
	s_mov_b32 vcc_lo, s4
	v_fmac_f32_e32 v122, v115, v112
	v_fmac_f32_e32 v119, v125, v119
	v_mul_f32_e32 v125, v114, v114
	v_fma_f32 v115, -v116, v126, v124
	v_add_f32_e32 v114, 1.0, v114
	v_fma_f32 v113, -v113, v122, v123
	v_mul_f32_e32 v129, v127, v119
	v_div_scale_f32 v128, null, v125, v125, 1.0
	v_fmac_f32_e32 v126, v115, v120
	v_div_fmas_f32 v112, v113, v112, v122
	v_fma_f32 v115, -v121, v129, v127
	v_rcp_f32_e32 v111, v128
	s_mov_b32 vcc_lo, s5
	v_fma_f32 v113, -v116, v126, v124
	v_mul_f32_e32 v116, v114, v114
	v_add_f32_e32 v114, 1.0, v114
	v_fmac_f32_e32 v129, v115, v119
	v_div_fmas_f32 v113, v113, v120, v126
	s_mov_b32 vcc_lo, s7
	v_mul_f32_e32 v120, v114, v114
	v_fma_f32 v115, -v128, v111, 1.0
	v_add_f32_e32 v114, 1.0, v114
	v_fma_f32 v118, -v121, v129, v127
	v_div_scale_f32 v121, s4, 1.0, v125, 1.0
	v_fmac_f32_e32 v111, v115, v111
	v_div_scale_f32 v115, null, v116, v116, 1.0
	v_add_f32_e32 v124, v114, v114
	v_div_scale_f32 v123, null, v120, v120, 1.0
	v_rcp_f32_e32 v122, v115
	v_div_fmas_f32 v118, v118, v119, v129
	v_mul_f32_e32 v129, v114, v114
	v_div_scale_f32 v119, null, v124, v124, 1.0
	v_rcp_f32_e32 v127, v123
	v_mul_f32_e32 v126, v121, v111
	v_div_scale_f32 v133, null, v129, v129, 1.0
	v_rcp_f32_e32 v131, v119
	v_fma_f32 v130, -v115, v122, 1.0
	v_fma_f32 v132, -v128, v126, v121
	v_rcp_f32_e32 v135, v133
	s_mov_b32 vcc_lo, s4
	v_div_fixup_f32 v6, v113, v6, 1.0
	v_fmac_f32_e32 v122, v130, v122
	v_div_scale_f32 v130, s5, 1.0, v116, 1.0
	v_fma_f32 v134, -v123, v127, 1.0
	v_fmac_f32_e32 v126, v132, v111
	v_fma_f32 v132, -v119, v131, 1.0
	v_mul_f32_e32 v136, v130, v122
	v_fma_f32 v137, -v133, v135, 1.0
	v_fmac_f32_e32 v127, v134, v127
	v_div_scale_f32 v134, s7, 1.0, v120, 1.0
	v_fmac_f32_e32 v131, v132, v131
	v_div_scale_f32 v132, s8, 1.0, v124, 1.0
	v_fma_f32 v121, -v128, v126, v121
	v_fma_f32 v128, -v115, v136, v130
	v_mul_f32_e32 v138, v134, v127
	v_fmac_f32_e32 v135, v137, v135
	v_div_scale_f32 v137, s9, 1.0, v129, 1.0
	v_mul_f32_e32 v139, v132, v131
	v_div_fmas_f32 v111, v121, v111, v126
	v_fmac_f32_e32 v136, v128, v122
	v_fma_f32 v121, -v123, v138, v134
	v_mul_f32_e32 v128, v137, v135
	v_fma_f32 v126, -v119, v139, v132
	s_mov_b32 vcc_lo, s5
	v_fma_f32 v115, -v115, v136, v130
	v_fmac_f32_e32 v138, v121, v127
	v_fma_f32 v121, -v133, v128, v137
	v_fmac_f32_e32 v139, v126, v131
	v_div_fmas_f32 v115, v115, v122, v136
	v_fma_f32 v122, -v123, v138, v134
	v_fmac_f32_e32 v128, v121, v135
	v_fma_f32 v119, -v119, v139, v132
	s_mov_b32 vcc_lo, s7
	v_div_fmas_f32 v121, v122, v127, v138
	v_fma_f32 v122, -v133, v128, v137
	s_mov_b32 vcc_lo, s8
	v_div_fmas_f32 v119, v119, v131, v139
	s_mov_b32 vcc_lo, s9
	v_div_fmas_f32 v122, v122, v135, v128
	v_div_fixup_f32 v119, v119, v124, 1.0
	v_mul_f32_e32 v124, v22, v22
	v_add_f32_e32 v22, 1.0, v22
	v_div_fixup_f32 v122, v122, v129, 1.0
	v_add_f32_e32 v119, 1.0, v119
	v_div_scale_f32 v127, null, v124, v124, 1.0
	v_fmaak_f32 v123, s17, v122, 0x3d088889
	v_rcp_f32_e32 v128, v127
	v_fma_f32 v123, -v122, v123, 0x3e2aaaab
	v_fmac_f32_e32 v119, v122, v123
	v_fma_f32 v133, -v127, v128, 1.0
	v_div_scale_f32 v122, null, v114, v114, v119
	v_div_scale_f32 v129, vcc_lo, v119, v114, v119
	v_fmac_f32_e32 v128, v133, v128
	v_rcp_f32_e32 v123, v122
	v_div_scale_f32 v133, s4, 1.0, v124, 1.0
	v_fma_f32 v126, -v122, v123, 1.0
	v_fmac_f32_e32 v123, v126, v123
	v_mul_f32_e32 v126, v22, v22
	v_add_f32_e32 v22, 1.0, v22
	v_mul_f32_e32 v131, v129, v123
	v_div_scale_f32 v130, null, v126, v126, 1.0
	v_mul_f32_e32 v136, v22, v22
	v_add_f32_e32 v22, 1.0, v22
	v_fma_f32 v134, -v122, v131, v129
	v_rcp_f32_e32 v132, v130
	v_div_scale_f32 v137, s5, 1.0, v126, 1.0
	v_mul_f32_e32 v140, v22, v22
	v_fmac_f32_e32 v131, v134, v123
	v_mul_f32_e32 v134, v133, v128
	v_add_f32_e32 v22, 1.0, v22
	v_fma_f32 v122, -v122, v131, v129
	v_fma_f32 v135, -v130, v132, 1.0
	v_fma_f32 v129, -v127, v134, v133
	v_div_fmas_f32 v122, v122, v123, v131
	v_fmac_f32_e32 v132, v135, v132
	v_div_scale_f32 v135, null, v136, v136, 1.0
	v_fmac_f32_e32 v134, v129, v128
	v_div_scale_f32 v123, null, v140, v140, 1.0
	v_rcp_f32_e32 v138, v135
	v_mul_f32_e32 v139, v137, v132
	v_fma_f32 v127, -v127, v134, v133
	v_rcp_f32_e32 v133, v123
	s_mov_b32 vcc_lo, s4
	v_fma_f32 v129, -v130, v139, v137
	v_div_fmas_f32 v127, v127, v128, v134
	v_mul_f32_e32 v134, v22, v22
	s_mov_b32 vcc_lo, s5
	v_fma_f32 v131, -v135, v138, 1.0
	v_fmac_f32_e32 v139, v129, v132
	v_div_scale_f32 v129, s7, 1.0, v136, 1.0
	v_add_f32_e32 v22, 1.0, v22
	v_fmac_f32_e32 v138, v131, v138
	v_fma_f32 v128, -v130, v139, v137
	v_fma_f32 v131, -v123, v133, 1.0
	v_div_scale_f32 v137, null, v134, v134, 1.0
	v_mul_f32_e32 v130, v129, v138
	v_div_fmas_f32 v128, v128, v132, v139
	v_fmac_f32_e32 v133, v131, v133
	v_div_scale_f32 v131, s4, 1.0, v140, 1.0
	v_fma_f32 v132, -v135, v130, v129
	v_rcp_f32_e32 v139, v137
	s_mov_b32 vcc_lo, s7
	v_fmac_f32_e32 v130, v132, v138
	v_mul_f32_e32 v132, v131, v133
	v_fma_f32 v129, -v135, v130, v129
	v_fma_f32 v135, -v123, v132, v131
	v_div_fmas_f32 v129, v129, v138, v130
	v_fmac_f32_e32 v132, v135, v133
	v_fma_f32 v135, -v137, v139, 1.0
	v_mul_f32_e32 v130, v22, v22
	s_mov_b32 vcc_lo, s4
	v_add_f32_e32 v22, 1.0, v22
	v_fma_f32 v123, -v123, v132, v131
	v_fmac_f32_e32 v139, v135, v139
	v_div_scale_f32 v131, s5, 1.0, v134, 1.0
	v_div_scale_f32 v135, null, v130, v130, 1.0
	v_div_fmas_f32 v123, v123, v133, v132
	v_mul_f32_e32 v132, v131, v139
	s_mov_b32 vcc_lo, s5
	v_rcp_f32_e32 v133, v135
	v_fma_f32 v138, -v137, v132, v131
	v_fmac_f32_e32 v132, v138, v139
	v_fma_f32 v138, -v135, v133, 1.0
	v_fma_f32 v131, -v137, v132, v131
	v_fmac_f32_e32 v133, v138, v133
	v_div_scale_f32 v138, s4, 1.0, v130, 1.0
	v_div_fmas_f32 v131, v131, v139, v132
	v_mul_f32_e32 v139, v22, v22
	s_mov_b32 vcc_lo, s4
	v_mul_f32_e32 v137, v138, v133
	s_add_u32 s4, s12, s10
	s_addc_u32 s5, s13, s11
	v_fma_f32 v132, -v135, v137, v138
	v_fmac_f32_e32 v137, v132, v133
	v_div_scale_f32 v132, null, v139, v139, 1.0
	v_fma_f32 v135, -v135, v137, v138
	v_rcp_f32_e32 v138, v132
	v_div_fmas_f32 v133, v135, v133, v137
	v_fma_f32 v135, -v132, v138, 1.0
	v_fmac_f32_e32 v138, v135, v138
	v_div_scale_f32 v135, vcc_lo, 1.0, v139, 1.0
	v_mul_f32_e32 v137, v135, v138
	v_fma_f32 v141, -v132, v137, v135
	v_fmac_f32_e32 v137, v141, v138
	v_fma_f32 v132, -v132, v137, v135
	v_add_f32_e32 v135, v22, v22
	v_div_fmas_f32 v132, v132, v138, v137
	v_div_scale_f32 v137, null, v135, v135, 1.0
	v_div_scale_f32 v32, vcc_lo, 1.0, v135, 1.0
	v_div_fixup_f32 v27, v132, v139, 1.0
	v_rcp_f32_e32 v138, v137
	v_fmaak_f32 v23, s17, v27, 0x3d088889
	v_fma_f32 v23, -v27, v23, 0x3e2aaaab
	v_fma_f32 v141, -v137, v138, 1.0
	v_fmac_f32_e32 v138, v141, v138
	v_mul_f32_e32 v141, v32, v138
	v_fma_f32 v142, -v137, v141, v32
	v_fmac_f32_e32 v141, v142, v138
	v_fma_f32 v24, -v137, v141, v32
	v_div_fixup_f32 v32, v57, v53, 1.0
	v_div_fmas_f32 v24, v24, v138, v141
	v_add_f32_e32 v13, v13, v32
	v_div_fixup_f32 v24, v24, v135, 1.0
	v_add_f32_e32 v13, v13, v30
	v_add_f32_e32 v24, 1.0, v24
	v_add_f32_e32 v13, v13, v25
	v_div_fixup_f32 v25, v63, v55, 1.0
	v_fmac_f32_e32 v24, v27, v23
	v_div_fixup_f32 v23, v50, v41, 1.0
	v_add_f32_e32 v13, v13, v25
	v_div_scale_f32 v15, null, v22, v22, v24
	v_add_f32_e32 v16, v16, v23
	v_div_fixup_f32 v23, v51, v44, 1.0
	v_add_f32_e32 v16, v16, v23
	v_div_fixup_f32 v23, v64, v56, 1.0
	v_add_f32_e32 v16, v16, v26
	v_add_f32_e32 v13, v13, v23
	;; [unrolled: 1-line block ×3, first 2 shown]
	v_div_fixup_f32 v21, v102, v95, 1.0
	v_add_f32_e32 v13, v13, v29
	v_add_f32_e32 v5, v5, v21
	v_div_fixup_f32 v21, v127, v124, 1.0
	v_fma_mixlo_f16 v12, v12, v13, 0
	v_div_fixup_f32 v13, v112, v109, 1.0
	v_add_f32_e32 v5, v5, v10
	v_div_fixup_f32 v10, v104, v96, 1.0
	v_fma_mixhi_f16 v12, v14, v16, 0
	v_add_f32_e32 v3, v3, v13
	v_rcp_f32_e32 v13, v15
	v_add_f32_e32 v5, v5, v10
	v_div_fixup_f32 v10, v108, v97, 1.0
	v_add_f32_e32 v3, v3, v6
	v_div_fixup_f32 v6, v118, v117, 1.0
	;; [unrolled: 2-line block ×3, first 2 shown]
	v_fma_f32 v18, -v15, v13, 1.0
	v_add_f32_e32 v3, v3, v6
	v_add_f32_e32 v6, v20, v21
	v_div_fixup_f32 v20, v111, v125, 1.0
	v_div_fixup_f32 v21, v107, v99, 1.0
	v_fmac_f32_e32 v13, v18, v13
	v_div_scale_f32 v18, vcc_lo, v24, v22, v24
	v_add_f32_e32 v6, v6, v10
	v_div_fixup_f32 v10, v129, v136, 1.0
	v_add_f32_e32 v3, v3, v20
	v_mul_f32_e32 v23, v18, v13
	v_div_fixup_f32 v20, v115, v116, 1.0
	v_add_f32_e32 v5, v5, v21
	v_add_f32_e32 v6, v6, v10
	v_div_fixup_f32 v10, v123, v140, 1.0
	v_fma_f32 v25, -v15, v23, v18
	v_add_f32_e32 v3, v3, v20
	v_div_fixup_f32 v20, v121, v120, 1.0
	v_div_fixup_f32 v21, v105, v100, 1.0
	v_add_f32_e32 v6, v6, v10
	v_fmac_f32_e32 v23, v25, v13
	v_div_fixup_f32 v10, v131, v134, 1.0
	v_add_f32_e32 v3, v3, v20
	v_div_fixup_f32 v20, v122, v114, v119
	v_add_f32_e32 v5, v5, v21
	v_fma_f32 v15, -v15, v23, v18
	v_add_f32_e32 v6, v6, v10
	v_div_fixup_f32 v10, v133, v130, 1.0
	v_add_f32_e32 v3, v3, v20
	v_div_fmas_f32 v13, v15, v13, v23
	v_div_fixup_f32 v15, v110, v101, v106
	v_add_f32_e32 v6, v6, v10
	v_fma_mixlo_f16 v8, v2, v3, 0
	v_add_co_u32 v2, s7, s4, v1
	v_div_fixup_f32 v10, v13, v22, v24
	v_add_f32_e32 v5, v5, v15
	v_add_co_ci_u32_e64 v3, null, s5, 0, s7
	v_add_co_u32 v2, vcc_lo, 0x800, v2
	v_add_f32_e32 v6, v6, v10
	v_fma_mixhi_f16 v8, v4, v5, 0
	v_add_co_ci_u32_e64 v3, null, 0, v3, vcc_lo
	global_store_dword v1, v8, s[4:5]
	global_store_dword v1, v7, s[4:5] offset:1024
	v_fma_mixhi_f16 v17, v19, v6, 0
	global_store_dword v[2:3], v12, off
	global_store_dword v[2:3], v17, off offset:1024
	s_branch .LBB63_2
.LBB63_52:
	v_mov_b32_e32 v31, v0
	v_mov_b32_e32 v0, s12
	;; [unrolled: 1-line block ×6, first 2 shown]
	s_getpc_b64 s[4:5]
	s_add_u32 s4, s4, _ZN2at6native25elementwise_kernel_helperILb0EZZZNS0_20trigamma_kernel_cudaERNS_18TensorIteratorBaseEENKUlvE_clEvENKUlvE1_clEvEUlN3c104HalfEE_NS0_6memory8policies11unroll_baseILi256ESt5arrayIPcLm2EE23TrivialOffsetCalculatorILi1EjESG_NS9_15LoadWithoutCastENS9_16StoreWithoutCastELi8ELi1EEEEEvT0_T1_@rel32@lo+4
	s_addc_u32 s5, s5, _ZN2at6native25elementwise_kernel_helperILb0EZZZNS0_20trigamma_kernel_cudaERNS_18TensorIteratorBaseEENKUlvE_clEvENKUlvE1_clEvEUlN3c104HalfEE_NS0_6memory8policies11unroll_baseILi256ESt5arrayIPcLm2EE23TrivialOffsetCalculatorILi1EjESG_NS9_15LoadWithoutCastENS9_16StoreWithoutCastELi8ELi1EEEEEvT0_T1_@rel32@hi+12
	s_mov_b32 s12, s6
	s_swappc_b64 s[30:31], s[4:5]
	s_endpgm
	.section	.rodata,"a",@progbits
	.p2align	6, 0x0
	.amdhsa_kernel _ZN2at6native29vectorized_elementwise_kernelILi2EZZZNS0_20trigamma_kernel_cudaERNS_18TensorIteratorBaseEENKUlvE_clEvENKUlvE1_clEvEUlN3c104HalfEE_St5arrayIPcLm2EEEEviT0_T1_
		.amdhsa_group_segment_fixed_size 0
		.amdhsa_private_segment_fixed_size 0
		.amdhsa_kernarg_size 24
		.amdhsa_user_sgpr_count 6
		.amdhsa_user_sgpr_private_segment_buffer 1
		.amdhsa_user_sgpr_dispatch_ptr 0
		.amdhsa_user_sgpr_queue_ptr 0
		.amdhsa_user_sgpr_kernarg_segment_ptr 1
		.amdhsa_user_sgpr_dispatch_id 0
		.amdhsa_user_sgpr_flat_scratch_init 0
		.amdhsa_user_sgpr_private_segment_size 0
		.amdhsa_wavefront_size32 1
		.amdhsa_uses_dynamic_stack 0
		.amdhsa_system_sgpr_private_segment_wavefront_offset 0
		.amdhsa_system_sgpr_workgroup_id_x 1
		.amdhsa_system_sgpr_workgroup_id_y 0
		.amdhsa_system_sgpr_workgroup_id_z 0
		.amdhsa_system_sgpr_workgroup_info 0
		.amdhsa_system_vgpr_workitem_id 0
		.amdhsa_next_free_vgpr 143
		.amdhsa_next_free_sgpr 33
		.amdhsa_reserve_vcc 1
		.amdhsa_reserve_flat_scratch 0
		.amdhsa_float_round_mode_32 0
		.amdhsa_float_round_mode_16_64 0
		.amdhsa_float_denorm_mode_32 3
		.amdhsa_float_denorm_mode_16_64 3
		.amdhsa_dx10_clamp 1
		.amdhsa_ieee_mode 1
		.amdhsa_fp16_overflow 0
		.amdhsa_workgroup_processor_mode 1
		.amdhsa_memory_ordered 1
		.amdhsa_forward_progress 1
		.amdhsa_shared_vgpr_count 0
		.amdhsa_exception_fp_ieee_invalid_op 0
		.amdhsa_exception_fp_denorm_src 0
		.amdhsa_exception_fp_ieee_div_zero 0
		.amdhsa_exception_fp_ieee_overflow 0
		.amdhsa_exception_fp_ieee_underflow 0
		.amdhsa_exception_fp_ieee_inexact 0
		.amdhsa_exception_int_div_zero 0
	.end_amdhsa_kernel
	.section	.text._ZN2at6native29vectorized_elementwise_kernelILi2EZZZNS0_20trigamma_kernel_cudaERNS_18TensorIteratorBaseEENKUlvE_clEvENKUlvE1_clEvEUlN3c104HalfEE_St5arrayIPcLm2EEEEviT0_T1_,"axG",@progbits,_ZN2at6native29vectorized_elementwise_kernelILi2EZZZNS0_20trigamma_kernel_cudaERNS_18TensorIteratorBaseEENKUlvE_clEvENKUlvE1_clEvEUlN3c104HalfEE_St5arrayIPcLm2EEEEviT0_T1_,comdat
.Lfunc_end63:
	.size	_ZN2at6native29vectorized_elementwise_kernelILi2EZZZNS0_20trigamma_kernel_cudaERNS_18TensorIteratorBaseEENKUlvE_clEvENKUlvE1_clEvEUlN3c104HalfEE_St5arrayIPcLm2EEEEviT0_T1_, .Lfunc_end63-_ZN2at6native29vectorized_elementwise_kernelILi2EZZZNS0_20trigamma_kernel_cudaERNS_18TensorIteratorBaseEENKUlvE_clEvENKUlvE1_clEvEUlN3c104HalfEE_St5arrayIPcLm2EEEEviT0_T1_
                                        ; -- End function
	.set _ZN2at6native29vectorized_elementwise_kernelILi2EZZZNS0_20trigamma_kernel_cudaERNS_18TensorIteratorBaseEENKUlvE_clEvENKUlvE1_clEvEUlN3c104HalfEE_St5arrayIPcLm2EEEEviT0_T1_.num_vgpr, max(143, .L_ZN2at6native25elementwise_kernel_helperILb0EZZZNS0_20trigamma_kernel_cudaERNS_18TensorIteratorBaseEENKUlvE_clEvENKUlvE1_clEvEUlN3c104HalfEE_NS0_6memory8policies11unroll_baseILi256ESt5arrayIPcLm2EE23TrivialOffsetCalculatorILi1EjESG_NS9_15LoadWithoutCastENS9_16StoreWithoutCastELi8ELi1EEEEEvT0_T1_.num_vgpr)
	.set _ZN2at6native29vectorized_elementwise_kernelILi2EZZZNS0_20trigamma_kernel_cudaERNS_18TensorIteratorBaseEENKUlvE_clEvENKUlvE1_clEvEUlN3c104HalfEE_St5arrayIPcLm2EEEEviT0_T1_.num_agpr, max(0, .L_ZN2at6native25elementwise_kernel_helperILb0EZZZNS0_20trigamma_kernel_cudaERNS_18TensorIteratorBaseEENKUlvE_clEvENKUlvE1_clEvEUlN3c104HalfEE_NS0_6memory8policies11unroll_baseILi256ESt5arrayIPcLm2EE23TrivialOffsetCalculatorILi1EjESG_NS9_15LoadWithoutCastENS9_16StoreWithoutCastELi8ELi1EEEEEvT0_T1_.num_agpr)
	.set _ZN2at6native29vectorized_elementwise_kernelILi2EZZZNS0_20trigamma_kernel_cudaERNS_18TensorIteratorBaseEENKUlvE_clEvENKUlvE1_clEvEUlN3c104HalfEE_St5arrayIPcLm2EEEEviT0_T1_.numbered_sgpr, max(33, .L_ZN2at6native25elementwise_kernel_helperILb0EZZZNS0_20trigamma_kernel_cudaERNS_18TensorIteratorBaseEENKUlvE_clEvENKUlvE1_clEvEUlN3c104HalfEE_NS0_6memory8policies11unroll_baseILi256ESt5arrayIPcLm2EE23TrivialOffsetCalculatorILi1EjESG_NS9_15LoadWithoutCastENS9_16StoreWithoutCastELi8ELi1EEEEEvT0_T1_.numbered_sgpr)
	.set _ZN2at6native29vectorized_elementwise_kernelILi2EZZZNS0_20trigamma_kernel_cudaERNS_18TensorIteratorBaseEENKUlvE_clEvENKUlvE1_clEvEUlN3c104HalfEE_St5arrayIPcLm2EEEEviT0_T1_.num_named_barrier, max(0, .L_ZN2at6native25elementwise_kernel_helperILb0EZZZNS0_20trigamma_kernel_cudaERNS_18TensorIteratorBaseEENKUlvE_clEvENKUlvE1_clEvEUlN3c104HalfEE_NS0_6memory8policies11unroll_baseILi256ESt5arrayIPcLm2EE23TrivialOffsetCalculatorILi1EjESG_NS9_15LoadWithoutCastENS9_16StoreWithoutCastELi8ELi1EEEEEvT0_T1_.num_named_barrier)
	.set _ZN2at6native29vectorized_elementwise_kernelILi2EZZZNS0_20trigamma_kernel_cudaERNS_18TensorIteratorBaseEENKUlvE_clEvENKUlvE1_clEvEUlN3c104HalfEE_St5arrayIPcLm2EEEEviT0_T1_.private_seg_size, 0+max(.L_ZN2at6native25elementwise_kernel_helperILb0EZZZNS0_20trigamma_kernel_cudaERNS_18TensorIteratorBaseEENKUlvE_clEvENKUlvE1_clEvEUlN3c104HalfEE_NS0_6memory8policies11unroll_baseILi256ESt5arrayIPcLm2EE23TrivialOffsetCalculatorILi1EjESG_NS9_15LoadWithoutCastENS9_16StoreWithoutCastELi8ELi1EEEEEvT0_T1_.private_seg_size)
	.set _ZN2at6native29vectorized_elementwise_kernelILi2EZZZNS0_20trigamma_kernel_cudaERNS_18TensorIteratorBaseEENKUlvE_clEvENKUlvE1_clEvEUlN3c104HalfEE_St5arrayIPcLm2EEEEviT0_T1_.uses_vcc, or(1, .L_ZN2at6native25elementwise_kernel_helperILb0EZZZNS0_20trigamma_kernel_cudaERNS_18TensorIteratorBaseEENKUlvE_clEvENKUlvE1_clEvEUlN3c104HalfEE_NS0_6memory8policies11unroll_baseILi256ESt5arrayIPcLm2EE23TrivialOffsetCalculatorILi1EjESG_NS9_15LoadWithoutCastENS9_16StoreWithoutCastELi8ELi1EEEEEvT0_T1_.uses_vcc)
	.set _ZN2at6native29vectorized_elementwise_kernelILi2EZZZNS0_20trigamma_kernel_cudaERNS_18TensorIteratorBaseEENKUlvE_clEvENKUlvE1_clEvEUlN3c104HalfEE_St5arrayIPcLm2EEEEviT0_T1_.uses_flat_scratch, or(0, .L_ZN2at6native25elementwise_kernel_helperILb0EZZZNS0_20trigamma_kernel_cudaERNS_18TensorIteratorBaseEENKUlvE_clEvENKUlvE1_clEvEUlN3c104HalfEE_NS0_6memory8policies11unroll_baseILi256ESt5arrayIPcLm2EE23TrivialOffsetCalculatorILi1EjESG_NS9_15LoadWithoutCastENS9_16StoreWithoutCastELi8ELi1EEEEEvT0_T1_.uses_flat_scratch)
	.set _ZN2at6native29vectorized_elementwise_kernelILi2EZZZNS0_20trigamma_kernel_cudaERNS_18TensorIteratorBaseEENKUlvE_clEvENKUlvE1_clEvEUlN3c104HalfEE_St5arrayIPcLm2EEEEviT0_T1_.has_dyn_sized_stack, or(0, .L_ZN2at6native25elementwise_kernel_helperILb0EZZZNS0_20trigamma_kernel_cudaERNS_18TensorIteratorBaseEENKUlvE_clEvENKUlvE1_clEvEUlN3c104HalfEE_NS0_6memory8policies11unroll_baseILi256ESt5arrayIPcLm2EE23TrivialOffsetCalculatorILi1EjESG_NS9_15LoadWithoutCastENS9_16StoreWithoutCastELi8ELi1EEEEEvT0_T1_.has_dyn_sized_stack)
	.set _ZN2at6native29vectorized_elementwise_kernelILi2EZZZNS0_20trigamma_kernel_cudaERNS_18TensorIteratorBaseEENKUlvE_clEvENKUlvE1_clEvEUlN3c104HalfEE_St5arrayIPcLm2EEEEviT0_T1_.has_recursion, or(0, .L_ZN2at6native25elementwise_kernel_helperILb0EZZZNS0_20trigamma_kernel_cudaERNS_18TensorIteratorBaseEENKUlvE_clEvENKUlvE1_clEvEUlN3c104HalfEE_NS0_6memory8policies11unroll_baseILi256ESt5arrayIPcLm2EE23TrivialOffsetCalculatorILi1EjESG_NS9_15LoadWithoutCastENS9_16StoreWithoutCastELi8ELi1EEEEEvT0_T1_.has_recursion)
	.set _ZN2at6native29vectorized_elementwise_kernelILi2EZZZNS0_20trigamma_kernel_cudaERNS_18TensorIteratorBaseEENKUlvE_clEvENKUlvE1_clEvEUlN3c104HalfEE_St5arrayIPcLm2EEEEviT0_T1_.has_indirect_call, or(0, .L_ZN2at6native25elementwise_kernel_helperILb0EZZZNS0_20trigamma_kernel_cudaERNS_18TensorIteratorBaseEENKUlvE_clEvENKUlvE1_clEvEUlN3c104HalfEE_NS0_6memory8policies11unroll_baseILi256ESt5arrayIPcLm2EE23TrivialOffsetCalculatorILi1EjESG_NS9_15LoadWithoutCastENS9_16StoreWithoutCastELi8ELi1EEEEEvT0_T1_.has_indirect_call)
	.section	.AMDGPU.csdata,"",@progbits
; Kernel info:
; codeLenInByte = 14068
; TotalNumSgprs: 35
; NumVgprs: 143
; ScratchSize: 0
; MemoryBound: 0
; FloatMode: 240
; IeeeMode: 1
; LDSByteSize: 0 bytes/workgroup (compile time only)
; SGPRBlocks: 0
; VGPRBlocks: 17
; NumSGPRsForWavesPerEU: 35
; NumVGPRsForWavesPerEU: 143
; Occupancy: 7
; WaveLimiterHint : 1
; COMPUTE_PGM_RSRC2:SCRATCH_EN: 0
; COMPUTE_PGM_RSRC2:USER_SGPR: 6
; COMPUTE_PGM_RSRC2:TRAP_HANDLER: 0
; COMPUTE_PGM_RSRC2:TGID_X_EN: 1
; COMPUTE_PGM_RSRC2:TGID_Y_EN: 0
; COMPUTE_PGM_RSRC2:TGID_Z_EN: 0
; COMPUTE_PGM_RSRC2:TIDIG_COMP_CNT: 0
	.section	.text._ZN2at6native27unrolled_elementwise_kernelIZZZNS0_20trigamma_kernel_cudaERNS_18TensorIteratorBaseEENKUlvE_clEvENKUlvE1_clEvEUlN3c104HalfEE_St5arrayIPcLm2EELi4E23TrivialOffsetCalculatorILi1EjESD_NS0_6memory15LoadWithoutCastENSE_16StoreWithoutCastEEEviT_T0_T2_T3_T4_T5_,"axG",@progbits,_ZN2at6native27unrolled_elementwise_kernelIZZZNS0_20trigamma_kernel_cudaERNS_18TensorIteratorBaseEENKUlvE_clEvENKUlvE1_clEvEUlN3c104HalfEE_St5arrayIPcLm2EELi4E23TrivialOffsetCalculatorILi1EjESD_NS0_6memory15LoadWithoutCastENSE_16StoreWithoutCastEEEviT_T0_T2_T3_T4_T5_,comdat
	.globl	_ZN2at6native27unrolled_elementwise_kernelIZZZNS0_20trigamma_kernel_cudaERNS_18TensorIteratorBaseEENKUlvE_clEvENKUlvE1_clEvEUlN3c104HalfEE_St5arrayIPcLm2EELi4E23TrivialOffsetCalculatorILi1EjESD_NS0_6memory15LoadWithoutCastENSE_16StoreWithoutCastEEEviT_T0_T2_T3_T4_T5_ ; -- Begin function _ZN2at6native27unrolled_elementwise_kernelIZZZNS0_20trigamma_kernel_cudaERNS_18TensorIteratorBaseEENKUlvE_clEvENKUlvE1_clEvEUlN3c104HalfEE_St5arrayIPcLm2EELi4E23TrivialOffsetCalculatorILi1EjESD_NS0_6memory15LoadWithoutCastENSE_16StoreWithoutCastEEEviT_T0_T2_T3_T4_T5_
	.p2align	8
	.type	_ZN2at6native27unrolled_elementwise_kernelIZZZNS0_20trigamma_kernel_cudaERNS_18TensorIteratorBaseEENKUlvE_clEvENKUlvE1_clEvEUlN3c104HalfEE_St5arrayIPcLm2EELi4E23TrivialOffsetCalculatorILi1EjESD_NS0_6memory15LoadWithoutCastENSE_16StoreWithoutCastEEEviT_T0_T2_T3_T4_T5_,@function
_ZN2at6native27unrolled_elementwise_kernelIZZZNS0_20trigamma_kernel_cudaERNS_18TensorIteratorBaseEENKUlvE_clEvENKUlvE1_clEvEUlN3c104HalfEE_St5arrayIPcLm2EELi4E23TrivialOffsetCalculatorILi1EjESD_NS0_6memory15LoadWithoutCastENSE_16StoreWithoutCastEEEviT_T0_T2_T3_T4_T5_: ; @_ZN2at6native27unrolled_elementwise_kernelIZZZNS0_20trigamma_kernel_cudaERNS_18TensorIteratorBaseEENKUlvE_clEvENKUlvE1_clEvEUlN3c104HalfEE_St5arrayIPcLm2EELi4E23TrivialOffsetCalculatorILi1EjESD_NS0_6memory15LoadWithoutCastENSE_16StoreWithoutCastEEEviT_T0_T2_T3_T4_T5_
; %bb.0:
	s_clause 0x1
	s_load_dword s0, s[4:5], 0x0
	s_load_dwordx4 s[8:11], s[4:5], 0x8
	s_lshl_b32 s5, s6, 10
	v_mov_b32_e32 v7, 0
	v_mov_b32_e32 v5, 0
	v_or_b32_e32 v1, s5, v0
	v_or_b32_e32 v3, 0x100, v0
	v_mov_b32_e32 v4, v0
	s_waitcnt lgkmcnt(0)
	s_sub_i32 s6, s0, s5
	v_cmp_gt_i32_e64 s0, s6, v0
	s_and_saveexec_b32 s1, s0
	s_cbranch_execz .LBB64_2
; %bb.1:
	v_mov_b32_e32 v2, 0
	v_lshlrev_b64 v[4:5], 1, v[1:2]
	v_add_co_u32 v4, vcc_lo, s10, v4
	v_add_co_ci_u32_e64 v5, null, s11, v5, vcc_lo
	global_load_ushort v5, v[4:5], off
	v_or_b32_e32 v4, 0x100, v0
.LBB64_2:
	s_or_b32 exec_lo, exec_lo, s1
	s_mov_b32 s1, exec_lo
	v_cmpx_gt_i32_e64 s6, v4
	s_cbranch_execz .LBB64_4
; %bb.3:
	v_add_nc_u32_e32 v6, s5, v4
	v_mov_b32_e32 v7, 0
	v_add_nc_u32_e32 v4, 0x100, v4
	v_lshlrev_b64 v[6:7], 1, v[6:7]
	v_add_co_u32 v6, vcc_lo, s10, v6
	v_add_co_ci_u32_e64 v7, null, s11, v7, vcc_lo
	global_load_ushort v7, v[6:7], off
.LBB64_4:
	s_or_b32 exec_lo, exec_lo, s1
	v_mov_b32_e32 v2, 0
	v_mov_b32_e32 v6, 0
	s_mov_b32 s1, exec_lo
	v_cmpx_gt_i32_e64 s6, v4
	s_cbranch_execz .LBB64_8
; %bb.5:
	v_add_nc_u32_e32 v8, s5, v4
	v_mov_b32_e32 v9, 0
	v_add_nc_u32_e32 v4, 0x100, v4
	v_lshlrev_b64 v[8:9], 1, v[8:9]
	v_add_co_u32 v8, vcc_lo, s10, v8
	v_add_co_ci_u32_e64 v9, null, s11, v9, vcc_lo
	global_load_ushort v6, v[8:9], off
	s_or_b32 exec_lo, exec_lo, s1
	s_mov_b32 s1, exec_lo
	v_cmpx_gt_i32_e64 s6, v4
	s_cbranch_execnz .LBB64_9
.LBB64_6:
	s_or_b32 exec_lo, exec_lo, s1
                                        ; implicit-def: $vgpr4
	s_and_saveexec_b32 s7, s0
	s_cbranch_execnz .LBB64_10
.LBB64_7:
	s_or_b32 exec_lo, exec_lo, s7
	s_mov_b32 s7, exec_lo
                                        ; implicit-def: $vgpr5
	v_cmpx_gt_i32_e64 s6, v3
	s_cbranch_execz .LBB64_24
	s_branch .LBB64_17
.LBB64_8:
	s_or_b32 exec_lo, exec_lo, s1
	s_mov_b32 s1, exec_lo
	v_cmpx_gt_i32_e64 s6, v4
	s_cbranch_execz .LBB64_6
.LBB64_9:
	v_add_nc_u32_e32 v8, s5, v4
	v_mov_b32_e32 v9, 0
	v_lshlrev_b64 v[8:9], 1, v[8:9]
	v_add_co_u32 v8, vcc_lo, s10, v8
	v_add_co_ci_u32_e64 v9, null, s11, v9, vcc_lo
	global_load_ushort v2, v[8:9], off
	s_or_b32 exec_lo, exec_lo, s1
                                        ; implicit-def: $vgpr4
	s_and_saveexec_b32 s7, s0
	s_cbranch_execz .LBB64_7
.LBB64_10:
	s_waitcnt vmcnt(0)
	v_cvt_f32_f16_e32 v4, v5
	v_cmp_gt_f16_e32 vcc_lo, 0.5, v5
	v_mov_b32_e32 v8, 0
	v_mov_b32_e32 v5, 1.0
	s_and_saveexec_b32 s3, vcc_lo
	s_cbranch_execz .LBB64_16
; %bb.11:
	v_mul_f32_e32 v5, 0x40490fdb, v4
                                        ; implicit-def: $vgpr10
                                        ; implicit-def: $vgpr9
	s_mov_b32 s2, exec_lo
	v_and_b32_e32 v8, 0x7fffffff, v5
	v_cmpx_ngt_f32_e64 0x48000000, |v5|
	s_xor_b32 s4, exec_lo, s2
	s_cbranch_execz .LBB64_13
; %bb.12:
	s_mov_b32 s1, 0x7fffff
	v_mov_b32_e32 v11, 0
	v_and_or_b32 v18, v8, s1, 0x800000
	v_lshrrev_b32_e32 v16, 23, v8
	v_mad_u64_u32 v[9:10], null, 0xfe5163ab, v18, 0
	v_add_nc_u32_e32 v17, 0xffffff88, v16
	v_cmp_lt_u32_e32 vcc_lo, 63, v17
	v_mad_u64_u32 v[12:13], null, 0x3c439041, v18, v[10:11]
	v_cndmask_b32_e64 v19, 0, 0xffffffc0, vcc_lo
	v_mov_b32_e32 v10, v13
	v_add_nc_u32_e32 v19, v19, v17
	v_mad_u64_u32 v[13:14], null, 0xdb629599, v18, v[10:11]
	v_cmp_lt_u32_e64 s1, 31, v19
	v_cndmask_b32_e64 v20, 0, 0xffffffe0, s1
	v_mov_b32_e32 v10, v14
	v_cndmask_b32_e32 v9, v13, v9, vcc_lo
	v_mad_u64_u32 v[14:15], null, 0xf534ddc0, v18, v[10:11]
	v_mov_b32_e32 v10, v15
	v_cndmask_b32_e32 v12, v14, v12, vcc_lo
	v_mad_u64_u32 v[15:16], null, 0xfc2757d1, v18, v[10:11]
	v_cndmask_b32_e64 v9, v12, v9, s1
	v_mov_b32_e32 v10, v16
	v_mad_u64_u32 v[16:17], null, 0x4e441529, v18, v[10:11]
	v_mov_b32_e32 v10, v17
	v_add_nc_u32_e32 v17, v20, v19
	v_cndmask_b32_e32 v19, v16, v14, vcc_lo
	v_mad_u64_u32 v[10:11], null, 0xa2f9836e, v18, v[10:11]
	v_cmp_lt_u32_e64 s2, 31, v17
	v_cndmask_b32_e64 v18, 0, 0xffffffe0, s2
	v_cndmask_b32_e32 v10, v10, v15, vcc_lo
	v_cndmask_b32_e32 v11, v11, v16, vcc_lo
	;; [unrolled: 1-line block ×3, first 2 shown]
	v_add_nc_u32_e32 v16, v18, v17
	v_cndmask_b32_e64 v14, v10, v19, s1
	v_cndmask_b32_e64 v10, v11, v10, s1
	;; [unrolled: 1-line block ×4, first 2 shown]
	v_sub_nc_u32_e32 v17, 32, v16
	v_cmp_eq_u32_e32 vcc_lo, 0, v16
	v_cndmask_b32_e64 v10, v10, v14, s2
	v_cndmask_b32_e64 v14, v14, v11, s2
	;; [unrolled: 1-line block ×4, first 2 shown]
	v_alignbit_b32 v18, v10, v14, v17
	v_alignbit_b32 v13, v14, v11, v17
	;; [unrolled: 1-line block ×3, first 2 shown]
	v_cndmask_b32_e32 v10, v18, v10, vcc_lo
	v_cndmask_b32_e32 v12, v13, v14, vcc_lo
	;; [unrolled: 1-line block ×3, first 2 shown]
	v_bfe_u32 v13, v10, 29, 1
	v_alignbit_b32 v14, v10, v12, 30
	v_alignbit_b32 v12, v12, v11, 30
	;; [unrolled: 1-line block ×3, first 2 shown]
	v_sub_nc_u32_e32 v15, 0, v13
	v_xor_b32_e32 v14, v14, v15
	v_xor_b32_e32 v11, v12, v15
	;; [unrolled: 1-line block ×3, first 2 shown]
	v_lshrrev_b32_e32 v15, 29, v10
	v_lshrrev_b32_e32 v10, 30, v10
	v_ffbh_u32_e32 v16, v14
	v_add_nc_u32_e32 v10, v13, v10
	v_min_u32_e32 v16, 32, v16
	v_sub_nc_u32_e32 v12, 31, v16
	v_lshlrev_b32_e32 v17, 23, v16
	v_alignbit_b32 v14, v14, v11, v12
	v_alignbit_b32 v9, v11, v9, v12
	v_lshlrev_b32_e32 v11, 31, v15
	v_alignbit_b32 v12, v14, v9, 9
	v_or_b32_e32 v15, 0.5, v11
	v_lshrrev_b32_e32 v14, 9, v14
	v_or_b32_e32 v11, 0x33000000, v11
	v_ffbh_u32_e32 v18, v12
	v_sub_nc_u32_e32 v15, v15, v17
	v_min_u32_e32 v17, 32, v18
	v_or_b32_e32 v14, v14, v15
	v_not_b32_e32 v15, v17
	v_mul_f32_e32 v18, 0x3fc90fda, v14
	v_add_lshl_u32 v16, v17, v16, 23
	v_alignbit_b32 v9, v12, v9, v15
	v_fma_f32 v12, 0x3fc90fda, v14, -v18
	v_sub_nc_u32_e32 v11, v11, v16
	v_lshrrev_b32_e32 v9, 9, v9
	v_fmamk_f32 v12, v14, 0x33a22168, v12
	v_or_b32_e32 v9, v11, v9
	v_fmac_f32_e32 v12, 0x3fc90fda, v9
	v_add_f32_e32 v9, v18, v12
.LBB64_13:
	s_andn2_saveexec_b32 s1, s4
; %bb.14:
	v_mul_f32_e64 v9, 0x3f22f983, |v5|
	v_rndne_f32_e32 v10, v9
	v_fma_f32 v9, 0xbfc90fda, v10, |v5|
	v_fmamk_f32 v9, v10, 0xb3a22168, v9
	v_fmamk_f32 v9, v10, 0xa7c234c4, v9
	v_cvt_i32_f32_e32 v10, v10
; %bb.15:
	s_or_b32 exec_lo, exec_lo, s1
	v_mul_f32_e32 v11, v9, v9
	s_mov_b32 s1, 0xb94c1982
	s_mov_b32 s2, 0x37d75334
	v_and_b32_e32 v14, 1, v10
	v_lshlrev_b32_e32 v10, 30, v10
	v_fmaak_f32 v12, s1, v11, 0x3c0881c4
	v_fmaak_f32 v13, s2, v11, 0xbab64f3b
	v_xor_b32_e32 v8, v8, v5
	v_cmp_eq_u32_e32 vcc_lo, 0, v14
	v_and_b32_e32 v10, 0x80000000, v10
	v_fmaak_f32 v12, v11, v12, 0xbe2aaa9d
	v_fmaak_f32 v13, v11, v13, 0x3d2aabf7
	v_sub_f32_e32 v4, 1.0, v4
	v_mul_f32_e32 v12, v11, v12
	v_fmaak_f32 v13, v11, v13, 0xbf000004
	v_fmac_f32_e32 v9, v9, v12
	v_fma_f32 v11, v11, v13, 1.0
	v_cndmask_b32_e32 v9, v11, v9, vcc_lo
	v_cmp_class_f32_e64 vcc_lo, v5, 0x1f8
	v_xor3_b32 v8, v8, v10, v9
	v_cndmask_b32_e32 v5, 0x7fc00000, v8, vcc_lo
	v_mul_f32_e32 v5, v5, v5
	v_div_scale_f32 v8, null, v5, v5, 0xc11de9e7
	v_div_scale_f32 v11, vcc_lo, 0xc11de9e7, v5, 0xc11de9e7
	v_rcp_f32_e32 v9, v8
	v_fma_f32 v10, -v8, v9, 1.0
	v_fmac_f32_e32 v9, v10, v9
	v_mul_f32_e32 v10, v11, v9
	v_fma_f32 v12, -v8, v10, v11
	v_fmac_f32_e32 v10, v12, v9
	v_fma_f32 v8, -v8, v10, v11
	v_div_fmas_f32 v8, v8, v9, v10
	v_div_fixup_f32 v5, v8, v5, 0xc11de9e7
	v_add_f32_e32 v8, 0, v5
	v_mov_b32_e32 v5, -1.0
.LBB64_16:
	s_or_b32 exec_lo, exec_lo, s3
	v_add_f32_e32 v9, 1.0, v4
	v_mul_f32_e32 v4, v4, v4
	v_mul_f32_e32 v10, v9, v9
	v_add_f32_e32 v9, 1.0, v9
	v_div_scale_f32 v11, null, v4, v4, 1.0
	v_div_scale_f32 v13, vcc_lo, 1.0, v4, 1.0
	v_mul_f32_e32 v14, v9, v9
	v_div_scale_f32 v12, null, v10, v10, 1.0
	v_rcp_f32_e32 v15, v11
	v_div_scale_f32 v18, s1, 1.0, v10, 1.0
	v_div_scale_f32 v17, null, v14, v14, 1.0
	v_rcp_f32_e32 v16, v12
	v_add_f32_e32 v9, 1.0, v9
	v_div_scale_f32 v19, s2, 1.0, v14, 1.0
	v_rcp_f32_e32 v20, v17
	v_fma_f32 v22, -v11, v15, 1.0
	v_mul_f32_e32 v21, v9, v9
	v_add_f32_e32 v9, 1.0, v9
	v_fma_f32 v23, -v12, v16, 1.0
	v_fmac_f32_e32 v15, v22, v15
	v_mul_f32_e32 v25, v9, v9
	v_add_f32_e32 v9, 1.0, v9
	v_fma_f32 v22, -v17, v20, 1.0
	v_fmac_f32_e32 v16, v23, v16
	v_mul_f32_e32 v26, v13, v15
	v_div_scale_f32 v24, null, v21, v21, 1.0
	v_fmac_f32_e32 v20, v22, v20
	v_mul_f32_e32 v27, v18, v16
	v_fma_f32 v28, -v11, v26, v13
	v_add_f32_e32 v31, 1.0, v9
	v_rcp_f32_e32 v23, v24
	v_mul_f32_e32 v30, v19, v20
	v_fma_f32 v29, -v12, v27, v18
	v_fmac_f32_e32 v26, v28, v15
	v_mul_f32_e32 v9, v9, v9
	v_div_scale_f32 v22, null, v25, v25, 1.0
	v_fma_f32 v28, -v17, v30, v19
	v_fmac_f32_e32 v27, v29, v16
	v_fma_f32 v11, -v11, v26, v13
	v_mul_f32_e32 v13, v31, v31
	v_rcp_f32_e32 v29, v22
	v_fmac_f32_e32 v30, v28, v20
	v_fma_f32 v12, -v12, v27, v18
	v_div_fmas_f32 v11, v11, v15, v26
	s_mov_b32 vcc_lo, s1
	v_fma_f32 v32, -v24, v23, 1.0
	v_fma_f32 v15, -v17, v30, v19
	v_div_fmas_f32 v12, v12, v16, v27
	s_mov_b32 vcc_lo, s2
	v_div_scale_f32 v16, null, v9, v9, 1.0
	v_div_fmas_f32 v15, v15, v20, v30
	v_div_scale_f32 v17, null, v13, v13, 1.0
	v_add_f32_e32 v20, v31, v31
	v_rcp_f32_e32 v19, v16
	v_fmac_f32_e32 v23, v32, v23
	v_rcp_f32_e32 v27, v17
	v_div_scale_f32 v18, vcc_lo, 1.0, v21, 1.0
	v_div_scale_f32 v30, null, v20, v20, 1.0
	v_fma_f32 v26, -v22, v29, 1.0
	v_mul_f32_e32 v28, v18, v23
	v_div_fixup_f32 v4, v11, v4, 1.0
	v_rcp_f32_e32 v33, v30
	v_fma_f32 v32, -v16, v19, 1.0
	v_fmac_f32_e32 v29, v26, v29
	v_div_scale_f32 v26, s1, 1.0, v25, 1.0
	v_fma_f32 v35, -v17, v27, 1.0
	v_fma_f32 v34, -v24, v28, v18
	v_fmac_f32_e32 v19, v32, v19
	v_div_scale_f32 v32, s2, 1.0, v9, 1.0
	v_mul_f32_e32 v36, v26, v29
	v_fmac_f32_e32 v27, v35, v27
	v_div_scale_f32 v35, s3, 1.0, v13, 1.0
	v_fma_f32 v37, -v30, v33, 1.0
	v_fmac_f32_e32 v28, v34, v23
	v_mul_f32_e32 v38, v32, v19
	v_fma_f32 v34, -v22, v36, v26
	v_mul_f32_e32 v39, v35, v27
	v_fmac_f32_e32 v33, v37, v33
	v_div_scale_f32 v37, s4, 1.0, v20, 1.0
	v_fma_f32 v18, -v24, v28, v18
	v_fma_f32 v24, -v16, v38, v32
	v_fmac_f32_e32 v36, v34, v29
	v_fma_f32 v34, -v17, v39, v35
	v_mul_f32_e32 v40, v37, v33
	v_div_fmas_f32 v18, v18, v23, v28
	v_fmac_f32_e32 v38, v24, v19
	v_fma_f32 v22, -v22, v36, v26
	v_fmac_f32_e32 v39, v34, v27
	v_fma_f32 v23, -v30, v40, v37
	s_mov_b32 vcc_lo, s1
	v_fma_f32 v16, -v16, v38, v32
	v_div_fmas_f32 v22, v22, v29, v36
	v_fma_f32 v17, -v17, v39, v35
	v_fmac_f32_e32 v40, v23, v33
	s_mov_b32 vcc_lo, s2
	s_mov_b32 s1, 0xbcc30c31
	v_div_fmas_f32 v16, v16, v19, v38
	s_mov_b32 vcc_lo, s3
	v_fma_f32 v19, -v30, v40, v37
	v_div_fmas_f32 v17, v17, v27, v39
	s_mov_b32 vcc_lo, s4
	v_add_f32_e32 v4, v8, v4
	v_div_fixup_f32 v8, v12, v10, 1.0
	v_div_fmas_f32 v19, v19, v33, v40
	v_div_fixup_f32 v13, v17, v13, 1.0
	v_add_f32_e32 v4, v4, v8
	v_div_fixup_f32 v17, v19, v20, 1.0
	v_fmaak_f32 v19, s1, v13, 0x3d088889
	v_div_fixup_f32 v8, v15, v14, 1.0
	v_add_f32_e32 v17, 1.0, v17
	v_fma_f32 v19, -v13, v19, 0x3e2aaaab
	v_add_f32_e32 v4, v4, v8
	v_div_fixup_f32 v8, v18, v21, 1.0
	v_fmac_f32_e32 v17, v13, v19
	v_add_f32_e32 v4, v4, v8
	v_div_fixup_f32 v8, v22, v25, 1.0
	v_div_scale_f32 v13, null, v31, v31, v17
	v_div_scale_f32 v10, vcc_lo, v17, v31, v17
	v_add_f32_e32 v4, v4, v8
	v_rcp_f32_e32 v19, v13
	v_div_fixup_f32 v8, v16, v9, 1.0
	v_add_f32_e32 v4, v4, v8
	v_fma_f32 v11, -v13, v19, 1.0
	v_fmac_f32_e32 v19, v11, v19
	v_mul_f32_e32 v11, v10, v19
	v_fma_f32 v12, -v13, v11, v10
	v_fmac_f32_e32 v11, v12, v19
	v_fma_f32 v10, -v13, v11, v10
	v_div_fmas_f32 v9, v10, v19, v11
	v_div_fixup_f32 v8, v9, v31, v17
	v_add_f32_e32 v4, v4, v8
	v_fma_mixlo_f16 v4, v5, v4, 0
	s_or_b32 exec_lo, exec_lo, s7
	s_mov_b32 s7, exec_lo
                                        ; implicit-def: $vgpr5
	v_cmpx_gt_i32_e64 s6, v3
	s_cbranch_execz .LBB64_24
.LBB64_17:
	s_waitcnt vmcnt(0)
	v_cvt_f32_f16_e32 v5, v7
	v_cmp_gt_f16_e32 vcc_lo, 0.5, v7
	v_mov_b32_e32 v8, 0
	v_mov_b32_e32 v7, 1.0
	s_and_saveexec_b32 s3, vcc_lo
	s_cbranch_execz .LBB64_23
; %bb.18:
	v_mul_f32_e32 v7, 0x40490fdb, v5
                                        ; implicit-def: $vgpr10
                                        ; implicit-def: $vgpr9
	s_mov_b32 s2, exec_lo
	v_and_b32_e32 v8, 0x7fffffff, v7
	v_cmpx_ngt_f32_e64 0x48000000, |v7|
	s_xor_b32 s4, exec_lo, s2
	s_cbranch_execz .LBB64_20
; %bb.19:
	s_mov_b32 s1, 0x7fffff
	v_mov_b32_e32 v11, 0
	v_and_or_b32 v18, v8, s1, 0x800000
	v_lshrrev_b32_e32 v16, 23, v8
	v_mad_u64_u32 v[9:10], null, 0xfe5163ab, v18, 0
	v_add_nc_u32_e32 v17, 0xffffff88, v16
	v_cmp_lt_u32_e32 vcc_lo, 63, v17
	v_mad_u64_u32 v[12:13], null, 0x3c439041, v18, v[10:11]
	v_cndmask_b32_e64 v19, 0, 0xffffffc0, vcc_lo
	v_mov_b32_e32 v10, v13
	v_add_nc_u32_e32 v19, v19, v17
	v_mad_u64_u32 v[13:14], null, 0xdb629599, v18, v[10:11]
	v_cmp_lt_u32_e64 s1, 31, v19
	v_cndmask_b32_e64 v20, 0, 0xffffffe0, s1
	v_mov_b32_e32 v10, v14
	v_cndmask_b32_e32 v9, v13, v9, vcc_lo
	v_mad_u64_u32 v[14:15], null, 0xf534ddc0, v18, v[10:11]
	v_mov_b32_e32 v10, v15
	v_cndmask_b32_e32 v12, v14, v12, vcc_lo
	v_mad_u64_u32 v[15:16], null, 0xfc2757d1, v18, v[10:11]
	v_cndmask_b32_e64 v9, v12, v9, s1
	v_mov_b32_e32 v10, v16
	v_mad_u64_u32 v[16:17], null, 0x4e441529, v18, v[10:11]
	v_mov_b32_e32 v10, v17
	v_add_nc_u32_e32 v17, v20, v19
	v_cndmask_b32_e32 v19, v16, v14, vcc_lo
	v_mad_u64_u32 v[10:11], null, 0xa2f9836e, v18, v[10:11]
	v_cmp_lt_u32_e64 s2, 31, v17
	v_cndmask_b32_e64 v18, 0, 0xffffffe0, s2
	v_cndmask_b32_e32 v10, v10, v15, vcc_lo
	v_cndmask_b32_e32 v11, v11, v16, vcc_lo
	;; [unrolled: 1-line block ×3, first 2 shown]
	v_add_nc_u32_e32 v16, v18, v17
	v_cndmask_b32_e64 v14, v10, v19, s1
	v_cndmask_b32_e64 v10, v11, v10, s1
	;; [unrolled: 1-line block ×4, first 2 shown]
	v_sub_nc_u32_e32 v17, 32, v16
	v_cmp_eq_u32_e32 vcc_lo, 0, v16
	v_cndmask_b32_e64 v10, v10, v14, s2
	v_cndmask_b32_e64 v14, v14, v11, s2
	v_cndmask_b32_e64 v11, v11, v15, s2
	v_cndmask_b32_e64 v9, v15, v9, s2
	v_alignbit_b32 v18, v10, v14, v17
	v_alignbit_b32 v13, v14, v11, v17
	;; [unrolled: 1-line block ×3, first 2 shown]
	v_cndmask_b32_e32 v10, v18, v10, vcc_lo
	v_cndmask_b32_e32 v12, v13, v14, vcc_lo
	;; [unrolled: 1-line block ×3, first 2 shown]
	v_bfe_u32 v13, v10, 29, 1
	v_alignbit_b32 v14, v10, v12, 30
	v_alignbit_b32 v12, v12, v11, 30
	;; [unrolled: 1-line block ×3, first 2 shown]
	v_sub_nc_u32_e32 v15, 0, v13
	v_xor_b32_e32 v14, v14, v15
	v_xor_b32_e32 v11, v12, v15
	;; [unrolled: 1-line block ×3, first 2 shown]
	v_lshrrev_b32_e32 v15, 29, v10
	v_lshrrev_b32_e32 v10, 30, v10
	v_ffbh_u32_e32 v16, v14
	v_add_nc_u32_e32 v10, v13, v10
	v_min_u32_e32 v16, 32, v16
	v_sub_nc_u32_e32 v12, 31, v16
	v_lshlrev_b32_e32 v17, 23, v16
	v_alignbit_b32 v14, v14, v11, v12
	v_alignbit_b32 v9, v11, v9, v12
	v_lshlrev_b32_e32 v11, 31, v15
	v_alignbit_b32 v12, v14, v9, 9
	v_or_b32_e32 v15, 0.5, v11
	v_lshrrev_b32_e32 v14, 9, v14
	v_or_b32_e32 v11, 0x33000000, v11
	v_ffbh_u32_e32 v18, v12
	v_sub_nc_u32_e32 v15, v15, v17
	v_min_u32_e32 v17, 32, v18
	v_or_b32_e32 v14, v14, v15
	v_not_b32_e32 v15, v17
	v_mul_f32_e32 v18, 0x3fc90fda, v14
	v_add_lshl_u32 v16, v17, v16, 23
	v_alignbit_b32 v9, v12, v9, v15
	v_fma_f32 v12, 0x3fc90fda, v14, -v18
	v_sub_nc_u32_e32 v11, v11, v16
	v_lshrrev_b32_e32 v9, 9, v9
	v_fmamk_f32 v12, v14, 0x33a22168, v12
	v_or_b32_e32 v9, v11, v9
	v_fmac_f32_e32 v12, 0x3fc90fda, v9
	v_add_f32_e32 v9, v18, v12
.LBB64_20:
	s_andn2_saveexec_b32 s1, s4
; %bb.21:
	v_mul_f32_e64 v9, 0x3f22f983, |v7|
	v_rndne_f32_e32 v10, v9
	v_fma_f32 v9, 0xbfc90fda, v10, |v7|
	v_fmamk_f32 v9, v10, 0xb3a22168, v9
	v_fmamk_f32 v9, v10, 0xa7c234c4, v9
	v_cvt_i32_f32_e32 v10, v10
; %bb.22:
	s_or_b32 exec_lo, exec_lo, s1
	v_mul_f32_e32 v11, v9, v9
	s_mov_b32 s1, 0xb94c1982
	s_mov_b32 s2, 0x37d75334
	v_and_b32_e32 v14, 1, v10
	v_lshlrev_b32_e32 v10, 30, v10
	v_fmaak_f32 v12, s1, v11, 0x3c0881c4
	v_fmaak_f32 v13, s2, v11, 0xbab64f3b
	v_xor_b32_e32 v8, v8, v7
	v_cmp_eq_u32_e32 vcc_lo, 0, v14
	v_and_b32_e32 v10, 0x80000000, v10
	v_fmaak_f32 v12, v11, v12, 0xbe2aaa9d
	v_fmaak_f32 v13, v11, v13, 0x3d2aabf7
	v_sub_f32_e32 v5, 1.0, v5
	v_mul_f32_e32 v12, v11, v12
	v_fmaak_f32 v13, v11, v13, 0xbf000004
	v_fmac_f32_e32 v9, v9, v12
	v_fma_f32 v11, v11, v13, 1.0
	v_cndmask_b32_e32 v9, v11, v9, vcc_lo
	v_cmp_class_f32_e64 vcc_lo, v7, 0x1f8
	v_xor3_b32 v8, v8, v10, v9
	v_cndmask_b32_e32 v7, 0x7fc00000, v8, vcc_lo
	v_mul_f32_e32 v7, v7, v7
	v_div_scale_f32 v8, null, v7, v7, 0xc11de9e7
	v_div_scale_f32 v11, vcc_lo, 0xc11de9e7, v7, 0xc11de9e7
	v_rcp_f32_e32 v9, v8
	v_fma_f32 v10, -v8, v9, 1.0
	v_fmac_f32_e32 v9, v10, v9
	v_mul_f32_e32 v10, v11, v9
	v_fma_f32 v12, -v8, v10, v11
	v_fmac_f32_e32 v10, v12, v9
	v_fma_f32 v8, -v8, v10, v11
	v_div_fmas_f32 v8, v8, v9, v10
	v_div_fixup_f32 v7, v8, v7, 0xc11de9e7
	v_add_f32_e32 v8, 0, v7
	v_mov_b32_e32 v7, -1.0
.LBB64_23:
	s_or_b32 exec_lo, exec_lo, s3
	v_add_f32_e32 v9, 1.0, v5
	v_mul_f32_e32 v5, v5, v5
	v_mul_f32_e32 v10, v9, v9
	v_add_f32_e32 v9, 1.0, v9
	v_div_scale_f32 v11, null, v5, v5, 1.0
	v_div_scale_f32 v13, vcc_lo, 1.0, v5, 1.0
	v_mul_f32_e32 v14, v9, v9
	v_div_scale_f32 v12, null, v10, v10, 1.0
	v_rcp_f32_e32 v15, v11
	v_div_scale_f32 v18, s1, 1.0, v10, 1.0
	v_div_scale_f32 v17, null, v14, v14, 1.0
	v_rcp_f32_e32 v16, v12
	v_add_f32_e32 v9, 1.0, v9
	v_div_scale_f32 v19, s2, 1.0, v14, 1.0
	v_rcp_f32_e32 v20, v17
	v_fma_f32 v22, -v11, v15, 1.0
	v_mul_f32_e32 v21, v9, v9
	v_add_f32_e32 v9, 1.0, v9
	v_fma_f32 v23, -v12, v16, 1.0
	v_fmac_f32_e32 v15, v22, v15
	v_mul_f32_e32 v25, v9, v9
	v_add_f32_e32 v9, 1.0, v9
	v_fma_f32 v22, -v17, v20, 1.0
	v_fmac_f32_e32 v16, v23, v16
	v_mul_f32_e32 v26, v13, v15
	v_div_scale_f32 v24, null, v21, v21, 1.0
	v_fmac_f32_e32 v20, v22, v20
	v_mul_f32_e32 v27, v18, v16
	v_fma_f32 v28, -v11, v26, v13
	v_add_f32_e32 v31, 1.0, v9
	v_rcp_f32_e32 v23, v24
	v_mul_f32_e32 v30, v19, v20
	v_fma_f32 v29, -v12, v27, v18
	v_fmac_f32_e32 v26, v28, v15
	v_mul_f32_e32 v9, v9, v9
	v_div_scale_f32 v22, null, v25, v25, 1.0
	v_fma_f32 v28, -v17, v30, v19
	v_fmac_f32_e32 v27, v29, v16
	v_fma_f32 v11, -v11, v26, v13
	v_mul_f32_e32 v13, v31, v31
	v_rcp_f32_e32 v29, v22
	v_fmac_f32_e32 v30, v28, v20
	v_fma_f32 v12, -v12, v27, v18
	v_div_fmas_f32 v11, v11, v15, v26
	s_mov_b32 vcc_lo, s1
	v_fma_f32 v32, -v24, v23, 1.0
	v_fma_f32 v15, -v17, v30, v19
	v_div_fmas_f32 v12, v12, v16, v27
	s_mov_b32 vcc_lo, s2
	v_div_scale_f32 v16, null, v9, v9, 1.0
	v_div_fmas_f32 v15, v15, v20, v30
	v_div_scale_f32 v17, null, v13, v13, 1.0
	v_add_f32_e32 v20, v31, v31
	v_rcp_f32_e32 v19, v16
	v_fmac_f32_e32 v23, v32, v23
	v_rcp_f32_e32 v27, v17
	v_div_scale_f32 v18, vcc_lo, 1.0, v21, 1.0
	v_div_scale_f32 v30, null, v20, v20, 1.0
	v_fma_f32 v26, -v22, v29, 1.0
	v_mul_f32_e32 v28, v18, v23
	v_div_fixup_f32 v5, v11, v5, 1.0
	v_rcp_f32_e32 v33, v30
	v_fma_f32 v32, -v16, v19, 1.0
	v_fmac_f32_e32 v29, v26, v29
	v_div_scale_f32 v26, s1, 1.0, v25, 1.0
	v_fma_f32 v35, -v17, v27, 1.0
	v_fma_f32 v34, -v24, v28, v18
	v_fmac_f32_e32 v19, v32, v19
	v_div_scale_f32 v32, s2, 1.0, v9, 1.0
	v_mul_f32_e32 v36, v26, v29
	v_fmac_f32_e32 v27, v35, v27
	v_div_scale_f32 v35, s3, 1.0, v13, 1.0
	v_fma_f32 v37, -v30, v33, 1.0
	v_fmac_f32_e32 v28, v34, v23
	v_mul_f32_e32 v38, v32, v19
	v_fma_f32 v34, -v22, v36, v26
	v_mul_f32_e32 v39, v35, v27
	v_fmac_f32_e32 v33, v37, v33
	v_div_scale_f32 v37, s4, 1.0, v20, 1.0
	v_fma_f32 v18, -v24, v28, v18
	v_fma_f32 v24, -v16, v38, v32
	v_fmac_f32_e32 v36, v34, v29
	v_fma_f32 v34, -v17, v39, v35
	v_mul_f32_e32 v40, v37, v33
	v_div_fmas_f32 v18, v18, v23, v28
	v_fmac_f32_e32 v38, v24, v19
	v_fma_f32 v22, -v22, v36, v26
	v_fmac_f32_e32 v39, v34, v27
	v_fma_f32 v23, -v30, v40, v37
	s_mov_b32 vcc_lo, s1
	v_fma_f32 v16, -v16, v38, v32
	v_div_fmas_f32 v22, v22, v29, v36
	v_fma_f32 v17, -v17, v39, v35
	v_fmac_f32_e32 v40, v23, v33
	s_mov_b32 vcc_lo, s2
	s_mov_b32 s1, 0xbcc30c31
	v_div_fmas_f32 v16, v16, v19, v38
	s_mov_b32 vcc_lo, s3
	v_fma_f32 v19, -v30, v40, v37
	v_div_fmas_f32 v17, v17, v27, v39
	s_mov_b32 vcc_lo, s4
	v_add_f32_e32 v5, v8, v5
	v_div_fixup_f32 v8, v12, v10, 1.0
	v_div_fmas_f32 v19, v19, v33, v40
	v_div_fixup_f32 v13, v17, v13, 1.0
	v_add_f32_e32 v5, v5, v8
	v_div_fixup_f32 v17, v19, v20, 1.0
	v_fmaak_f32 v19, s1, v13, 0x3d088889
	v_div_fixup_f32 v8, v15, v14, 1.0
	v_add_f32_e32 v17, 1.0, v17
	v_fma_f32 v19, -v13, v19, 0x3e2aaaab
	v_add_f32_e32 v5, v5, v8
	v_div_fixup_f32 v8, v18, v21, 1.0
	v_fmac_f32_e32 v17, v13, v19
	v_add_f32_e32 v5, v5, v8
	v_div_fixup_f32 v8, v22, v25, 1.0
	v_div_scale_f32 v13, null, v31, v31, v17
	v_div_scale_f32 v10, vcc_lo, v17, v31, v17
	v_add_f32_e32 v5, v5, v8
	v_rcp_f32_e32 v19, v13
	v_div_fixup_f32 v8, v16, v9, 1.0
	v_add_f32_e32 v5, v5, v8
	v_fma_f32 v11, -v13, v19, 1.0
	v_fmac_f32_e32 v19, v11, v19
	v_mul_f32_e32 v11, v10, v19
	v_fma_f32 v12, -v13, v11, v10
	v_fmac_f32_e32 v11, v12, v19
	v_fma_f32 v10, -v13, v11, v10
	v_div_fmas_f32 v9, v10, v19, v11
	v_div_fixup_f32 v8, v9, v31, v17
	v_add_f32_e32 v5, v5, v8
	v_fma_mixlo_f16 v5, v7, v5, 0
.LBB64_24:
	s_or_b32 exec_lo, exec_lo, s7
	s_waitcnt vmcnt(0)
	v_or_b32_e32 v7, 0x200, v0
	v_cmp_gt_i32_e32 vcc_lo, s6, v7
                                        ; implicit-def: $vgpr7
	s_and_saveexec_b32 s7, vcc_lo
	s_cbranch_execz .LBB64_32
; %bb.25:
	v_cvt_f32_f16_e32 v7, v6
	v_cmp_gt_f16_e32 vcc_lo, 0.5, v6
	v_mov_b32_e32 v8, 0
	v_mov_b32_e32 v6, 1.0
	s_and_saveexec_b32 s3, vcc_lo
	s_cbranch_execz .LBB64_31
; %bb.26:
	v_mul_f32_e32 v6, 0x40490fdb, v7
                                        ; implicit-def: $vgpr10
                                        ; implicit-def: $vgpr9
	s_mov_b32 s2, exec_lo
	v_and_b32_e32 v8, 0x7fffffff, v6
	v_cmpx_ngt_f32_e64 0x48000000, |v6|
	s_xor_b32 s4, exec_lo, s2
	s_cbranch_execz .LBB64_28
; %bb.27:
	s_mov_b32 s1, 0x7fffff
	v_mov_b32_e32 v11, 0
	v_and_or_b32 v18, v8, s1, 0x800000
	v_lshrrev_b32_e32 v16, 23, v8
	v_mad_u64_u32 v[9:10], null, 0xfe5163ab, v18, 0
	v_add_nc_u32_e32 v17, 0xffffff88, v16
	v_cmp_lt_u32_e32 vcc_lo, 63, v17
	v_mad_u64_u32 v[12:13], null, 0x3c439041, v18, v[10:11]
	v_cndmask_b32_e64 v19, 0, 0xffffffc0, vcc_lo
	v_mov_b32_e32 v10, v13
	v_add_nc_u32_e32 v19, v19, v17
	v_mad_u64_u32 v[13:14], null, 0xdb629599, v18, v[10:11]
	v_cmp_lt_u32_e64 s1, 31, v19
	v_cndmask_b32_e64 v20, 0, 0xffffffe0, s1
	v_mov_b32_e32 v10, v14
	v_cndmask_b32_e32 v9, v13, v9, vcc_lo
	v_mad_u64_u32 v[14:15], null, 0xf534ddc0, v18, v[10:11]
	v_mov_b32_e32 v10, v15
	v_cndmask_b32_e32 v12, v14, v12, vcc_lo
	v_mad_u64_u32 v[15:16], null, 0xfc2757d1, v18, v[10:11]
	v_cndmask_b32_e64 v9, v12, v9, s1
	v_mov_b32_e32 v10, v16
	v_mad_u64_u32 v[16:17], null, 0x4e441529, v18, v[10:11]
	v_mov_b32_e32 v10, v17
	v_add_nc_u32_e32 v17, v20, v19
	v_cndmask_b32_e32 v19, v16, v14, vcc_lo
	v_mad_u64_u32 v[10:11], null, 0xa2f9836e, v18, v[10:11]
	v_cmp_lt_u32_e64 s2, 31, v17
	v_cndmask_b32_e64 v18, 0, 0xffffffe0, s2
	v_cndmask_b32_e32 v10, v10, v15, vcc_lo
	v_cndmask_b32_e32 v11, v11, v16, vcc_lo
	;; [unrolled: 1-line block ×3, first 2 shown]
	v_add_nc_u32_e32 v16, v18, v17
	v_cndmask_b32_e64 v14, v10, v19, s1
	v_cndmask_b32_e64 v10, v11, v10, s1
	;; [unrolled: 1-line block ×4, first 2 shown]
	v_sub_nc_u32_e32 v17, 32, v16
	v_cmp_eq_u32_e32 vcc_lo, 0, v16
	v_cndmask_b32_e64 v10, v10, v14, s2
	v_cndmask_b32_e64 v14, v14, v11, s2
	;; [unrolled: 1-line block ×4, first 2 shown]
	v_alignbit_b32 v18, v10, v14, v17
	v_alignbit_b32 v13, v14, v11, v17
	v_alignbit_b32 v16, v11, v9, v17
	v_cndmask_b32_e32 v10, v18, v10, vcc_lo
	v_cndmask_b32_e32 v12, v13, v14, vcc_lo
	;; [unrolled: 1-line block ×3, first 2 shown]
	v_bfe_u32 v13, v10, 29, 1
	v_alignbit_b32 v14, v10, v12, 30
	v_alignbit_b32 v12, v12, v11, 30
	;; [unrolled: 1-line block ×3, first 2 shown]
	v_sub_nc_u32_e32 v15, 0, v13
	v_xor_b32_e32 v14, v14, v15
	v_xor_b32_e32 v11, v12, v15
	;; [unrolled: 1-line block ×3, first 2 shown]
	v_lshrrev_b32_e32 v15, 29, v10
	v_lshrrev_b32_e32 v10, 30, v10
	v_ffbh_u32_e32 v16, v14
	v_add_nc_u32_e32 v10, v13, v10
	v_min_u32_e32 v16, 32, v16
	v_sub_nc_u32_e32 v12, 31, v16
	v_lshlrev_b32_e32 v17, 23, v16
	v_alignbit_b32 v14, v14, v11, v12
	v_alignbit_b32 v9, v11, v9, v12
	v_lshlrev_b32_e32 v11, 31, v15
	v_alignbit_b32 v12, v14, v9, 9
	v_or_b32_e32 v15, 0.5, v11
	v_lshrrev_b32_e32 v14, 9, v14
	v_or_b32_e32 v11, 0x33000000, v11
	v_ffbh_u32_e32 v18, v12
	v_sub_nc_u32_e32 v15, v15, v17
	v_min_u32_e32 v17, 32, v18
	v_or_b32_e32 v14, v14, v15
	v_not_b32_e32 v15, v17
	v_mul_f32_e32 v18, 0x3fc90fda, v14
	v_add_lshl_u32 v16, v17, v16, 23
	v_alignbit_b32 v9, v12, v9, v15
	v_fma_f32 v12, 0x3fc90fda, v14, -v18
	v_sub_nc_u32_e32 v11, v11, v16
	v_lshrrev_b32_e32 v9, 9, v9
	v_fmamk_f32 v12, v14, 0x33a22168, v12
	v_or_b32_e32 v9, v11, v9
	v_fmac_f32_e32 v12, 0x3fc90fda, v9
	v_add_f32_e32 v9, v18, v12
.LBB64_28:
	s_andn2_saveexec_b32 s1, s4
; %bb.29:
	v_mul_f32_e64 v9, 0x3f22f983, |v6|
	v_rndne_f32_e32 v10, v9
	v_fma_f32 v9, 0xbfc90fda, v10, |v6|
	v_fmamk_f32 v9, v10, 0xb3a22168, v9
	v_fmamk_f32 v9, v10, 0xa7c234c4, v9
	v_cvt_i32_f32_e32 v10, v10
; %bb.30:
	s_or_b32 exec_lo, exec_lo, s1
	v_mul_f32_e32 v11, v9, v9
	s_mov_b32 s1, 0xb94c1982
	s_mov_b32 s2, 0x37d75334
	v_and_b32_e32 v14, 1, v10
	v_lshlrev_b32_e32 v10, 30, v10
	v_fmaak_f32 v12, s1, v11, 0x3c0881c4
	v_fmaak_f32 v13, s2, v11, 0xbab64f3b
	v_xor_b32_e32 v8, v8, v6
	v_cmp_eq_u32_e32 vcc_lo, 0, v14
	v_and_b32_e32 v10, 0x80000000, v10
	v_fmaak_f32 v12, v11, v12, 0xbe2aaa9d
	v_fmaak_f32 v13, v11, v13, 0x3d2aabf7
	v_sub_f32_e32 v7, 1.0, v7
	v_mul_f32_e32 v12, v11, v12
	v_fmaak_f32 v13, v11, v13, 0xbf000004
	v_fmac_f32_e32 v9, v9, v12
	v_fma_f32 v11, v11, v13, 1.0
	v_cndmask_b32_e32 v9, v11, v9, vcc_lo
	v_cmp_class_f32_e64 vcc_lo, v6, 0x1f8
	v_xor3_b32 v8, v8, v10, v9
	v_cndmask_b32_e32 v6, 0x7fc00000, v8, vcc_lo
	v_mul_f32_e32 v6, v6, v6
	v_div_scale_f32 v8, null, v6, v6, 0xc11de9e7
	v_div_scale_f32 v11, vcc_lo, 0xc11de9e7, v6, 0xc11de9e7
	v_rcp_f32_e32 v9, v8
	v_fma_f32 v10, -v8, v9, 1.0
	v_fmac_f32_e32 v9, v10, v9
	v_mul_f32_e32 v10, v11, v9
	v_fma_f32 v12, -v8, v10, v11
	v_fmac_f32_e32 v10, v12, v9
	v_fma_f32 v8, -v8, v10, v11
	v_div_fmas_f32 v8, v8, v9, v10
	v_div_fixup_f32 v6, v8, v6, 0xc11de9e7
	v_add_f32_e32 v8, 0, v6
	v_mov_b32_e32 v6, -1.0
.LBB64_31:
	s_or_b32 exec_lo, exec_lo, s3
	v_add_f32_e32 v9, 1.0, v7
	v_mul_f32_e32 v7, v7, v7
	v_mul_f32_e32 v10, v9, v9
	v_add_f32_e32 v9, 1.0, v9
	v_div_scale_f32 v11, null, v7, v7, 1.0
	v_div_scale_f32 v13, vcc_lo, 1.0, v7, 1.0
	v_mul_f32_e32 v14, v9, v9
	v_div_scale_f32 v12, null, v10, v10, 1.0
	v_rcp_f32_e32 v15, v11
	v_div_scale_f32 v18, s1, 1.0, v10, 1.0
	v_div_scale_f32 v17, null, v14, v14, 1.0
	v_rcp_f32_e32 v16, v12
	v_add_f32_e32 v9, 1.0, v9
	v_div_scale_f32 v19, s2, 1.0, v14, 1.0
	v_rcp_f32_e32 v20, v17
	v_fma_f32 v22, -v11, v15, 1.0
	v_mul_f32_e32 v21, v9, v9
	v_add_f32_e32 v9, 1.0, v9
	v_fma_f32 v23, -v12, v16, 1.0
	v_fmac_f32_e32 v15, v22, v15
	v_mul_f32_e32 v25, v9, v9
	v_add_f32_e32 v9, 1.0, v9
	v_fma_f32 v22, -v17, v20, 1.0
	v_fmac_f32_e32 v16, v23, v16
	v_mul_f32_e32 v26, v13, v15
	v_div_scale_f32 v24, null, v21, v21, 1.0
	v_fmac_f32_e32 v20, v22, v20
	v_mul_f32_e32 v27, v18, v16
	v_fma_f32 v28, -v11, v26, v13
	v_add_f32_e32 v31, 1.0, v9
	v_rcp_f32_e32 v23, v24
	v_mul_f32_e32 v30, v19, v20
	v_fma_f32 v29, -v12, v27, v18
	v_fmac_f32_e32 v26, v28, v15
	v_mul_f32_e32 v9, v9, v9
	v_div_scale_f32 v22, null, v25, v25, 1.0
	v_fma_f32 v28, -v17, v30, v19
	v_fmac_f32_e32 v27, v29, v16
	v_fma_f32 v11, -v11, v26, v13
	v_mul_f32_e32 v13, v31, v31
	v_rcp_f32_e32 v29, v22
	v_fmac_f32_e32 v30, v28, v20
	v_fma_f32 v12, -v12, v27, v18
	v_div_fmas_f32 v11, v11, v15, v26
	s_mov_b32 vcc_lo, s1
	v_fma_f32 v32, -v24, v23, 1.0
	v_fma_f32 v15, -v17, v30, v19
	v_div_fmas_f32 v12, v12, v16, v27
	s_mov_b32 vcc_lo, s2
	v_div_scale_f32 v16, null, v9, v9, 1.0
	v_div_fmas_f32 v15, v15, v20, v30
	v_div_scale_f32 v17, null, v13, v13, 1.0
	v_add_f32_e32 v20, v31, v31
	v_rcp_f32_e32 v19, v16
	v_fmac_f32_e32 v23, v32, v23
	v_rcp_f32_e32 v27, v17
	v_div_scale_f32 v18, vcc_lo, 1.0, v21, 1.0
	v_div_scale_f32 v30, null, v20, v20, 1.0
	v_fma_f32 v26, -v22, v29, 1.0
	v_mul_f32_e32 v28, v18, v23
	v_div_fixup_f32 v7, v11, v7, 1.0
	v_rcp_f32_e32 v33, v30
	v_fma_f32 v32, -v16, v19, 1.0
	v_fmac_f32_e32 v29, v26, v29
	v_div_scale_f32 v26, s1, 1.0, v25, 1.0
	v_fma_f32 v35, -v17, v27, 1.0
	v_fma_f32 v34, -v24, v28, v18
	v_fmac_f32_e32 v19, v32, v19
	v_div_scale_f32 v32, s2, 1.0, v9, 1.0
	v_mul_f32_e32 v36, v26, v29
	v_fmac_f32_e32 v27, v35, v27
	v_div_scale_f32 v35, s3, 1.0, v13, 1.0
	v_fma_f32 v37, -v30, v33, 1.0
	v_fmac_f32_e32 v28, v34, v23
	v_mul_f32_e32 v38, v32, v19
	v_fma_f32 v34, -v22, v36, v26
	v_mul_f32_e32 v39, v35, v27
	v_fmac_f32_e32 v33, v37, v33
	v_div_scale_f32 v37, s4, 1.0, v20, 1.0
	v_fma_f32 v18, -v24, v28, v18
	v_fma_f32 v24, -v16, v38, v32
	v_fmac_f32_e32 v36, v34, v29
	v_fma_f32 v34, -v17, v39, v35
	v_mul_f32_e32 v40, v37, v33
	v_div_fmas_f32 v18, v18, v23, v28
	v_fmac_f32_e32 v38, v24, v19
	v_fma_f32 v22, -v22, v36, v26
	v_fmac_f32_e32 v39, v34, v27
	v_fma_f32 v23, -v30, v40, v37
	s_mov_b32 vcc_lo, s1
	v_fma_f32 v16, -v16, v38, v32
	v_div_fmas_f32 v22, v22, v29, v36
	v_fma_f32 v17, -v17, v39, v35
	v_fmac_f32_e32 v40, v23, v33
	s_mov_b32 vcc_lo, s2
	s_mov_b32 s1, 0xbcc30c31
	v_div_fmas_f32 v16, v16, v19, v38
	s_mov_b32 vcc_lo, s3
	v_fma_f32 v19, -v30, v40, v37
	v_div_fmas_f32 v17, v17, v27, v39
	s_mov_b32 vcc_lo, s4
	v_add_f32_e32 v7, v8, v7
	v_div_fixup_f32 v8, v12, v10, 1.0
	v_div_fmas_f32 v19, v19, v33, v40
	v_div_fixup_f32 v13, v17, v13, 1.0
	v_add_f32_e32 v7, v7, v8
	v_div_fixup_f32 v17, v19, v20, 1.0
	v_fmaak_f32 v19, s1, v13, 0x3d088889
	v_div_fixup_f32 v8, v15, v14, 1.0
	v_add_f32_e32 v17, 1.0, v17
	v_fma_f32 v19, -v13, v19, 0x3e2aaaab
	v_add_f32_e32 v7, v7, v8
	v_div_fixup_f32 v8, v18, v21, 1.0
	v_fmac_f32_e32 v17, v13, v19
	v_add_f32_e32 v7, v7, v8
	v_div_fixup_f32 v8, v22, v25, 1.0
	v_div_scale_f32 v13, null, v31, v31, v17
	v_div_scale_f32 v10, vcc_lo, v17, v31, v17
	v_add_f32_e32 v7, v7, v8
	v_rcp_f32_e32 v19, v13
	v_div_fixup_f32 v8, v16, v9, 1.0
	v_add_f32_e32 v7, v7, v8
	v_fma_f32 v11, -v13, v19, 1.0
	v_fmac_f32_e32 v19, v11, v19
	v_mul_f32_e32 v11, v10, v19
	v_fma_f32 v12, -v13, v11, v10
	v_fmac_f32_e32 v11, v12, v19
	v_fma_f32 v10, -v13, v11, v10
	v_div_fmas_f32 v9, v10, v19, v11
	v_div_fixup_f32 v8, v9, v31, v17
	v_add_f32_e32 v7, v7, v8
	v_fma_mixlo_f16 v7, v6, v7, 0
.LBB64_32:
	s_or_b32 exec_lo, exec_lo, s7
	v_or_b32_e32 v6, 0x300, v0
	v_cmp_gt_i32_e32 vcc_lo, s6, v6
                                        ; implicit-def: $vgpr6
	s_and_saveexec_b32 s7, vcc_lo
	s_cbranch_execz .LBB64_44
; %bb.33:
	v_cvt_f32_f16_e32 v6, v2
	v_cmp_gt_f16_e32 vcc_lo, 0.5, v2
	v_mov_b32_e32 v8, 0
	v_mov_b32_e32 v2, 1.0
	s_and_saveexec_b32 s3, vcc_lo
	s_cbranch_execz .LBB64_39
; %bb.34:
	v_mul_f32_e32 v2, 0x40490fdb, v6
                                        ; implicit-def: $vgpr10
                                        ; implicit-def: $vgpr9
	s_mov_b32 s2, exec_lo
	v_and_b32_e32 v8, 0x7fffffff, v2
	v_cmpx_ngt_f32_e64 0x48000000, |v2|
	s_xor_b32 s4, exec_lo, s2
	s_cbranch_execz .LBB64_36
; %bb.35:
	s_mov_b32 s1, 0x7fffff
	v_mov_b32_e32 v11, 0
	v_and_or_b32 v18, v8, s1, 0x800000
	v_lshrrev_b32_e32 v16, 23, v8
	v_mad_u64_u32 v[9:10], null, 0xfe5163ab, v18, 0
	v_add_nc_u32_e32 v17, 0xffffff88, v16
	v_cmp_lt_u32_e32 vcc_lo, 63, v17
	v_mad_u64_u32 v[12:13], null, 0x3c439041, v18, v[10:11]
	v_cndmask_b32_e64 v19, 0, 0xffffffc0, vcc_lo
	v_mov_b32_e32 v10, v13
	v_add_nc_u32_e32 v19, v19, v17
	v_mad_u64_u32 v[13:14], null, 0xdb629599, v18, v[10:11]
	v_cmp_lt_u32_e64 s1, 31, v19
	v_cndmask_b32_e64 v20, 0, 0xffffffe0, s1
	v_mov_b32_e32 v10, v14
	v_cndmask_b32_e32 v9, v13, v9, vcc_lo
	v_mad_u64_u32 v[14:15], null, 0xf534ddc0, v18, v[10:11]
	v_mov_b32_e32 v10, v15
	v_cndmask_b32_e32 v12, v14, v12, vcc_lo
	v_mad_u64_u32 v[15:16], null, 0xfc2757d1, v18, v[10:11]
	v_cndmask_b32_e64 v9, v12, v9, s1
	v_mov_b32_e32 v10, v16
	v_mad_u64_u32 v[16:17], null, 0x4e441529, v18, v[10:11]
	v_mov_b32_e32 v10, v17
	v_add_nc_u32_e32 v17, v20, v19
	v_cndmask_b32_e32 v19, v16, v14, vcc_lo
	v_mad_u64_u32 v[10:11], null, 0xa2f9836e, v18, v[10:11]
	v_cmp_lt_u32_e64 s2, 31, v17
	v_cndmask_b32_e64 v18, 0, 0xffffffe0, s2
	v_cndmask_b32_e32 v10, v10, v15, vcc_lo
	v_cndmask_b32_e32 v11, v11, v16, vcc_lo
	;; [unrolled: 1-line block ×3, first 2 shown]
	v_add_nc_u32_e32 v16, v18, v17
	v_cndmask_b32_e64 v14, v10, v19, s1
	v_cndmask_b32_e64 v10, v11, v10, s1
	;; [unrolled: 1-line block ×4, first 2 shown]
	v_sub_nc_u32_e32 v17, 32, v16
	v_cmp_eq_u32_e32 vcc_lo, 0, v16
	v_cndmask_b32_e64 v10, v10, v14, s2
	v_cndmask_b32_e64 v14, v14, v11, s2
	;; [unrolled: 1-line block ×4, first 2 shown]
	v_alignbit_b32 v18, v10, v14, v17
	v_alignbit_b32 v13, v14, v11, v17
	;; [unrolled: 1-line block ×3, first 2 shown]
	v_cndmask_b32_e32 v10, v18, v10, vcc_lo
	v_cndmask_b32_e32 v12, v13, v14, vcc_lo
	;; [unrolled: 1-line block ×3, first 2 shown]
	v_bfe_u32 v13, v10, 29, 1
	v_alignbit_b32 v14, v10, v12, 30
	v_alignbit_b32 v12, v12, v11, 30
	;; [unrolled: 1-line block ×3, first 2 shown]
	v_sub_nc_u32_e32 v15, 0, v13
	v_xor_b32_e32 v14, v14, v15
	v_xor_b32_e32 v11, v12, v15
	;; [unrolled: 1-line block ×3, first 2 shown]
	v_lshrrev_b32_e32 v15, 29, v10
	v_lshrrev_b32_e32 v10, 30, v10
	v_ffbh_u32_e32 v16, v14
	v_add_nc_u32_e32 v10, v13, v10
	v_min_u32_e32 v16, 32, v16
	v_sub_nc_u32_e32 v12, 31, v16
	v_lshlrev_b32_e32 v17, 23, v16
	v_alignbit_b32 v14, v14, v11, v12
	v_alignbit_b32 v9, v11, v9, v12
	v_lshlrev_b32_e32 v11, 31, v15
	v_alignbit_b32 v12, v14, v9, 9
	v_or_b32_e32 v15, 0.5, v11
	v_lshrrev_b32_e32 v14, 9, v14
	v_or_b32_e32 v11, 0x33000000, v11
	v_ffbh_u32_e32 v18, v12
	v_sub_nc_u32_e32 v15, v15, v17
	v_min_u32_e32 v17, 32, v18
	v_or_b32_e32 v14, v14, v15
	v_not_b32_e32 v15, v17
	v_mul_f32_e32 v18, 0x3fc90fda, v14
	v_add_lshl_u32 v16, v17, v16, 23
	v_alignbit_b32 v9, v12, v9, v15
	v_fma_f32 v12, 0x3fc90fda, v14, -v18
	v_sub_nc_u32_e32 v11, v11, v16
	v_lshrrev_b32_e32 v9, 9, v9
	v_fmamk_f32 v12, v14, 0x33a22168, v12
	v_or_b32_e32 v9, v11, v9
	v_fmac_f32_e32 v12, 0x3fc90fda, v9
	v_add_f32_e32 v9, v18, v12
.LBB64_36:
	s_andn2_saveexec_b32 s1, s4
; %bb.37:
	v_mul_f32_e64 v9, 0x3f22f983, |v2|
	v_rndne_f32_e32 v10, v9
	v_fma_f32 v9, 0xbfc90fda, v10, |v2|
	v_fmamk_f32 v9, v10, 0xb3a22168, v9
	v_fmamk_f32 v9, v10, 0xa7c234c4, v9
	v_cvt_i32_f32_e32 v10, v10
; %bb.38:
	s_or_b32 exec_lo, exec_lo, s1
	v_mul_f32_e32 v11, v9, v9
	s_mov_b32 s1, 0xb94c1982
	s_mov_b32 s2, 0x37d75334
	v_and_b32_e32 v14, 1, v10
	v_lshlrev_b32_e32 v10, 30, v10
	v_fmaak_f32 v12, s1, v11, 0x3c0881c4
	v_fmaak_f32 v13, s2, v11, 0xbab64f3b
	v_xor_b32_e32 v8, v8, v2
	v_cmp_eq_u32_e32 vcc_lo, 0, v14
	v_and_b32_e32 v10, 0x80000000, v10
	v_fmaak_f32 v12, v11, v12, 0xbe2aaa9d
	v_fmaak_f32 v13, v11, v13, 0x3d2aabf7
	v_sub_f32_e32 v6, 1.0, v6
	v_mul_f32_e32 v12, v11, v12
	v_fmaak_f32 v13, v11, v13, 0xbf000004
	v_fmac_f32_e32 v9, v9, v12
	v_fma_f32 v11, v11, v13, 1.0
	v_cndmask_b32_e32 v9, v11, v9, vcc_lo
	v_cmp_class_f32_e64 vcc_lo, v2, 0x1f8
	v_xor3_b32 v8, v8, v10, v9
	v_cndmask_b32_e32 v2, 0x7fc00000, v8, vcc_lo
	v_mul_f32_e32 v2, v2, v2
	v_div_scale_f32 v8, null, v2, v2, 0xc11de9e7
	v_div_scale_f32 v11, vcc_lo, 0xc11de9e7, v2, 0xc11de9e7
	v_rcp_f32_e32 v9, v8
	v_fma_f32 v10, -v8, v9, 1.0
	v_fmac_f32_e32 v9, v10, v9
	v_mul_f32_e32 v10, v11, v9
	v_fma_f32 v12, -v8, v10, v11
	v_fmac_f32_e32 v10, v12, v9
	v_fma_f32 v8, -v8, v10, v11
	v_div_fmas_f32 v8, v8, v9, v10
	v_div_fixup_f32 v2, v8, v2, 0xc11de9e7
	v_add_f32_e32 v8, 0, v2
	v_mov_b32_e32 v2, -1.0
.LBB64_39:
	s_or_b32 exec_lo, exec_lo, s3
	v_add_f32_e32 v9, 1.0, v6
	v_mul_f32_e32 v6, v6, v6
	v_mul_f32_e32 v10, v9, v9
	v_add_f32_e32 v9, 1.0, v9
	v_div_scale_f32 v11, null, v6, v6, 1.0
	v_div_scale_f32 v13, vcc_lo, 1.0, v6, 1.0
	v_mul_f32_e32 v14, v9, v9
	v_div_scale_f32 v12, null, v10, v10, 1.0
	v_rcp_f32_e32 v15, v11
	v_div_scale_f32 v18, s1, 1.0, v10, 1.0
	v_div_scale_f32 v17, null, v14, v14, 1.0
	v_rcp_f32_e32 v16, v12
	v_add_f32_e32 v9, 1.0, v9
	v_div_scale_f32 v19, s2, 1.0, v14, 1.0
	v_rcp_f32_e32 v20, v17
	v_fma_f32 v22, -v11, v15, 1.0
	v_mul_f32_e32 v21, v9, v9
	v_add_f32_e32 v9, 1.0, v9
	v_fma_f32 v23, -v12, v16, 1.0
	v_fmac_f32_e32 v15, v22, v15
	v_mul_f32_e32 v25, v9, v9
	v_add_f32_e32 v9, 1.0, v9
	v_fma_f32 v22, -v17, v20, 1.0
	v_fmac_f32_e32 v16, v23, v16
	v_mul_f32_e32 v26, v13, v15
	v_div_scale_f32 v24, null, v21, v21, 1.0
	v_fmac_f32_e32 v20, v22, v20
	v_mul_f32_e32 v27, v18, v16
	v_fma_f32 v28, -v11, v26, v13
	v_add_f32_e32 v31, 1.0, v9
	v_rcp_f32_e32 v23, v24
	v_mul_f32_e32 v30, v19, v20
	v_fma_f32 v29, -v12, v27, v18
	v_fmac_f32_e32 v26, v28, v15
	v_mul_f32_e32 v9, v9, v9
	v_div_scale_f32 v22, null, v25, v25, 1.0
	v_fma_f32 v28, -v17, v30, v19
	v_fmac_f32_e32 v27, v29, v16
	v_fma_f32 v11, -v11, v26, v13
	v_mul_f32_e32 v13, v31, v31
	v_rcp_f32_e32 v29, v22
	v_fmac_f32_e32 v30, v28, v20
	v_fma_f32 v12, -v12, v27, v18
	v_div_fmas_f32 v11, v11, v15, v26
	s_mov_b32 vcc_lo, s1
	v_fma_f32 v32, -v24, v23, 1.0
	v_fma_f32 v15, -v17, v30, v19
	v_div_fmas_f32 v12, v12, v16, v27
	s_mov_b32 vcc_lo, s2
	v_div_scale_f32 v16, null, v9, v9, 1.0
	v_div_fmas_f32 v15, v15, v20, v30
	v_div_scale_f32 v17, null, v13, v13, 1.0
	v_add_f32_e32 v20, v31, v31
	v_rcp_f32_e32 v19, v16
	v_fmac_f32_e32 v23, v32, v23
	v_rcp_f32_e32 v27, v17
	v_div_scale_f32 v18, vcc_lo, 1.0, v21, 1.0
	v_div_scale_f32 v30, null, v20, v20, 1.0
	v_fma_f32 v26, -v22, v29, 1.0
	v_mul_f32_e32 v28, v18, v23
	v_div_fixup_f32 v6, v11, v6, 1.0
	v_rcp_f32_e32 v33, v30
	v_fma_f32 v32, -v16, v19, 1.0
	v_fmac_f32_e32 v29, v26, v29
	v_div_scale_f32 v26, s1, 1.0, v25, 1.0
	v_fma_f32 v35, -v17, v27, 1.0
	v_fma_f32 v34, -v24, v28, v18
	v_fmac_f32_e32 v19, v32, v19
	v_div_scale_f32 v32, s2, 1.0, v9, 1.0
	v_mul_f32_e32 v36, v26, v29
	v_fmac_f32_e32 v27, v35, v27
	v_div_scale_f32 v35, s3, 1.0, v13, 1.0
	v_fma_f32 v37, -v30, v33, 1.0
	v_fmac_f32_e32 v28, v34, v23
	v_mul_f32_e32 v38, v32, v19
	v_fma_f32 v34, -v22, v36, v26
	v_mul_f32_e32 v39, v35, v27
	v_fmac_f32_e32 v33, v37, v33
	v_div_scale_f32 v37, s4, 1.0, v20, 1.0
	v_fma_f32 v18, -v24, v28, v18
	v_fma_f32 v24, -v16, v38, v32
	v_fmac_f32_e32 v36, v34, v29
	v_fma_f32 v34, -v17, v39, v35
	v_mul_f32_e32 v40, v37, v33
	v_div_fmas_f32 v18, v18, v23, v28
	v_fmac_f32_e32 v38, v24, v19
	v_fma_f32 v22, -v22, v36, v26
	v_fmac_f32_e32 v39, v34, v27
	v_fma_f32 v23, -v30, v40, v37
	s_mov_b32 vcc_lo, s1
	v_fma_f32 v16, -v16, v38, v32
	v_div_fmas_f32 v22, v22, v29, v36
	v_fma_f32 v17, -v17, v39, v35
	v_fmac_f32_e32 v40, v23, v33
	s_mov_b32 vcc_lo, s2
	s_mov_b32 s1, 0xbcc30c31
	v_div_fmas_f32 v16, v16, v19, v38
	s_mov_b32 vcc_lo, s3
	v_fma_f32 v19, -v30, v40, v37
	v_div_fmas_f32 v17, v17, v27, v39
	s_mov_b32 vcc_lo, s4
	v_add_f32_e32 v6, v8, v6
	v_div_fixup_f32 v8, v12, v10, 1.0
	v_div_fmas_f32 v19, v19, v33, v40
	v_div_fixup_f32 v13, v17, v13, 1.0
	v_add_f32_e32 v6, v6, v8
	v_div_fixup_f32 v17, v19, v20, 1.0
	v_fmaak_f32 v19, s1, v13, 0x3d088889
	v_div_fixup_f32 v8, v15, v14, 1.0
	v_add_f32_e32 v17, 1.0, v17
	v_fma_f32 v19, -v13, v19, 0x3e2aaaab
	v_add_f32_e32 v6, v6, v8
	v_div_fixup_f32 v8, v18, v21, 1.0
	v_fmac_f32_e32 v17, v13, v19
	v_add_f32_e32 v6, v6, v8
	v_div_fixup_f32 v8, v22, v25, 1.0
	v_div_scale_f32 v13, null, v31, v31, v17
	v_div_scale_f32 v10, vcc_lo, v17, v31, v17
	v_add_f32_e32 v6, v6, v8
	v_rcp_f32_e32 v19, v13
	v_div_fixup_f32 v8, v16, v9, 1.0
	v_add_f32_e32 v6, v6, v8
	v_fma_f32 v11, -v13, v19, 1.0
	v_fmac_f32_e32 v19, v11, v19
	v_mul_f32_e32 v11, v10, v19
	v_fma_f32 v12, -v13, v11, v10
	v_fmac_f32_e32 v11, v12, v19
	v_fma_f32 v10, -v13, v11, v10
	v_div_fmas_f32 v9, v10, v19, v11
	v_div_fixup_f32 v8, v9, v31, v17
	v_add_f32_e32 v6, v6, v8
	v_fma_mixlo_f16 v6, v2, v6, 0
	s_or_b32 exec_lo, exec_lo, s7
	s_and_saveexec_b32 s1, s0
	s_xor_b32 s0, exec_lo, s1
	s_cbranch_execnz .LBB64_45
.LBB64_40:
	s_or_b32 exec_lo, exec_lo, s0
	s_mov_b32 s0, exec_lo
	v_cmpx_gt_i32_e64 s6, v0
	s_cbranch_execz .LBB64_46
.LBB64_41:
	v_add_nc_u32_e32 v1, s5, v0
	v_mov_b32_e32 v2, 0
	v_add_nc_u32_e32 v0, 0x100, v0
	v_lshlrev_b64 v[1:2], 1, v[1:2]
	v_add_co_u32 v1, vcc_lo, s8, v1
	v_add_co_ci_u32_e64 v2, null, s9, v2, vcc_lo
	global_store_short v[1:2], v5, off
	s_or_b32 exec_lo, exec_lo, s0
	s_mov_b32 s0, exec_lo
	v_cmpx_gt_i32_e64 s6, v0
	s_cbranch_execnz .LBB64_47
.LBB64_42:
	s_or_b32 exec_lo, exec_lo, s0
	s_mov_b32 s0, exec_lo
	v_cmpx_gt_i32_e64 s6, v0
	s_cbranch_execz .LBB64_48
.LBB64_43:
	v_add_nc_u32_e32 v0, s5, v0
	v_mov_b32_e32 v1, 0
	v_lshlrev_b64 v[0:1], 1, v[0:1]
	v_add_co_u32 v0, vcc_lo, s8, v0
	v_add_co_ci_u32_e64 v1, null, s9, v1, vcc_lo
	global_store_short v[0:1], v6, off
	s_endpgm
.LBB64_44:
	s_or_b32 exec_lo, exec_lo, s7
	s_and_saveexec_b32 s1, s0
	s_xor_b32 s0, exec_lo, s1
	s_cbranch_execz .LBB64_40
.LBB64_45:
	v_mov_b32_e32 v2, 0
	v_lshlrev_b64 v[0:1], 1, v[1:2]
	v_add_co_u32 v8, vcc_lo, s8, v0
	v_add_co_ci_u32_e64 v9, null, s9, v1, vcc_lo
	v_mov_b32_e32 v0, v3
	global_store_short v[8:9], v4, off
	s_or_b32 exec_lo, exec_lo, s0
	s_mov_b32 s0, exec_lo
	v_cmpx_gt_i32_e64 s6, v0
	s_cbranch_execnz .LBB64_41
.LBB64_46:
	s_or_b32 exec_lo, exec_lo, s0
	s_mov_b32 s0, exec_lo
	v_cmpx_gt_i32_e64 s6, v0
	s_cbranch_execz .LBB64_42
.LBB64_47:
	v_add_nc_u32_e32 v1, s5, v0
	v_mov_b32_e32 v2, 0
	v_add_nc_u32_e32 v0, 0x100, v0
	v_lshlrev_b64 v[1:2], 1, v[1:2]
	v_add_co_u32 v1, vcc_lo, s8, v1
	v_add_co_ci_u32_e64 v2, null, s9, v2, vcc_lo
	global_store_short v[1:2], v7, off
	s_or_b32 exec_lo, exec_lo, s0
	s_mov_b32 s0, exec_lo
	v_cmpx_gt_i32_e64 s6, v0
	s_cbranch_execnz .LBB64_43
.LBB64_48:
	s_endpgm
	.section	.rodata,"a",@progbits
	.p2align	6, 0x0
	.amdhsa_kernel _ZN2at6native27unrolled_elementwise_kernelIZZZNS0_20trigamma_kernel_cudaERNS_18TensorIteratorBaseEENKUlvE_clEvENKUlvE1_clEvEUlN3c104HalfEE_St5arrayIPcLm2EELi4E23TrivialOffsetCalculatorILi1EjESD_NS0_6memory15LoadWithoutCastENSE_16StoreWithoutCastEEEviT_T0_T2_T3_T4_T5_
		.amdhsa_group_segment_fixed_size 0
		.amdhsa_private_segment_fixed_size 0
		.amdhsa_kernarg_size 28
		.amdhsa_user_sgpr_count 6
		.amdhsa_user_sgpr_private_segment_buffer 1
		.amdhsa_user_sgpr_dispatch_ptr 0
		.amdhsa_user_sgpr_queue_ptr 0
		.amdhsa_user_sgpr_kernarg_segment_ptr 1
		.amdhsa_user_sgpr_dispatch_id 0
		.amdhsa_user_sgpr_flat_scratch_init 0
		.amdhsa_user_sgpr_private_segment_size 0
		.amdhsa_wavefront_size32 1
		.amdhsa_uses_dynamic_stack 0
		.amdhsa_system_sgpr_private_segment_wavefront_offset 0
		.amdhsa_system_sgpr_workgroup_id_x 1
		.amdhsa_system_sgpr_workgroup_id_y 0
		.amdhsa_system_sgpr_workgroup_id_z 0
		.amdhsa_system_sgpr_workgroup_info 0
		.amdhsa_system_vgpr_workitem_id 0
		.amdhsa_next_free_vgpr 41
		.amdhsa_next_free_sgpr 12
		.amdhsa_reserve_vcc 1
		.amdhsa_reserve_flat_scratch 0
		.amdhsa_float_round_mode_32 0
		.amdhsa_float_round_mode_16_64 0
		.amdhsa_float_denorm_mode_32 3
		.amdhsa_float_denorm_mode_16_64 3
		.amdhsa_dx10_clamp 1
		.amdhsa_ieee_mode 1
		.amdhsa_fp16_overflow 0
		.amdhsa_workgroup_processor_mode 1
		.amdhsa_memory_ordered 1
		.amdhsa_forward_progress 1
		.amdhsa_shared_vgpr_count 0
		.amdhsa_exception_fp_ieee_invalid_op 0
		.amdhsa_exception_fp_denorm_src 0
		.amdhsa_exception_fp_ieee_div_zero 0
		.amdhsa_exception_fp_ieee_overflow 0
		.amdhsa_exception_fp_ieee_underflow 0
		.amdhsa_exception_fp_ieee_inexact 0
		.amdhsa_exception_int_div_zero 0
	.end_amdhsa_kernel
	.section	.text._ZN2at6native27unrolled_elementwise_kernelIZZZNS0_20trigamma_kernel_cudaERNS_18TensorIteratorBaseEENKUlvE_clEvENKUlvE1_clEvEUlN3c104HalfEE_St5arrayIPcLm2EELi4E23TrivialOffsetCalculatorILi1EjESD_NS0_6memory15LoadWithoutCastENSE_16StoreWithoutCastEEEviT_T0_T2_T3_T4_T5_,"axG",@progbits,_ZN2at6native27unrolled_elementwise_kernelIZZZNS0_20trigamma_kernel_cudaERNS_18TensorIteratorBaseEENKUlvE_clEvENKUlvE1_clEvEUlN3c104HalfEE_St5arrayIPcLm2EELi4E23TrivialOffsetCalculatorILi1EjESD_NS0_6memory15LoadWithoutCastENSE_16StoreWithoutCastEEEviT_T0_T2_T3_T4_T5_,comdat
.Lfunc_end64:
	.size	_ZN2at6native27unrolled_elementwise_kernelIZZZNS0_20trigamma_kernel_cudaERNS_18TensorIteratorBaseEENKUlvE_clEvENKUlvE1_clEvEUlN3c104HalfEE_St5arrayIPcLm2EELi4E23TrivialOffsetCalculatorILi1EjESD_NS0_6memory15LoadWithoutCastENSE_16StoreWithoutCastEEEviT_T0_T2_T3_T4_T5_, .Lfunc_end64-_ZN2at6native27unrolled_elementwise_kernelIZZZNS0_20trigamma_kernel_cudaERNS_18TensorIteratorBaseEENKUlvE_clEvENKUlvE1_clEvEUlN3c104HalfEE_St5arrayIPcLm2EELi4E23TrivialOffsetCalculatorILi1EjESD_NS0_6memory15LoadWithoutCastENSE_16StoreWithoutCastEEEviT_T0_T2_T3_T4_T5_
                                        ; -- End function
	.set _ZN2at6native27unrolled_elementwise_kernelIZZZNS0_20trigamma_kernel_cudaERNS_18TensorIteratorBaseEENKUlvE_clEvENKUlvE1_clEvEUlN3c104HalfEE_St5arrayIPcLm2EELi4E23TrivialOffsetCalculatorILi1EjESD_NS0_6memory15LoadWithoutCastENSE_16StoreWithoutCastEEEviT_T0_T2_T3_T4_T5_.num_vgpr, 41
	.set _ZN2at6native27unrolled_elementwise_kernelIZZZNS0_20trigamma_kernel_cudaERNS_18TensorIteratorBaseEENKUlvE_clEvENKUlvE1_clEvEUlN3c104HalfEE_St5arrayIPcLm2EELi4E23TrivialOffsetCalculatorILi1EjESD_NS0_6memory15LoadWithoutCastENSE_16StoreWithoutCastEEEviT_T0_T2_T3_T4_T5_.num_agpr, 0
	.set _ZN2at6native27unrolled_elementwise_kernelIZZZNS0_20trigamma_kernel_cudaERNS_18TensorIteratorBaseEENKUlvE_clEvENKUlvE1_clEvEUlN3c104HalfEE_St5arrayIPcLm2EELi4E23TrivialOffsetCalculatorILi1EjESD_NS0_6memory15LoadWithoutCastENSE_16StoreWithoutCastEEEviT_T0_T2_T3_T4_T5_.numbered_sgpr, 12
	.set _ZN2at6native27unrolled_elementwise_kernelIZZZNS0_20trigamma_kernel_cudaERNS_18TensorIteratorBaseEENKUlvE_clEvENKUlvE1_clEvEUlN3c104HalfEE_St5arrayIPcLm2EELi4E23TrivialOffsetCalculatorILi1EjESD_NS0_6memory15LoadWithoutCastENSE_16StoreWithoutCastEEEviT_T0_T2_T3_T4_T5_.num_named_barrier, 0
	.set _ZN2at6native27unrolled_elementwise_kernelIZZZNS0_20trigamma_kernel_cudaERNS_18TensorIteratorBaseEENKUlvE_clEvENKUlvE1_clEvEUlN3c104HalfEE_St5arrayIPcLm2EELi4E23TrivialOffsetCalculatorILi1EjESD_NS0_6memory15LoadWithoutCastENSE_16StoreWithoutCastEEEviT_T0_T2_T3_T4_T5_.private_seg_size, 0
	.set _ZN2at6native27unrolled_elementwise_kernelIZZZNS0_20trigamma_kernel_cudaERNS_18TensorIteratorBaseEENKUlvE_clEvENKUlvE1_clEvEUlN3c104HalfEE_St5arrayIPcLm2EELi4E23TrivialOffsetCalculatorILi1EjESD_NS0_6memory15LoadWithoutCastENSE_16StoreWithoutCastEEEviT_T0_T2_T3_T4_T5_.uses_vcc, 1
	.set _ZN2at6native27unrolled_elementwise_kernelIZZZNS0_20trigamma_kernel_cudaERNS_18TensorIteratorBaseEENKUlvE_clEvENKUlvE1_clEvEUlN3c104HalfEE_St5arrayIPcLm2EELi4E23TrivialOffsetCalculatorILi1EjESD_NS0_6memory15LoadWithoutCastENSE_16StoreWithoutCastEEEviT_T0_T2_T3_T4_T5_.uses_flat_scratch, 0
	.set _ZN2at6native27unrolled_elementwise_kernelIZZZNS0_20trigamma_kernel_cudaERNS_18TensorIteratorBaseEENKUlvE_clEvENKUlvE1_clEvEUlN3c104HalfEE_St5arrayIPcLm2EELi4E23TrivialOffsetCalculatorILi1EjESD_NS0_6memory15LoadWithoutCastENSE_16StoreWithoutCastEEEviT_T0_T2_T3_T4_T5_.has_dyn_sized_stack, 0
	.set _ZN2at6native27unrolled_elementwise_kernelIZZZNS0_20trigamma_kernel_cudaERNS_18TensorIteratorBaseEENKUlvE_clEvENKUlvE1_clEvEUlN3c104HalfEE_St5arrayIPcLm2EELi4E23TrivialOffsetCalculatorILi1EjESD_NS0_6memory15LoadWithoutCastENSE_16StoreWithoutCastEEEviT_T0_T2_T3_T4_T5_.has_recursion, 0
	.set _ZN2at6native27unrolled_elementwise_kernelIZZZNS0_20trigamma_kernel_cudaERNS_18TensorIteratorBaseEENKUlvE_clEvENKUlvE1_clEvEUlN3c104HalfEE_St5arrayIPcLm2EELi4E23TrivialOffsetCalculatorILi1EjESD_NS0_6memory15LoadWithoutCastENSE_16StoreWithoutCastEEEviT_T0_T2_T3_T4_T5_.has_indirect_call, 0
	.section	.AMDGPU.csdata,"",@progbits
; Kernel info:
; codeLenInByte = 7652
; TotalNumSgprs: 14
; NumVgprs: 41
; ScratchSize: 0
; MemoryBound: 0
; FloatMode: 240
; IeeeMode: 1
; LDSByteSize: 0 bytes/workgroup (compile time only)
; SGPRBlocks: 0
; VGPRBlocks: 5
; NumSGPRsForWavesPerEU: 14
; NumVGPRsForWavesPerEU: 41
; Occupancy: 16
; WaveLimiterHint : 0
; COMPUTE_PGM_RSRC2:SCRATCH_EN: 0
; COMPUTE_PGM_RSRC2:USER_SGPR: 6
; COMPUTE_PGM_RSRC2:TRAP_HANDLER: 0
; COMPUTE_PGM_RSRC2:TGID_X_EN: 1
; COMPUTE_PGM_RSRC2:TGID_Y_EN: 0
; COMPUTE_PGM_RSRC2:TGID_Z_EN: 0
; COMPUTE_PGM_RSRC2:TIDIG_COMP_CNT: 0
	.section	.text._ZN2at6native32elementwise_kernel_manual_unrollILi128ELi8EZNS0_22gpu_kernel_impl_nocastIZZZNS0_20trigamma_kernel_cudaERNS_18TensorIteratorBaseEENKUlvE_clEvENKUlvE1_clEvEUlN3c104HalfEE_EEvS4_RKT_EUlibE_EEviT1_,"axG",@progbits,_ZN2at6native32elementwise_kernel_manual_unrollILi128ELi8EZNS0_22gpu_kernel_impl_nocastIZZZNS0_20trigamma_kernel_cudaERNS_18TensorIteratorBaseEENKUlvE_clEvENKUlvE1_clEvEUlN3c104HalfEE_EEvS4_RKT_EUlibE_EEviT1_,comdat
	.globl	_ZN2at6native32elementwise_kernel_manual_unrollILi128ELi8EZNS0_22gpu_kernel_impl_nocastIZZZNS0_20trigamma_kernel_cudaERNS_18TensorIteratorBaseEENKUlvE_clEvENKUlvE1_clEvEUlN3c104HalfEE_EEvS4_RKT_EUlibE_EEviT1_ ; -- Begin function _ZN2at6native32elementwise_kernel_manual_unrollILi128ELi8EZNS0_22gpu_kernel_impl_nocastIZZZNS0_20trigamma_kernel_cudaERNS_18TensorIteratorBaseEENKUlvE_clEvENKUlvE1_clEvEUlN3c104HalfEE_EEvS4_RKT_EUlibE_EEviT1_
	.p2align	8
	.type	_ZN2at6native32elementwise_kernel_manual_unrollILi128ELi8EZNS0_22gpu_kernel_impl_nocastIZZZNS0_20trigamma_kernel_cudaERNS_18TensorIteratorBaseEENKUlvE_clEvENKUlvE1_clEvEUlN3c104HalfEE_EEvS4_RKT_EUlibE_EEviT1_,@function
_ZN2at6native32elementwise_kernel_manual_unrollILi128ELi8EZNS0_22gpu_kernel_impl_nocastIZZZNS0_20trigamma_kernel_cudaERNS_18TensorIteratorBaseEENKUlvE_clEvENKUlvE1_clEvEUlN3c104HalfEE_EEvS4_RKT_EUlibE_EEviT1_: ; @_ZN2at6native32elementwise_kernel_manual_unrollILi128ELi8EZNS0_22gpu_kernel_impl_nocastIZZZNS0_20trigamma_kernel_cudaERNS_18TensorIteratorBaseEENKUlvE_clEvENKUlvE1_clEvEUlN3c104HalfEE_EEvS4_RKT_EUlibE_EEviT1_
; %bb.0:
	s_clause 0x1
	s_load_dword s22, s[4:5], 0x8
	s_load_dword s27, s[4:5], 0x0
	v_lshl_or_b32 v7, s6, 10, v0
	s_add_u32 s16, s4, 8
	s_addc_u32 s17, s5, 0
	s_mov_b32 s0, exec_lo
	v_or_b32_e32 v18, 0x380, v7
	s_waitcnt lgkmcnt(0)
	s_add_i32 s23, s22, -1
	s_cmp_gt_u32 s23, 1
	s_cselect_b32 s24, -1, 0
	v_cmpx_le_i32_e64 s27, v18
	s_xor_b32 s25, exec_lo, s0
	s_cbranch_execz .LBB65_7
; %bb.1:
	s_clause 0x3
	s_load_dwordx4 s[12:15], s[16:17], 0x4
	s_load_dwordx2 s[18:19], s[16:17], 0x14
	s_load_dwordx4 s[8:11], s[16:17], 0xc4
	s_load_dwordx4 s[4:7], s[16:17], 0x148
	s_cmp_lg_u32 s22, 0
	s_mov_b32 s30, exec_lo
	s_cselect_b32 s29, -1, 0
	s_add_u32 s20, s16, 0xc4
	s_addc_u32 s21, s17, 0
	s_min_u32 s28, s23, 15
	s_cmp_gt_u32 s22, 1
	s_cselect_b32 s26, -1, 0
	v_cmpx_gt_i32_e64 s27, v7
	s_cbranch_execz .LBB65_14
; %bb.2:
	s_andn2_b32 vcc_lo, exec_lo, s24
	s_cbranch_vccnz .LBB65_21
; %bb.3:
	s_andn2_b32 vcc_lo, exec_lo, s29
	s_cbranch_vccnz .LBB65_177
; %bb.4:
	s_add_i32 s33, s28, 1
	s_cmp_eq_u32 s23, 2
	s_cbranch_scc1 .LBB65_179
; %bb.5:
	v_mov_b32_e32 v2, 0
	v_mov_b32_e32 v0, 0
	;; [unrolled: 1-line block ×3, first 2 shown]
	s_and_b32 s31, s33, 28
	s_mov_b32 s34, 0
	s_mov_b64 s[0:1], s[16:17]
	s_mov_b64 s[2:3], s[20:21]
.LBB65_6:                               ; =>This Inner Loop Header: Depth=1
	s_clause 0x1
	s_load_dwordx8 s[36:43], s[0:1], 0x4
	s_load_dwordx4 s[52:55], s[0:1], 0x24
	s_load_dwordx8 s[44:51], s[2:3], 0x0
	s_add_u32 s0, s0, 48
	s_addc_u32 s1, s1, 0
	s_add_i32 s34, s34, 4
	s_add_u32 s2, s2, 32
	s_addc_u32 s3, s3, 0
	s_cmp_lg_u32 s31, s34
	s_waitcnt lgkmcnt(0)
	v_mul_hi_u32 v3, s37, v1
	v_add_nc_u32_e32 v3, v1, v3
	v_lshrrev_b32_e32 v3, s38, v3
	v_mul_hi_u32 v4, s40, v3
	v_mul_lo_u32 v6, v3, s36
	v_add_nc_u32_e32 v4, v3, v4
	v_sub_nc_u32_e32 v1, v1, v6
	v_lshrrev_b32_e32 v4, s41, v4
	v_mul_lo_u32 v6, v1, s44
	v_mul_lo_u32 v9, v1, s45
	v_mul_hi_u32 v5, s43, v4
	v_add_nc_u32_e32 v5, v4, v5
	v_lshrrev_b32_e32 v5, s52, v5
	v_mul_hi_u32 v8, s54, v5
	v_mul_lo_u32 v10, v5, s42
	v_add_nc_u32_e32 v1, v5, v8
	v_mul_lo_u32 v8, v4, s39
	v_sub_nc_u32_e32 v4, v4, v10
	v_lshrrev_b32_e32 v1, s55, v1
	v_mul_lo_u32 v10, v4, s48
	v_mul_lo_u32 v4, v4, s49
	v_sub_nc_u32_e32 v3, v3, v8
	v_mul_lo_u32 v11, v1, s53
	v_mul_lo_u32 v8, v3, s46
	v_mul_lo_u32 v3, v3, s47
	v_sub_nc_u32_e32 v5, v5, v11
	v_add3_u32 v0, v6, v0, v8
	v_mul_lo_u32 v11, v5, s50
	v_mul_lo_u32 v5, v5, s51
	v_add3_u32 v2, v9, v2, v3
	v_add3_u32 v0, v10, v0, v11
	v_add3_u32 v2, v4, v2, v5
	s_cbranch_scc1 .LBB65_6
	s_branch .LBB65_180
.LBB65_7:
	s_andn2_saveexec_b32 s0, s25
	s_cbranch_execz .LBB65_305
.LBB65_8:
	v_cndmask_b32_e64 v8, 0, 1, s24
	s_andn2_b32 vcc_lo, exec_lo, s24
	s_cbranch_vccnz .LBB65_20
; %bb.9:
	s_cmp_lg_u32 s22, 0
	s_waitcnt lgkmcnt(0)
	s_mov_b32 s4, 0
	s_cbranch_scc0 .LBB65_23
; %bb.10:
	s_min_u32 s6, s23, 15
	s_add_i32 s6, s6, 1
	s_cmp_eq_u32 s23, 2
	s_cbranch_scc1 .LBB65_24
; %bb.11:
	v_mov_b32_e32 v9, 0
	v_mov_b32_e32 v0, 0
	;; [unrolled: 1-line block ×3, first 2 shown]
	s_and_b32 s5, s6, 28
	s_add_u32 s0, s16, 0xc4
	s_addc_u32 s1, s17, 0
	s_mov_b32 s7, 0
	s_mov_b64 s[2:3], s[16:17]
.LBB65_12:                              ; =>This Inner Loop Header: Depth=1
	s_clause 0x1
	s_load_dwordx8 s[8:15], s[2:3], 0x4
	s_load_dwordx4 s[36:39], s[2:3], 0x24
	s_load_dwordx8 s[24:31], s[0:1], 0x0
	s_add_u32 s2, s2, 48
	s_addc_u32 s3, s3, 0
	s_add_i32 s7, s7, 4
	s_add_u32 s0, s0, 32
	s_addc_u32 s1, s1, 0
	s_cmp_lg_u32 s5, s7
	s_waitcnt lgkmcnt(0)
	v_mul_hi_u32 v2, s9, v1
	v_add_nc_u32_e32 v2, v1, v2
	v_lshrrev_b32_e32 v2, s10, v2
	v_mul_hi_u32 v3, s12, v2
	v_mul_lo_u32 v5, v2, s8
	v_add_nc_u32_e32 v3, v2, v3
	v_sub_nc_u32_e32 v1, v1, v5
	v_lshrrev_b32_e32 v3, s13, v3
	v_mul_lo_u32 v5, v1, s24
	v_mul_lo_u32 v10, v1, s25
	v_mul_hi_u32 v4, s15, v3
	v_add_nc_u32_e32 v4, v3, v4
	v_lshrrev_b32_e32 v4, s36, v4
	v_mul_hi_u32 v6, s38, v4
	v_mul_lo_u32 v11, v4, s14
	v_add_nc_u32_e32 v1, v4, v6
	v_mul_lo_u32 v6, v3, s11
	v_sub_nc_u32_e32 v3, v3, v11
	v_lshrrev_b32_e32 v1, s39, v1
	v_mul_lo_u32 v11, v3, s28
	v_mul_lo_u32 v3, v3, s29
	v_sub_nc_u32_e32 v2, v2, v6
	v_mul_lo_u32 v12, v1, s37
	v_mul_lo_u32 v6, v2, s26
	;; [unrolled: 1-line block ×3, first 2 shown]
	v_sub_nc_u32_e32 v4, v4, v12
	v_add3_u32 v0, v5, v0, v6
	v_mul_lo_u32 v12, v4, s30
	v_mul_lo_u32 v4, v4, s31
	v_add3_u32 v2, v10, v9, v2
	v_add3_u32 v0, v11, v0, v12
	;; [unrolled: 1-line block ×3, first 2 shown]
	s_cbranch_scc1 .LBB65_12
; %bb.13:
	s_and_b32 s6, s6, 3
	s_cmp_eq_u32 s6, 0
	s_cbranch_scc0 .LBB65_25
	s_branch .LBB65_27
.LBB65_14:
	s_or_b32 exec_lo, exec_lo, s30
	s_mov_b32 s30, exec_lo
	v_cmpx_gt_i32_e64 s27, v7
	s_cbranch_execz .LBB65_193
.LBB65_15:
	s_andn2_b32 vcc_lo, exec_lo, s24
	s_cbranch_vccnz .LBB65_22
; %bb.16:
	s_andn2_b32 vcc_lo, exec_lo, s29
	s_cbranch_vccnz .LBB65_178
; %bb.17:
	s_add_i32 s33, s28, 1
	s_cmp_eq_u32 s23, 2
	s_cbranch_scc1 .LBB65_201
; %bb.18:
	v_mov_b32_e32 v2, 0
	v_mov_b32_e32 v0, 0
	;; [unrolled: 1-line block ×3, first 2 shown]
	s_and_b32 s31, s33, 28
	s_mov_b32 s34, 0
	s_mov_b64 s[0:1], s[16:17]
	s_mov_b64 s[2:3], s[20:21]
.LBB65_19:                              ; =>This Inner Loop Header: Depth=1
	s_clause 0x1
	s_load_dwordx8 s[36:43], s[0:1], 0x4
	s_load_dwordx4 s[52:55], s[0:1], 0x24
	s_load_dwordx8 s[44:51], s[2:3], 0x0
	s_add_u32 s0, s0, 48
	s_addc_u32 s1, s1, 0
	s_add_i32 s34, s34, 4
	s_add_u32 s2, s2, 32
	s_addc_u32 s3, s3, 0
	s_cmp_eq_u32 s31, s34
	s_waitcnt lgkmcnt(0)
	v_mul_hi_u32 v3, s37, v1
	v_add_nc_u32_e32 v3, v1, v3
	v_lshrrev_b32_e32 v3, s38, v3
	v_mul_hi_u32 v4, s40, v3
	v_mul_lo_u32 v6, v3, s36
	v_add_nc_u32_e32 v4, v3, v4
	v_sub_nc_u32_e32 v1, v1, v6
	v_lshrrev_b32_e32 v4, s41, v4
	v_mul_lo_u32 v6, v1, s44
	v_mul_lo_u32 v9, v1, s45
	v_mul_hi_u32 v5, s43, v4
	v_add_nc_u32_e32 v5, v4, v5
	v_lshrrev_b32_e32 v5, s52, v5
	v_mul_hi_u32 v8, s54, v5
	v_mul_lo_u32 v10, v5, s42
	v_add_nc_u32_e32 v1, v5, v8
	v_mul_lo_u32 v8, v4, s39
	v_sub_nc_u32_e32 v4, v4, v10
	v_lshrrev_b32_e32 v1, s55, v1
	v_mul_lo_u32 v10, v4, s48
	v_mul_lo_u32 v4, v4, s49
	v_sub_nc_u32_e32 v3, v3, v8
	v_mul_lo_u32 v11, v1, s53
	v_mul_lo_u32 v8, v3, s46
	;; [unrolled: 1-line block ×3, first 2 shown]
	v_sub_nc_u32_e32 v5, v5, v11
	v_add3_u32 v0, v6, v0, v8
	v_mul_lo_u32 v11, v5, s50
	v_mul_lo_u32 v5, v5, s51
	v_add3_u32 v2, v9, v2, v3
	v_add3_u32 v0, v10, v0, v11
	;; [unrolled: 1-line block ×3, first 2 shown]
	s_cbranch_scc0 .LBB65_19
	s_branch .LBB65_202
.LBB65_20:
	s_waitcnt lgkmcnt(0)
	s_mov_b32 s4, -1
                                        ; implicit-def: $vgpr0
                                        ; implicit-def: $vgpr9
	s_branch .LBB65_27
.LBB65_21:
                                        ; implicit-def: $vgpr0
                                        ; implicit-def: $vgpr2
	s_branch .LBB65_184
.LBB65_22:
                                        ; implicit-def: $vgpr0
                                        ; implicit-def: $vgpr2
	s_branch .LBB65_206
.LBB65_23:
	v_mov_b32_e32 v0, 0
	v_mov_b32_e32 v9, 0
	s_branch .LBB65_27
.LBB65_24:
	v_mov_b32_e32 v0, 0
	v_mov_b32_e32 v9, 0
	;; [unrolled: 1-line block ×3, first 2 shown]
	s_mov_b32 s5, 0
	s_and_b32 s6, s6, 3
	s_cmp_eq_u32 s6, 0
	s_cbranch_scc1 .LBB65_27
.LBB65_25:
	s_lshl_b32 s0, s5, 3
	s_mul_i32 s2, s5, 12
	s_add_u32 s0, s16, s0
	s_addc_u32 s1, s17, 0
	s_add_u32 s0, s0, 0xc4
	s_addc_u32 s1, s1, 0
	;; [unrolled: 2-line block ×3, first 2 shown]
	.p2align	6
.LBB65_26:                              ; =>This Inner Loop Header: Depth=1
	s_clause 0x1
	s_load_dwordx2 s[8:9], s[2:3], 0x4
	s_load_dword s5, s[2:3], 0xc
	s_load_dwordx2 s[10:11], s[0:1], 0x0
	s_add_u32 s2, s2, 12
	s_addc_u32 s3, s3, 0
	s_add_u32 s0, s0, 8
	s_addc_u32 s1, s1, 0
	s_add_i32 s6, s6, -1
	s_cmp_lg_u32 s6, 0
	s_waitcnt lgkmcnt(0)
	v_mul_hi_u32 v2, s9, v1
	v_add_nc_u32_e32 v2, v1, v2
	v_lshrrev_b32_e32 v2, s5, v2
	v_mul_lo_u32 v3, v2, s8
	v_sub_nc_u32_e32 v3, v1, v3
	v_mad_u64_u32 v[0:1], null, v3, s10, v[0:1]
	v_mad_u64_u32 v[9:10], null, v3, s11, v[9:10]
	v_mov_b32_e32 v1, v2
	s_cbranch_scc1 .LBB65_26
.LBB65_27:
	s_andn2_b32 vcc_lo, exec_lo, s4
	s_cbranch_vccnz .LBB65_30
; %bb.28:
	s_clause 0x1
	s_load_dwordx4 s[0:3], s[16:17], 0x4
	s_load_dwordx2 s[4:5], s[16:17], 0xc4
	s_cmp_lt_u32 s22, 2
	s_waitcnt lgkmcnt(0)
	v_mul_hi_u32 v0, s1, v7
	v_add_nc_u32_e32 v0, v7, v0
	v_lshrrev_b32_e32 v1, s2, v0
	v_mul_lo_u32 v0, v1, s0
	v_sub_nc_u32_e32 v2, v7, v0
	v_mul_lo_u32 v0, v2, s4
	v_mul_lo_u32 v9, v2, s5
	s_cbranch_scc1 .LBB65_30
; %bb.29:
	s_clause 0x1
	s_load_dwordx4 s[0:3], s[16:17], 0x10
	s_load_dwordx2 s[4:5], s[16:17], 0xcc
	s_waitcnt lgkmcnt(0)
	v_mul_hi_u32 v2, s1, v1
	v_add_nc_u32_e32 v2, v1, v2
	v_lshrrev_b32_e32 v2, s2, v2
	v_mul_lo_u32 v2, v2, s0
	v_sub_nc_u32_e32 v2, v1, v2
	v_mad_u64_u32 v[0:1], null, v2, s4, v[0:1]
	v_mad_u64_u32 v[9:10], null, v2, s5, v[9:10]
.LBB65_30:
	v_cmp_ne_u32_e32 vcc_lo, 1, v8
	v_add_nc_u32_e32 v3, 0x80, v7
	s_cbranch_vccnz .LBB65_36
; %bb.31:
	s_cmp_lg_u32 s22, 0
	s_mov_b32 s4, 0
	s_cbranch_scc0 .LBB65_37
; %bb.32:
	s_min_u32 s6, s23, 15
	s_add_i32 s6, s6, 1
	s_cmp_eq_u32 s23, 2
	s_cbranch_scc1 .LBB65_38
; %bb.33:
	v_mov_b32_e32 v10, 0
	v_mov_b32_e32 v1, 0
	;; [unrolled: 1-line block ×3, first 2 shown]
	s_and_b32 s5, s6, 28
	s_add_u32 s0, s16, 0xc4
	s_addc_u32 s1, s17, 0
	s_mov_b32 s7, 0
	s_mov_b64 s[2:3], s[16:17]
.LBB65_34:                              ; =>This Inner Loop Header: Depth=1
	s_clause 0x1
	s_load_dwordx8 s[8:15], s[2:3], 0x4
	s_load_dwordx4 s[36:39], s[2:3], 0x24
	s_load_dwordx8 s[24:31], s[0:1], 0x0
	s_add_u32 s2, s2, 48
	s_addc_u32 s3, s3, 0
	s_add_i32 s7, s7, 4
	s_add_u32 s0, s0, 32
	s_addc_u32 s1, s1, 0
	s_cmp_lg_u32 s5, s7
	s_waitcnt lgkmcnt(0)
	v_mul_hi_u32 v4, s9, v2
	v_add_nc_u32_e32 v4, v2, v4
	v_lshrrev_b32_e32 v4, s10, v4
	v_mul_hi_u32 v5, s12, v4
	v_mul_lo_u32 v11, v4, s8
	v_add_nc_u32_e32 v5, v4, v5
	v_sub_nc_u32_e32 v2, v2, v11
	v_lshrrev_b32_e32 v5, s13, v5
	v_mul_lo_u32 v11, v2, s24
	v_mul_lo_u32 v13, v2, s25
	v_mul_hi_u32 v6, s15, v5
	v_add_nc_u32_e32 v6, v5, v6
	v_lshrrev_b32_e32 v6, s36, v6
	v_mul_hi_u32 v12, s38, v6
	v_mul_lo_u32 v14, v6, s14
	v_add_nc_u32_e32 v2, v6, v12
	v_mul_lo_u32 v12, v5, s11
	v_sub_nc_u32_e32 v5, v5, v14
	v_lshrrev_b32_e32 v2, s39, v2
	v_mul_lo_u32 v14, v5, s28
	v_mul_lo_u32 v5, v5, s29
	v_sub_nc_u32_e32 v4, v4, v12
	v_mul_lo_u32 v15, v2, s37
	v_mul_lo_u32 v12, v4, s26
	;; [unrolled: 1-line block ×3, first 2 shown]
	v_sub_nc_u32_e32 v6, v6, v15
	v_add3_u32 v1, v11, v1, v12
	v_mul_lo_u32 v15, v6, s30
	v_mul_lo_u32 v6, v6, s31
	v_add3_u32 v4, v13, v10, v4
	v_add3_u32 v1, v14, v1, v15
	v_add3_u32 v10, v5, v4, v6
	s_cbranch_scc1 .LBB65_34
; %bb.35:
	s_and_b32 s6, s6, 3
	s_cmp_eq_u32 s6, 0
	s_cbranch_scc0 .LBB65_39
	s_branch .LBB65_41
.LBB65_36:
	s_mov_b32 s4, -1
                                        ; implicit-def: $vgpr1
                                        ; implicit-def: $vgpr10
	s_branch .LBB65_41
.LBB65_37:
	v_mov_b32_e32 v1, 0
	v_mov_b32_e32 v10, 0
	s_branch .LBB65_41
.LBB65_38:
	v_mov_b32_e32 v1, 0
	v_mov_b32_e32 v10, 0
	;; [unrolled: 1-line block ×3, first 2 shown]
	s_mov_b32 s5, 0
	s_and_b32 s6, s6, 3
	s_cmp_eq_u32 s6, 0
	s_cbranch_scc1 .LBB65_41
.LBB65_39:
	s_lshl_b32 s0, s5, 3
	s_mul_i32 s2, s5, 12
	s_add_u32 s0, s16, s0
	s_addc_u32 s1, s17, 0
	s_add_u32 s0, s0, 0xc4
	s_addc_u32 s1, s1, 0
	;; [unrolled: 2-line block ×3, first 2 shown]
	.p2align	6
.LBB65_40:                              ; =>This Inner Loop Header: Depth=1
	s_clause 0x1
	s_load_dwordx2 s[8:9], s[2:3], 0x4
	s_load_dword s5, s[2:3], 0xc
	s_load_dwordx2 s[10:11], s[0:1], 0x0
	s_add_u32 s2, s2, 12
	s_addc_u32 s3, s3, 0
	s_add_u32 s0, s0, 8
	s_addc_u32 s1, s1, 0
	s_add_i32 s6, s6, -1
	s_cmp_lg_u32 s6, 0
	s_waitcnt lgkmcnt(0)
	v_mul_hi_u32 v4, s9, v2
	v_add_nc_u32_e32 v4, v2, v4
	v_lshrrev_b32_e32 v4, s5, v4
	v_mul_lo_u32 v5, v4, s8
	v_sub_nc_u32_e32 v5, v2, v5
	v_mad_u64_u32 v[1:2], null, v5, s10, v[1:2]
	v_mad_u64_u32 v[10:11], null, v5, s11, v[10:11]
	v_mov_b32_e32 v2, v4
	s_cbranch_scc1 .LBB65_40
.LBB65_41:
	s_andn2_b32 vcc_lo, exec_lo, s4
	s_cbranch_vccnz .LBB65_44
; %bb.42:
	s_clause 0x1
	s_load_dwordx4 s[0:3], s[16:17], 0x4
	s_load_dwordx2 s[4:5], s[16:17], 0xc4
	s_cmp_lt_u32 s22, 2
	s_waitcnt lgkmcnt(0)
	v_mul_hi_u32 v1, s1, v3
	v_add_nc_u32_e32 v1, v3, v1
	v_lshrrev_b32_e32 v2, s2, v1
	v_mul_lo_u32 v1, v2, s0
	v_sub_nc_u32_e32 v3, v3, v1
	v_mul_lo_u32 v1, v3, s4
	v_mul_lo_u32 v10, v3, s5
	s_cbranch_scc1 .LBB65_44
; %bb.43:
	s_clause 0x1
	s_load_dwordx4 s[0:3], s[16:17], 0x10
	s_load_dwordx2 s[4:5], s[16:17], 0xcc
	s_waitcnt lgkmcnt(0)
	v_mul_hi_u32 v3, s1, v2
	v_add_nc_u32_e32 v3, v2, v3
	v_lshrrev_b32_e32 v3, s2, v3
	v_mul_lo_u32 v3, v3, s0
	v_sub_nc_u32_e32 v3, v2, v3
	v_mad_u64_u32 v[1:2], null, v3, s4, v[1:2]
	v_mad_u64_u32 v[10:11], null, v3, s5, v[10:11]
.LBB65_44:
	v_cmp_ne_u32_e32 vcc_lo, 1, v8
	v_add_nc_u32_e32 v4, 0x100, v7
	s_cbranch_vccnz .LBB65_50
; %bb.45:
	s_cmp_lg_u32 s22, 0
	s_mov_b32 s4, 0
	s_cbranch_scc0 .LBB65_51
; %bb.46:
	s_min_u32 s6, s23, 15
	s_add_i32 s6, s6, 1
	s_cmp_eq_u32 s23, 2
	s_cbranch_scc1 .LBB65_52
; %bb.47:
	v_mov_b32_e32 v11, 0
	v_mov_b32_e32 v2, 0
	v_mov_b32_e32 v3, v4
	s_and_b32 s5, s6, 28
	s_add_u32 s0, s16, 0xc4
	s_addc_u32 s1, s17, 0
	s_mov_b32 s7, 0
	s_mov_b64 s[2:3], s[16:17]
.LBB65_48:                              ; =>This Inner Loop Header: Depth=1
	s_clause 0x1
	s_load_dwordx8 s[8:15], s[2:3], 0x4
	s_load_dwordx4 s[36:39], s[2:3], 0x24
	s_load_dwordx8 s[24:31], s[0:1], 0x0
	s_add_u32 s2, s2, 48
	s_addc_u32 s3, s3, 0
	s_add_i32 s7, s7, 4
	s_add_u32 s0, s0, 32
	s_addc_u32 s1, s1, 0
	s_cmp_lg_u32 s5, s7
	s_waitcnt lgkmcnt(0)
	v_mul_hi_u32 v5, s9, v3
	v_add_nc_u32_e32 v5, v3, v5
	v_lshrrev_b32_e32 v5, s10, v5
	v_mul_hi_u32 v6, s12, v5
	v_mul_lo_u32 v13, v5, s8
	v_add_nc_u32_e32 v6, v5, v6
	v_sub_nc_u32_e32 v3, v3, v13
	v_lshrrev_b32_e32 v6, s13, v6
	v_mul_lo_u32 v13, v3, s24
	v_mul_lo_u32 v15, v3, s25
	v_mul_hi_u32 v12, s15, v6
	v_add_nc_u32_e32 v12, v6, v12
	v_lshrrev_b32_e32 v12, s36, v12
	v_mul_hi_u32 v14, s38, v12
	v_mul_lo_u32 v16, v12, s14
	v_add_nc_u32_e32 v3, v12, v14
	v_mul_lo_u32 v14, v6, s11
	v_sub_nc_u32_e32 v6, v6, v16
	v_lshrrev_b32_e32 v3, s39, v3
	v_mul_lo_u32 v16, v6, s28
	v_mul_lo_u32 v6, v6, s29
	v_sub_nc_u32_e32 v5, v5, v14
	v_mul_lo_u32 v17, v3, s37
	v_mul_lo_u32 v14, v5, s26
	;; [unrolled: 1-line block ×3, first 2 shown]
	v_sub_nc_u32_e32 v12, v12, v17
	v_add3_u32 v2, v13, v2, v14
	v_mul_lo_u32 v17, v12, s30
	v_mul_lo_u32 v12, v12, s31
	v_add3_u32 v5, v15, v11, v5
	v_add3_u32 v2, v16, v2, v17
	v_add3_u32 v11, v6, v5, v12
	s_cbranch_scc1 .LBB65_48
; %bb.49:
	s_and_b32 s6, s6, 3
	s_cmp_eq_u32 s6, 0
	s_cbranch_scc0 .LBB65_53
	s_branch .LBB65_55
.LBB65_50:
	s_mov_b32 s4, -1
                                        ; implicit-def: $vgpr2
                                        ; implicit-def: $vgpr11
	s_branch .LBB65_55
.LBB65_51:
	v_mov_b32_e32 v2, 0
	v_mov_b32_e32 v11, 0
	s_branch .LBB65_55
.LBB65_52:
	v_mov_b32_e32 v2, 0
	v_mov_b32_e32 v11, 0
	;; [unrolled: 1-line block ×3, first 2 shown]
	s_mov_b32 s5, 0
	s_and_b32 s6, s6, 3
	s_cmp_eq_u32 s6, 0
	s_cbranch_scc1 .LBB65_55
.LBB65_53:
	s_lshl_b32 s0, s5, 3
	s_mul_i32 s2, s5, 12
	s_add_u32 s0, s16, s0
	s_addc_u32 s1, s17, 0
	s_add_u32 s0, s0, 0xc4
	s_addc_u32 s1, s1, 0
	;; [unrolled: 2-line block ×3, first 2 shown]
	.p2align	6
.LBB65_54:                              ; =>This Inner Loop Header: Depth=1
	s_clause 0x1
	s_load_dwordx2 s[8:9], s[2:3], 0x4
	s_load_dword s5, s[2:3], 0xc
	s_load_dwordx2 s[10:11], s[0:1], 0x0
	s_add_u32 s2, s2, 12
	s_addc_u32 s3, s3, 0
	s_add_u32 s0, s0, 8
	s_addc_u32 s1, s1, 0
	s_add_i32 s6, s6, -1
	s_cmp_lg_u32 s6, 0
	s_waitcnt lgkmcnt(0)
	v_mul_hi_u32 v5, s9, v3
	v_add_nc_u32_e32 v5, v3, v5
	v_lshrrev_b32_e32 v5, s5, v5
	v_mul_lo_u32 v6, v5, s8
	v_sub_nc_u32_e32 v6, v3, v6
	v_mad_u64_u32 v[2:3], null, v6, s10, v[2:3]
	v_mad_u64_u32 v[11:12], null, v6, s11, v[11:12]
	v_mov_b32_e32 v3, v5
	s_cbranch_scc1 .LBB65_54
.LBB65_55:
	s_andn2_b32 vcc_lo, exec_lo, s4
	s_cbranch_vccnz .LBB65_58
; %bb.56:
	s_clause 0x1
	s_load_dwordx4 s[0:3], s[16:17], 0x4
	s_load_dwordx2 s[4:5], s[16:17], 0xc4
	s_cmp_lt_u32 s22, 2
	s_waitcnt lgkmcnt(0)
	v_mul_hi_u32 v2, s1, v4
	v_add_nc_u32_e32 v2, v4, v2
	v_lshrrev_b32_e32 v3, s2, v2
	v_mul_lo_u32 v2, v3, s0
	v_sub_nc_u32_e32 v4, v4, v2
	v_mul_lo_u32 v2, v4, s4
	v_mul_lo_u32 v11, v4, s5
	s_cbranch_scc1 .LBB65_58
; %bb.57:
	s_clause 0x1
	s_load_dwordx4 s[0:3], s[16:17], 0x10
	s_load_dwordx2 s[4:5], s[16:17], 0xcc
	s_waitcnt lgkmcnt(0)
	v_mul_hi_u32 v4, s1, v3
	v_add_nc_u32_e32 v4, v3, v4
	v_lshrrev_b32_e32 v4, s2, v4
	v_mul_lo_u32 v4, v4, s0
	v_sub_nc_u32_e32 v4, v3, v4
	v_mad_u64_u32 v[2:3], null, v4, s4, v[2:3]
	v_mad_u64_u32 v[11:12], null, v4, s5, v[11:12]
.LBB65_58:
	v_cmp_ne_u32_e32 vcc_lo, 1, v8
	v_add_nc_u32_e32 v5, 0x180, v7
	s_cbranch_vccnz .LBB65_64
; %bb.59:
	s_cmp_lg_u32 s22, 0
	s_mov_b32 s4, 0
	s_cbranch_scc0 .LBB65_65
; %bb.60:
	s_min_u32 s6, s23, 15
	s_add_i32 s6, s6, 1
	s_cmp_eq_u32 s23, 2
	s_cbranch_scc1 .LBB65_66
; %bb.61:
	v_mov_b32_e32 v12, 0
	v_mov_b32_e32 v3, 0
	;; [unrolled: 1-line block ×3, first 2 shown]
	s_and_b32 s5, s6, 28
	s_add_u32 s0, s16, 0xc4
	s_addc_u32 s1, s17, 0
	s_mov_b32 s7, 0
	s_mov_b64 s[2:3], s[16:17]
.LBB65_62:                              ; =>This Inner Loop Header: Depth=1
	s_clause 0x1
	s_load_dwordx8 s[8:15], s[2:3], 0x4
	s_load_dwordx4 s[36:39], s[2:3], 0x24
	s_load_dwordx8 s[24:31], s[0:1], 0x0
	s_add_u32 s2, s2, 48
	s_addc_u32 s3, s3, 0
	s_add_i32 s7, s7, 4
	s_add_u32 s0, s0, 32
	s_addc_u32 s1, s1, 0
	s_cmp_lg_u32 s5, s7
	s_waitcnt lgkmcnt(0)
	v_mul_hi_u32 v6, s9, v4
	v_add_nc_u32_e32 v6, v4, v6
	v_lshrrev_b32_e32 v6, s10, v6
	v_mul_hi_u32 v13, s12, v6
	v_mul_lo_u32 v15, v6, s8
	v_add_nc_u32_e32 v13, v6, v13
	v_sub_nc_u32_e32 v4, v4, v15
	v_lshrrev_b32_e32 v13, s13, v13
	v_mul_lo_u32 v15, v4, s24
	v_mul_lo_u32 v17, v4, s25
	v_mul_hi_u32 v14, s15, v13
	v_add_nc_u32_e32 v14, v13, v14
	v_lshrrev_b32_e32 v14, s36, v14
	v_mul_hi_u32 v16, s38, v14
	v_mul_lo_u32 v19, v14, s14
	v_add_nc_u32_e32 v4, v14, v16
	v_mul_lo_u32 v16, v13, s11
	v_sub_nc_u32_e32 v13, v13, v19
	v_lshrrev_b32_e32 v4, s39, v4
	v_mul_lo_u32 v19, v13, s28
	v_mul_lo_u32 v13, v13, s29
	v_sub_nc_u32_e32 v6, v6, v16
	v_mul_lo_u32 v20, v4, s37
	v_mul_lo_u32 v16, v6, s26
	;; [unrolled: 1-line block ×3, first 2 shown]
	v_sub_nc_u32_e32 v14, v14, v20
	v_add3_u32 v3, v15, v3, v16
	v_mul_lo_u32 v20, v14, s30
	v_mul_lo_u32 v14, v14, s31
	v_add3_u32 v6, v17, v12, v6
	v_add3_u32 v3, v19, v3, v20
	;; [unrolled: 1-line block ×3, first 2 shown]
	s_cbranch_scc1 .LBB65_62
; %bb.63:
	s_and_b32 s6, s6, 3
	s_cmp_eq_u32 s6, 0
	s_cbranch_scc0 .LBB65_67
	s_branch .LBB65_69
.LBB65_64:
	s_mov_b32 s4, -1
                                        ; implicit-def: $vgpr3
                                        ; implicit-def: $vgpr12
	s_branch .LBB65_69
.LBB65_65:
	v_mov_b32_e32 v3, 0
	v_mov_b32_e32 v12, 0
	s_branch .LBB65_69
.LBB65_66:
	v_mov_b32_e32 v3, 0
	v_mov_b32_e32 v12, 0
	;; [unrolled: 1-line block ×3, first 2 shown]
	s_mov_b32 s5, 0
	s_and_b32 s6, s6, 3
	s_cmp_eq_u32 s6, 0
	s_cbranch_scc1 .LBB65_69
.LBB65_67:
	s_lshl_b32 s0, s5, 3
	s_mul_i32 s2, s5, 12
	s_add_u32 s0, s16, s0
	s_addc_u32 s1, s17, 0
	s_add_u32 s0, s0, 0xc4
	s_addc_u32 s1, s1, 0
	;; [unrolled: 2-line block ×3, first 2 shown]
	.p2align	6
.LBB65_68:                              ; =>This Inner Loop Header: Depth=1
	s_clause 0x1
	s_load_dwordx2 s[8:9], s[2:3], 0x4
	s_load_dword s5, s[2:3], 0xc
	s_load_dwordx2 s[10:11], s[0:1], 0x0
	s_add_u32 s2, s2, 12
	s_addc_u32 s3, s3, 0
	s_add_u32 s0, s0, 8
	s_addc_u32 s1, s1, 0
	s_add_i32 s6, s6, -1
	s_cmp_lg_u32 s6, 0
	s_waitcnt lgkmcnt(0)
	v_mul_hi_u32 v6, s9, v4
	v_add_nc_u32_e32 v6, v4, v6
	v_lshrrev_b32_e32 v6, s5, v6
	v_mul_lo_u32 v13, v6, s8
	v_sub_nc_u32_e32 v13, v4, v13
	v_mad_u64_u32 v[3:4], null, v13, s10, v[3:4]
	v_mad_u64_u32 v[12:13], null, v13, s11, v[12:13]
	v_mov_b32_e32 v4, v6
	s_cbranch_scc1 .LBB65_68
.LBB65_69:
	s_andn2_b32 vcc_lo, exec_lo, s4
	s_cbranch_vccnz .LBB65_72
; %bb.70:
	s_clause 0x1
	s_load_dwordx4 s[0:3], s[16:17], 0x4
	s_load_dwordx2 s[4:5], s[16:17], 0xc4
	s_cmp_lt_u32 s22, 2
	s_waitcnt lgkmcnt(0)
	v_mul_hi_u32 v3, s1, v5
	v_add_nc_u32_e32 v3, v5, v3
	v_lshrrev_b32_e32 v4, s2, v3
	v_mul_lo_u32 v3, v4, s0
	v_sub_nc_u32_e32 v5, v5, v3
	v_mul_lo_u32 v3, v5, s4
	v_mul_lo_u32 v12, v5, s5
	s_cbranch_scc1 .LBB65_72
; %bb.71:
	s_clause 0x1
	s_load_dwordx4 s[0:3], s[16:17], 0x10
	s_load_dwordx2 s[4:5], s[16:17], 0xcc
	s_waitcnt lgkmcnt(0)
	v_mul_hi_u32 v5, s1, v4
	v_add_nc_u32_e32 v5, v4, v5
	v_lshrrev_b32_e32 v5, s2, v5
	v_mul_lo_u32 v5, v5, s0
	v_sub_nc_u32_e32 v5, v4, v5
	v_mad_u64_u32 v[3:4], null, v5, s4, v[3:4]
	v_mad_u64_u32 v[12:13], null, v5, s5, v[12:13]
.LBB65_72:
	v_cmp_ne_u32_e32 vcc_lo, 1, v8
	v_add_nc_u32_e32 v6, 0x200, v7
	s_cbranch_vccnz .LBB65_78
; %bb.73:
	s_cmp_lg_u32 s22, 0
	s_mov_b32 s4, 0
	s_cbranch_scc0 .LBB65_79
; %bb.74:
	s_min_u32 s6, s23, 15
	s_add_i32 s6, s6, 1
	s_cmp_eq_u32 s23, 2
	s_cbranch_scc1 .LBB65_80
; %bb.75:
	v_mov_b32_e32 v13, 0
	v_mov_b32_e32 v4, 0
	;; [unrolled: 1-line block ×3, first 2 shown]
	s_and_b32 s5, s6, 28
	s_add_u32 s0, s16, 0xc4
	s_addc_u32 s1, s17, 0
	s_mov_b32 s7, 0
	s_mov_b64 s[2:3], s[16:17]
.LBB65_76:                              ; =>This Inner Loop Header: Depth=1
	s_clause 0x1
	s_load_dwordx8 s[8:15], s[2:3], 0x4
	s_load_dwordx4 s[36:39], s[2:3], 0x24
	s_load_dwordx8 s[24:31], s[0:1], 0x0
	s_add_u32 s2, s2, 48
	s_addc_u32 s3, s3, 0
	s_add_i32 s7, s7, 4
	s_add_u32 s0, s0, 32
	s_addc_u32 s1, s1, 0
	s_cmp_lg_u32 s5, s7
	s_waitcnt lgkmcnt(0)
	v_mul_hi_u32 v14, s9, v5
	v_add_nc_u32_e32 v14, v5, v14
	v_lshrrev_b32_e32 v14, s10, v14
	v_mul_hi_u32 v15, s12, v14
	v_mul_lo_u32 v17, v14, s8
	v_add_nc_u32_e32 v15, v14, v15
	v_sub_nc_u32_e32 v5, v5, v17
	v_lshrrev_b32_e32 v15, s13, v15
	v_mul_lo_u32 v17, v5, s24
	v_mul_lo_u32 v20, v5, s25
	v_mul_hi_u32 v16, s15, v15
	v_add_nc_u32_e32 v16, v15, v16
	v_lshrrev_b32_e32 v16, s36, v16
	v_mul_hi_u32 v19, s38, v16
	v_mul_lo_u32 v21, v16, s14
	v_add_nc_u32_e32 v5, v16, v19
	v_mul_lo_u32 v19, v15, s11
	v_sub_nc_u32_e32 v15, v15, v21
	v_lshrrev_b32_e32 v5, s39, v5
	v_mul_lo_u32 v21, v15, s28
	v_mul_lo_u32 v15, v15, s29
	v_sub_nc_u32_e32 v14, v14, v19
	v_mul_lo_u32 v22, v5, s37
	v_mul_lo_u32 v19, v14, s26
	;; [unrolled: 1-line block ×3, first 2 shown]
	v_sub_nc_u32_e32 v16, v16, v22
	v_add3_u32 v4, v17, v4, v19
	v_mul_lo_u32 v22, v16, s30
	v_mul_lo_u32 v16, v16, s31
	v_add3_u32 v13, v20, v13, v14
	v_add3_u32 v4, v21, v4, v22
	;; [unrolled: 1-line block ×3, first 2 shown]
	s_cbranch_scc1 .LBB65_76
; %bb.77:
	s_and_b32 s6, s6, 3
	s_cmp_eq_u32 s6, 0
	s_cbranch_scc0 .LBB65_81
	s_branch .LBB65_83
.LBB65_78:
	s_mov_b32 s4, -1
                                        ; implicit-def: $vgpr4
                                        ; implicit-def: $vgpr13
	s_branch .LBB65_83
.LBB65_79:
	v_mov_b32_e32 v4, 0
	v_mov_b32_e32 v13, 0
	s_branch .LBB65_83
.LBB65_80:
	v_mov_b32_e32 v4, 0
	v_mov_b32_e32 v13, 0
	;; [unrolled: 1-line block ×3, first 2 shown]
	s_mov_b32 s5, 0
	s_and_b32 s6, s6, 3
	s_cmp_eq_u32 s6, 0
	s_cbranch_scc1 .LBB65_83
.LBB65_81:
	s_lshl_b32 s0, s5, 3
	s_mul_i32 s2, s5, 12
	s_add_u32 s0, s16, s0
	s_addc_u32 s1, s17, 0
	s_add_u32 s0, s0, 0xc4
	s_addc_u32 s1, s1, 0
	;; [unrolled: 2-line block ×3, first 2 shown]
	.p2align	6
.LBB65_82:                              ; =>This Inner Loop Header: Depth=1
	s_clause 0x1
	s_load_dwordx2 s[8:9], s[2:3], 0x4
	s_load_dword s5, s[2:3], 0xc
	s_load_dwordx2 s[10:11], s[0:1], 0x0
	s_add_u32 s2, s2, 12
	s_addc_u32 s3, s3, 0
	s_add_u32 s0, s0, 8
	s_addc_u32 s1, s1, 0
	s_add_i32 s6, s6, -1
	s_cmp_lg_u32 s6, 0
	s_waitcnt lgkmcnt(0)
	v_mul_hi_u32 v14, s9, v5
	v_add_nc_u32_e32 v14, v5, v14
	v_lshrrev_b32_e32 v15, s5, v14
	v_mul_lo_u32 v14, v15, s8
	v_sub_nc_u32_e32 v14, v5, v14
	v_mad_u64_u32 v[4:5], null, v14, s10, v[4:5]
	v_mad_u64_u32 v[13:14], null, v14, s11, v[13:14]
	v_mov_b32_e32 v5, v15
	s_cbranch_scc1 .LBB65_82
.LBB65_83:
	s_andn2_b32 vcc_lo, exec_lo, s4
	s_cbranch_vccnz .LBB65_86
; %bb.84:
	s_clause 0x1
	s_load_dwordx4 s[0:3], s[16:17], 0x4
	s_load_dwordx2 s[4:5], s[16:17], 0xc4
	s_cmp_lt_u32 s22, 2
	s_waitcnt lgkmcnt(0)
	v_mul_hi_u32 v4, s1, v6
	v_add_nc_u32_e32 v4, v6, v4
	v_lshrrev_b32_e32 v5, s2, v4
	v_mul_lo_u32 v4, v5, s0
	v_sub_nc_u32_e32 v6, v6, v4
	v_mul_lo_u32 v4, v6, s4
	v_mul_lo_u32 v13, v6, s5
	s_cbranch_scc1 .LBB65_86
; %bb.85:
	s_clause 0x1
	s_load_dwordx4 s[0:3], s[16:17], 0x10
	s_load_dwordx2 s[4:5], s[16:17], 0xcc
	s_waitcnt lgkmcnt(0)
	v_mul_hi_u32 v6, s1, v5
	v_add_nc_u32_e32 v6, v5, v6
	v_lshrrev_b32_e32 v6, s2, v6
	v_mul_lo_u32 v6, v6, s0
	v_sub_nc_u32_e32 v6, v5, v6
	v_mad_u64_u32 v[4:5], null, v6, s4, v[4:5]
	v_mad_u64_u32 v[13:14], null, v6, s5, v[13:14]
.LBB65_86:
	v_cmp_ne_u32_e32 vcc_lo, 1, v8
	v_add_nc_u32_e32 v16, 0x280, v7
	s_cbranch_vccnz .LBB65_92
; %bb.87:
	s_cmp_lg_u32 s22, 0
	s_mov_b32 s4, 0
	s_cbranch_scc0 .LBB65_93
; %bb.88:
	s_min_u32 s6, s23, 15
	s_add_i32 s6, s6, 1
	s_cmp_eq_u32 s23, 2
	s_cbranch_scc1 .LBB65_94
; %bb.89:
	v_mov_b32_e32 v14, 0
	v_mov_b32_e32 v5, 0
	;; [unrolled: 1-line block ×3, first 2 shown]
	s_and_b32 s5, s6, 28
	s_add_u32 s0, s16, 0xc4
	s_addc_u32 s1, s17, 0
	s_mov_b32 s7, 0
	s_mov_b64 s[2:3], s[16:17]
.LBB65_90:                              ; =>This Inner Loop Header: Depth=1
	s_clause 0x1
	s_load_dwordx8 s[8:15], s[2:3], 0x4
	s_load_dwordx4 s[36:39], s[2:3], 0x24
	s_load_dwordx8 s[24:31], s[0:1], 0x0
	s_add_u32 s2, s2, 48
	s_addc_u32 s3, s3, 0
	s_add_i32 s7, s7, 4
	s_add_u32 s0, s0, 32
	s_addc_u32 s1, s1, 0
	s_cmp_lg_u32 s5, s7
	s_waitcnt lgkmcnt(0)
	v_mul_hi_u32 v15, s9, v6
	v_add_nc_u32_e32 v15, v6, v15
	v_lshrrev_b32_e32 v15, s10, v15
	v_mul_hi_u32 v17, s12, v15
	v_mul_lo_u32 v20, v15, s8
	v_add_nc_u32_e32 v17, v15, v17
	v_sub_nc_u32_e32 v6, v6, v20
	v_lshrrev_b32_e32 v17, s13, v17
	v_mul_lo_u32 v20, v6, s24
	v_mul_lo_u32 v22, v6, s25
	v_mul_hi_u32 v19, s15, v17
	v_add_nc_u32_e32 v19, v17, v19
	v_lshrrev_b32_e32 v19, s36, v19
	v_mul_hi_u32 v21, s38, v19
	v_mul_lo_u32 v23, v19, s14
	v_add_nc_u32_e32 v6, v19, v21
	v_mul_lo_u32 v21, v17, s11
	v_sub_nc_u32_e32 v17, v17, v23
	v_lshrrev_b32_e32 v6, s39, v6
	v_mul_lo_u32 v23, v17, s28
	v_mul_lo_u32 v17, v17, s29
	v_sub_nc_u32_e32 v15, v15, v21
	v_mul_lo_u32 v24, v6, s37
	v_mul_lo_u32 v21, v15, s26
	;; [unrolled: 1-line block ×3, first 2 shown]
	v_sub_nc_u32_e32 v19, v19, v24
	v_add3_u32 v5, v20, v5, v21
	v_mul_lo_u32 v24, v19, s30
	v_mul_lo_u32 v19, v19, s31
	v_add3_u32 v14, v22, v14, v15
	v_add3_u32 v5, v23, v5, v24
	;; [unrolled: 1-line block ×3, first 2 shown]
	s_cbranch_scc1 .LBB65_90
; %bb.91:
	s_and_b32 s6, s6, 3
	s_cmp_eq_u32 s6, 0
	s_cbranch_scc0 .LBB65_95
	s_branch .LBB65_97
.LBB65_92:
	s_mov_b32 s4, -1
                                        ; implicit-def: $vgpr5
                                        ; implicit-def: $vgpr14
	s_branch .LBB65_97
.LBB65_93:
	v_mov_b32_e32 v5, 0
	v_mov_b32_e32 v14, 0
	s_branch .LBB65_97
.LBB65_94:
	v_mov_b32_e32 v5, 0
	v_mov_b32_e32 v14, 0
	;; [unrolled: 1-line block ×3, first 2 shown]
	s_mov_b32 s5, 0
	s_and_b32 s6, s6, 3
	s_cmp_eq_u32 s6, 0
	s_cbranch_scc1 .LBB65_97
.LBB65_95:
	s_lshl_b32 s0, s5, 3
	s_mul_i32 s2, s5, 12
	s_add_u32 s0, s16, s0
	s_addc_u32 s1, s17, 0
	s_add_u32 s0, s0, 0xc4
	s_addc_u32 s1, s1, 0
	;; [unrolled: 2-line block ×3, first 2 shown]
	.p2align	6
.LBB65_96:                              ; =>This Inner Loop Header: Depth=1
	s_clause 0x1
	s_load_dwordx2 s[8:9], s[2:3], 0x4
	s_load_dword s5, s[2:3], 0xc
	s_load_dwordx2 s[10:11], s[0:1], 0x0
	s_add_u32 s2, s2, 12
	s_addc_u32 s3, s3, 0
	s_add_u32 s0, s0, 8
	s_addc_u32 s1, s1, 0
	s_add_i32 s6, s6, -1
	s_cmp_lg_u32 s6, 0
	s_waitcnt lgkmcnt(0)
	v_mul_hi_u32 v15, s9, v6
	v_add_nc_u32_e32 v15, v6, v15
	v_lshrrev_b32_e32 v17, s5, v15
	v_mul_lo_u32 v15, v17, s8
	v_sub_nc_u32_e32 v15, v6, v15
	v_mad_u64_u32 v[5:6], null, v15, s10, v[5:6]
	v_mad_u64_u32 v[14:15], null, v15, s11, v[14:15]
	v_mov_b32_e32 v6, v17
	s_cbranch_scc1 .LBB65_96
.LBB65_97:
	s_andn2_b32 vcc_lo, exec_lo, s4
	s_cbranch_vccnz .LBB65_100
; %bb.98:
	s_clause 0x1
	s_load_dwordx4 s[0:3], s[16:17], 0x4
	s_load_dwordx2 s[4:5], s[16:17], 0xc4
	s_cmp_lt_u32 s22, 2
	s_waitcnt lgkmcnt(0)
	v_mul_hi_u32 v5, s1, v16
	v_add_nc_u32_e32 v5, v16, v5
	v_lshrrev_b32_e32 v6, s2, v5
	v_mul_lo_u32 v5, v6, s0
	v_sub_nc_u32_e32 v14, v16, v5
	v_mul_lo_u32 v5, v14, s4
	v_mul_lo_u32 v14, v14, s5
	s_cbranch_scc1 .LBB65_100
; %bb.99:
	s_clause 0x1
	s_load_dwordx4 s[0:3], s[16:17], 0x10
	s_load_dwordx2 s[4:5], s[16:17], 0xcc
	s_waitcnt lgkmcnt(0)
	v_mul_hi_u32 v15, s1, v6
	v_add_nc_u32_e32 v15, v6, v15
	v_lshrrev_b32_e32 v15, s2, v15
	v_mul_lo_u32 v15, v15, s0
	v_sub_nc_u32_e32 v15, v6, v15
	v_mad_u64_u32 v[5:6], null, v15, s4, v[5:6]
	v_mad_u64_u32 v[14:15], null, v15, s5, v[14:15]
.LBB65_100:
	v_cmp_ne_u32_e32 vcc_lo, 1, v8
	v_add_nc_u32_e32 v17, 0x300, v7
	s_cbranch_vccnz .LBB65_106
; %bb.101:
	s_cmp_lg_u32 s22, 0
	s_mov_b32 s4, 0
	s_cbranch_scc0 .LBB65_107
; %bb.102:
	s_min_u32 s6, s23, 15
	s_add_i32 s6, s6, 1
	s_cmp_eq_u32 s23, 2
	s_cbranch_scc1 .LBB65_108
; %bb.103:
	v_mov_b32_e32 v15, 0
	v_mov_b32_e32 v6, 0
	;; [unrolled: 1-line block ×3, first 2 shown]
	s_and_b32 s5, s6, 28
	s_add_u32 s0, s16, 0xc4
	s_addc_u32 s1, s17, 0
	s_mov_b32 s7, 0
	s_mov_b64 s[2:3], s[16:17]
.LBB65_104:                             ; =>This Inner Loop Header: Depth=1
	s_clause 0x1
	s_load_dwordx8 s[8:15], s[2:3], 0x4
	s_load_dwordx4 s[36:39], s[2:3], 0x24
	s_load_dwordx8 s[24:31], s[0:1], 0x0
	s_add_u32 s2, s2, 48
	s_addc_u32 s3, s3, 0
	s_add_i32 s7, s7, 4
	s_add_u32 s0, s0, 32
	s_addc_u32 s1, s1, 0
	s_cmp_lg_u32 s5, s7
	s_waitcnt lgkmcnt(0)
	v_mul_hi_u32 v16, s9, v7
	v_add_nc_u32_e32 v16, v7, v16
	v_lshrrev_b32_e32 v16, s10, v16
	v_mul_hi_u32 v19, s12, v16
	v_mul_lo_u32 v21, v16, s8
	v_add_nc_u32_e32 v19, v16, v19
	v_sub_nc_u32_e32 v7, v7, v21
	v_lshrrev_b32_e32 v19, s13, v19
	v_mul_lo_u32 v21, v7, s24
	v_mul_lo_u32 v23, v7, s25
	v_mul_hi_u32 v20, s15, v19
	v_add_nc_u32_e32 v20, v19, v20
	v_lshrrev_b32_e32 v20, s36, v20
	v_mul_hi_u32 v22, s38, v20
	v_mul_lo_u32 v24, v20, s14
	v_add_nc_u32_e32 v7, v20, v22
	v_mul_lo_u32 v22, v19, s11
	v_sub_nc_u32_e32 v19, v19, v24
	v_lshrrev_b32_e32 v7, s39, v7
	v_mul_lo_u32 v24, v19, s28
	v_mul_lo_u32 v19, v19, s29
	v_sub_nc_u32_e32 v16, v16, v22
	v_mul_lo_u32 v25, v7, s37
	v_mul_lo_u32 v22, v16, s26
	;; [unrolled: 1-line block ×3, first 2 shown]
	v_sub_nc_u32_e32 v20, v20, v25
	v_add3_u32 v6, v21, v6, v22
	v_mul_lo_u32 v25, v20, s30
	v_mul_lo_u32 v20, v20, s31
	v_add3_u32 v15, v23, v15, v16
	v_add3_u32 v6, v24, v6, v25
	;; [unrolled: 1-line block ×3, first 2 shown]
	s_cbranch_scc1 .LBB65_104
; %bb.105:
	s_and_b32 s6, s6, 3
	s_cmp_eq_u32 s6, 0
	s_cbranch_scc0 .LBB65_109
	s_branch .LBB65_111
.LBB65_106:
	s_mov_b32 s4, -1
                                        ; implicit-def: $vgpr6
                                        ; implicit-def: $vgpr15
	s_branch .LBB65_111
.LBB65_107:
	v_mov_b32_e32 v6, 0
	v_mov_b32_e32 v15, 0
	s_branch .LBB65_111
.LBB65_108:
	v_mov_b32_e32 v6, 0
	v_mov_b32_e32 v15, 0
	;; [unrolled: 1-line block ×3, first 2 shown]
	s_mov_b32 s5, 0
	s_and_b32 s6, s6, 3
	s_cmp_eq_u32 s6, 0
	s_cbranch_scc1 .LBB65_111
.LBB65_109:
	s_lshl_b32 s0, s5, 3
	s_mul_i32 s2, s5, 12
	s_add_u32 s0, s16, s0
	s_addc_u32 s1, s17, 0
	s_add_u32 s0, s0, 0xc4
	s_addc_u32 s1, s1, 0
	;; [unrolled: 2-line block ×3, first 2 shown]
	.p2align	6
.LBB65_110:                             ; =>This Inner Loop Header: Depth=1
	s_clause 0x1
	s_load_dwordx2 s[8:9], s[2:3], 0x4
	s_load_dword s5, s[2:3], 0xc
	s_load_dwordx2 s[10:11], s[0:1], 0x0
	s_add_u32 s2, s2, 12
	s_addc_u32 s3, s3, 0
	s_add_u32 s0, s0, 8
	s_addc_u32 s1, s1, 0
	s_add_i32 s6, s6, -1
	s_cmp_lg_u32 s6, 0
	s_waitcnt lgkmcnt(0)
	v_mul_hi_u32 v16, s9, v7
	v_add_nc_u32_e32 v16, v7, v16
	v_lshrrev_b32_e32 v19, s5, v16
	v_mul_lo_u32 v16, v19, s8
	v_sub_nc_u32_e32 v16, v7, v16
	v_mad_u64_u32 v[6:7], null, v16, s10, v[6:7]
	v_mad_u64_u32 v[15:16], null, v16, s11, v[15:16]
	v_mov_b32_e32 v7, v19
	s_cbranch_scc1 .LBB65_110
.LBB65_111:
	s_andn2_b32 vcc_lo, exec_lo, s4
	s_cbranch_vccnz .LBB65_114
; %bb.112:
	s_clause 0x1
	s_load_dwordx4 s[0:3], s[16:17], 0x4
	s_load_dwordx2 s[4:5], s[16:17], 0xc4
	s_cmp_lt_u32 s22, 2
	s_waitcnt lgkmcnt(0)
	v_mul_hi_u32 v6, s1, v17
	v_add_nc_u32_e32 v6, v17, v6
	v_lshrrev_b32_e32 v7, s2, v6
	v_mul_lo_u32 v6, v7, s0
	v_sub_nc_u32_e32 v15, v17, v6
	v_mul_lo_u32 v6, v15, s4
	v_mul_lo_u32 v15, v15, s5
	s_cbranch_scc1 .LBB65_114
; %bb.113:
	s_clause 0x1
	s_load_dwordx4 s[0:3], s[16:17], 0x10
	s_load_dwordx2 s[4:5], s[16:17], 0xcc
	s_waitcnt lgkmcnt(0)
	v_mul_hi_u32 v16, s1, v7
	v_add_nc_u32_e32 v16, v7, v16
	v_lshrrev_b32_e32 v16, s2, v16
	v_mul_lo_u32 v16, v16, s0
	v_sub_nc_u32_e32 v16, v7, v16
	v_mad_u64_u32 v[6:7], null, v16, s4, v[6:7]
	v_mad_u64_u32 v[15:16], null, v16, s5, v[15:16]
.LBB65_114:
	v_cmp_ne_u32_e32 vcc_lo, 1, v8
	s_cbranch_vccnz .LBB65_120
; %bb.115:
	s_cmp_lg_u32 s22, 0
	s_mov_b32 s4, 0
	s_cbranch_scc0 .LBB65_121
; %bb.116:
	s_min_u32 s6, s23, 15
	s_add_i32 s6, s6, 1
	s_cmp_eq_u32 s23, 2
	s_cbranch_scc1 .LBB65_122
; %bb.117:
	v_mov_b32_e32 v16, 0
	v_mov_b32_e32 v7, 0
	;; [unrolled: 1-line block ×3, first 2 shown]
	s_and_b32 s5, s6, 28
	s_add_u32 s0, s16, 0xc4
	s_addc_u32 s1, s17, 0
	s_mov_b32 s7, 0
	s_mov_b64 s[2:3], s[16:17]
.LBB65_118:                             ; =>This Inner Loop Header: Depth=1
	s_clause 0x1
	s_load_dwordx8 s[8:15], s[2:3], 0x4
	s_load_dwordx4 s[36:39], s[2:3], 0x24
	s_load_dwordx8 s[24:31], s[0:1], 0x0
	s_add_u32 s2, s2, 48
	s_addc_u32 s3, s3, 0
	s_add_i32 s7, s7, 4
	s_add_u32 s0, s0, 32
	s_addc_u32 s1, s1, 0
	s_cmp_lg_u32 s5, s7
	s_waitcnt lgkmcnt(0)
	v_mul_hi_u32 v17, s9, v8
	v_add_nc_u32_e32 v17, v8, v17
	v_lshrrev_b32_e32 v17, s10, v17
	v_mul_hi_u32 v19, s12, v17
	v_mul_lo_u32 v21, v17, s8
	v_add_nc_u32_e32 v19, v17, v19
	v_sub_nc_u32_e32 v8, v8, v21
	v_lshrrev_b32_e32 v19, s13, v19
	v_mul_lo_u32 v21, v8, s24
	v_mul_lo_u32 v23, v8, s25
	v_mul_hi_u32 v20, s15, v19
	v_add_nc_u32_e32 v20, v19, v20
	v_lshrrev_b32_e32 v20, s36, v20
	v_mul_hi_u32 v22, s38, v20
	v_mul_lo_u32 v24, v20, s14
	v_add_nc_u32_e32 v8, v20, v22
	v_mul_lo_u32 v22, v19, s11
	v_sub_nc_u32_e32 v19, v19, v24
	v_lshrrev_b32_e32 v8, s39, v8
	v_mul_lo_u32 v24, v19, s28
	v_mul_lo_u32 v19, v19, s29
	v_sub_nc_u32_e32 v17, v17, v22
	v_mul_lo_u32 v25, v8, s37
	v_mul_lo_u32 v22, v17, s26
	;; [unrolled: 1-line block ×3, first 2 shown]
	v_sub_nc_u32_e32 v20, v20, v25
	v_add3_u32 v7, v21, v7, v22
	v_mul_lo_u32 v25, v20, s30
	v_mul_lo_u32 v20, v20, s31
	v_add3_u32 v16, v23, v16, v17
	v_add3_u32 v7, v24, v7, v25
	v_add3_u32 v16, v19, v16, v20
	s_cbranch_scc1 .LBB65_118
; %bb.119:
	s_and_b32 s6, s6, 3
	s_cmp_eq_u32 s6, 0
	s_cbranch_scc0 .LBB65_123
	s_branch .LBB65_125
.LBB65_120:
	s_mov_b32 s4, -1
                                        ; implicit-def: $vgpr7
                                        ; implicit-def: $vgpr16
	s_branch .LBB65_125
.LBB65_121:
	v_mov_b32_e32 v7, 0
	v_mov_b32_e32 v16, 0
	s_branch .LBB65_125
.LBB65_122:
	v_mov_b32_e32 v7, 0
	v_mov_b32_e32 v16, 0
	;; [unrolled: 1-line block ×3, first 2 shown]
	s_mov_b32 s5, 0
	s_and_b32 s6, s6, 3
	s_cmp_eq_u32 s6, 0
	s_cbranch_scc1 .LBB65_125
.LBB65_123:
	s_lshl_b32 s0, s5, 3
	s_mul_i32 s2, s5, 12
	s_add_u32 s0, s16, s0
	s_addc_u32 s1, s17, 0
	s_add_u32 s0, s0, 0xc4
	s_addc_u32 s1, s1, 0
	s_add_u32 s2, s16, s2
	s_addc_u32 s3, s17, 0
	.p2align	6
.LBB65_124:                             ; =>This Inner Loop Header: Depth=1
	s_clause 0x1
	s_load_dwordx2 s[8:9], s[2:3], 0x4
	s_load_dword s5, s[2:3], 0xc
	s_load_dwordx2 s[10:11], s[0:1], 0x0
	s_add_u32 s2, s2, 12
	s_addc_u32 s3, s3, 0
	s_add_u32 s0, s0, 8
	s_addc_u32 s1, s1, 0
	s_add_i32 s6, s6, -1
	s_cmp_lg_u32 s6, 0
	s_waitcnt lgkmcnt(0)
	v_mul_hi_u32 v17, s9, v8
	v_add_nc_u32_e32 v17, v8, v17
	v_lshrrev_b32_e32 v19, s5, v17
	v_mul_lo_u32 v17, v19, s8
	v_sub_nc_u32_e32 v17, v8, v17
	v_mad_u64_u32 v[7:8], null, v17, s10, v[7:8]
	v_mad_u64_u32 v[16:17], null, v17, s11, v[16:17]
	v_mov_b32_e32 v8, v19
	s_cbranch_scc1 .LBB65_124
.LBB65_125:
	s_andn2_b32 vcc_lo, exec_lo, s4
	s_cbranch_vccnz .LBB65_128
; %bb.126:
	s_clause 0x1
	s_load_dwordx4 s[0:3], s[16:17], 0x4
	s_load_dwordx2 s[4:5], s[16:17], 0xc4
	s_cmp_lt_u32 s22, 2
	s_waitcnt lgkmcnt(0)
	v_mul_hi_u32 v7, s1, v18
	v_add_nc_u32_e32 v7, v18, v7
	v_lshrrev_b32_e32 v8, s2, v7
	v_mul_lo_u32 v7, v8, s0
	v_sub_nc_u32_e32 v16, v18, v7
	v_mul_lo_u32 v7, v16, s4
	v_mul_lo_u32 v16, v16, s5
	s_cbranch_scc1 .LBB65_128
; %bb.127:
	s_clause 0x1
	s_load_dwordx4 s[0:3], s[16:17], 0x10
	s_load_dwordx2 s[4:5], s[16:17], 0xcc
	s_waitcnt lgkmcnt(0)
	v_mul_hi_u32 v17, s1, v8
	v_add_nc_u32_e32 v17, v8, v17
	v_lshrrev_b32_e32 v17, s2, v17
	v_mul_lo_u32 v17, v17, s0
	v_sub_nc_u32_e32 v17, v8, v17
	v_mad_u64_u32 v[7:8], null, v17, s4, v[7:8]
	v_mad_u64_u32 v[16:17], null, v17, s5, v[16:17]
.LBB65_128:
	s_load_dwordx4 s[8:11], s[16:17], 0x148
	s_waitcnt lgkmcnt(0)
	global_load_ushort v8, v9, s[10:11]
	v_mov_b32_e32 v9, 0
	s_waitcnt vmcnt(0)
	v_cvt_f32_f16_e32 v18, v8
	v_cmp_gt_f16_e32 vcc_lo, 0.5, v8
	v_mov_b32_e32 v8, 1.0
	s_and_saveexec_b32 s2, vcc_lo
	s_cbranch_execz .LBB65_134
; %bb.129:
	v_mul_f32_e32 v8, 0x40490fdb, v18
                                        ; implicit-def: $vgpr19
                                        ; implicit-def: $vgpr17
	s_mov_b32 s1, exec_lo
	v_and_b32_e32 v9, 0x7fffffff, v8
	v_cmpx_ngt_f32_e64 0x48000000, |v8|
	s_xor_b32 s3, exec_lo, s1
	s_cbranch_execz .LBB65_131
; %bb.130:
	s_mov_b32 s0, 0x7fffff
	v_mov_b32_e32 v21, 0
	v_and_or_b32 v17, v9, s0, 0x800000
	v_lshrrev_b32_e32 v26, 23, v9
	v_mad_u64_u32 v[19:20], null, 0xfe5163ab, v17, 0
	v_add_nc_u32_e32 v27, 0xffffff88, v26
	v_cmp_lt_u32_e32 vcc_lo, 63, v27
	v_mad_u64_u32 v[22:23], null, 0x3c439041, v17, v[20:21]
	v_cndmask_b32_e64 v28, 0, 0xffffffc0, vcc_lo
	v_mov_b32_e32 v20, v23
	v_add_nc_u32_e32 v28, v28, v27
	v_mad_u64_u32 v[23:24], null, 0xdb629599, v17, v[20:21]
	v_cmp_lt_u32_e64 s0, 31, v28
	v_cndmask_b32_e64 v29, 0, 0xffffffe0, s0
	v_mov_b32_e32 v20, v24
	v_cndmask_b32_e32 v19, v23, v19, vcc_lo
	v_mad_u64_u32 v[24:25], null, 0xf534ddc0, v17, v[20:21]
	v_mov_b32_e32 v20, v25
	v_cndmask_b32_e32 v22, v24, v22, vcc_lo
	v_mad_u64_u32 v[25:26], null, 0xfc2757d1, v17, v[20:21]
	v_cndmask_b32_e64 v19, v22, v19, s0
	v_mov_b32_e32 v20, v26
	v_mad_u64_u32 v[26:27], null, 0x4e441529, v17, v[20:21]
	v_mov_b32_e32 v20, v27
	v_add_nc_u32_e32 v27, v29, v28
	v_cndmask_b32_e32 v28, v26, v24, vcc_lo
	v_mad_u64_u32 v[20:21], null, 0xa2f9836e, v17, v[20:21]
	v_cmp_lt_u32_e64 s1, 31, v27
	v_cndmask_b32_e64 v17, 0, 0xffffffe0, s1
	v_cndmask_b32_e32 v20, v20, v25, vcc_lo
	v_cndmask_b32_e32 v21, v21, v26, vcc_lo
	;; [unrolled: 1-line block ×3, first 2 shown]
	v_add_nc_u32_e32 v17, v17, v27
	v_cndmask_b32_e64 v24, v20, v28, s0
	v_cndmask_b32_e64 v20, v21, v20, s0
	v_cndmask_b32_e64 v21, v28, v25, s0
	v_cndmask_b32_e64 v25, v25, v22, s0
	v_sub_nc_u32_e32 v26, 32, v17
	v_cmp_eq_u32_e32 vcc_lo, 0, v17
	v_cndmask_b32_e64 v20, v20, v24, s1
	v_cndmask_b32_e64 v24, v24, v21, s1
	;; [unrolled: 1-line block ×4, first 2 shown]
	v_alignbit_b32 v27, v20, v24, v26
	v_alignbit_b32 v23, v24, v21, v26
	;; [unrolled: 1-line block ×3, first 2 shown]
	v_cndmask_b32_e32 v17, v27, v20, vcc_lo
	v_cndmask_b32_e32 v20, v23, v24, vcc_lo
	;; [unrolled: 1-line block ×3, first 2 shown]
	v_bfe_u32 v22, v17, 29, 1
	v_alignbit_b32 v23, v17, v20, 30
	v_alignbit_b32 v20, v20, v21, 30
	;; [unrolled: 1-line block ×3, first 2 shown]
	v_sub_nc_u32_e32 v24, 0, v22
	v_xor_b32_e32 v23, v23, v24
	v_xor_b32_e32 v20, v20, v24
	;; [unrolled: 1-line block ×3, first 2 shown]
	v_lshrrev_b32_e32 v24, 29, v17
	v_ffbh_u32_e32 v25, v23
	v_min_u32_e32 v25, 32, v25
	v_sub_nc_u32_e32 v21, 31, v25
	v_lshlrev_b32_e32 v26, 23, v25
	v_alignbit_b32 v23, v23, v20, v21
	v_alignbit_b32 v19, v20, v19, v21
	v_lshlrev_b32_e32 v20, 31, v24
	v_alignbit_b32 v21, v23, v19, 9
	v_or_b32_e32 v24, 0.5, v20
	v_lshrrev_b32_e32 v23, 9, v23
	v_or_b32_e32 v20, 0x33000000, v20
	v_ffbh_u32_e32 v27, v21
	v_sub_nc_u32_e32 v24, v24, v26
	v_min_u32_e32 v26, 32, v27
	v_or_b32_e32 v23, v23, v24
	v_not_b32_e32 v24, v26
	v_mul_f32_e32 v27, 0x3fc90fda, v23
	v_add_lshl_u32 v25, v26, v25, 23
	v_alignbit_b32 v19, v21, v19, v24
	v_fma_f32 v21, 0x3fc90fda, v23, -v27
	v_sub_nc_u32_e32 v20, v20, v25
	v_lshrrev_b32_e32 v19, 9, v19
	v_fmamk_f32 v21, v23, 0x33a22168, v21
	v_or_b32_e32 v19, v20, v19
	v_fmac_f32_e32 v21, 0x3fc90fda, v19
	v_lshrrev_b32_e32 v19, 30, v17
	v_add_f32_e32 v17, v27, v21
	v_add_nc_u32_e32 v19, v22, v19
.LBB65_131:
	s_andn2_saveexec_b32 s0, s3
; %bb.132:
	v_mul_f32_e64 v17, 0x3f22f983, |v8|
	v_rndne_f32_e32 v19, v17
	v_fma_f32 v17, 0xbfc90fda, v19, |v8|
	v_fmamk_f32 v17, v19, 0xb3a22168, v17
	v_fmamk_f32 v17, v19, 0xa7c234c4, v17
	v_cvt_i32_f32_e32 v19, v19
; %bb.133:
	s_or_b32 exec_lo, exec_lo, s0
	v_mul_f32_e32 v20, v17, v17
	s_mov_b32 s0, 0xb94c1982
	s_mov_b32 s1, 0x37d75334
	v_and_b32_e32 v23, 1, v19
	v_lshlrev_b32_e32 v19, 30, v19
	v_fmaak_f32 v21, s0, v20, 0x3c0881c4
	v_fmaak_f32 v22, s1, v20, 0xbab64f3b
	v_xor_b32_e32 v9, v9, v8
	v_cmp_eq_u32_e32 vcc_lo, 0, v23
	v_and_b32_e32 v19, 0x80000000, v19
	v_fmaak_f32 v21, v20, v21, 0xbe2aaa9d
	v_fmaak_f32 v22, v20, v22, 0x3d2aabf7
	v_sub_f32_e32 v18, 1.0, v18
	v_mul_f32_e32 v21, v20, v21
	v_fmaak_f32 v22, v20, v22, 0xbf000004
	v_fmac_f32_e32 v17, v17, v21
	v_fma_f32 v20, v20, v22, 1.0
	v_cndmask_b32_e32 v17, v20, v17, vcc_lo
	v_cmp_class_f32_e64 vcc_lo, v8, 0x1f8
	v_xor3_b32 v9, v9, v19, v17
	v_cndmask_b32_e32 v8, 0x7fc00000, v9, vcc_lo
	v_mul_f32_e32 v8, v8, v8
	v_div_scale_f32 v9, null, v8, v8, 0xc11de9e7
	v_div_scale_f32 v20, vcc_lo, 0xc11de9e7, v8, 0xc11de9e7
	v_rcp_f32_e32 v17, v9
	v_fma_f32 v19, -v9, v17, 1.0
	v_fmac_f32_e32 v17, v19, v17
	v_mul_f32_e32 v19, v20, v17
	v_fma_f32 v21, -v9, v19, v20
	v_fmac_f32_e32 v19, v21, v17
	v_fma_f32 v9, -v9, v19, v20
	v_div_fmas_f32 v9, v9, v17, v19
	v_div_fixup_f32 v8, v9, v8, 0xc11de9e7
	v_add_f32_e32 v9, 0, v8
	v_mov_b32_e32 v8, -1.0
.LBB65_134:
	s_or_b32 exec_lo, exec_lo, s2
	global_load_ushort v10, v10, s[10:11]
	v_mov_b32_e32 v17, 0
	s_waitcnt vmcnt(0)
	v_cvt_f32_f16_e32 v21, v10
	v_cmp_gt_f16_e32 vcc_lo, 0.5, v10
	v_mov_b32_e32 v10, 1.0
	s_and_saveexec_b32 s2, vcc_lo
	s_cbranch_execz .LBB65_140
; %bb.135:
	v_mul_f32_e32 v10, 0x40490fdb, v21
                                        ; implicit-def: $vgpr20
                                        ; implicit-def: $vgpr19
	s_mov_b32 s1, exec_lo
	v_and_b32_e32 v17, 0x7fffffff, v10
	v_cmpx_ngt_f32_e64 0x48000000, |v10|
	s_xor_b32 s3, exec_lo, s1
	s_cbranch_execz .LBB65_137
; %bb.136:
	s_mov_b32 s0, 0x7fffff
	v_mov_b32_e32 v23, 0
	v_and_or_b32 v30, v17, s0, 0x800000
	v_mad_u64_u32 v[19:20], null, 0xfe5163ab, v30, 0
	v_mov_b32_e32 v22, v20
	v_lshrrev_b32_e32 v20, 23, v17
	v_mad_u64_u32 v[24:25], null, 0x3c439041, v30, v[22:23]
	v_add_nc_u32_e32 v20, 0xffffff88, v20
	v_cmp_lt_u32_e32 vcc_lo, 63, v20
	v_mov_b32_e32 v22, v25
	v_cndmask_b32_e64 v29, 0, 0xffffffc0, vcc_lo
	v_mad_u64_u32 v[25:26], null, 0xdb629599, v30, v[22:23]
	v_add_nc_u32_e32 v20, v29, v20
	v_mov_b32_e32 v22, v26
	v_cmp_lt_u32_e64 s0, 31, v20
	v_cndmask_b32_e32 v19, v25, v19, vcc_lo
	v_mad_u64_u32 v[26:27], null, 0xf534ddc0, v30, v[22:23]
	v_cndmask_b32_e64 v31, 0, 0xffffffe0, s0
	v_add_nc_u32_e32 v20, v31, v20
	v_mov_b32_e32 v22, v27
	v_cndmask_b32_e32 v24, v26, v24, vcc_lo
	v_cmp_lt_u32_e64 s1, 31, v20
	v_mad_u64_u32 v[27:28], null, 0xfc2757d1, v30, v[22:23]
	v_cndmask_b32_e64 v19, v24, v19, s0
	v_mov_b32_e32 v22, v28
	v_mad_u64_u32 v[28:29], null, 0x4e441529, v30, v[22:23]
	v_mov_b32_e32 v22, v29
	v_cndmask_b32_e64 v29, 0, 0xffffffe0, s1
	v_mad_u64_u32 v[22:23], null, 0xa2f9836e, v30, v[22:23]
	v_cndmask_b32_e32 v30, v28, v26, vcc_lo
	v_add_nc_u32_e32 v20, v29, v20
	v_cndmask_b32_e32 v22, v22, v27, vcc_lo
	v_cndmask_b32_e32 v23, v23, v28, vcc_lo
	;; [unrolled: 1-line block ×3, first 2 shown]
	v_sub_nc_u32_e32 v28, 32, v20
	v_cmp_eq_u32_e32 vcc_lo, 0, v20
	v_cndmask_b32_e64 v26, v22, v30, s0
	v_cndmask_b32_e64 v22, v23, v22, s0
	;; [unrolled: 1-line block ×8, first 2 shown]
	v_alignbit_b32 v29, v22, v26, v28
	v_alignbit_b32 v25, v26, v23, v28
	;; [unrolled: 1-line block ×3, first 2 shown]
	v_cndmask_b32_e32 v20, v29, v22, vcc_lo
	v_cndmask_b32_e32 v22, v25, v26, vcc_lo
	v_cndmask_b32_e32 v23, v27, v23, vcc_lo
	v_bfe_u32 v24, v20, 29, 1
	v_alignbit_b32 v25, v20, v22, 30
	v_alignbit_b32 v22, v22, v23, 30
	;; [unrolled: 1-line block ×3, first 2 shown]
	v_sub_nc_u32_e32 v26, 0, v24
	v_xor_b32_e32 v25, v25, v26
	v_xor_b32_e32 v22, v22, v26
	v_xor_b32_e32 v19, v19, v26
	v_lshrrev_b32_e32 v26, 29, v20
	v_lshrrev_b32_e32 v20, 30, v20
	v_ffbh_u32_e32 v27, v25
	v_add_nc_u32_e32 v20, v24, v20
	v_min_u32_e32 v27, 32, v27
	v_sub_nc_u32_e32 v23, 31, v27
	v_lshlrev_b32_e32 v28, 23, v27
	v_alignbit_b32 v25, v25, v22, v23
	v_alignbit_b32 v19, v22, v19, v23
	v_lshlrev_b32_e32 v22, 31, v26
	v_alignbit_b32 v23, v25, v19, 9
	v_or_b32_e32 v26, 0.5, v22
	v_lshrrev_b32_e32 v25, 9, v25
	v_or_b32_e32 v22, 0x33000000, v22
	v_ffbh_u32_e32 v29, v23
	v_sub_nc_u32_e32 v26, v26, v28
	v_min_u32_e32 v28, 32, v29
	v_or_b32_e32 v25, v25, v26
	v_not_b32_e32 v26, v28
	v_mul_f32_e32 v29, 0x3fc90fda, v25
	v_add_lshl_u32 v27, v28, v27, 23
	v_alignbit_b32 v19, v23, v19, v26
	v_fma_f32 v23, 0x3fc90fda, v25, -v29
	v_sub_nc_u32_e32 v22, v22, v27
	v_lshrrev_b32_e32 v19, 9, v19
	v_fmamk_f32 v23, v25, 0x33a22168, v23
	v_or_b32_e32 v19, v22, v19
	v_fmac_f32_e32 v23, 0x3fc90fda, v19
	v_add_f32_e32 v19, v29, v23
.LBB65_137:
	s_andn2_saveexec_b32 s0, s3
; %bb.138:
	v_mul_f32_e64 v19, 0x3f22f983, |v10|
	v_rndne_f32_e32 v20, v19
	v_fma_f32 v19, 0xbfc90fda, v20, |v10|
	v_fmamk_f32 v19, v20, 0xb3a22168, v19
	v_fmamk_f32 v19, v20, 0xa7c234c4, v19
	v_cvt_i32_f32_e32 v20, v20
; %bb.139:
	s_or_b32 exec_lo, exec_lo, s0
	v_mul_f32_e32 v22, v19, v19
	s_mov_b32 s0, 0xb94c1982
	s_mov_b32 s1, 0x37d75334
	v_and_b32_e32 v25, 1, v20
	v_lshlrev_b32_e32 v20, 30, v20
	v_fmaak_f32 v23, s0, v22, 0x3c0881c4
	v_fmaak_f32 v24, s1, v22, 0xbab64f3b
	v_xor_b32_e32 v17, v17, v10
	v_cmp_eq_u32_e32 vcc_lo, 0, v25
	v_and_b32_e32 v20, 0x80000000, v20
	v_fmaak_f32 v23, v22, v23, 0xbe2aaa9d
	v_fmaak_f32 v24, v22, v24, 0x3d2aabf7
	v_sub_f32_e32 v21, 1.0, v21
	v_mul_f32_e32 v23, v22, v23
	v_fmaak_f32 v24, v22, v24, 0xbf000004
	v_fmac_f32_e32 v19, v19, v23
	v_fma_f32 v22, v22, v24, 1.0
	v_cndmask_b32_e32 v19, v22, v19, vcc_lo
	v_cmp_class_f32_e64 vcc_lo, v10, 0x1f8
	v_xor3_b32 v17, v17, v20, v19
	v_cndmask_b32_e32 v10, 0x7fc00000, v17, vcc_lo
	v_mul_f32_e32 v10, v10, v10
	v_div_scale_f32 v17, null, v10, v10, 0xc11de9e7
	v_div_scale_f32 v22, vcc_lo, 0xc11de9e7, v10, 0xc11de9e7
	v_rcp_f32_e32 v19, v17
	v_fma_f32 v20, -v17, v19, 1.0
	v_fmac_f32_e32 v19, v20, v19
	v_mul_f32_e32 v20, v22, v19
	v_fma_f32 v23, -v17, v20, v22
	v_fmac_f32_e32 v20, v23, v19
	v_fma_f32 v17, -v17, v20, v22
	v_div_fmas_f32 v17, v17, v19, v20
	v_div_fixup_f32 v10, v17, v10, 0xc11de9e7
	v_add_f32_e32 v17, 0, v10
	v_mov_b32_e32 v10, -1.0
.LBB65_140:
	s_or_b32 exec_lo, exec_lo, s2
	global_load_ushort v11, v11, s[10:11]
	v_mov_b32_e32 v19, 0
	s_waitcnt vmcnt(0)
	v_cvt_f32_f16_e32 v23, v11
	v_cmp_gt_f16_e32 vcc_lo, 0.5, v11
	v_mov_b32_e32 v11, 1.0
	s_and_saveexec_b32 s2, vcc_lo
	s_cbranch_execz .LBB65_146
; %bb.141:
	v_mul_f32_e32 v11, 0x40490fdb, v23
                                        ; implicit-def: $vgpr22
                                        ; implicit-def: $vgpr20
	s_mov_b32 s1, exec_lo
	v_and_b32_e32 v19, 0x7fffffff, v11
	v_cmpx_ngt_f32_e64 0x48000000, |v11|
	s_xor_b32 s3, exec_lo, s1
	s_cbranch_execz .LBB65_143
; %bb.142:
	s_mov_b32 s0, 0x7fffff
	v_mov_b32_e32 v26, 0
	v_and_or_b32 v20, v19, s0, 0x800000
	v_lshrrev_b32_e32 v22, 23, v19
	v_mad_u64_u32 v[24:25], null, 0xfe5163ab, v20, 0
	v_add_nc_u32_e32 v22, 0xffffff88, v22
	v_cmp_lt_u32_e32 vcc_lo, 63, v22
	v_mad_u64_u32 v[27:28], null, 0x3c439041, v20, v[25:26]
	v_cndmask_b32_e64 v32, 0, 0xffffffc0, vcc_lo
	v_mov_b32_e32 v25, v28
	v_add_nc_u32_e32 v22, v32, v22
	v_mad_u64_u32 v[28:29], null, 0xdb629599, v20, v[25:26]
	v_cmp_lt_u32_e64 s0, 31, v22
	v_cndmask_b32_e64 v33, 0, 0xffffffe0, s0
	v_mov_b32_e32 v25, v29
	v_cndmask_b32_e32 v24, v28, v24, vcc_lo
	v_add_nc_u32_e32 v22, v33, v22
	v_mad_u64_u32 v[29:30], null, 0xf534ddc0, v20, v[25:26]
	v_cmp_lt_u32_e64 s1, 31, v22
	v_mov_b32_e32 v25, v30
	v_mad_u64_u32 v[30:31], null, 0xfc2757d1, v20, v[25:26]
	v_mov_b32_e32 v25, v31
	v_mad_u64_u32 v[31:32], null, 0x4e441529, v20, v[25:26]
	v_mov_b32_e32 v25, v32
	v_cndmask_b32_e32 v32, v31, v29, vcc_lo
	v_mad_u64_u32 v[25:26], null, 0xa2f9836e, v20, v[25:26]
	v_cndmask_b32_e64 v20, 0, 0xffffffe0, s1
	v_add_nc_u32_e32 v20, v20, v22
	v_cndmask_b32_e32 v25, v25, v30, vcc_lo
	v_cndmask_b32_e32 v26, v26, v31, vcc_lo
	;; [unrolled: 1-line block ×4, first 2 shown]
	v_sub_nc_u32_e32 v29, 32, v20
	v_cndmask_b32_e64 v27, v25, v32, s0
	v_cndmask_b32_e64 v25, v26, v25, s0
	;; [unrolled: 1-line block ×4, first 2 shown]
	v_cmp_eq_u32_e32 vcc_lo, 0, v20
	v_cndmask_b32_e64 v22, v22, v24, s0
	v_cndmask_b32_e64 v25, v25, v27, s1
	v_cndmask_b32_e64 v27, v27, v26, s1
	v_cndmask_b32_e64 v26, v26, v30, s1
	v_cndmask_b32_e64 v22, v30, v22, s1
	v_alignbit_b32 v31, v25, v27, v29
	v_alignbit_b32 v28, v27, v26, v29
	;; [unrolled: 1-line block ×3, first 2 shown]
	v_cndmask_b32_e32 v20, v31, v25, vcc_lo
	v_cndmask_b32_e32 v24, v28, v27, vcc_lo
	;; [unrolled: 1-line block ×3, first 2 shown]
	v_bfe_u32 v25, v20, 29, 1
	v_alignbit_b32 v27, v20, v24, 30
	v_alignbit_b32 v24, v24, v26, 30
	;; [unrolled: 1-line block ×3, first 2 shown]
	v_sub_nc_u32_e32 v28, 0, v25
	v_xor_b32_e32 v27, v27, v28
	v_xor_b32_e32 v24, v24, v28
	;; [unrolled: 1-line block ×3, first 2 shown]
	v_lshrrev_b32_e32 v28, 29, v20
	v_ffbh_u32_e32 v29, v27
	v_min_u32_e32 v29, 32, v29
	v_sub_nc_u32_e32 v26, 31, v29
	v_lshlrev_b32_e32 v30, 23, v29
	v_alignbit_b32 v27, v27, v24, v26
	v_alignbit_b32 v22, v24, v22, v26
	v_lshlrev_b32_e32 v24, 31, v28
	v_alignbit_b32 v26, v27, v22, 9
	v_or_b32_e32 v28, 0.5, v24
	v_lshrrev_b32_e32 v27, 9, v27
	v_or_b32_e32 v24, 0x33000000, v24
	v_ffbh_u32_e32 v31, v26
	v_sub_nc_u32_e32 v28, v28, v30
	v_min_u32_e32 v30, 32, v31
	v_or_b32_e32 v27, v27, v28
	v_not_b32_e32 v28, v30
	v_mul_f32_e32 v31, 0x3fc90fda, v27
	v_add_lshl_u32 v29, v30, v29, 23
	v_alignbit_b32 v22, v26, v22, v28
	v_fma_f32 v26, 0x3fc90fda, v27, -v31
	v_sub_nc_u32_e32 v24, v24, v29
	v_lshrrev_b32_e32 v22, 9, v22
	v_fmamk_f32 v26, v27, 0x33a22168, v26
	v_or_b32_e32 v22, v24, v22
	v_fmac_f32_e32 v26, 0x3fc90fda, v22
	v_lshrrev_b32_e32 v22, 30, v20
	v_add_f32_e32 v20, v31, v26
	v_add_nc_u32_e32 v22, v25, v22
.LBB65_143:
	s_andn2_saveexec_b32 s0, s3
; %bb.144:
	v_mul_f32_e64 v20, 0x3f22f983, |v11|
	v_rndne_f32_e32 v22, v20
	v_fma_f32 v20, 0xbfc90fda, v22, |v11|
	v_fmamk_f32 v20, v22, 0xb3a22168, v20
	v_fmamk_f32 v20, v22, 0xa7c234c4, v20
	v_cvt_i32_f32_e32 v22, v22
; %bb.145:
	s_or_b32 exec_lo, exec_lo, s0
	v_mul_f32_e32 v24, v20, v20
	s_mov_b32 s0, 0xb94c1982
	s_mov_b32 s1, 0x37d75334
	v_and_b32_e32 v27, 1, v22
	v_lshlrev_b32_e32 v22, 30, v22
	v_fmaak_f32 v25, s0, v24, 0x3c0881c4
	v_fmaak_f32 v26, s1, v24, 0xbab64f3b
	v_xor_b32_e32 v19, v19, v11
	v_cmp_eq_u32_e32 vcc_lo, 0, v27
	v_and_b32_e32 v22, 0x80000000, v22
	v_fmaak_f32 v25, v24, v25, 0xbe2aaa9d
	v_fmaak_f32 v26, v24, v26, 0x3d2aabf7
	v_sub_f32_e32 v23, 1.0, v23
	v_mul_f32_e32 v25, v24, v25
	v_fmaak_f32 v26, v24, v26, 0xbf000004
	v_fmac_f32_e32 v20, v20, v25
	v_fma_f32 v24, v24, v26, 1.0
	v_cndmask_b32_e32 v20, v24, v20, vcc_lo
	v_cmp_class_f32_e64 vcc_lo, v11, 0x1f8
	v_xor3_b32 v19, v19, v22, v20
	v_cndmask_b32_e32 v11, 0x7fc00000, v19, vcc_lo
	v_mul_f32_e32 v11, v11, v11
	v_div_scale_f32 v19, null, v11, v11, 0xc11de9e7
	v_div_scale_f32 v24, vcc_lo, 0xc11de9e7, v11, 0xc11de9e7
	v_rcp_f32_e32 v20, v19
	v_fma_f32 v22, -v19, v20, 1.0
	v_fmac_f32_e32 v20, v22, v20
	v_mul_f32_e32 v22, v24, v20
	v_fma_f32 v25, -v19, v22, v24
	v_fmac_f32_e32 v22, v25, v20
	v_fma_f32 v19, -v19, v22, v24
	v_div_fmas_f32 v19, v19, v20, v22
	v_div_fixup_f32 v11, v19, v11, 0xc11de9e7
	v_add_f32_e32 v19, 0, v11
	v_mov_b32_e32 v11, -1.0
.LBB65_146:
	s_or_b32 exec_lo, exec_lo, s2
	global_load_ushort v12, v12, s[10:11]
	v_mov_b32_e32 v20, 0
	s_waitcnt vmcnt(0)
	v_cvt_f32_f16_e32 v27, v12
	v_cmp_gt_f16_e32 vcc_lo, 0.5, v12
	v_mov_b32_e32 v12, 1.0
	s_and_saveexec_b32 s2, vcc_lo
	s_cbranch_execz .LBB65_152
; %bb.147:
	v_mul_f32_e32 v12, 0x40490fdb, v27
                                        ; implicit-def: $vgpr24
                                        ; implicit-def: $vgpr22
	s_mov_b32 s1, exec_lo
	v_and_b32_e32 v20, 0x7fffffff, v12
	v_cmpx_ngt_f32_e64 0x48000000, |v12|
	s_xor_b32 s3, exec_lo, s1
	s_cbranch_execz .LBB65_149
; %bb.148:
	s_mov_b32 s0, 0x7fffff
	v_mov_b32_e32 v26, 0
	v_and_or_b32 v22, v20, s0, 0x800000
	v_lshrrev_b32_e32 v32, 23, v20
	v_mad_u64_u32 v[24:25], null, 0xfe5163ab, v22, 0
	v_add_nc_u32_e32 v33, 0xffffff88, v32
	v_cmp_lt_u32_e32 vcc_lo, 63, v33
	v_mad_u64_u32 v[28:29], null, 0x3c439041, v22, v[25:26]
	v_cndmask_b32_e64 v34, 0, 0xffffffc0, vcc_lo
	v_mov_b32_e32 v25, v29
	v_add_nc_u32_e32 v34, v34, v33
	v_mad_u64_u32 v[29:30], null, 0xdb629599, v22, v[25:26]
	v_cmp_lt_u32_e64 s0, 31, v34
	v_cndmask_b32_e64 v35, 0, 0xffffffe0, s0
	v_mov_b32_e32 v25, v30
	v_cndmask_b32_e32 v24, v29, v24, vcc_lo
	v_mad_u64_u32 v[30:31], null, 0xf534ddc0, v22, v[25:26]
	v_mov_b32_e32 v25, v31
	v_cndmask_b32_e32 v28, v30, v28, vcc_lo
	v_mad_u64_u32 v[31:32], null, 0xfc2757d1, v22, v[25:26]
	v_cndmask_b32_e64 v24, v28, v24, s0
	v_mov_b32_e32 v25, v32
	v_mad_u64_u32 v[32:33], null, 0x4e441529, v22, v[25:26]
	v_mov_b32_e32 v25, v33
	v_add_nc_u32_e32 v33, v35, v34
	v_cndmask_b32_e32 v34, v32, v30, vcc_lo
	v_mad_u64_u32 v[25:26], null, 0xa2f9836e, v22, v[25:26]
	v_cmp_lt_u32_e64 s1, 31, v33
	v_cndmask_b32_e64 v22, 0, 0xffffffe0, s1
	v_cndmask_b32_e32 v25, v25, v31, vcc_lo
	v_cndmask_b32_e32 v26, v26, v32, vcc_lo
	;; [unrolled: 1-line block ×3, first 2 shown]
	v_add_nc_u32_e32 v22, v22, v33
	v_cndmask_b32_e64 v30, v25, v34, s0
	v_cndmask_b32_e64 v25, v26, v25, s0
	;; [unrolled: 1-line block ×4, first 2 shown]
	v_sub_nc_u32_e32 v32, 32, v22
	v_cmp_eq_u32_e32 vcc_lo, 0, v22
	v_cndmask_b32_e64 v25, v25, v30, s1
	v_cndmask_b32_e64 v30, v30, v26, s1
	;; [unrolled: 1-line block ×4, first 2 shown]
	v_alignbit_b32 v33, v25, v30, v32
	v_alignbit_b32 v29, v30, v26, v32
	;; [unrolled: 1-line block ×3, first 2 shown]
	v_cndmask_b32_e32 v22, v33, v25, vcc_lo
	v_cndmask_b32_e32 v25, v29, v30, vcc_lo
	v_cndmask_b32_e32 v26, v31, v26, vcc_lo
	v_bfe_u32 v28, v22, 29, 1
	v_alignbit_b32 v29, v22, v25, 30
	v_alignbit_b32 v25, v25, v26, 30
	;; [unrolled: 1-line block ×3, first 2 shown]
	v_sub_nc_u32_e32 v30, 0, v28
	v_xor_b32_e32 v29, v29, v30
	v_xor_b32_e32 v25, v25, v30
	v_xor_b32_e32 v24, v24, v30
	v_lshrrev_b32_e32 v30, 29, v22
	v_ffbh_u32_e32 v31, v29
	v_min_u32_e32 v31, 32, v31
	v_sub_nc_u32_e32 v26, 31, v31
	v_lshlrev_b32_e32 v32, 23, v31
	v_alignbit_b32 v29, v29, v25, v26
	v_alignbit_b32 v24, v25, v24, v26
	v_lshlrev_b32_e32 v25, 31, v30
	v_alignbit_b32 v26, v29, v24, 9
	v_or_b32_e32 v30, 0.5, v25
	v_lshrrev_b32_e32 v29, 9, v29
	v_or_b32_e32 v25, 0x33000000, v25
	v_ffbh_u32_e32 v33, v26
	v_sub_nc_u32_e32 v30, v30, v32
	v_min_u32_e32 v32, 32, v33
	v_or_b32_e32 v29, v29, v30
	v_not_b32_e32 v30, v32
	v_mul_f32_e32 v33, 0x3fc90fda, v29
	v_add_lshl_u32 v31, v32, v31, 23
	v_alignbit_b32 v24, v26, v24, v30
	v_fma_f32 v26, 0x3fc90fda, v29, -v33
	v_sub_nc_u32_e32 v25, v25, v31
	v_lshrrev_b32_e32 v24, 9, v24
	v_fmamk_f32 v26, v29, 0x33a22168, v26
	v_or_b32_e32 v24, v25, v24
	v_fmac_f32_e32 v26, 0x3fc90fda, v24
	v_lshrrev_b32_e32 v24, 30, v22
	v_add_f32_e32 v22, v33, v26
	v_add_nc_u32_e32 v24, v28, v24
.LBB65_149:
	s_andn2_saveexec_b32 s0, s3
; %bb.150:
	v_mul_f32_e64 v22, 0x3f22f983, |v12|
	v_rndne_f32_e32 v24, v22
	v_fma_f32 v22, 0xbfc90fda, v24, |v12|
	v_fmamk_f32 v22, v24, 0xb3a22168, v22
	v_fmamk_f32 v22, v24, 0xa7c234c4, v22
	v_cvt_i32_f32_e32 v24, v24
; %bb.151:
	s_or_b32 exec_lo, exec_lo, s0
	v_mul_f32_e32 v25, v22, v22
	s_mov_b32 s0, 0xb94c1982
	s_mov_b32 s1, 0x37d75334
	v_and_b32_e32 v29, 1, v24
	v_lshlrev_b32_e32 v24, 30, v24
	v_fmaak_f32 v26, s0, v25, 0x3c0881c4
	v_fmaak_f32 v28, s1, v25, 0xbab64f3b
	v_xor_b32_e32 v20, v20, v12
	v_cmp_eq_u32_e32 vcc_lo, 0, v29
	v_and_b32_e32 v24, 0x80000000, v24
	v_fmaak_f32 v26, v25, v26, 0xbe2aaa9d
	v_fmaak_f32 v28, v25, v28, 0x3d2aabf7
	v_sub_f32_e32 v27, 1.0, v27
	v_mul_f32_e32 v26, v25, v26
	v_fmaak_f32 v28, v25, v28, 0xbf000004
	v_fmac_f32_e32 v22, v22, v26
	v_fma_f32 v25, v25, v28, 1.0
	v_cndmask_b32_e32 v22, v25, v22, vcc_lo
	v_cmp_class_f32_e64 vcc_lo, v12, 0x1f8
	v_xor3_b32 v20, v20, v24, v22
	v_cndmask_b32_e32 v12, 0x7fc00000, v20, vcc_lo
	v_mul_f32_e32 v12, v12, v12
	v_div_scale_f32 v20, null, v12, v12, 0xc11de9e7
	v_div_scale_f32 v25, vcc_lo, 0xc11de9e7, v12, 0xc11de9e7
	v_rcp_f32_e32 v22, v20
	v_fma_f32 v24, -v20, v22, 1.0
	v_fmac_f32_e32 v22, v24, v22
	v_mul_f32_e32 v24, v25, v22
	v_fma_f32 v26, -v20, v24, v25
	v_fmac_f32_e32 v24, v26, v22
	v_fma_f32 v20, -v20, v24, v25
	v_div_fmas_f32 v20, v20, v22, v24
	v_div_fixup_f32 v12, v20, v12, 0xc11de9e7
	v_add_f32_e32 v20, 0, v12
	v_mov_b32_e32 v12, -1.0
.LBB65_152:
	s_or_b32 exec_lo, exec_lo, s2
	global_load_ushort v13, v13, s[10:11]
	v_mov_b32_e32 v22, 0
	s_waitcnt vmcnt(0)
	v_cvt_f32_f16_e32 v51, v13
	v_cmp_gt_f16_e32 vcc_lo, 0.5, v13
	v_mov_b32_e32 v13, 1.0
	s_and_saveexec_b32 s2, vcc_lo
	s_cbranch_execz .LBB65_158
; %bb.153:
	v_mul_f32_e32 v13, 0x40490fdb, v51
                                        ; implicit-def: $vgpr25
                                        ; implicit-def: $vgpr24
	s_mov_b32 s1, exec_lo
	v_and_b32_e32 v22, 0x7fffffff, v13
	v_cmpx_ngt_f32_e64 0x48000000, |v13|
	s_xor_b32 s3, exec_lo, s1
	s_cbranch_execz .LBB65_155
; %bb.154:
	s_mov_b32 s0, 0x7fffff
	v_mov_b32_e32 v26, 0
	v_and_or_b32 v34, v22, s0, 0x800000
	v_lshrrev_b32_e32 v32, 23, v22
	v_mad_u64_u32 v[24:25], null, 0xfe5163ab, v34, 0
	v_add_nc_u32_e32 v33, 0xffffff88, v32
	v_cmp_lt_u32_e32 vcc_lo, 63, v33
	v_mad_u64_u32 v[28:29], null, 0x3c439041, v34, v[25:26]
	v_cndmask_b32_e64 v35, 0, 0xffffffc0, vcc_lo
	v_mov_b32_e32 v25, v29
	v_add_nc_u32_e32 v35, v35, v33
	v_mad_u64_u32 v[29:30], null, 0xdb629599, v34, v[25:26]
	v_cmp_lt_u32_e64 s0, 31, v35
	v_cndmask_b32_e64 v36, 0, 0xffffffe0, s0
	v_mov_b32_e32 v25, v30
	v_cndmask_b32_e32 v24, v29, v24, vcc_lo
	v_mad_u64_u32 v[30:31], null, 0xf534ddc0, v34, v[25:26]
	v_mov_b32_e32 v25, v31
	v_cndmask_b32_e32 v28, v30, v28, vcc_lo
	v_mad_u64_u32 v[31:32], null, 0xfc2757d1, v34, v[25:26]
	v_cndmask_b32_e64 v24, v28, v24, s0
	v_mov_b32_e32 v25, v32
	v_mad_u64_u32 v[32:33], null, 0x4e441529, v34, v[25:26]
	v_mov_b32_e32 v25, v33
	v_add_nc_u32_e32 v33, v36, v35
	v_cndmask_b32_e32 v35, v32, v30, vcc_lo
	v_mad_u64_u32 v[25:26], null, 0xa2f9836e, v34, v[25:26]
	v_cmp_lt_u32_e64 s1, 31, v33
	v_cndmask_b32_e64 v34, 0, 0xffffffe0, s1
	v_cndmask_b32_e32 v25, v25, v31, vcc_lo
	v_cndmask_b32_e32 v26, v26, v32, vcc_lo
	v_cndmask_b32_e32 v31, v31, v29, vcc_lo
	v_add_nc_u32_e32 v32, v34, v33
	v_cndmask_b32_e64 v30, v25, v35, s0
	v_cndmask_b32_e64 v25, v26, v25, s0
	;; [unrolled: 1-line block ×4, first 2 shown]
	v_sub_nc_u32_e32 v33, 32, v32
	v_cmp_eq_u32_e32 vcc_lo, 0, v32
	v_cndmask_b32_e64 v25, v25, v30, s1
	v_cndmask_b32_e64 v30, v30, v26, s1
	;; [unrolled: 1-line block ×4, first 2 shown]
	v_alignbit_b32 v34, v25, v30, v33
	v_alignbit_b32 v29, v30, v26, v33
	;; [unrolled: 1-line block ×3, first 2 shown]
	v_cndmask_b32_e32 v25, v34, v25, vcc_lo
	v_cndmask_b32_e32 v28, v29, v30, vcc_lo
	;; [unrolled: 1-line block ×3, first 2 shown]
	v_bfe_u32 v29, v25, 29, 1
	v_alignbit_b32 v30, v25, v28, 30
	v_alignbit_b32 v28, v28, v26, 30
	v_alignbit_b32 v24, v26, v24, 30
	v_sub_nc_u32_e32 v31, 0, v29
	v_xor_b32_e32 v30, v30, v31
	v_xor_b32_e32 v26, v28, v31
	;; [unrolled: 1-line block ×3, first 2 shown]
	v_lshrrev_b32_e32 v31, 29, v25
	v_lshrrev_b32_e32 v25, 30, v25
	v_ffbh_u32_e32 v32, v30
	v_add_nc_u32_e32 v25, v29, v25
	v_min_u32_e32 v32, 32, v32
	v_sub_nc_u32_e32 v28, 31, v32
	v_lshlrev_b32_e32 v33, 23, v32
	v_alignbit_b32 v30, v30, v26, v28
	v_alignbit_b32 v24, v26, v24, v28
	v_lshlrev_b32_e32 v26, 31, v31
	v_alignbit_b32 v28, v30, v24, 9
	v_or_b32_e32 v31, 0.5, v26
	v_lshrrev_b32_e32 v30, 9, v30
	v_or_b32_e32 v26, 0x33000000, v26
	v_ffbh_u32_e32 v34, v28
	v_sub_nc_u32_e32 v31, v31, v33
	v_min_u32_e32 v33, 32, v34
	v_or_b32_e32 v30, v30, v31
	v_not_b32_e32 v31, v33
	v_mul_f32_e32 v34, 0x3fc90fda, v30
	v_add_lshl_u32 v32, v33, v32, 23
	v_alignbit_b32 v24, v28, v24, v31
	v_fma_f32 v28, 0x3fc90fda, v30, -v34
	v_sub_nc_u32_e32 v26, v26, v32
	v_lshrrev_b32_e32 v24, 9, v24
	v_fmamk_f32 v28, v30, 0x33a22168, v28
	v_or_b32_e32 v24, v26, v24
	v_fmac_f32_e32 v28, 0x3fc90fda, v24
	v_add_f32_e32 v24, v34, v28
.LBB65_155:
	s_andn2_saveexec_b32 s0, s3
; %bb.156:
	v_mul_f32_e64 v24, 0x3f22f983, |v13|
	v_rndne_f32_e32 v25, v24
	v_fma_f32 v24, 0xbfc90fda, v25, |v13|
	v_fmamk_f32 v24, v25, 0xb3a22168, v24
	v_fmamk_f32 v24, v25, 0xa7c234c4, v24
	v_cvt_i32_f32_e32 v25, v25
; %bb.157:
	s_or_b32 exec_lo, exec_lo, s0
	v_mul_f32_e32 v26, v24, v24
	s_mov_b32 s0, 0xb94c1982
	s_mov_b32 s1, 0x37d75334
	v_and_b32_e32 v30, 1, v25
	v_lshlrev_b32_e32 v25, 30, v25
	v_fmaak_f32 v28, s0, v26, 0x3c0881c4
	v_fmaak_f32 v29, s1, v26, 0xbab64f3b
	v_xor_b32_e32 v22, v22, v13
	v_cmp_eq_u32_e32 vcc_lo, 0, v30
	v_and_b32_e32 v25, 0x80000000, v25
	v_fmaak_f32 v28, v26, v28, 0xbe2aaa9d
	v_fmaak_f32 v29, v26, v29, 0x3d2aabf7
	v_sub_f32_e32 v51, 1.0, v51
	v_mul_f32_e32 v28, v26, v28
	v_fmaak_f32 v29, v26, v29, 0xbf000004
	v_fmac_f32_e32 v24, v24, v28
	v_fma_f32 v26, v26, v29, 1.0
	v_cndmask_b32_e32 v24, v26, v24, vcc_lo
	v_cmp_class_f32_e64 vcc_lo, v13, 0x1f8
	v_xor3_b32 v22, v22, v25, v24
	v_cndmask_b32_e32 v13, 0x7fc00000, v22, vcc_lo
	v_mul_f32_e32 v13, v13, v13
	v_div_scale_f32 v22, null, v13, v13, 0xc11de9e7
	v_div_scale_f32 v26, vcc_lo, 0xc11de9e7, v13, 0xc11de9e7
	v_rcp_f32_e32 v24, v22
	v_fma_f32 v25, -v22, v24, 1.0
	v_fmac_f32_e32 v24, v25, v24
	v_mul_f32_e32 v25, v26, v24
	v_fma_f32 v28, -v22, v25, v26
	v_fmac_f32_e32 v25, v28, v24
	v_fma_f32 v22, -v22, v25, v26
	v_div_fmas_f32 v22, v22, v24, v25
	v_div_fixup_f32 v13, v22, v13, 0xc11de9e7
	v_add_f32_e32 v22, 0, v13
	v_mov_b32_e32 v13, -1.0
.LBB65_158:
	s_or_b32 exec_lo, exec_lo, s2
	global_load_ushort v14, v14, s[10:11]
	v_mov_b32_e32 v24, 0
	s_waitcnt vmcnt(0)
	v_cvt_f32_f16_e32 v44, v14
	v_cmp_gt_f16_e32 vcc_lo, 0.5, v14
	v_mov_b32_e32 v14, 1.0
	s_and_saveexec_b32 s2, vcc_lo
	s_cbranch_execz .LBB65_164
; %bb.159:
	v_mul_f32_e32 v14, 0x40490fdb, v44
                                        ; implicit-def: $vgpr26
                                        ; implicit-def: $vgpr25
	s_mov_b32 s1, exec_lo
	v_and_b32_e32 v24, 0x7fffffff, v14
	v_cmpx_ngt_f32_e64 0x48000000, |v14|
	s_xor_b32 s3, exec_lo, s1
	s_cbranch_execz .LBB65_161
; %bb.160:
	s_mov_b32 s0, 0x7fffff
	v_mov_b32_e32 v29, 0
	v_and_or_b32 v36, v24, s0, 0x800000
	v_mad_u64_u32 v[25:26], null, 0xfe5163ab, v36, 0
	v_mov_b32_e32 v28, v26
	v_lshrrev_b32_e32 v26, 23, v24
	v_mad_u64_u32 v[30:31], null, 0x3c439041, v36, v[28:29]
	v_add_nc_u32_e32 v26, 0xffffff88, v26
	v_cmp_lt_u32_e32 vcc_lo, 63, v26
	v_mov_b32_e32 v28, v31
	v_cndmask_b32_e64 v35, 0, 0xffffffc0, vcc_lo
	v_mad_u64_u32 v[31:32], null, 0xdb629599, v36, v[28:29]
	v_add_nc_u32_e32 v26, v35, v26
	v_mov_b32_e32 v28, v32
	v_cmp_lt_u32_e64 s0, 31, v26
	v_cndmask_b32_e32 v25, v31, v25, vcc_lo
	v_mad_u64_u32 v[32:33], null, 0xf534ddc0, v36, v[28:29]
	v_cndmask_b32_e64 v37, 0, 0xffffffe0, s0
	v_add_nc_u32_e32 v26, v37, v26
	v_mov_b32_e32 v28, v33
	v_cndmask_b32_e32 v30, v32, v30, vcc_lo
	v_cmp_lt_u32_e64 s1, 31, v26
	v_mad_u64_u32 v[33:34], null, 0xfc2757d1, v36, v[28:29]
	v_cndmask_b32_e64 v25, v30, v25, s0
	v_mov_b32_e32 v28, v34
	v_mad_u64_u32 v[34:35], null, 0x4e441529, v36, v[28:29]
	v_mov_b32_e32 v28, v35
	v_cndmask_b32_e64 v35, 0, 0xffffffe0, s1
	v_mad_u64_u32 v[28:29], null, 0xa2f9836e, v36, v[28:29]
	v_cndmask_b32_e32 v36, v34, v32, vcc_lo
	v_add_nc_u32_e32 v26, v35, v26
	v_cndmask_b32_e32 v28, v28, v33, vcc_lo
	v_cndmask_b32_e32 v29, v29, v34, vcc_lo
	v_cndmask_b32_e32 v33, v33, v31, vcc_lo
	v_sub_nc_u32_e32 v34, 32, v26
	v_cmp_eq_u32_e32 vcc_lo, 0, v26
	v_cndmask_b32_e64 v32, v28, v36, s0
	v_cndmask_b32_e64 v28, v29, v28, s0
	;; [unrolled: 1-line block ×8, first 2 shown]
	v_alignbit_b32 v35, v28, v32, v34
	v_alignbit_b32 v31, v32, v29, v34
	v_alignbit_b32 v33, v29, v25, v34
	v_cndmask_b32_e32 v26, v35, v28, vcc_lo
	v_cndmask_b32_e32 v28, v31, v32, vcc_lo
	;; [unrolled: 1-line block ×3, first 2 shown]
	v_bfe_u32 v30, v26, 29, 1
	v_alignbit_b32 v31, v26, v28, 30
	v_alignbit_b32 v28, v28, v29, 30
	;; [unrolled: 1-line block ×3, first 2 shown]
	v_sub_nc_u32_e32 v32, 0, v30
	v_xor_b32_e32 v31, v31, v32
	v_xor_b32_e32 v28, v28, v32
	;; [unrolled: 1-line block ×3, first 2 shown]
	v_lshrrev_b32_e32 v32, 29, v26
	v_lshrrev_b32_e32 v26, 30, v26
	v_ffbh_u32_e32 v33, v31
	v_add_nc_u32_e32 v26, v30, v26
	v_min_u32_e32 v33, 32, v33
	v_sub_nc_u32_e32 v29, 31, v33
	v_lshlrev_b32_e32 v34, 23, v33
	v_alignbit_b32 v31, v31, v28, v29
	v_alignbit_b32 v25, v28, v25, v29
	v_lshlrev_b32_e32 v28, 31, v32
	v_alignbit_b32 v29, v31, v25, 9
	v_or_b32_e32 v32, 0.5, v28
	v_lshrrev_b32_e32 v31, 9, v31
	v_or_b32_e32 v28, 0x33000000, v28
	v_ffbh_u32_e32 v35, v29
	v_sub_nc_u32_e32 v32, v32, v34
	v_min_u32_e32 v34, 32, v35
	v_or_b32_e32 v31, v31, v32
	v_not_b32_e32 v32, v34
	v_mul_f32_e32 v35, 0x3fc90fda, v31
	v_add_lshl_u32 v33, v34, v33, 23
	v_alignbit_b32 v25, v29, v25, v32
	v_fma_f32 v29, 0x3fc90fda, v31, -v35
	v_sub_nc_u32_e32 v28, v28, v33
	v_lshrrev_b32_e32 v25, 9, v25
	v_fmamk_f32 v29, v31, 0x33a22168, v29
	v_or_b32_e32 v25, v28, v25
	v_fmac_f32_e32 v29, 0x3fc90fda, v25
	v_add_f32_e32 v25, v35, v29
.LBB65_161:
	s_andn2_saveexec_b32 s0, s3
; %bb.162:
	v_mul_f32_e64 v25, 0x3f22f983, |v14|
	v_rndne_f32_e32 v26, v25
	v_fma_f32 v25, 0xbfc90fda, v26, |v14|
	v_fmamk_f32 v25, v26, 0xb3a22168, v25
	v_fmamk_f32 v25, v26, 0xa7c234c4, v25
	v_cvt_i32_f32_e32 v26, v26
; %bb.163:
	s_or_b32 exec_lo, exec_lo, s0
	v_mul_f32_e32 v28, v25, v25
	s_mov_b32 s0, 0xb94c1982
	s_mov_b32 s1, 0x37d75334
	v_and_b32_e32 v31, 1, v26
	v_lshlrev_b32_e32 v26, 30, v26
	v_fmaak_f32 v29, s0, v28, 0x3c0881c4
	v_fmaak_f32 v30, s1, v28, 0xbab64f3b
	v_xor_b32_e32 v24, v24, v14
	v_cmp_eq_u32_e32 vcc_lo, 0, v31
	v_and_b32_e32 v26, 0x80000000, v26
	v_fmaak_f32 v29, v28, v29, 0xbe2aaa9d
	v_fmaak_f32 v30, v28, v30, 0x3d2aabf7
	v_sub_f32_e32 v44, 1.0, v44
	v_mul_f32_e32 v29, v28, v29
	v_fmaak_f32 v30, v28, v30, 0xbf000004
	v_fmac_f32_e32 v25, v25, v29
	v_fma_f32 v28, v28, v30, 1.0
	v_cndmask_b32_e32 v25, v28, v25, vcc_lo
	v_cmp_class_f32_e64 vcc_lo, v14, 0x1f8
	v_xor3_b32 v24, v24, v26, v25
	v_cndmask_b32_e32 v14, 0x7fc00000, v24, vcc_lo
	v_mul_f32_e32 v14, v14, v14
	v_div_scale_f32 v24, null, v14, v14, 0xc11de9e7
	v_div_scale_f32 v28, vcc_lo, 0xc11de9e7, v14, 0xc11de9e7
	v_rcp_f32_e32 v25, v24
	v_fma_f32 v26, -v24, v25, 1.0
	v_fmac_f32_e32 v25, v26, v25
	v_mul_f32_e32 v26, v28, v25
	v_fma_f32 v29, -v24, v26, v28
	v_fmac_f32_e32 v26, v29, v25
	v_fma_f32 v24, -v24, v26, v28
	v_div_fmas_f32 v24, v24, v25, v26
	v_div_fixup_f32 v14, v24, v14, 0xc11de9e7
	v_add_f32_e32 v24, 0, v14
	v_mov_b32_e32 v14, -1.0
.LBB65_164:
	s_or_b32 exec_lo, exec_lo, s2
	global_load_ushort v15, v15, s[10:11]
	v_mov_b32_e32 v25, 0
	s_waitcnt vmcnt(0)
	v_cvt_f32_f16_e32 v30, v15
	v_cmp_gt_f16_e32 vcc_lo, 0.5, v15
	v_mov_b32_e32 v15, 1.0
	s_and_saveexec_b32 s2, vcc_lo
	s_cbranch_execz .LBB65_170
; %bb.165:
	v_mul_f32_e32 v15, 0x40490fdb, v30
                                        ; implicit-def: $vgpr28
                                        ; implicit-def: $vgpr26
	s_mov_b32 s1, exec_lo
	v_and_b32_e32 v25, 0x7fffffff, v15
	v_cmpx_ngt_f32_e64 0x48000000, |v15|
	s_xor_b32 s3, exec_lo, s1
	s_cbranch_execz .LBB65_167
; %bb.166:
	s_mov_b32 s0, 0x7fffff
	v_mov_b32_e32 v32, 0
	v_and_or_b32 v26, v25, s0, 0x800000
	v_mad_u64_u32 v[28:29], null, 0xfe5163ab, v26, 0
	v_mov_b32_e32 v31, v29
	v_lshrrev_b32_e32 v29, 23, v25
	v_mad_u64_u32 v[33:34], null, 0x3c439041, v26, v[31:32]
	v_add_nc_u32_e32 v29, 0xffffff88, v29
	v_cmp_lt_u32_e32 vcc_lo, 63, v29
	v_mov_b32_e32 v31, v34
	v_cndmask_b32_e64 v38, 0, 0xffffffc0, vcc_lo
	v_mad_u64_u32 v[34:35], null, 0xdb629599, v26, v[31:32]
	v_add_nc_u32_e32 v29, v38, v29
	v_mov_b32_e32 v31, v35
	v_cmp_lt_u32_e64 s0, 31, v29
	v_cndmask_b32_e32 v28, v34, v28, vcc_lo
	v_mad_u64_u32 v[35:36], null, 0xf534ddc0, v26, v[31:32]
	v_cndmask_b32_e64 v39, 0, 0xffffffe0, s0
	v_add_nc_u32_e32 v29, v39, v29
	v_mov_b32_e32 v31, v36
	v_cmp_lt_u32_e64 s1, 31, v29
	v_mad_u64_u32 v[36:37], null, 0xfc2757d1, v26, v[31:32]
	v_mov_b32_e32 v31, v37
	v_mad_u64_u32 v[37:38], null, 0x4e441529, v26, v[31:32]
	v_mov_b32_e32 v31, v38
	v_cndmask_b32_e32 v38, v37, v35, vcc_lo
	v_mad_u64_u32 v[31:32], null, 0xa2f9836e, v26, v[31:32]
	v_cndmask_b32_e64 v26, 0, 0xffffffe0, s1
	v_add_nc_u32_e32 v26, v26, v29
	v_cndmask_b32_e32 v31, v31, v36, vcc_lo
	v_cndmask_b32_e32 v32, v32, v37, vcc_lo
	;; [unrolled: 1-line block ×4, first 2 shown]
	v_sub_nc_u32_e32 v35, 32, v26
	v_cndmask_b32_e64 v33, v31, v38, s0
	v_cndmask_b32_e64 v31, v32, v31, s0
	;; [unrolled: 1-line block ×4, first 2 shown]
	v_cmp_eq_u32_e32 vcc_lo, 0, v26
	v_cndmask_b32_e64 v28, v29, v28, s0
	v_cndmask_b32_e64 v31, v31, v33, s1
	;; [unrolled: 1-line block ×5, first 2 shown]
	v_alignbit_b32 v37, v31, v33, v35
	v_alignbit_b32 v34, v33, v32, v35
	;; [unrolled: 1-line block ×3, first 2 shown]
	v_cndmask_b32_e32 v26, v37, v31, vcc_lo
	v_cndmask_b32_e32 v29, v34, v33, vcc_lo
	;; [unrolled: 1-line block ×3, first 2 shown]
	v_bfe_u32 v31, v26, 29, 1
	v_alignbit_b32 v33, v26, v29, 30
	v_alignbit_b32 v29, v29, v32, 30
	;; [unrolled: 1-line block ×3, first 2 shown]
	v_sub_nc_u32_e32 v34, 0, v31
	v_xor_b32_e32 v33, v33, v34
	v_xor_b32_e32 v29, v29, v34
	;; [unrolled: 1-line block ×3, first 2 shown]
	v_lshrrev_b32_e32 v34, 29, v26
	v_ffbh_u32_e32 v35, v33
	v_min_u32_e32 v35, 32, v35
	v_sub_nc_u32_e32 v32, 31, v35
	v_lshlrev_b32_e32 v36, 23, v35
	v_alignbit_b32 v33, v33, v29, v32
	v_alignbit_b32 v28, v29, v28, v32
	v_lshlrev_b32_e32 v29, 31, v34
	v_alignbit_b32 v32, v33, v28, 9
	v_or_b32_e32 v34, 0.5, v29
	v_lshrrev_b32_e32 v33, 9, v33
	v_or_b32_e32 v29, 0x33000000, v29
	v_ffbh_u32_e32 v37, v32
	v_sub_nc_u32_e32 v34, v34, v36
	v_min_u32_e32 v36, 32, v37
	v_or_b32_e32 v33, v33, v34
	v_not_b32_e32 v34, v36
	v_mul_f32_e32 v37, 0x3fc90fda, v33
	v_add_lshl_u32 v35, v36, v35, 23
	v_alignbit_b32 v28, v32, v28, v34
	v_fma_f32 v32, 0x3fc90fda, v33, -v37
	v_sub_nc_u32_e32 v29, v29, v35
	v_lshrrev_b32_e32 v28, 9, v28
	v_fmamk_f32 v32, v33, 0x33a22168, v32
	v_or_b32_e32 v28, v29, v28
	v_fmac_f32_e32 v32, 0x3fc90fda, v28
	v_lshrrev_b32_e32 v28, 30, v26
	v_add_f32_e32 v26, v37, v32
	v_add_nc_u32_e32 v28, v31, v28
.LBB65_167:
	s_andn2_saveexec_b32 s0, s3
; %bb.168:
	v_mul_f32_e64 v26, 0x3f22f983, |v15|
	v_rndne_f32_e32 v28, v26
	v_fma_f32 v26, 0xbfc90fda, v28, |v15|
	v_fmamk_f32 v26, v28, 0xb3a22168, v26
	v_fmamk_f32 v26, v28, 0xa7c234c4, v26
	v_cvt_i32_f32_e32 v28, v28
; %bb.169:
	s_or_b32 exec_lo, exec_lo, s0
	v_mul_f32_e32 v29, v26, v26
	s_mov_b32 s0, 0xb94c1982
	s_mov_b32 s1, 0x37d75334
	v_and_b32_e32 v33, 1, v28
	v_lshlrev_b32_e32 v28, 30, v28
	v_fmaak_f32 v31, s0, v29, 0x3c0881c4
	v_fmaak_f32 v32, s1, v29, 0xbab64f3b
	v_xor_b32_e32 v25, v25, v15
	v_cmp_eq_u32_e32 vcc_lo, 0, v33
	v_and_b32_e32 v28, 0x80000000, v28
	v_fmaak_f32 v31, v29, v31, 0xbe2aaa9d
	v_fmaak_f32 v32, v29, v32, 0x3d2aabf7
	v_sub_f32_e32 v30, 1.0, v30
	v_mul_f32_e32 v31, v29, v31
	v_fmaak_f32 v32, v29, v32, 0xbf000004
	v_fmac_f32_e32 v26, v26, v31
	v_fma_f32 v29, v29, v32, 1.0
	v_cndmask_b32_e32 v26, v29, v26, vcc_lo
	v_cmp_class_f32_e64 vcc_lo, v15, 0x1f8
	v_xor3_b32 v25, v25, v28, v26
	v_cndmask_b32_e32 v15, 0x7fc00000, v25, vcc_lo
	v_mul_f32_e32 v15, v15, v15
	v_div_scale_f32 v25, null, v15, v15, 0xc11de9e7
	v_div_scale_f32 v29, vcc_lo, 0xc11de9e7, v15, 0xc11de9e7
	v_rcp_f32_e32 v26, v25
	v_fma_f32 v28, -v25, v26, 1.0
	v_fmac_f32_e32 v26, v28, v26
	v_mul_f32_e32 v28, v29, v26
	v_fma_f32 v31, -v25, v28, v29
	v_fmac_f32_e32 v28, v31, v26
	v_fma_f32 v25, -v25, v28, v29
	v_div_fmas_f32 v25, v25, v26, v28
	v_div_fixup_f32 v15, v25, v15, 0xc11de9e7
	v_add_f32_e32 v25, 0, v15
	v_mov_b32_e32 v15, -1.0
.LBB65_170:
	s_or_b32 exec_lo, exec_lo, s2
	global_load_ushort v16, v16, s[10:11]
	v_mov_b32_e32 v26, 0
	s_waitcnt vmcnt(0)
	v_cvt_f32_f16_e32 v28, v16
	v_cmp_gt_f16_e32 vcc_lo, 0.5, v16
	v_mov_b32_e32 v16, 1.0
	s_and_saveexec_b32 s2, vcc_lo
	s_cbranch_execz .LBB65_176
; %bb.171:
	v_mul_f32_e32 v16, 0x40490fdb, v28
                                        ; implicit-def: $vgpr31
                                        ; implicit-def: $vgpr29
	s_mov_b32 s1, exec_lo
	v_and_b32_e32 v26, 0x7fffffff, v16
	v_cmpx_ngt_f32_e64 0x48000000, |v16|
	s_xor_b32 s3, exec_lo, s1
	s_cbranch_execz .LBB65_173
; %bb.172:
	s_mov_b32 s0, 0x7fffff
	v_mov_b32_e32 v33, 0
	v_and_or_b32 v29, v26, s0, 0x800000
	v_lshrrev_b32_e32 v38, 23, v26
	v_mad_u64_u32 v[31:32], null, 0xfe5163ab, v29, 0
	v_add_nc_u32_e32 v39, 0xffffff88, v38
	v_cmp_lt_u32_e32 vcc_lo, 63, v39
	v_mad_u64_u32 v[34:35], null, 0x3c439041, v29, v[32:33]
	v_cndmask_b32_e64 v40, 0, 0xffffffc0, vcc_lo
	v_mov_b32_e32 v32, v35
	v_add_nc_u32_e32 v40, v40, v39
	v_mad_u64_u32 v[35:36], null, 0xdb629599, v29, v[32:33]
	v_cmp_lt_u32_e64 s0, 31, v40
	v_cndmask_b32_e64 v41, 0, 0xffffffe0, s0
	v_mov_b32_e32 v32, v36
	v_cndmask_b32_e32 v31, v35, v31, vcc_lo
	v_mad_u64_u32 v[36:37], null, 0xf534ddc0, v29, v[32:33]
	v_mov_b32_e32 v32, v37
	v_cndmask_b32_e32 v34, v36, v34, vcc_lo
	v_mad_u64_u32 v[37:38], null, 0xfc2757d1, v29, v[32:33]
	v_cndmask_b32_e64 v31, v34, v31, s0
	v_mov_b32_e32 v32, v38
	v_mad_u64_u32 v[38:39], null, 0x4e441529, v29, v[32:33]
	v_mov_b32_e32 v32, v39
	v_add_nc_u32_e32 v39, v41, v40
	v_cndmask_b32_e32 v40, v38, v36, vcc_lo
	v_mad_u64_u32 v[32:33], null, 0xa2f9836e, v29, v[32:33]
	v_cmp_lt_u32_e64 s1, 31, v39
	v_cndmask_b32_e64 v29, 0, 0xffffffe0, s1
	v_cndmask_b32_e32 v32, v32, v37, vcc_lo
	v_cndmask_b32_e32 v33, v33, v38, vcc_lo
	;; [unrolled: 1-line block ×3, first 2 shown]
	v_add_nc_u32_e32 v29, v29, v39
	v_cndmask_b32_e64 v36, v32, v40, s0
	v_cndmask_b32_e64 v32, v33, v32, s0
	;; [unrolled: 1-line block ×4, first 2 shown]
	v_sub_nc_u32_e32 v38, 32, v29
	v_cmp_eq_u32_e32 vcc_lo, 0, v29
	v_cndmask_b32_e64 v32, v32, v36, s1
	v_cndmask_b32_e64 v36, v36, v33, s1
	;; [unrolled: 1-line block ×4, first 2 shown]
	v_alignbit_b32 v39, v32, v36, v38
	v_alignbit_b32 v35, v36, v33, v38
	;; [unrolled: 1-line block ×3, first 2 shown]
	v_cndmask_b32_e32 v29, v39, v32, vcc_lo
	v_cndmask_b32_e32 v32, v35, v36, vcc_lo
	;; [unrolled: 1-line block ×3, first 2 shown]
	v_bfe_u32 v34, v29, 29, 1
	v_alignbit_b32 v35, v29, v32, 30
	v_alignbit_b32 v32, v32, v33, 30
	;; [unrolled: 1-line block ×3, first 2 shown]
	v_sub_nc_u32_e32 v36, 0, v34
	v_xor_b32_e32 v35, v35, v36
	v_xor_b32_e32 v32, v32, v36
	;; [unrolled: 1-line block ×3, first 2 shown]
	v_lshrrev_b32_e32 v36, 29, v29
	v_ffbh_u32_e32 v37, v35
	v_min_u32_e32 v37, 32, v37
	v_sub_nc_u32_e32 v33, 31, v37
	v_lshlrev_b32_e32 v38, 23, v37
	v_alignbit_b32 v35, v35, v32, v33
	v_alignbit_b32 v31, v32, v31, v33
	v_lshlrev_b32_e32 v32, 31, v36
	v_alignbit_b32 v33, v35, v31, 9
	v_or_b32_e32 v36, 0.5, v32
	v_lshrrev_b32_e32 v35, 9, v35
	v_or_b32_e32 v32, 0x33000000, v32
	v_ffbh_u32_e32 v39, v33
	v_sub_nc_u32_e32 v36, v36, v38
	v_min_u32_e32 v38, 32, v39
	v_or_b32_e32 v35, v35, v36
	v_not_b32_e32 v36, v38
	v_mul_f32_e32 v39, 0x3fc90fda, v35
	v_add_lshl_u32 v37, v38, v37, 23
	v_alignbit_b32 v31, v33, v31, v36
	v_fma_f32 v33, 0x3fc90fda, v35, -v39
	v_sub_nc_u32_e32 v32, v32, v37
	v_lshrrev_b32_e32 v31, 9, v31
	v_fmamk_f32 v33, v35, 0x33a22168, v33
	v_or_b32_e32 v31, v32, v31
	v_fmac_f32_e32 v33, 0x3fc90fda, v31
	v_lshrrev_b32_e32 v31, 30, v29
	v_add_f32_e32 v29, v39, v33
	v_add_nc_u32_e32 v31, v34, v31
.LBB65_173:
	s_andn2_saveexec_b32 s0, s3
; %bb.174:
	v_mul_f32_e64 v29, 0x3f22f983, |v16|
	v_rndne_f32_e32 v31, v29
	v_fma_f32 v29, 0xbfc90fda, v31, |v16|
	v_fmamk_f32 v29, v31, 0xb3a22168, v29
	v_fmamk_f32 v29, v31, 0xa7c234c4, v29
	v_cvt_i32_f32_e32 v31, v31
; %bb.175:
	s_or_b32 exec_lo, exec_lo, s0
	v_mul_f32_e32 v32, v29, v29
	s_mov_b32 s0, 0xb94c1982
	s_mov_b32 s1, 0x37d75334
	v_and_b32_e32 v35, 1, v31
	v_lshlrev_b32_e32 v31, 30, v31
	v_fmaak_f32 v33, s0, v32, 0x3c0881c4
	v_fmaak_f32 v34, s1, v32, 0xbab64f3b
	v_xor_b32_e32 v26, v26, v16
	v_cmp_eq_u32_e32 vcc_lo, 0, v35
	v_and_b32_e32 v31, 0x80000000, v31
	v_fmaak_f32 v33, v32, v33, 0xbe2aaa9d
	v_fmaak_f32 v34, v32, v34, 0x3d2aabf7
	v_sub_f32_e32 v28, 1.0, v28
	v_mul_f32_e32 v33, v32, v33
	v_fmaak_f32 v34, v32, v34, 0xbf000004
	v_fmac_f32_e32 v29, v29, v33
	v_fma_f32 v32, v32, v34, 1.0
	v_cndmask_b32_e32 v29, v32, v29, vcc_lo
	v_cmp_class_f32_e64 vcc_lo, v16, 0x1f8
	v_xor3_b32 v26, v26, v31, v29
	v_cndmask_b32_e32 v16, 0x7fc00000, v26, vcc_lo
	v_mul_f32_e32 v16, v16, v16
	v_div_scale_f32 v26, null, v16, v16, 0xc11de9e7
	v_div_scale_f32 v32, vcc_lo, 0xc11de9e7, v16, 0xc11de9e7
	v_rcp_f32_e32 v29, v26
	v_fma_f32 v31, -v26, v29, 1.0
	v_fmac_f32_e32 v29, v31, v29
	v_mul_f32_e32 v31, v32, v29
	v_fma_f32 v33, -v26, v31, v32
	v_fmac_f32_e32 v31, v33, v29
	v_fma_f32 v26, -v26, v31, v32
	v_div_fmas_f32 v26, v26, v29, v31
	v_div_fixup_f32 v16, v26, v16, 0xc11de9e7
	v_add_f32_e32 v26, 0, v16
	v_mov_b32_e32 v16, -1.0
.LBB65_176:
	s_or_b32 exec_lo, exec_lo, s2
	v_mul_f32_e32 v29, v30, v30
	v_add_f32_e32 v31, 1.0, v30
	s_mov_b32 s5, 0xbcc30c31
	v_div_scale_f32 v34, null, v29, v29, 1.0
	v_mul_f32_e32 v30, v31, v31
	v_add_f32_e32 v32, 1.0, v31
	v_div_scale_f32 v37, vcc_lo, 1.0, v29, 1.0
	v_rcp_f32_e32 v35, v34
	v_div_scale_f32 v36, null, v30, v30, 1.0
	v_mul_f32_e32 v31, v32, v32
	v_add_f32_e32 v33, 1.0, v32
	v_div_scale_f32 v41, s0, 1.0, v30, 1.0
	v_rcp_f32_e32 v38, v36
	v_div_scale_f32 v39, null, v31, v31, 1.0
	v_fma_f32 v40, -v34, v35, 1.0
	v_mul_f32_e32 v32, v33, v33
	v_add_f32_e32 v47, 1.0, v33
	v_rcp_f32_e32 v42, v39
	v_div_scale_f32 v43, s1, 1.0, v31, 1.0
	v_fmac_f32_e32 v35, v40, v35
	v_fma_f32 v40, -v36, v38, 1.0
	v_div_scale_f32 v45, null, v32, v32, 1.0
	v_mul_f32_e32 v33, v47, v47
	v_mul_f32_e32 v46, v37, v35
	v_fmac_f32_e32 v38, v40, v38
	v_fma_f32 v40, -v39, v42, 1.0
	v_rcp_f32_e32 v48, v45
	v_add_f32_e32 v47, 1.0, v47
	v_fma_f32 v49, -v34, v46, v37
	v_mul_f32_e32 v50, v41, v38
	v_fmac_f32_e32 v42, v40, v42
	v_div_scale_f32 v52, null, v33, v33, 1.0
	v_fmac_f32_e32 v46, v49, v35
	v_fma_f32 v40, -v36, v50, v41
	v_mul_f32_e32 v49, v43, v42
	v_fma_f32 v53, -v45, v48, 1.0
	v_fma_f32 v34, -v34, v46, v37
	v_fmac_f32_e32 v50, v40, v38
	v_fma_f32 v37, -v39, v49, v43
	v_fmac_f32_e32 v48, v53, v48
	v_div_scale_f32 v40, s2, 1.0, v32, 1.0
	v_fma_f32 v41, -v36, v50, v41
	v_add_f32_e32 v36, 1.0, v47
	v_div_fmas_f32 v35, v34, v35, v46
	v_mul_f32_e32 v34, v47, v47
	v_rcp_f32_e32 v46, v52
	s_mov_b32 vcc_lo, s0
	v_mul_f32_e32 v54, v36, v36
	v_fmac_f32_e32 v49, v37, v42
	v_div_scale_f32 v53, null, v34, v34, 1.0
	v_div_fmas_f32 v37, v41, v38, v50
	v_div_scale_f32 v38, null, v54, v54, 1.0
	v_add_f32_e32 v55, v36, v36
	v_rcp_f32_e32 v50, v53
	v_mul_f32_e32 v47, v40, v48
	v_rcp_f32_e32 v57, v38
	v_fma_f32 v39, -v39, v49, v43
	v_div_scale_f32 v43, null, v55, v55, 1.0
	v_fma_f32 v56, -v52, v46, 1.0
	v_fma_f32 v41, -v45, v47, v40
	v_div_scale_f32 v61, s4, 1.0, v54, 1.0
	v_rcp_f32_e32 v59, v43
	v_fmac_f32_e32 v46, v56, v46
	v_div_scale_f32 v56, s0, 1.0, v33, 1.0
	v_fma_f32 v58, -v53, v50, 1.0
	v_fmac_f32_e32 v47, v41, v48
	v_fma_f32 v41, -v38, v57, 1.0
	v_mul_f32_e32 v60, v56, v46
	s_mov_b32 vcc_lo, s1
	v_fmac_f32_e32 v50, v58, v50
	v_div_scale_f32 v58, s3, 1.0, v34, 1.0
	v_fmac_f32_e32 v57, v41, v57
	v_fma_f32 v41, -v43, v59, 1.0
	v_div_fmas_f32 v39, v39, v42, v49
	v_fma_f32 v42, -v52, v60, v56
	v_mul_f32_e32 v49, v58, v50
	v_mul_f32_e32 v62, v61, v57
	v_fmac_f32_e32 v59, v41, v59
	v_div_scale_f32 v63, s1, 1.0, v55, 1.0
	v_fmac_f32_e32 v60, v42, v46
	v_fma_f32 v42, -v53, v49, v58
	v_fma_f32 v40, -v45, v47, v40
	;; [unrolled: 1-line block ×3, first 2 shown]
	v_mul_f32_e32 v64, v63, v59
	s_mov_b32 vcc_lo, s2
	v_fmac_f32_e32 v49, v42, v50
	v_div_fmas_f32 v41, v40, v48, v47
	v_fmac_f32_e32 v62, v45, v57
	v_fma_f32 v42, -v43, v64, v63
	v_fma_f32 v40, -v52, v60, v56
	;; [unrolled: 1-line block ×3, first 2 shown]
	s_mov_b32 vcc_lo, s0
	v_div_fixup_f32 v29, v35, v29, 1.0
	v_fmac_f32_e32 v64, v42, v59
	v_fma_f32 v42, -v38, v62, v61
	v_div_fmas_f32 v40, v40, v46, v60
	s_mov_b32 vcc_lo, s3
	v_add_f32_e32 v25, v25, v29
	v_div_fmas_f32 v38, v45, v50, v49
	s_mov_b32 vcc_lo, s4
	v_fma_f32 v43, -v43, v64, v63
	v_div_fmas_f32 v42, v42, v57, v62
	s_mov_b32 vcc_lo, s1
	v_div_fixup_f32 v29, v37, v30, 1.0
	v_div_fmas_f32 v43, v43, v59, v64
	v_div_fixup_f32 v45, v42, v54, 1.0
	v_add_f32_e32 v25, v25, v29
	v_div_fixup_f32 v29, v39, v31, 1.0
	v_div_fixup_f32 v42, v43, v55, 1.0
	v_fmaak_f32 v43, s5, v45, 0x3d088889
	v_add_f32_e32 v25, v25, v29
	v_add_f32_e32 v42, 1.0, v42
	v_fma_f32 v43, -v45, v43, 0x3e2aaaab
	v_fmac_f32_e32 v42, v45, v43
	v_mul_f32_e32 v43, v44, v44
	v_add_f32_e32 v45, 1.0, v44
	v_div_scale_f32 v46, null, v36, v36, v42
	v_div_scale_f32 v48, null, v43, v43, 1.0
	v_mul_f32_e32 v44, v45, v45
	v_rcp_f32_e32 v47, v46
	v_div_scale_f32 v53, vcc_lo, v42, v36, v42
	v_rcp_f32_e32 v50, v48
	v_div_scale_f32 v52, null, v44, v44, 1.0
	v_div_scale_f32 v57, s0, 1.0, v43, 1.0
	v_rcp_f32_e32 v55, v52
	v_fma_f32 v49, -v46, v47, 1.0
	v_fma_f32 v54, -v48, v50, 1.0
	v_fmac_f32_e32 v47, v49, v47
	v_add_f32_e32 v49, 1.0, v45
	v_fmac_f32_e32 v50, v54, v50
	v_fma_f32 v58, -v52, v55, 1.0
	v_mul_f32_e32 v56, v53, v47
	v_mul_f32_e32 v45, v49, v49
	;; [unrolled: 1-line block ×3, first 2 shown]
	v_fmac_f32_e32 v55, v58, v55
	v_fma_f32 v59, -v46, v56, v53
	v_div_scale_f32 v54, null, v45, v45, 1.0
	v_div_scale_f32 v58, s1, 1.0, v44, 1.0
	v_fmac_f32_e32 v56, v59, v47
	v_rcp_f32_e32 v60, v54
	v_fma_f32 v59, -v48, v61, v57
	v_mul_f32_e32 v62, v58, v55
	v_fma_f32 v46, -v46, v56, v53
	v_fmac_f32_e32 v61, v59, v50
	v_fma_f32 v53, -v52, v62, v58
	v_add_f32_e32 v59, 1.0, v49
	v_div_fmas_f32 v49, v46, v47, v56
	v_fma_f32 v63, -v54, v60, 1.0
	v_fma_f32 v47, -v48, v61, v57
	v_fmac_f32_e32 v62, v53, v55
	s_mov_b32 vcc_lo, s0
	v_mul_f32_e32 v46, v59, v59
	v_fmac_f32_e32 v60, v63, v60
	v_div_scale_f32 v63, s2, 1.0, v45, 1.0
	v_div_fmas_f32 v48, v47, v50, v61
	v_fma_f32 v47, -v52, v62, v58
	v_add_f32_e32 v52, 1.0, v59
	v_mul_f32_e32 v56, v63, v60
	s_mov_b32 vcc_lo, s1
	v_div_scale_f32 v57, null, v46, v46, 1.0
	v_div_fmas_f32 v50, v47, v55, v62
	v_fma_f32 v53, -v54, v56, v63
	v_mul_f32_e32 v47, v52, v52
	v_add_f32_e32 v52, 1.0, v52
	v_rcp_f32_e32 v61, v57
	s_mov_b32 vcc_lo, s2
	v_fmac_f32_e32 v56, v53, v60
	v_div_scale_f32 v58, null, v47, v47, 1.0
	v_div_fixup_f32 v31, v49, v36, v42
	v_fma_f32 v53, -v54, v56, v63
	v_add_f32_e32 v54, 1.0, v52
	v_mul_f32_e32 v52, v52, v52
	v_fma_f32 v55, -v57, v61, 1.0
	v_div_fmas_f32 v53, v53, v60, v56
	v_mul_f32_e32 v59, v54, v54
	v_rcp_f32_e32 v56, v58
	v_div_scale_f32 v60, null, v52, v52, 1.0
	v_add_f32_e32 v64, v54, v54
	v_div_scale_f32 v62, null, v59, v59, 1.0
	v_rcp_f32_e32 v63, v60
	v_fmac_f32_e32 v61, v55, v61
	v_div_scale_f32 v68, null, v64, v64, 1.0
	v_rcp_f32_e32 v66, v62
	v_div_scale_f32 v55, vcc_lo, 1.0, v46, 1.0
	v_fma_f32 v65, -v58, v56, 1.0
	v_rcp_f32_e32 v70, v68
	v_mul_f32_e32 v67, v55, v61
	v_fma_f32 v69, -v60, v63, 1.0
	v_fmac_f32_e32 v56, v65, v56
	v_div_scale_f32 v65, s0, 1.0, v47, 1.0
	v_fma_f32 v72, -v62, v66, 1.0
	v_fma_f32 v71, -v57, v67, v55
	v_fmac_f32_e32 v63, v69, v63
	v_mul_f32_e32 v73, v65, v56
	v_div_scale_f32 v69, s1, 1.0, v52, 1.0
	v_fmac_f32_e32 v66, v72, v66
	v_div_scale_f32 v72, s2, 1.0, v59, 1.0
	v_fma_f32 v74, -v68, v70, 1.0
	v_fmac_f32_e32 v67, v71, v61
	v_fma_f32 v71, -v58, v73, v65
	v_mul_f32_e32 v75, v69, v63
	v_mul_f32_e32 v76, v72, v66
	v_fmac_f32_e32 v70, v74, v70
	v_div_scale_f32 v74, s3, 1.0, v64, 1.0
	v_fma_f32 v55, -v57, v67, v55
	v_fmac_f32_e32 v73, v71, v56
	v_fma_f32 v57, -v60, v75, v69
	v_fma_f32 v71, -v62, v76, v72
	v_mul_f32_e32 v77, v74, v70
	v_div_fmas_f32 v55, v55, v61, v67
	v_fma_f32 v58, -v58, v73, v65
	v_fmac_f32_e32 v75, v57, v63
	v_fmac_f32_e32 v76, v71, v66
	v_fma_f32 v57, -v68, v77, v74
	s_mov_b32 vcc_lo, s0
	v_div_fmas_f32 v56, v58, v56, v73
	v_fma_f32 v58, -v60, v75, v69
	v_fmac_f32_e32 v77, v57, v70
	v_fma_f32 v60, -v62, v76, v72
	s_mov_b32 vcc_lo, s1
	v_div_fmas_f32 v57, v58, v63, v75
	s_mov_b32 vcc_lo, s2
	v_fma_f32 v58, -v68, v77, v74
	v_div_fmas_f32 v60, v60, v66, v76
	s_mov_b32 vcc_lo, s3
	v_div_fmas_f32 v58, v58, v70, v77
	v_div_fixup_f32 v59, v60, v59, 1.0
	v_div_fixup_f32 v58, v58, v64, 1.0
	v_fmaak_f32 v60, s5, v59, 0x3d088889
	v_add_f32_e32 v58, 1.0, v58
	v_fma_f32 v60, -v59, v60, 0x3e2aaaab
	v_fmac_f32_e32 v58, v59, v60
	v_mul_f32_e32 v59, v51, v51
	v_add_f32_e32 v60, 1.0, v51
	v_div_scale_f32 v61, null, v54, v54, v58
	v_div_scale_f32 v63, null, v59, v59, 1.0
	v_mul_f32_e32 v51, v60, v60
	v_rcp_f32_e32 v62, v61
	v_div_scale_f32 v67, vcc_lo, v58, v54, v58
	v_rcp_f32_e32 v65, v63
	v_div_scale_f32 v66, null, v51, v51, 1.0
	v_div_scale_f32 v71, s0, 1.0, v59, 1.0
	v_rcp_f32_e32 v69, v66
	v_fma_f32 v64, -v61, v62, 1.0
	v_fma_f32 v68, -v63, v65, 1.0
	v_fmac_f32_e32 v62, v64, v62
	v_add_f32_e32 v64, 1.0, v60
	v_fmac_f32_e32 v65, v68, v65
	v_fma_f32 v72, -v66, v69, 1.0
	v_mul_f32_e32 v70, v67, v62
	v_mul_f32_e32 v60, v64, v64
	;; [unrolled: 1-line block ×3, first 2 shown]
	v_fmac_f32_e32 v69, v72, v69
	v_fma_f32 v73, -v61, v70, v67
	v_div_scale_f32 v68, null, v60, v60, 1.0
	v_div_scale_f32 v72, s1, 1.0, v51, 1.0
	v_fmac_f32_e32 v70, v73, v62
	v_rcp_f32_e32 v74, v68
	v_fma_f32 v73, -v63, v75, v71
	v_mul_f32_e32 v76, v72, v69
	v_fma_f32 v61, -v61, v70, v67
	v_fmac_f32_e32 v75, v73, v65
	v_fma_f32 v67, -v66, v76, v72
	v_add_f32_e32 v73, 1.0, v64
	v_div_fmas_f32 v64, v61, v62, v70
	v_fma_f32 v77, -v68, v74, 1.0
	v_fma_f32 v62, -v63, v75, v71
	v_fmac_f32_e32 v76, v67, v69
	s_mov_b32 vcc_lo, s0
	v_mul_f32_e32 v61, v73, v73
	v_fmac_f32_e32 v74, v77, v74
	v_div_scale_f32 v77, s2, 1.0, v60, 1.0
	v_div_fmas_f32 v63, v62, v65, v75
	v_fma_f32 v62, -v66, v76, v72
	v_add_f32_e32 v66, 1.0, v73
	v_mul_f32_e32 v70, v77, v74
	s_mov_b32 vcc_lo, s1
	v_div_scale_f32 v71, null, v61, v61, 1.0
	v_div_fmas_f32 v65, v62, v69, v76
	v_fma_f32 v67, -v68, v70, v77
	v_mul_f32_e32 v62, v66, v66
	v_add_f32_e32 v66, 1.0, v66
	v_rcp_f32_e32 v75, v71
	s_mov_b32 vcc_lo, s2
	v_fmac_f32_e32 v70, v67, v74
	v_div_scale_f32 v72, null, v62, v62, 1.0
	v_div_fixup_f32 v36, v64, v54, v58
	v_fma_f32 v67, -v68, v70, v77
	v_add_f32_e32 v68, 1.0, v66
	v_mul_f32_e32 v66, v66, v66
	v_fma_f32 v69, -v71, v75, 1.0
	v_div_fmas_f32 v67, v67, v74, v70
	v_mul_f32_e32 v73, v68, v68
	v_rcp_f32_e32 v70, v72
	v_div_scale_f32 v74, null, v66, v66, 1.0
	v_add_f32_e32 v78, v68, v68
	v_div_scale_f32 v76, null, v73, v73, 1.0
	v_rcp_f32_e32 v77, v74
	v_fmac_f32_e32 v75, v69, v75
	v_div_scale_f32 v82, null, v78, v78, 1.0
	v_rcp_f32_e32 v80, v76
	v_div_scale_f32 v69, vcc_lo, 1.0, v61, 1.0
	v_fma_f32 v79, -v72, v70, 1.0
	v_rcp_f32_e32 v84, v82
	v_mul_f32_e32 v81, v69, v75
	v_fma_f32 v83, -v74, v77, 1.0
	v_fmac_f32_e32 v70, v79, v70
	v_div_scale_f32 v79, s0, 1.0, v62, 1.0
	v_fma_f32 v86, -v76, v80, 1.0
	v_fma_f32 v85, -v71, v81, v69
	v_fmac_f32_e32 v77, v83, v77
	v_mul_f32_e32 v87, v79, v70
	v_div_scale_f32 v83, s1, 1.0, v66, 1.0
	v_fmac_f32_e32 v80, v86, v80
	v_div_scale_f32 v86, s2, 1.0, v73, 1.0
	v_fma_f32 v88, -v82, v84, 1.0
	v_fmac_f32_e32 v81, v85, v75
	v_fma_f32 v85, -v72, v87, v79
	v_mul_f32_e32 v89, v83, v77
	v_mul_f32_e32 v90, v86, v80
	v_fmac_f32_e32 v84, v88, v84
	v_div_scale_f32 v88, s3, 1.0, v78, 1.0
	v_fma_f32 v69, -v71, v81, v69
	v_fmac_f32_e32 v87, v85, v70
	v_fma_f32 v71, -v74, v89, v83
	v_fma_f32 v85, -v76, v90, v86
	v_mul_f32_e32 v91, v88, v84
	v_div_fmas_f32 v69, v69, v75, v81
	v_fma_f32 v72, -v72, v87, v79
	v_fmac_f32_e32 v89, v71, v77
	v_fmac_f32_e32 v90, v85, v80
	v_fma_f32 v71, -v82, v91, v88
	s_mov_b32 vcc_lo, s0
	v_div_fmas_f32 v70, v72, v70, v87
	v_fma_f32 v72, -v74, v89, v83
	v_fmac_f32_e32 v91, v71, v84
	v_fma_f32 v74, -v76, v90, v86
	s_mov_b32 vcc_lo, s1
	v_div_fmas_f32 v71, v72, v77, v89
	s_mov_b32 vcc_lo, s2
	v_fma_f32 v72, -v82, v91, v88
	v_div_fmas_f32 v74, v74, v80, v90
	s_mov_b32 vcc_lo, s3
	v_div_fmas_f32 v72, v72, v84, v91
	v_div_fixup_f32 v74, v74, v73, 1.0
	v_div_fixup_f32 v72, v72, v78, 1.0
	v_fmaak_f32 v75, s5, v74, 0x3d088889
	v_add_f32_e32 v73, 1.0, v72
	v_fma_f32 v72, -v74, v75, 0x3e2aaaab
	v_fmac_f32_e32 v73, v74, v72
	v_mul_f32_e32 v72, v27, v27
	v_add_f32_e32 v74, 1.0, v27
	v_div_scale_f32 v75, null, v68, v68, v73
	v_div_scale_f32 v77, null, v72, v72, 1.0
	v_mul_f32_e32 v27, v74, v74
	v_rcp_f32_e32 v76, v75
	v_add_f32_e32 v80, 1.0, v74
	v_rcp_f32_e32 v79, v77
	v_div_scale_f32 v81, vcc_lo, v73, v68, v73
	v_div_scale_f32 v85, s0, 1.0, v72, 1.0
	v_mul_f32_e32 v74, v80, v80
	v_fma_f32 v78, -v75, v76, 1.0
	v_fma_f32 v82, -v77, v79, 1.0
	v_fmac_f32_e32 v76, v78, v76
	v_div_scale_f32 v78, null, v27, v27, 1.0
	v_fmac_f32_e32 v79, v82, v79
	v_div_scale_f32 v82, null, v74, v74, 1.0
	v_rcp_f32_e32 v83, v78
	v_mul_f32_e32 v84, v81, v76
	v_mul_f32_e32 v89, v85, v79
	v_rcp_f32_e32 v88, v82
	v_fma_f32 v87, -v75, v84, v81
	v_fma_f32 v86, -v78, v83, 1.0
	v_fmac_f32_e32 v84, v87, v76
	v_fma_f32 v87, -v77, v89, v85
	v_fma_f32 v91, -v82, v88, 1.0
	v_fmac_f32_e32 v83, v86, v83
	v_div_scale_f32 v86, s1, 1.0, v27, 1.0
	v_fma_f32 v75, -v75, v84, v81
	v_fmac_f32_e32 v89, v87, v79
	v_add_f32_e32 v87, 1.0, v80
	v_mul_f32_e32 v90, v86, v83
	v_fmac_f32_e32 v88, v91, v88
	v_div_scale_f32 v91, s2, 1.0, v74, 1.0
	v_div_fmas_f32 v80, v75, v76, v84
	v_fma_f32 v81, -v78, v90, v86
	v_mul_f32_e32 v75, v87, v87
	v_mul_f32_e32 v84, v91, v88
	v_fma_f32 v76, -v77, v89, v85
	s_mov_b32 vcc_lo, s0
	v_fmac_f32_e32 v90, v81, v83
	v_div_scale_f32 v85, null, v75, v75, 1.0
	v_fma_f32 v81, -v82, v84, v91
	v_div_fmas_f32 v77, v76, v79, v89
	v_fma_f32 v76, -v78, v90, v86
	v_add_f32_e32 v79, 1.0, v87
	v_rcp_f32_e32 v89, v85
	s_mov_b32 vcc_lo, s1
	v_fmac_f32_e32 v84, v81, v88
	v_div_fmas_f32 v78, v76, v83, v90
	v_mul_f32_e32 v76, v79, v79
	v_add_f32_e32 v79, 1.0, v79
	s_mov_b32 vcc_lo, s2
	v_fma_f32 v81, -v82, v84, v91
	v_div_fixup_f32 v27, v78, v27, 1.0
	v_div_scale_f32 v86, null, v76, v76, 1.0
	v_add_f32_e32 v83, 1.0, v79
	v_fma_f32 v82, -v85, v89, 1.0
	v_mul_f32_e32 v79, v79, v79
	v_div_fmas_f32 v81, v81, v88, v84
	v_rcp_f32_e32 v87, v86
	v_mul_f32_e32 v88, v83, v83
	v_fmac_f32_e32 v89, v82, v89
	v_div_scale_f32 v82, null, v79, v79, 1.0
	v_add_f32_e32 v92, v83, v83
	v_div_scale_f32 v90, null, v88, v88, 1.0
	v_rcp_f32_e32 v91, v82
	v_div_scale_f32 v84, vcc_lo, 1.0, v75, 1.0
	v_rcp_f32_e32 v94, v90
	v_div_scale_f32 v96, null, v92, v92, 1.0
	v_fma_f32 v93, -v86, v87, 1.0
	v_mul_f32_e32 v95, v84, v89
	v_div_fixup_f32 v37, v80, v68, v73
	v_rcp_f32_e32 v98, v96
	v_fma_f32 v97, -v82, v91, 1.0
	v_fmac_f32_e32 v87, v93, v87
	v_div_scale_f32 v93, s0, 1.0, v76, 1.0
	v_fma_f32 v100, -v90, v94, 1.0
	v_fma_f32 v99, -v85, v95, v84
	v_fmac_f32_e32 v91, v97, v91
	v_div_scale_f32 v97, s1, 1.0, v79, 1.0
	v_mul_f32_e32 v101, v93, v87
	v_fmac_f32_e32 v94, v100, v94
	v_div_scale_f32 v100, s2, 1.0, v88, 1.0
	v_fma_f32 v102, -v96, v98, 1.0
	v_fmac_f32_e32 v95, v99, v89
	v_mul_f32_e32 v103, v97, v91
	v_fma_f32 v99, -v86, v101, v93
	v_mul_f32_e32 v104, v100, v94
	v_fmac_f32_e32 v98, v102, v98
	v_div_scale_f32 v102, s3, 1.0, v92, 1.0
	v_fma_f32 v84, -v85, v95, v84
	v_fma_f32 v85, -v82, v103, v97
	v_fmac_f32_e32 v101, v99, v87
	v_fma_f32 v99, -v90, v104, v100
	v_mul_f32_e32 v105, v102, v98
	v_div_fmas_f32 v84, v84, v89, v95
	v_fmac_f32_e32 v103, v85, v91
	v_fma_f32 v86, -v86, v101, v93
	v_fmac_f32_e32 v104, v99, v94
	v_fma_f32 v89, -v96, v105, v102
	s_mov_b32 vcc_lo, s0
	v_fma_f32 v82, -v82, v103, v97
	v_div_fmas_f32 v85, v86, v87, v101
	v_fma_f32 v86, -v90, v104, v100
	v_fmac_f32_e32 v105, v89, v98
	s_mov_b32 vcc_lo, s1
	v_div_fmas_f32 v82, v82, v91, v103
	s_mov_b32 vcc_lo, s2
	v_fma_f32 v87, -v96, v105, v102
	v_div_fmas_f32 v86, v86, v94, v104
	s_mov_b32 vcc_lo, s3
	v_div_fmas_f32 v87, v87, v98, v105
	v_div_fixup_f32 v86, v86, v88, 1.0
	v_div_fixup_f32 v87, v87, v92, 1.0
	v_fmaak_f32 v89, s5, v86, 0x3d088889
	v_add_f32_e32 v88, 1.0, v87
	v_fma_f32 v87, -v86, v89, 0x3e2aaaab
	v_fmac_f32_e32 v88, v86, v87
	v_mul_f32_e32 v86, v23, v23
	v_add_f32_e32 v87, 1.0, v23
	v_div_scale_f32 v89, null, v83, v83, v88
	v_div_scale_f32 v91, null, v86, v86, 1.0
	v_mul_f32_e32 v23, v87, v87
	v_rcp_f32_e32 v90, v89
	v_div_scale_f32 v95, vcc_lo, v88, v83, v88
	v_rcp_f32_e32 v93, v91
	v_div_scale_f32 v94, null, v23, v23, 1.0
	v_div_scale_f32 v100, s0, 1.0, v86, 1.0
	v_div_scale_f32 v104, s1, 1.0, v23, 1.0
	v_fma_f32 v92, -v89, v90, 1.0
	v_rcp_f32_e32 v97, v94
	v_fma_f32 v96, -v91, v93, 1.0
	v_fmac_f32_e32 v90, v92, v90
	v_add_f32_e32 v92, 1.0, v87
	v_fmac_f32_e32 v93, v96, v93
	v_mul_f32_e32 v98, v95, v90
	v_mul_f32_e32 v87, v92, v92
	v_fma_f32 v96, -v94, v97, 1.0
	v_mul_f32_e32 v103, v100, v93
	v_fma_f32 v101, -v89, v98, v95
	v_div_scale_f32 v99, null, v87, v87, 1.0
	v_fmac_f32_e32 v97, v96, v97
	v_fma_f32 v96, -v91, v103, v100
	v_fmac_f32_e32 v98, v101, v90
	v_rcp_f32_e32 v102, v99
	v_div_scale_f32 v106, s2, 1.0, v87, 1.0
	v_mul_f32_e32 v101, v104, v97
	v_fma_f32 v89, -v89, v98, v95
	v_fmac_f32_e32 v103, v96, v93
	v_fma_f32 v95, -v94, v101, v104
	v_div_fmas_f32 v96, v89, v90, v98
	v_fma_f32 v105, -v99, v102, 1.0
	v_fma_f32 v89, -v91, v103, v100
	s_mov_b32 vcc_lo, s0
	v_fmac_f32_e32 v101, v95, v97
	v_div_fixup_f32 v39, v96, v83, v88
	v_fmac_f32_e32 v102, v105, v102
	v_add_f32_e32 v105, 1.0, v92
	v_div_fmas_f32 v92, v89, v93, v103
	v_fma_f32 v89, -v94, v101, v104
	s_mov_b32 vcc_lo, s1
	v_mul_f32_e32 v98, v106, v102
	v_add_f32_e32 v93, 1.0, v105
	v_mul_f32_e32 v90, v105, v105
	v_div_fmas_f32 v94, v89, v97, v101
	s_mov_b32 vcc_lo, s2
	v_fma_f32 v91, -v99, v98, v106
	v_div_scale_f32 v95, null, v90, v90, 1.0
	v_div_fixup_f32 v23, v94, v23, 1.0
	v_fmac_f32_e32 v98, v91, v102
	v_mul_f32_e32 v91, v93, v93
	v_add_f32_e32 v93, 1.0, v93
	v_rcp_f32_e32 v100, v95
	v_fma_f32 v97, -v99, v98, v106
	v_div_scale_f32 v101, null, v91, v91, 1.0
	v_add_f32_e32 v89, 1.0, v93
	v_mul_f32_e32 v93, v93, v93
	v_div_fmas_f32 v97, v97, v102, v98
	v_rcp_f32_e32 v98, v101
	v_mul_f32_e32 v102, v89, v89
	v_div_scale_f32 v103, null, v93, v93, 1.0
	v_add_f32_e32 v106, v89, v89
	v_fma_f32 v99, -v95, v100, 1.0
	v_div_scale_f32 v104, null, v102, v102, 1.0
	v_rcp_f32_e32 v105, v103
	v_div_scale_f32 v110, null, v106, v106, 1.0
	v_rcp_f32_e32 v108, v104
	v_fmac_f32_e32 v100, v99, v100
	v_div_scale_f32 v99, vcc_lo, 1.0, v90, 1.0
	v_fma_f32 v107, -v101, v98, 1.0
	v_rcp_f32_e32 v112, v110
	v_mul_f32_e32 v109, v99, v100
	v_fma_f32 v111, -v103, v105, 1.0
	v_fmac_f32_e32 v98, v107, v98
	v_div_scale_f32 v107, s0, 1.0, v91, 1.0
	v_fma_f32 v114, -v104, v108, 1.0
	v_fma_f32 v113, -v95, v109, v99
	v_fmac_f32_e32 v105, v111, v105
	v_mul_f32_e32 v115, v107, v98
	v_div_scale_f32 v111, s1, 1.0, v93, 1.0
	v_fmac_f32_e32 v108, v114, v108
	v_div_scale_f32 v114, s2, 1.0, v102, 1.0
	v_fma_f32 v116, -v110, v112, 1.0
	v_fmac_f32_e32 v109, v113, v100
	v_fma_f32 v113, -v101, v115, v107
	v_mul_f32_e32 v117, v111, v105
	v_mul_f32_e32 v118, v114, v108
	v_fmac_f32_e32 v112, v116, v112
	v_div_scale_f32 v116, s3, 1.0, v106, 1.0
	v_fma_f32 v95, -v95, v109, v99
	v_fmac_f32_e32 v115, v113, v98
	v_fma_f32 v113, -v103, v117, v111
	v_fma_f32 v119, -v104, v118, v114
	v_mul_f32_e32 v120, v116, v112
	v_div_fmas_f32 v99, v95, v100, v109
	v_fma_f32 v95, -v101, v115, v107
	v_fmac_f32_e32 v117, v113, v105
	v_fmac_f32_e32 v118, v119, v108
	v_fma_f32 v101, -v110, v120, v116
	s_mov_b32 vcc_lo, s0
	v_div_fmas_f32 v100, v95, v98, v115
	v_fma_f32 v95, -v103, v117, v111
	v_fmac_f32_e32 v120, v101, v112
	v_fma_f32 v101, -v104, v118, v114
	s_mov_b32 vcc_lo, s1
	v_div_fmas_f32 v98, v95, v105, v117
	s_mov_b32 vcc_lo, s2
	v_fma_f32 v95, -v110, v120, v116
	v_div_fmas_f32 v101, v101, v108, v118
	s_mov_b32 vcc_lo, s3
	v_div_fmas_f32 v95, v95, v112, v120
	v_div_fixup_f32 v101, v101, v102, 1.0
	v_div_fixup_f32 v95, v95, v106, 1.0
	v_fmaak_f32 v102, s5, v101, 0x3d088889
	v_add_f32_e32 v95, 1.0, v95
	v_fma_f32 v102, -v101, v102, 0x3e2aaaab
	v_fmac_f32_e32 v95, v101, v102
	v_mul_f32_e32 v101, v21, v21
	v_add_f32_e32 v21, 1.0, v21
	v_div_scale_f32 v104, null, v89, v89, v95
	v_div_scale_f32 v106, null, v101, v101, 1.0
	v_div_scale_f32 v107, vcc_lo, v95, v89, v95
	v_rcp_f32_e32 v105, v104
	v_rcp_f32_e32 v108, v106
	v_mul_f32_e32 v103, v21, v21
	v_add_f32_e32 v21, 1.0, v21
	v_div_scale_f32 v110, null, v103, v103, 1.0
	v_add_f32_e32 v115, 1.0, v21
	v_fma_f32 v102, -v104, v105, 1.0
	v_fma_f32 v111, -v106, v108, 1.0
	v_rcp_f32_e32 v112, v110
	v_div_scale_f32 v116, s1, 1.0, v103, 1.0
	v_fmac_f32_e32 v105, v102, v105
	v_fmac_f32_e32 v108, v111, v108
	v_div_scale_f32 v111, s0, 1.0, v101, 1.0
	v_mul_f32_e32 v109, v107, v105
	v_mul_f32_e32 v113, v111, v108
	v_fma_f32 v102, -v104, v109, v107
	v_fmac_f32_e32 v109, v102, v105
	v_mul_f32_e32 v102, v21, v21
	v_fma_f32 v107, -v104, v109, v107
	v_div_scale_f32 v114, null, v102, v102, 1.0
	v_fma_f32 v104, -v110, v112, 1.0
	v_div_fmas_f32 v21, v107, v105, v109
	v_rcp_f32_e32 v117, v114
	v_fma_f32 v105, -v106, v113, v111
	v_fmac_f32_e32 v112, v104, v112
	v_mul_f32_e32 v104, v115, v115
	v_add_f32_e32 v107, 1.0, v115
	s_mov_b32 vcc_lo, s0
	v_fmac_f32_e32 v113, v105, v108
	v_mul_f32_e32 v109, v116, v112
	v_div_scale_f32 v118, null, v104, v104, 1.0
	v_mul_f32_e32 v105, v107, v107
	v_fma_f32 v115, -v114, v117, 1.0
	v_fma_f32 v119, -v110, v109, v116
	v_rcp_f32_e32 v120, v118
	v_fma_f32 v106, -v106, v113, v111
	v_div_scale_f32 v121, null, v105, v105, 1.0
	v_fmac_f32_e32 v117, v115, v117
	v_div_scale_f32 v115, s2, 1.0, v102, 1.0
	v_add_f32_e32 v107, 1.0, v107
	v_fmac_f32_e32 v109, v119, v112
	v_rcp_f32_e32 v122, v121
	v_mul_f32_e32 v111, v115, v117
	v_div_fmas_f32 v108, v106, v108, v113
	v_add_f32_e32 v106, 1.0, v107
	v_fma_f32 v119, -v118, v120, 1.0
	v_fma_f32 v110, -v110, v109, v116
	v_mul_f32_e32 v107, v107, v107
	v_fma_f32 v113, -v114, v111, v115
	v_mul_f32_e32 v123, v106, v106
	s_mov_b32 vcc_lo, s1
	v_fmac_f32_e32 v120, v119, v120
	v_fma_f32 v119, -v121, v122, 1.0
	v_div_fmas_f32 v109, v110, v112, v109
	v_div_scale_f32 v110, null, v107, v107, 1.0
	v_div_scale_f32 v112, null, v123, v123, 1.0
	v_fmac_f32_e32 v111, v113, v117
	v_add_f32_e32 v125, v106, v106
	v_fmac_f32_e32 v122, v119, v122
	v_rcp_f32_e32 v119, v110
	v_rcp_f32_e32 v124, v112
	v_fma_f32 v114, -v114, v111, v115
	v_div_scale_f32 v115, null, v125, v125, 1.0
	v_div_scale_f32 v116, s0, 1.0, v104, 1.0
	v_div_scale_f32 v126, s1, 1.0, v105, 1.0
	v_rcp_f32_e32 v131, v115
	v_mul_f32_e32 v113, v116, v120
	v_fma_f32 v129, -v110, v119, 1.0
	v_fma_f32 v130, -v112, v124, 1.0
	s_mov_b32 vcc_lo, s2
	v_mul_f32_e32 v128, v126, v122
	v_fma_f32 v127, -v118, v113, v116
	v_div_fmas_f32 v111, v114, v117, v111
	v_fmac_f32_e32 v119, v129, v119
	v_div_scale_f32 v117, s2, 1.0, v107, 1.0
	v_fmac_f32_e32 v124, v130, v124
	v_div_scale_f32 v129, s3, 1.0, v123, 1.0
	v_fma_f32 v114, -v115, v131, 1.0
	v_fmac_f32_e32 v113, v127, v120
	v_mul_f32_e32 v130, v117, v119
	v_fma_f32 v127, -v121, v128, v126
	v_mul_f32_e32 v132, v129, v124
	v_fmac_f32_e32 v131, v114, v131
	v_div_scale_f32 v133, s4, 1.0, v125, 1.0
	v_fma_f32 v114, -v118, v113, v116
	v_fma_f32 v116, -v110, v130, v117
	v_fmac_f32_e32 v128, v127, v122
	v_fma_f32 v118, -v112, v132, v129
	v_mul_f32_e32 v127, v133, v131
	s_mov_b32 vcc_lo, s0
	v_fmac_f32_e32 v130, v116, v119
	v_div_fmas_f32 v114, v114, v120, v113
	v_fmac_f32_e32 v132, v118, v124
	v_fma_f32 v116, -v115, v127, v133
	v_fma_f32 v113, -v121, v128, v126
	;; [unrolled: 1-line block ×3, first 2 shown]
	s_mov_b32 vcc_lo, s1
	v_add_f32_e32 v117, 1.0, v18
	v_fmac_f32_e32 v127, v116, v131
	v_fma_f32 v116, -v112, v132, v129
	v_div_fmas_f32 v113, v113, v122, v128
	s_mov_b32 vcc_lo, s2
	v_add_f32_e32 v122, 1.0, v117
	v_div_fmas_f32 v112, v110, v119, v130
	s_mov_b32 vcc_lo, s3
	v_fma_f32 v110, -v115, v127, v133
	v_div_fmas_f32 v115, v116, v124, v132
	s_mov_b32 vcc_lo, s4
	v_div_fixup_f32 v21, v21, v89, v95
	v_div_fmas_f32 v110, v110, v131, v127
	v_div_fixup_f32 v115, v115, v123, 1.0
	v_div_fixup_f32 v110, v110, v125, 1.0
	v_fmaak_f32 v116, s5, v115, 0x3d088889
	v_add_f32_e32 v110, 1.0, v110
	v_fma_f32 v116, -v115, v116, 0x3e2aaaab
	v_fmac_f32_e32 v110, v115, v116
	v_mul_f32_e32 v115, v18, v18
	v_mul_f32_e32 v18, v117, v117
	;; [unrolled: 1-line block ×3, first 2 shown]
	v_add_f32_e32 v122, 1.0, v122
	v_div_scale_f32 v116, null, v106, v106, v110
	v_div_scale_f32 v119, null, v115, v115, 1.0
	v_div_scale_f32 v123, vcc_lo, v110, v106, v110
	v_rcp_f32_e32 v118, v116
	v_rcp_f32_e32 v121, v119
	v_div_scale_f32 v127, s0, 1.0, v115, 1.0
	v_fma_f32 v120, -v116, v118, 1.0
	v_fma_f32 v124, -v119, v121, 1.0
	v_fmac_f32_e32 v118, v120, v118
	v_div_scale_f32 v120, null, v18, v18, 1.0
	v_fmac_f32_e32 v121, v124, v121
	v_div_scale_f32 v124, null, v117, v117, 1.0
	v_rcp_f32_e32 v125, v120
	v_mul_f32_e32 v126, v123, v118
	v_mul_f32_e32 v131, v127, v121
	v_rcp_f32_e32 v130, v124
	v_fma_f32 v129, -v116, v126, v123
	v_fma_f32 v128, -v120, v125, 1.0
	v_fmac_f32_e32 v126, v129, v118
	v_fma_f32 v129, -v119, v131, v127
	v_fma_f32 v133, -v124, v130, 1.0
	v_fmac_f32_e32 v125, v128, v125
	v_div_scale_f32 v128, s1, 1.0, v18, 1.0
	v_fma_f32 v116, -v116, v126, v123
	v_fmac_f32_e32 v131, v129, v121
	v_fmac_f32_e32 v130, v133, v130
	v_mul_f32_e32 v132, v128, v125
	v_div_scale_f32 v129, s2, 1.0, v117, 1.0
	v_div_fmas_f32 v116, v116, v118, v126
	v_mul_f32_e32 v118, v122, v122
	v_fma_f32 v123, -v120, v132, v128
	v_mul_f32_e32 v126, v129, v130
	v_fma_f32 v119, -v119, v131, v127
	v_add_f32_e32 v122, 1.0, v122
	s_mov_b32 vcc_lo, s0
	v_fmac_f32_e32 v132, v123, v125
	v_div_scale_f32 v123, null, v118, v118, 1.0
	v_fma_f32 v127, -v124, v126, v129
	v_div_fmas_f32 v119, v119, v121, v131
	v_fma_f32 v120, -v120, v132, v128
	v_rcp_f32_e32 v121, v123
	s_mov_b32 vcc_lo, s1
	v_fmac_f32_e32 v126, v127, v130
	v_div_fmas_f32 v120, v120, v125, v132
	v_mul_f32_e32 v125, v122, v122
	v_add_f32_e32 v122, 1.0, v122
	v_fma_f32 v124, -v124, v126, v129
	s_mov_b32 vcc_lo, s2
	v_div_fixup_f32 v18, v120, v18, 1.0
	v_fma_f32 v127, -v123, v121, 1.0
	v_add_f32_e32 v129, 1.0, v122
	v_div_scale_f32 v128, null, v125, v125, 1.0
	v_mul_f32_e32 v122, v122, v122
	v_div_fmas_f32 v124, v124, v130, v126
	v_mul_f32_e32 v130, v129, v129
	v_rcp_f32_e32 v126, v128
	v_fmac_f32_e32 v121, v127, v121
	v_div_scale_f32 v127, null, v122, v122, 1.0
	v_div_scale_f32 v131, null, v130, v130, 1.0
	v_add_f32_e32 v134, v129, v129
	v_rcp_f32_e32 v133, v127
	v_div_scale_f32 v132, vcc_lo, 1.0, v118, 1.0
	v_rcp_f32_e32 v136, v131
	v_div_scale_f32 v138, null, v134, v134, 1.0
	v_fma_f32 v135, -v128, v126, 1.0
	v_mul_f32_e32 v137, v132, v121
	v_rcp_f32_e32 v140, v138
	v_fma_f32 v139, -v127, v133, 1.0
	v_fmac_f32_e32 v126, v135, v126
	v_div_scale_f32 v135, s0, 1.0, v125, 1.0
	v_fma_f32 v142, -v131, v136, 1.0
	v_fma_f32 v141, -v123, v137, v132
	v_fmac_f32_e32 v133, v139, v133
	v_mul_f32_e32 v143, v135, v126
	v_div_scale_f32 v139, s1, 1.0, v122, 1.0
	v_fmac_f32_e32 v136, v142, v136
	v_div_scale_f32 v142, s2, 1.0, v130, 1.0
	v_fma_f32 v144, -v138, v140, 1.0
	v_fmac_f32_e32 v137, v141, v121
	v_fma_f32 v141, -v128, v143, v135
	v_mul_f32_e32 v145, v139, v133
	v_mul_f32_e32 v146, v142, v136
	v_fmac_f32_e32 v140, v144, v140
	v_div_scale_f32 v144, s3, 1.0, v134, 1.0
	v_fma_f32 v123, -v123, v137, v132
	v_fmac_f32_e32 v143, v141, v126
	v_fma_f32 v132, -v127, v145, v139
	v_fma_f32 v141, -v131, v146, v142
	v_mul_f32_e32 v147, v144, v140
	v_div_fmas_f32 v121, v123, v121, v137
	v_fma_f32 v123, -v128, v143, v135
	v_fmac_f32_e32 v145, v132, v133
	v_fmac_f32_e32 v146, v141, v136
	v_fma_f32 v128, -v138, v147, v144
	s_mov_b32 vcc_lo, s0
	v_div_fmas_f32 v123, v123, v126, v143
	v_fma_f32 v126, -v127, v145, v139
	v_fmac_f32_e32 v147, v128, v140
	v_fma_f32 v127, -v131, v146, v142
	s_mov_b32 vcc_lo, s1
	v_mul_f32_e32 v131, v28, v28
	v_div_fmas_f32 v126, v126, v133, v145
	s_mov_b32 vcc_lo, s2
	v_fma_f32 v128, -v138, v147, v144
	v_div_fmas_f32 v127, v127, v136, v146
	s_mov_b32 vcc_lo, s3
	v_div_scale_f32 v132, null, v131, v131, 1.0
	v_div_fmas_f32 v128, v128, v140, v147
	v_div_fixup_f32 v127, v127, v130, 1.0
	v_add_f32_e32 v28, 1.0, v28
	v_div_scale_f32 v140, s0, 1.0, v131, 1.0
	v_div_fixup_f32 v128, v128, v134, 1.0
	v_fmaak_f32 v130, s5, v127, 0x3d088889
	v_rcp_f32_e32 v134, v132
	v_mul_f32_e32 v135, v28, v28
	v_add_f32_e32 v28, 1.0, v28
	v_add_f32_e32 v128, 1.0, v128
	v_fma_f32 v130, -v127, v130, 0x3e2aaaab
	v_div_scale_f32 v138, null, v135, v135, 1.0
	v_mul_f32_e32 v141, v28, v28
	v_fmac_f32_e32 v128, v127, v130
	v_fma_f32 v137, -v132, v134, 1.0
	v_add_f32_e32 v28, 1.0, v28
	v_div_scale_f32 v142, null, v141, v141, 1.0
	v_div_scale_f32 v127, null, v129, v129, v128
	v_fmac_f32_e32 v134, v137, v134
	v_rcp_f32_e32 v137, v138
	v_rcp_f32_e32 v144, v142
	;; [unrolled: 1-line block ×3, first 2 shown]
	v_fma_f32 v143, -v138, v137, 1.0
	v_fma_f32 v145, -v142, v144, 1.0
	;; [unrolled: 1-line block ×3, first 2 shown]
	v_fmac_f32_e32 v137, v143, v137
	v_div_scale_f32 v143, s1, 1.0, v135, 1.0
	v_fmac_f32_e32 v130, v133, v130
	v_div_scale_f32 v133, vcc_lo, v128, v129, v128
	v_fmac_f32_e32 v144, v145, v144
	v_div_scale_f32 v145, s2, 1.0, v141, 1.0
	v_mul_f32_e32 v136, v133, v130
	v_fma_f32 v139, -v127, v136, v133
	v_fmac_f32_e32 v136, v139, v130
	v_mul_f32_e32 v139, v140, v134
	v_fma_f32 v127, -v127, v136, v133
	v_fma_f32 v133, -v132, v139, v140
	v_div_fmas_f32 v127, v127, v130, v136
	v_mul_f32_e32 v130, v28, v28
	v_mul_f32_e32 v136, v143, v137
	v_fmac_f32_e32 v139, v133, v134
	v_add_f32_e32 v28, 1.0, v28
	s_mov_b32 vcc_lo, s0
	v_div_scale_f32 v133, null, v130, v130, 1.0
	v_fma_f32 v146, -v138, v136, v143
	v_fma_f32 v132, -v132, v139, v140
	v_mul_f32_e32 v140, v145, v144
	v_rcp_f32_e32 v147, v133
	v_fmac_f32_e32 v136, v146, v137
	v_div_fmas_f32 v132, v132, v134, v139
	v_mul_f32_e32 v134, v28, v28
	v_fma_f32 v139, -v142, v140, v145
	s_mov_b32 vcc_lo, s1
	v_fma_f32 v138, -v138, v136, v143
	v_add_f32_e32 v28, 1.0, v28
	v_div_scale_f32 v143, null, v134, v134, 1.0
	v_fma_f32 v146, -v133, v147, 1.0
	v_fmac_f32_e32 v140, v139, v144
	v_div_scale_f32 v139, s0, 1.0, v130, 1.0
	v_div_fmas_f32 v136, v138, v137, v136
	v_fmac_f32_e32 v147, v146, v147
	v_rcp_f32_e32 v146, v143
	v_fma_f32 v137, -v142, v140, v145
	s_mov_b32 vcc_lo, s2
	v_mul_f32_e32 v138, v139, v147
	v_div_fmas_f32 v137, v137, v144, v140
	v_mul_f32_e32 v140, v28, v28
	s_mov_b32 vcc_lo, s0
	v_fma_f32 v142, -v133, v138, v139
	v_fma_f32 v144, -v143, v146, 1.0
	v_add_f32_e32 v28, 1.0, v28
	v_div_scale_f32 v145, null, v140, v140, 1.0
	v_fmac_f32_e32 v138, v142, v147
	v_fmac_f32_e32 v146, v144, v146
	v_div_scale_f32 v142, s1, 1.0, v134, 1.0
	v_rcp_f32_e32 v144, v145
	v_fma_f32 v133, -v133, v138, v139
	v_mul_f32_e32 v139, v142, v146
	v_div_fmas_f32 v133, v133, v147, v138
	s_mov_b32 vcc_lo, s1
	v_fma_f32 v138, -v143, v139, v142
	v_fma_f32 v147, -v145, v144, 1.0
	v_fmac_f32_e32 v139, v138, v146
	v_div_scale_f32 v138, s0, 1.0, v140, 1.0
	v_fmac_f32_e32 v144, v147, v144
	v_mul_f32_e32 v147, v28, v28
	v_fma_f32 v142, -v143, v139, v142
	v_mul_f32_e32 v143, v138, v144
	v_div_fmas_f32 v139, v142, v146, v139
	v_div_scale_f32 v146, null, v147, v147, 1.0
	v_fma_f32 v142, -v145, v143, v138
	s_mov_b32 vcc_lo, s0
	v_fmac_f32_e32 v143, v142, v144
	v_rcp_f32_e32 v142, v146
	v_fma_f32 v138, -v145, v143, v138
	v_div_fmas_f32 v138, v138, v144, v143
	v_fma_f32 v145, -v146, v142, 1.0
	v_fmac_f32_e32 v142, v145, v142
	v_div_scale_f32 v145, s1, 1.0, v147, 1.0
	s_mov_b32 vcc_lo, s1
	v_mul_f32_e32 v143, v145, v142
	v_fma_f32 v144, -v146, v143, v145
	v_fmac_f32_e32 v143, v144, v142
	v_add_f32_e32 v144, v28, v28
	v_fma_f32 v35, -v146, v143, v145
	v_div_scale_f32 v148, null, v144, v144, 1.0
	v_div_fmas_f32 v30, v35, v142, v143
	v_rcp_f32_e32 v149, v148
	v_div_fixup_f32 v29, v30, v147, 1.0
	v_div_fixup_f32 v30, v41, v32, 1.0
	;; [unrolled: 1-line block ×3, first 2 shown]
	v_fmaak_f32 v42, s5, v29, 0x3d088889
	v_fma_f32 v150, -v148, v149, 1.0
	v_add_f32_e32 v25, v25, v30
	v_div_fixup_f32 v30, v40, v33, 1.0
	v_add_f32_e32 v22, v22, v41
	v_fma_f32 v33, -v29, v42, 0x3e2aaaab
	v_fmac_f32_e32 v149, v150, v149
	v_div_scale_f32 v150, s0, 1.0, v144, 1.0
	s_mov_b32 vcc_lo, s0
	v_div_fixup_f32 v40, v65, v51, 1.0
	v_add_f32_e32 v25, v25, v30
	v_mul_f32_e32 v151, v150, v149
	v_div_fixup_f32 v30, v38, v34, 1.0
	v_div_fixup_f32 v34, v53, v45, 1.0
	v_add_f32_e32 v22, v22, v40
	v_fma_f32 v152, -v148, v151, v150
	v_add_f32_e32 v25, v25, v30
	v_div_fixup_f32 v30, v69, v61, 1.0
	v_fmac_f32_e32 v151, v152, v149
	v_add_f32_e32 v25, v25, v31
	v_div_fixup_f32 v31, v77, v72, 1.0
	v_fma_f32 v145, -v148, v151, v150
	v_fma_mixlo_f16 v15, v15, v25, 0
	v_add_f32_e32 v20, v20, v31
	v_div_fixup_f32 v25, v92, v86, 1.0
	v_div_fixup_f32 v31, v112, v107, 1.0
	v_div_fmas_f32 v35, v145, v149, v151
	v_add_f32_e32 v20, v20, v27
	v_div_fixup_f32 v27, v81, v74, 1.0
	v_add_f32_e32 v19, v19, v25
	v_div_fixup_f32 v32, v35, v144, 1.0
	v_div_fixup_f32 v35, v48, v43, 1.0
	;; [unrolled: 1-line block ×3, first 2 shown]
	v_add_f32_e32 v20, v20, v27
	v_div_fixup_f32 v27, v84, v75, 1.0
	v_add_f32_e32 v32, 1.0, v32
	v_add_f32_e32 v24, v24, v35
	v_div_fixup_f32 v35, v50, v44, 1.0
	v_add_f32_e32 v19, v19, v23
	v_add_f32_e32 v20, v20, v27
	v_fmac_f32_e32 v32, v29, v33
	v_div_fixup_f32 v29, v55, v46, 1.0
	v_add_f32_e32 v24, v24, v35
	v_div_fixup_f32 v35, v67, v60, 1.0
	v_div_fixup_f32 v23, v97, v87, 1.0
	v_add_f32_e32 v20, v20, v25
	v_div_fixup_f32 v25, v119, v115, 1.0
	v_add_f32_e32 v24, v24, v34
	v_add_f32_e32 v22, v22, v35
	;; [unrolled: 1-line block ×3, first 2 shown]
	v_div_fixup_f32 v23, v109, v103, 1.0
	v_div_scale_f32 v27, null, v28, v28, v32
	v_add_f32_e32 v24, v24, v29
	v_div_fixup_f32 v29, v56, v47, 1.0
	v_add_f32_e32 v22, v22, v30
	v_div_fixup_f32 v30, v70, v62, 1.0
	v_add_f32_e32 v9, v9, v25
	v_rcp_f32_e32 v25, v27
	v_add_f32_e32 v24, v24, v29
	v_div_fixup_f32 v29, v57, v52, 1.0
	v_add_f32_e32 v22, v22, v30
	v_div_fixup_f32 v30, v71, v66, 1.0
	;; [unrolled: 2-line block ×4, first 2 shown]
	v_add_f32_e32 v22, v22, v30
	v_add_f32_e32 v9, v9, v18
	;; [unrolled: 1-line block ×4, first 2 shown]
	v_fma_mixlo_f16 v14, v14, v24, 0
	v_div_fixup_f32 v24, v108, v101, 1.0
	v_fma_mixlo_f16 v13, v13, v22, 0
	v_div_fixup_f32 v22, v99, v90, 1.0
	v_add_f32_e32 v17, v17, v24
	v_div_fixup_f32 v24, v82, v79, 1.0
	v_add_f32_e32 v19, v19, v22
	;; [unrolled: 2-line block ×4, first 2 shown]
	v_add_f32_e32 v19, v19, v22
	v_div_fixup_f32 v22, v114, v104, 1.0
	v_div_fixup_f32 v24, v132, v131, 1.0
	v_add_f32_e32 v17, v17, v23
	v_div_fixup_f32 v23, v98, v93, 1.0
	v_add_f32_e32 v20, v20, v39
	v_add_f32_e32 v18, v26, v24
	;; [unrolled: 1-line block ×3, first 2 shown]
	v_fma_f32 v22, -v27, v25, 1.0
	v_div_fixup_f32 v24, v136, v135, 1.0
	v_div_fixup_f32 v26, v121, v118, 1.0
	v_add_f32_e32 v19, v19, v23
	v_add_f32_e32 v17, v17, v29
	v_fmac_f32_e32 v25, v22, v25
	v_div_scale_f32 v22, vcc_lo, v32, v28, v32
	v_add_f32_e32 v18, v18, v24
	v_div_fixup_f32 v24, v137, v141, 1.0
	v_add_f32_e32 v9, v9, v26
	v_mul_f32_e32 v29, v22, v25
	v_div_fixup_f32 v26, v123, v125, 1.0
	v_div_fixup_f32 v23, v138, v140, 1.0
	v_add_f32_e32 v18, v18, v24
	v_div_fixup_f32 v24, v133, v130, 1.0
	v_fma_f32 v30, -v27, v29, v22
	v_add_f32_e32 v9, v9, v26
	v_div_fixup_f32 v26, v126, v122, 1.0
	v_add_f32_e32 v17, v17, v31
	v_add_f32_e32 v18, v18, v24
	v_fmac_f32_e32 v29, v30, v25
	v_div_fixup_f32 v24, v139, v134, 1.0
	v_add_f32_e32 v9, v9, v26
	v_add_f32_e32 v19, v19, v21
	v_fma_f32 v22, -v27, v29, v22
	v_add_f32_e32 v18, v18, v24
	v_div_fixup_f32 v24, v127, v129, v128
	v_div_fmas_f32 v22, v22, v25, v29
	v_div_fixup_f32 v25, v116, v106, v110
	v_add_f32_e32 v18, v18, v23
	v_add_f32_e32 v9, v9, v24
	v_div_fixup_f32 v22, v22, v28, v32
	v_add_f32_e32 v17, v17, v25
	v_fma_mixlo_f16 v8, v8, v9, 0
	v_add_f32_e32 v18, v18, v22
	v_fma_mixlo_f16 v9, v10, v17, 0
	v_fma_mixlo_f16 v10, v11, v19, 0
	v_fma_mixlo_f16 v11, v12, v20, 0
	v_fma_mixlo_f16 v12, v16, v18, 0
	global_store_short v0, v8, s[8:9]
	global_store_short v1, v9, s[8:9]
	;; [unrolled: 1-line block ×8, first 2 shown]
	s_endpgm
.LBB65_177:
	v_mov_b32_e32 v0, 0
	v_mov_b32_e32 v2, 0
	s_branch .LBB65_183
.LBB65_178:
	v_mov_b32_e32 v0, 0
	v_mov_b32_e32 v2, 0
	s_branch .LBB65_205
.LBB65_179:
	v_mov_b32_e32 v0, 0
	v_mov_b32_e32 v2, 0
	;; [unrolled: 1-line block ×3, first 2 shown]
	s_mov_b32 s31, 0
.LBB65_180:
	s_and_b32 s33, s33, 3
	s_cmp_eq_u32 s33, 0
	s_cbranch_scc1 .LBB65_183
; %bb.181:
	s_lshl_b32 s0, s31, 3
	s_mul_i32 s2, s31, 12
	s_add_u32 s0, s16, s0
	s_addc_u32 s1, s17, 0
	s_add_u32 s0, s0, 0xc4
	s_addc_u32 s1, s1, 0
	;; [unrolled: 2-line block ×3, first 2 shown]
	.p2align	6
.LBB65_182:                             ; =>This Inner Loop Header: Depth=1
	s_clause 0x1
	s_load_dwordx2 s[34:35], s[2:3], 0x4
	s_load_dword s31, s[2:3], 0xc
	s_load_dwordx2 s[36:37], s[0:1], 0x0
	s_add_u32 s2, s2, 12
	s_addc_u32 s3, s3, 0
	s_add_u32 s0, s0, 8
	s_addc_u32 s1, s1, 0
	s_add_i32 s33, s33, -1
	s_cmp_lg_u32 s33, 0
	s_waitcnt lgkmcnt(0)
	v_mul_hi_u32 v3, s35, v1
	v_add_nc_u32_e32 v3, v1, v3
	v_lshrrev_b32_e32 v4, s31, v3
	v_mul_lo_u32 v3, v4, s34
	v_sub_nc_u32_e32 v3, v1, v3
	v_mad_u64_u32 v[0:1], null, v3, s36, v[0:1]
	v_mad_u64_u32 v[2:3], null, v3, s37, v[2:3]
	v_mov_b32_e32 v1, v4
	s_cbranch_scc1 .LBB65_182
.LBB65_183:
	s_cbranch_execnz .LBB65_186
.LBB65_184:
	s_waitcnt lgkmcnt(0)
	v_mul_hi_u32 v0, s13, v7
	s_andn2_b32 vcc_lo, exec_lo, s26
	v_add_nc_u32_e32 v0, v7, v0
	v_lshrrev_b32_e32 v1, s14, v0
	v_mul_lo_u32 v0, v1, s12
	v_sub_nc_u32_e32 v2, v7, v0
	v_mul_lo_u32 v0, v2, s8
	v_mul_lo_u32 v2, v2, s9
	s_cbranch_vccnz .LBB65_186
; %bb.185:
	v_mul_hi_u32 v3, s18, v1
	v_add_nc_u32_e32 v3, v1, v3
	v_lshrrev_b32_e32 v3, s19, v3
	v_mul_lo_u32 v3, v3, s15
	v_sub_nc_u32_e32 v3, v1, v3
	v_mad_u64_u32 v[0:1], null, v3, s10, v[0:1]
	v_mad_u64_u32 v[2:3], null, v3, s11, v[2:3]
.LBB65_186:
	s_waitcnt lgkmcnt(0)
	global_load_ushort v2, v2, s[6:7]
	v_mov_b32_e32 v3, 0
	s_waitcnt vmcnt(0)
	v_cvt_f32_f16_e32 v1, v2
	v_cmp_gt_f16_e32 vcc_lo, 0.5, v2
	v_mov_b32_e32 v2, 1.0
	s_and_saveexec_b32 s2, vcc_lo
	s_cbranch_execz .LBB65_192
; %bb.187:
	v_mul_f32_e32 v2, 0x40490fdb, v1
                                        ; implicit-def: $vgpr5
                                        ; implicit-def: $vgpr4
	s_mov_b32 s1, exec_lo
	v_and_b32_e32 v3, 0x7fffffff, v2
	v_cmpx_ngt_f32_e64 0x48000000, |v2|
	s_xor_b32 s3, exec_lo, s1
	s_cbranch_execz .LBB65_189
; %bb.188:
	s_mov_b32 s0, 0x7fffff
	v_mov_b32_e32 v6, 0
	v_and_or_b32 v14, v3, s0, 0x800000
	v_lshrrev_b32_e32 v12, 23, v3
	v_mad_u64_u32 v[4:5], null, 0xfe5163ab, v14, 0
	v_add_nc_u32_e32 v13, 0xffffff88, v12
	v_cmp_lt_u32_e32 vcc_lo, 63, v13
	v_mad_u64_u32 v[8:9], null, 0x3c439041, v14, v[5:6]
	v_cndmask_b32_e64 v15, 0, 0xffffffc0, vcc_lo
	v_mov_b32_e32 v5, v9
	v_add_nc_u32_e32 v15, v15, v13
	v_mad_u64_u32 v[9:10], null, 0xdb629599, v14, v[5:6]
	v_cmp_lt_u32_e64 s0, 31, v15
	v_cndmask_b32_e64 v16, 0, 0xffffffe0, s0
	v_mov_b32_e32 v5, v10
	v_cndmask_b32_e32 v4, v9, v4, vcc_lo
	v_mad_u64_u32 v[10:11], null, 0xf534ddc0, v14, v[5:6]
	v_mov_b32_e32 v5, v11
	v_cndmask_b32_e32 v8, v10, v8, vcc_lo
	v_mad_u64_u32 v[11:12], null, 0xfc2757d1, v14, v[5:6]
	v_cndmask_b32_e64 v4, v8, v4, s0
	v_mov_b32_e32 v5, v12
	v_mad_u64_u32 v[12:13], null, 0x4e441529, v14, v[5:6]
	v_mov_b32_e32 v5, v13
	v_add_nc_u32_e32 v13, v16, v15
	v_cndmask_b32_e32 v15, v12, v10, vcc_lo
	v_mad_u64_u32 v[5:6], null, 0xa2f9836e, v14, v[5:6]
	v_cmp_lt_u32_e64 s1, 31, v13
	v_cndmask_b32_e64 v14, 0, 0xffffffe0, s1
	v_cndmask_b32_e32 v5, v5, v11, vcc_lo
	v_cndmask_b32_e32 v6, v6, v12, vcc_lo
	;; [unrolled: 1-line block ×3, first 2 shown]
	v_add_nc_u32_e32 v12, v14, v13
	v_cndmask_b32_e64 v10, v5, v15, s0
	v_cndmask_b32_e64 v5, v6, v5, s0
	;; [unrolled: 1-line block ×4, first 2 shown]
	v_sub_nc_u32_e32 v13, 32, v12
	v_cmp_eq_u32_e32 vcc_lo, 0, v12
	v_cndmask_b32_e64 v5, v5, v10, s1
	v_cndmask_b32_e64 v10, v10, v6, s1
	;; [unrolled: 1-line block ×4, first 2 shown]
	v_alignbit_b32 v14, v5, v10, v13
	v_alignbit_b32 v9, v10, v6, v13
	;; [unrolled: 1-line block ×3, first 2 shown]
	v_cndmask_b32_e32 v5, v14, v5, vcc_lo
	v_cndmask_b32_e32 v8, v9, v10, vcc_lo
	;; [unrolled: 1-line block ×3, first 2 shown]
	v_bfe_u32 v9, v5, 29, 1
	v_alignbit_b32 v10, v5, v8, 30
	v_alignbit_b32 v8, v8, v6, 30
	;; [unrolled: 1-line block ×3, first 2 shown]
	v_sub_nc_u32_e32 v11, 0, v9
	v_xor_b32_e32 v10, v10, v11
	v_xor_b32_e32 v6, v8, v11
	v_xor_b32_e32 v4, v4, v11
	v_lshrrev_b32_e32 v11, 29, v5
	v_lshrrev_b32_e32 v5, 30, v5
	v_ffbh_u32_e32 v12, v10
	v_add_nc_u32_e32 v5, v9, v5
	v_min_u32_e32 v12, 32, v12
	v_sub_nc_u32_e32 v8, 31, v12
	v_lshlrev_b32_e32 v13, 23, v12
	v_alignbit_b32 v10, v10, v6, v8
	v_alignbit_b32 v4, v6, v4, v8
	v_lshlrev_b32_e32 v6, 31, v11
	v_alignbit_b32 v8, v10, v4, 9
	v_or_b32_e32 v11, 0.5, v6
	v_lshrrev_b32_e32 v10, 9, v10
	v_or_b32_e32 v6, 0x33000000, v6
	v_ffbh_u32_e32 v14, v8
	v_sub_nc_u32_e32 v11, v11, v13
	v_min_u32_e32 v13, 32, v14
	v_or_b32_e32 v10, v10, v11
	v_not_b32_e32 v11, v13
	v_mul_f32_e32 v14, 0x3fc90fda, v10
	v_add_lshl_u32 v12, v13, v12, 23
	v_alignbit_b32 v4, v8, v4, v11
	v_fma_f32 v8, 0x3fc90fda, v10, -v14
	v_sub_nc_u32_e32 v6, v6, v12
	v_lshrrev_b32_e32 v4, 9, v4
	v_fmamk_f32 v8, v10, 0x33a22168, v8
	v_or_b32_e32 v4, v6, v4
	v_fmac_f32_e32 v8, 0x3fc90fda, v4
	v_add_f32_e32 v4, v14, v8
.LBB65_189:
	s_andn2_saveexec_b32 s0, s3
; %bb.190:
	v_mul_f32_e64 v4, 0x3f22f983, |v2|
	v_rndne_f32_e32 v5, v4
	v_fma_f32 v4, 0xbfc90fda, v5, |v2|
	v_fmamk_f32 v4, v5, 0xb3a22168, v4
	v_fmamk_f32 v4, v5, 0xa7c234c4, v4
	v_cvt_i32_f32_e32 v5, v5
; %bb.191:
	s_or_b32 exec_lo, exec_lo, s0
	v_mul_f32_e32 v6, v4, v4
	s_mov_b32 s0, 0xb94c1982
	s_mov_b32 s1, 0x37d75334
	v_and_b32_e32 v10, 1, v5
	v_lshlrev_b32_e32 v5, 30, v5
	v_fmaak_f32 v8, s0, v6, 0x3c0881c4
	v_fmaak_f32 v9, s1, v6, 0xbab64f3b
	v_xor_b32_e32 v3, v3, v2
	v_cmp_eq_u32_e32 vcc_lo, 0, v10
	v_and_b32_e32 v5, 0x80000000, v5
	v_fmaak_f32 v8, v6, v8, 0xbe2aaa9d
	v_fmaak_f32 v9, v6, v9, 0x3d2aabf7
	v_sub_f32_e32 v1, 1.0, v1
	v_mul_f32_e32 v8, v6, v8
	v_fmaak_f32 v9, v6, v9, 0xbf000004
	v_fmac_f32_e32 v4, v4, v8
	v_fma_f32 v6, v6, v9, 1.0
	v_cndmask_b32_e32 v4, v6, v4, vcc_lo
	v_cmp_class_f32_e64 vcc_lo, v2, 0x1f8
	v_xor3_b32 v3, v3, v5, v4
	v_cndmask_b32_e32 v2, 0x7fc00000, v3, vcc_lo
	v_mul_f32_e32 v2, v2, v2
	v_div_scale_f32 v3, null, v2, v2, 0xc11de9e7
	v_div_scale_f32 v6, vcc_lo, 0xc11de9e7, v2, 0xc11de9e7
	v_rcp_f32_e32 v4, v3
	v_fma_f32 v5, -v3, v4, 1.0
	v_fmac_f32_e32 v4, v5, v4
	v_mul_f32_e32 v5, v6, v4
	v_fma_f32 v8, -v3, v5, v6
	v_fmac_f32_e32 v5, v8, v4
	v_fma_f32 v3, -v3, v5, v6
	v_div_fmas_f32 v3, v3, v4, v5
	v_div_fixup_f32 v2, v3, v2, 0xc11de9e7
	v_add_f32_e32 v3, 0, v2
	v_mov_b32_e32 v2, -1.0
.LBB65_192:
	s_or_b32 exec_lo, exec_lo, s2
	v_add_f32_e32 v4, 1.0, v1
	v_mul_f32_e32 v1, v1, v1
	v_add_nc_u32_e32 v7, 0x80, v7
	v_mul_f32_e32 v5, v4, v4
	v_add_f32_e32 v4, 1.0, v4
	v_div_scale_f32 v6, null, v1, v1, 1.0
	v_div_scale_f32 v9, vcc_lo, 1.0, v1, 1.0
	v_mul_f32_e32 v10, v4, v4
	v_div_scale_f32 v8, null, v5, v5, 1.0
	v_rcp_f32_e32 v11, v6
	v_div_scale_f32 v14, s0, 1.0, v5, 1.0
	v_div_scale_f32 v13, null, v10, v10, 1.0
	v_rcp_f32_e32 v12, v8
	v_add_f32_e32 v4, 1.0, v4
	v_div_scale_f32 v15, s1, 1.0, v10, 1.0
	v_rcp_f32_e32 v16, v13
	v_fma_f32 v18, -v6, v11, 1.0
	v_mul_f32_e32 v17, v4, v4
	v_add_f32_e32 v4, 1.0, v4
	v_fma_f32 v19, -v8, v12, 1.0
	v_fmac_f32_e32 v11, v18, v11
	v_mul_f32_e32 v21, v4, v4
	v_add_f32_e32 v4, 1.0, v4
	v_fma_f32 v18, -v13, v16, 1.0
	v_fmac_f32_e32 v12, v19, v12
	v_mul_f32_e32 v22, v9, v11
	v_div_scale_f32 v20, null, v17, v17, 1.0
	v_fmac_f32_e32 v16, v18, v16
	v_mul_f32_e32 v23, v14, v12
	v_fma_f32 v24, -v6, v22, v9
	v_add_f32_e32 v27, 1.0, v4
	v_rcp_f32_e32 v19, v20
	v_mul_f32_e32 v26, v15, v16
	v_fma_f32 v25, -v8, v23, v14
	v_fmac_f32_e32 v22, v24, v11
	v_mul_f32_e32 v4, v4, v4
	v_div_scale_f32 v18, null, v21, v21, 1.0
	v_fma_f32 v24, -v13, v26, v15
	v_fmac_f32_e32 v23, v25, v12
	v_fma_f32 v6, -v6, v22, v9
	v_mul_f32_e32 v9, v27, v27
	v_rcp_f32_e32 v25, v18
	v_fmac_f32_e32 v26, v24, v16
	v_fma_f32 v8, -v8, v23, v14
	v_div_fmas_f32 v6, v6, v11, v22
	s_mov_b32 vcc_lo, s0
	v_fma_f32 v28, -v20, v19, 1.0
	v_fma_f32 v11, -v13, v26, v15
	v_div_fmas_f32 v8, v8, v12, v23
	s_mov_b32 vcc_lo, s1
	v_div_scale_f32 v12, null, v4, v4, 1.0
	v_div_fmas_f32 v11, v11, v16, v26
	v_div_scale_f32 v13, null, v9, v9, 1.0
	v_add_f32_e32 v16, v27, v27
	v_rcp_f32_e32 v15, v12
	v_fmac_f32_e32 v19, v28, v19
	v_rcp_f32_e32 v23, v13
	v_div_scale_f32 v14, vcc_lo, 1.0, v17, 1.0
	v_div_scale_f32 v26, null, v16, v16, 1.0
	v_fma_f32 v22, -v18, v25, 1.0
	v_mul_f32_e32 v24, v14, v19
	v_div_fixup_f32 v1, v6, v1, 1.0
	v_rcp_f32_e32 v29, v26
	v_fma_f32 v28, -v12, v15, 1.0
	v_fmac_f32_e32 v25, v22, v25
	v_div_scale_f32 v22, s0, 1.0, v21, 1.0
	v_fma_f32 v31, -v13, v23, 1.0
	v_fma_f32 v30, -v20, v24, v14
	v_fmac_f32_e32 v15, v28, v15
	v_div_scale_f32 v28, s1, 1.0, v4, 1.0
	v_mul_f32_e32 v32, v22, v25
	v_fmac_f32_e32 v23, v31, v23
	v_div_scale_f32 v31, s2, 1.0, v9, 1.0
	v_fma_f32 v33, -v26, v29, 1.0
	v_fmac_f32_e32 v24, v30, v19
	v_mul_f32_e32 v34, v28, v15
	v_fma_f32 v30, -v18, v32, v22
	v_mul_f32_e32 v35, v31, v23
	v_fmac_f32_e32 v29, v33, v29
	v_div_scale_f32 v33, s3, 1.0, v16, 1.0
	v_fma_f32 v14, -v20, v24, v14
	v_fma_f32 v20, -v12, v34, v28
	v_fmac_f32_e32 v32, v30, v25
	v_fma_f32 v30, -v13, v35, v31
	v_mul_f32_e32 v36, v33, v29
	v_div_fmas_f32 v14, v14, v19, v24
	v_fmac_f32_e32 v34, v20, v15
	v_fma_f32 v18, -v18, v32, v22
	v_fmac_f32_e32 v35, v30, v23
	v_fma_f32 v19, -v26, v36, v33
	s_mov_b32 vcc_lo, s0
	v_fma_f32 v12, -v12, v34, v28
	v_div_fmas_f32 v18, v18, v25, v32
	v_fma_f32 v13, -v13, v35, v31
	v_fmac_f32_e32 v36, v19, v29
	s_mov_b32 vcc_lo, s1
	s_mov_b32 s0, 0xbcc30c31
	v_div_fmas_f32 v12, v12, v15, v34
	s_mov_b32 vcc_lo, s2
	v_fma_f32 v15, -v26, v36, v33
	v_div_fmas_f32 v13, v13, v23, v35
	s_mov_b32 vcc_lo, s3
	v_add_f32_e32 v1, v3, v1
	v_div_fixup_f32 v3, v8, v5, 1.0
	v_div_fmas_f32 v15, v15, v29, v36
	v_div_fixup_f32 v9, v13, v9, 1.0
	v_add_f32_e32 v1, v1, v3
	v_div_fixup_f32 v13, v15, v16, 1.0
	v_fmaak_f32 v15, s0, v9, 0x3d088889
	v_div_fixup_f32 v3, v11, v10, 1.0
	v_add_f32_e32 v13, 1.0, v13
	v_fma_f32 v15, -v9, v15, 0x3e2aaaab
	v_add_f32_e32 v1, v1, v3
	v_div_fixup_f32 v3, v14, v17, 1.0
	v_fmac_f32_e32 v13, v9, v15
	v_add_f32_e32 v1, v1, v3
	v_div_fixup_f32 v3, v18, v21, 1.0
	v_div_scale_f32 v9, null, v27, v27, v13
	v_div_scale_f32 v5, vcc_lo, v13, v27, v13
	v_add_f32_e32 v1, v1, v3
	v_rcp_f32_e32 v15, v9
	v_div_fixup_f32 v3, v12, v4, 1.0
	v_add_f32_e32 v1, v1, v3
	v_fma_f32 v6, -v9, v15, 1.0
	v_fmac_f32_e32 v15, v6, v15
	v_mul_f32_e32 v6, v5, v15
	v_fma_f32 v8, -v9, v6, v5
	v_fmac_f32_e32 v6, v8, v15
	v_fma_f32 v5, -v9, v6, v5
	v_div_fmas_f32 v4, v5, v15, v6
	v_div_fixup_f32 v3, v4, v27, v13
	v_add_f32_e32 v1, v1, v3
	v_fma_mixlo_f16 v1, v2, v1, 0
	global_store_short v0, v1, s[4:5]
	s_or_b32 exec_lo, exec_lo, s30
	s_mov_b32 s30, exec_lo
	v_cmpx_gt_i32_e64 s27, v7
	s_cbranch_execnz .LBB65_15
.LBB65_193:
	s_or_b32 exec_lo, exec_lo, s30
	s_mov_b32 s30, exec_lo
	v_cmpx_gt_i32_e64 s27, v7
	s_cbranch_execz .LBB65_215
.LBB65_194:
	s_andn2_b32 vcc_lo, exec_lo, s24
	s_cbranch_vccnz .LBB65_199
; %bb.195:
	s_andn2_b32 vcc_lo, exec_lo, s29
	s_cbranch_vccnz .LBB65_200
; %bb.196:
	s_add_i32 s33, s28, 1
	s_cmp_eq_u32 s23, 2
	s_cbranch_scc1 .LBB65_223
; %bb.197:
	v_mov_b32_e32 v2, 0
	v_mov_b32_e32 v0, 0
	;; [unrolled: 1-line block ×3, first 2 shown]
	s_and_b32 s31, s33, 28
	s_mov_b32 s34, 0
	s_mov_b64 s[0:1], s[16:17]
	s_mov_b64 s[2:3], s[20:21]
.LBB65_198:                             ; =>This Inner Loop Header: Depth=1
	s_clause 0x1
	s_load_dwordx8 s[36:43], s[0:1], 0x4
	s_load_dwordx4 s[52:55], s[0:1], 0x24
	s_load_dwordx8 s[44:51], s[2:3], 0x0
	s_add_u32 s0, s0, 48
	s_addc_u32 s1, s1, 0
	s_add_i32 s34, s34, 4
	s_add_u32 s2, s2, 32
	s_addc_u32 s3, s3, 0
	s_cmp_eq_u32 s31, s34
	s_waitcnt lgkmcnt(0)
	v_mul_hi_u32 v3, s37, v1
	v_add_nc_u32_e32 v3, v1, v3
	v_lshrrev_b32_e32 v3, s38, v3
	v_mul_hi_u32 v4, s40, v3
	v_mul_lo_u32 v6, v3, s36
	v_add_nc_u32_e32 v4, v3, v4
	v_sub_nc_u32_e32 v1, v1, v6
	v_lshrrev_b32_e32 v4, s41, v4
	v_mul_lo_u32 v6, v1, s44
	v_mul_lo_u32 v9, v1, s45
	v_mul_hi_u32 v5, s43, v4
	v_add_nc_u32_e32 v5, v4, v5
	v_lshrrev_b32_e32 v5, s52, v5
	v_mul_hi_u32 v8, s54, v5
	v_mul_lo_u32 v10, v5, s42
	v_add_nc_u32_e32 v1, v5, v8
	v_mul_lo_u32 v8, v4, s39
	v_sub_nc_u32_e32 v4, v4, v10
	v_lshrrev_b32_e32 v1, s55, v1
	v_mul_lo_u32 v10, v4, s48
	v_mul_lo_u32 v4, v4, s49
	v_sub_nc_u32_e32 v3, v3, v8
	v_mul_lo_u32 v11, v1, s53
	v_mul_lo_u32 v8, v3, s46
	;; [unrolled: 1-line block ×3, first 2 shown]
	v_sub_nc_u32_e32 v5, v5, v11
	v_add3_u32 v0, v6, v0, v8
	v_mul_lo_u32 v11, v5, s50
	v_mul_lo_u32 v5, v5, s51
	v_add3_u32 v2, v9, v2, v3
	v_add3_u32 v0, v10, v0, v11
	;; [unrolled: 1-line block ×3, first 2 shown]
	s_cbranch_scc0 .LBB65_198
	s_branch .LBB65_224
.LBB65_199:
                                        ; implicit-def: $vgpr0
                                        ; implicit-def: $vgpr2
	s_branch .LBB65_228
.LBB65_200:
	v_mov_b32_e32 v0, 0
	v_mov_b32_e32 v2, 0
	s_branch .LBB65_227
.LBB65_201:
	v_mov_b32_e32 v0, 0
	v_mov_b32_e32 v2, 0
	;; [unrolled: 1-line block ×3, first 2 shown]
	s_mov_b32 s31, 0
.LBB65_202:
	s_and_b32 s33, s33, 3
	s_cmp_eq_u32 s33, 0
	s_cbranch_scc1 .LBB65_205
; %bb.203:
	s_lshl_b32 s0, s31, 3
	s_mul_i32 s2, s31, 12
	s_add_u32 s0, s16, s0
	s_addc_u32 s1, s17, 0
	s_add_u32 s0, s0, 0xc4
	s_addc_u32 s1, s1, 0
	;; [unrolled: 2-line block ×3, first 2 shown]
	.p2align	6
.LBB65_204:                             ; =>This Inner Loop Header: Depth=1
	s_clause 0x1
	s_load_dwordx2 s[34:35], s[2:3], 0x4
	s_load_dword s31, s[2:3], 0xc
	s_load_dwordx2 s[36:37], s[0:1], 0x0
	s_add_u32 s2, s2, 12
	s_addc_u32 s3, s3, 0
	s_add_u32 s0, s0, 8
	s_addc_u32 s1, s1, 0
	s_add_i32 s33, s33, -1
	s_cmp_lg_u32 s33, 0
	s_waitcnt lgkmcnt(0)
	v_mul_hi_u32 v3, s35, v1
	v_add_nc_u32_e32 v3, v1, v3
	v_lshrrev_b32_e32 v4, s31, v3
	v_mul_lo_u32 v3, v4, s34
	v_sub_nc_u32_e32 v3, v1, v3
	v_mad_u64_u32 v[0:1], null, v3, s36, v[0:1]
	v_mad_u64_u32 v[2:3], null, v3, s37, v[2:3]
	v_mov_b32_e32 v1, v4
	s_cbranch_scc1 .LBB65_204
.LBB65_205:
	s_cbranch_execnz .LBB65_208
.LBB65_206:
	s_waitcnt lgkmcnt(0)
	v_mul_hi_u32 v0, s13, v7
	s_andn2_b32 vcc_lo, exec_lo, s26
	v_add_nc_u32_e32 v0, v7, v0
	v_lshrrev_b32_e32 v1, s14, v0
	v_mul_lo_u32 v0, v1, s12
	v_sub_nc_u32_e32 v2, v7, v0
	v_mul_lo_u32 v0, v2, s8
	v_mul_lo_u32 v2, v2, s9
	s_cbranch_vccnz .LBB65_208
; %bb.207:
	v_mul_hi_u32 v3, s18, v1
	v_add_nc_u32_e32 v3, v1, v3
	v_lshrrev_b32_e32 v3, s19, v3
	v_mul_lo_u32 v3, v3, s15
	v_sub_nc_u32_e32 v3, v1, v3
	v_mad_u64_u32 v[0:1], null, v3, s10, v[0:1]
	v_mad_u64_u32 v[2:3], null, v3, s11, v[2:3]
.LBB65_208:
	s_waitcnt lgkmcnt(0)
	global_load_ushort v2, v2, s[6:7]
	v_mov_b32_e32 v3, 0
	s_waitcnt vmcnt(0)
	v_cvt_f32_f16_e32 v1, v2
	v_cmp_gt_f16_e32 vcc_lo, 0.5, v2
	v_mov_b32_e32 v2, 1.0
	s_and_saveexec_b32 s2, vcc_lo
	s_cbranch_execz .LBB65_214
; %bb.209:
	v_mul_f32_e32 v2, 0x40490fdb, v1
                                        ; implicit-def: $vgpr5
                                        ; implicit-def: $vgpr4
	s_mov_b32 s1, exec_lo
	v_and_b32_e32 v3, 0x7fffffff, v2
	v_cmpx_ngt_f32_e64 0x48000000, |v2|
	s_xor_b32 s3, exec_lo, s1
	s_cbranch_execz .LBB65_211
; %bb.210:
	s_mov_b32 s0, 0x7fffff
	v_mov_b32_e32 v6, 0
	v_and_or_b32 v14, v3, s0, 0x800000
	v_lshrrev_b32_e32 v12, 23, v3
	v_mad_u64_u32 v[4:5], null, 0xfe5163ab, v14, 0
	v_add_nc_u32_e32 v13, 0xffffff88, v12
	v_cmp_lt_u32_e32 vcc_lo, 63, v13
	v_mad_u64_u32 v[8:9], null, 0x3c439041, v14, v[5:6]
	v_cndmask_b32_e64 v15, 0, 0xffffffc0, vcc_lo
	v_mov_b32_e32 v5, v9
	v_add_nc_u32_e32 v15, v15, v13
	v_mad_u64_u32 v[9:10], null, 0xdb629599, v14, v[5:6]
	v_cmp_lt_u32_e64 s0, 31, v15
	v_cndmask_b32_e64 v16, 0, 0xffffffe0, s0
	v_mov_b32_e32 v5, v10
	v_cndmask_b32_e32 v4, v9, v4, vcc_lo
	v_mad_u64_u32 v[10:11], null, 0xf534ddc0, v14, v[5:6]
	v_mov_b32_e32 v5, v11
	v_cndmask_b32_e32 v8, v10, v8, vcc_lo
	v_mad_u64_u32 v[11:12], null, 0xfc2757d1, v14, v[5:6]
	v_cndmask_b32_e64 v4, v8, v4, s0
	v_mov_b32_e32 v5, v12
	v_mad_u64_u32 v[12:13], null, 0x4e441529, v14, v[5:6]
	v_mov_b32_e32 v5, v13
	v_add_nc_u32_e32 v13, v16, v15
	v_cndmask_b32_e32 v15, v12, v10, vcc_lo
	v_mad_u64_u32 v[5:6], null, 0xa2f9836e, v14, v[5:6]
	v_cmp_lt_u32_e64 s1, 31, v13
	v_cndmask_b32_e64 v14, 0, 0xffffffe0, s1
	v_cndmask_b32_e32 v5, v5, v11, vcc_lo
	v_cndmask_b32_e32 v6, v6, v12, vcc_lo
	;; [unrolled: 1-line block ×3, first 2 shown]
	v_add_nc_u32_e32 v12, v14, v13
	v_cndmask_b32_e64 v10, v5, v15, s0
	v_cndmask_b32_e64 v5, v6, v5, s0
	;; [unrolled: 1-line block ×4, first 2 shown]
	v_sub_nc_u32_e32 v13, 32, v12
	v_cmp_eq_u32_e32 vcc_lo, 0, v12
	v_cndmask_b32_e64 v5, v5, v10, s1
	v_cndmask_b32_e64 v10, v10, v6, s1
	;; [unrolled: 1-line block ×4, first 2 shown]
	v_alignbit_b32 v14, v5, v10, v13
	v_alignbit_b32 v9, v10, v6, v13
	;; [unrolled: 1-line block ×3, first 2 shown]
	v_cndmask_b32_e32 v5, v14, v5, vcc_lo
	v_cndmask_b32_e32 v8, v9, v10, vcc_lo
	;; [unrolled: 1-line block ×3, first 2 shown]
	v_bfe_u32 v9, v5, 29, 1
	v_alignbit_b32 v10, v5, v8, 30
	v_alignbit_b32 v8, v8, v6, 30
	;; [unrolled: 1-line block ×3, first 2 shown]
	v_sub_nc_u32_e32 v11, 0, v9
	v_xor_b32_e32 v10, v10, v11
	v_xor_b32_e32 v6, v8, v11
	;; [unrolled: 1-line block ×3, first 2 shown]
	v_lshrrev_b32_e32 v11, 29, v5
	v_lshrrev_b32_e32 v5, 30, v5
	v_ffbh_u32_e32 v12, v10
	v_add_nc_u32_e32 v5, v9, v5
	v_min_u32_e32 v12, 32, v12
	v_sub_nc_u32_e32 v8, 31, v12
	v_lshlrev_b32_e32 v13, 23, v12
	v_alignbit_b32 v10, v10, v6, v8
	v_alignbit_b32 v4, v6, v4, v8
	v_lshlrev_b32_e32 v6, 31, v11
	v_alignbit_b32 v8, v10, v4, 9
	v_or_b32_e32 v11, 0.5, v6
	v_lshrrev_b32_e32 v10, 9, v10
	v_or_b32_e32 v6, 0x33000000, v6
	v_ffbh_u32_e32 v14, v8
	v_sub_nc_u32_e32 v11, v11, v13
	v_min_u32_e32 v13, 32, v14
	v_or_b32_e32 v10, v10, v11
	v_not_b32_e32 v11, v13
	v_mul_f32_e32 v14, 0x3fc90fda, v10
	v_add_lshl_u32 v12, v13, v12, 23
	v_alignbit_b32 v4, v8, v4, v11
	v_fma_f32 v8, 0x3fc90fda, v10, -v14
	v_sub_nc_u32_e32 v6, v6, v12
	v_lshrrev_b32_e32 v4, 9, v4
	v_fmamk_f32 v8, v10, 0x33a22168, v8
	v_or_b32_e32 v4, v6, v4
	v_fmac_f32_e32 v8, 0x3fc90fda, v4
	v_add_f32_e32 v4, v14, v8
.LBB65_211:
	s_andn2_saveexec_b32 s0, s3
; %bb.212:
	v_mul_f32_e64 v4, 0x3f22f983, |v2|
	v_rndne_f32_e32 v5, v4
	v_fma_f32 v4, 0xbfc90fda, v5, |v2|
	v_fmamk_f32 v4, v5, 0xb3a22168, v4
	v_fmamk_f32 v4, v5, 0xa7c234c4, v4
	v_cvt_i32_f32_e32 v5, v5
; %bb.213:
	s_or_b32 exec_lo, exec_lo, s0
	v_mul_f32_e32 v6, v4, v4
	s_mov_b32 s0, 0xb94c1982
	s_mov_b32 s1, 0x37d75334
	v_and_b32_e32 v10, 1, v5
	v_lshlrev_b32_e32 v5, 30, v5
	v_fmaak_f32 v8, s0, v6, 0x3c0881c4
	v_fmaak_f32 v9, s1, v6, 0xbab64f3b
	v_xor_b32_e32 v3, v3, v2
	v_cmp_eq_u32_e32 vcc_lo, 0, v10
	v_and_b32_e32 v5, 0x80000000, v5
	v_fmaak_f32 v8, v6, v8, 0xbe2aaa9d
	v_fmaak_f32 v9, v6, v9, 0x3d2aabf7
	v_sub_f32_e32 v1, 1.0, v1
	v_mul_f32_e32 v8, v6, v8
	v_fmaak_f32 v9, v6, v9, 0xbf000004
	v_fmac_f32_e32 v4, v4, v8
	v_fma_f32 v6, v6, v9, 1.0
	v_cndmask_b32_e32 v4, v6, v4, vcc_lo
	v_cmp_class_f32_e64 vcc_lo, v2, 0x1f8
	v_xor3_b32 v3, v3, v5, v4
	v_cndmask_b32_e32 v2, 0x7fc00000, v3, vcc_lo
	v_mul_f32_e32 v2, v2, v2
	v_div_scale_f32 v3, null, v2, v2, 0xc11de9e7
	v_div_scale_f32 v6, vcc_lo, 0xc11de9e7, v2, 0xc11de9e7
	v_rcp_f32_e32 v4, v3
	v_fma_f32 v5, -v3, v4, 1.0
	v_fmac_f32_e32 v4, v5, v4
	v_mul_f32_e32 v5, v6, v4
	v_fma_f32 v8, -v3, v5, v6
	v_fmac_f32_e32 v5, v8, v4
	v_fma_f32 v3, -v3, v5, v6
	v_div_fmas_f32 v3, v3, v4, v5
	v_div_fixup_f32 v2, v3, v2, 0xc11de9e7
	v_add_f32_e32 v3, 0, v2
	v_mov_b32_e32 v2, -1.0
.LBB65_214:
	s_or_b32 exec_lo, exec_lo, s2
	v_add_f32_e32 v4, 1.0, v1
	v_mul_f32_e32 v1, v1, v1
	v_add_nc_u32_e32 v7, 0x80, v7
	v_mul_f32_e32 v5, v4, v4
	v_add_f32_e32 v4, 1.0, v4
	v_div_scale_f32 v6, null, v1, v1, 1.0
	v_div_scale_f32 v9, vcc_lo, 1.0, v1, 1.0
	v_mul_f32_e32 v10, v4, v4
	v_div_scale_f32 v8, null, v5, v5, 1.0
	v_rcp_f32_e32 v11, v6
	v_div_scale_f32 v14, s0, 1.0, v5, 1.0
	v_div_scale_f32 v13, null, v10, v10, 1.0
	v_rcp_f32_e32 v12, v8
	v_add_f32_e32 v4, 1.0, v4
	v_div_scale_f32 v15, s1, 1.0, v10, 1.0
	v_rcp_f32_e32 v16, v13
	v_fma_f32 v18, -v6, v11, 1.0
	v_mul_f32_e32 v17, v4, v4
	v_add_f32_e32 v4, 1.0, v4
	v_fma_f32 v19, -v8, v12, 1.0
	v_fmac_f32_e32 v11, v18, v11
	v_mul_f32_e32 v21, v4, v4
	v_add_f32_e32 v4, 1.0, v4
	v_fma_f32 v18, -v13, v16, 1.0
	v_fmac_f32_e32 v12, v19, v12
	v_mul_f32_e32 v22, v9, v11
	v_div_scale_f32 v20, null, v17, v17, 1.0
	v_fmac_f32_e32 v16, v18, v16
	v_mul_f32_e32 v23, v14, v12
	v_fma_f32 v24, -v6, v22, v9
	v_add_f32_e32 v27, 1.0, v4
	v_rcp_f32_e32 v19, v20
	v_mul_f32_e32 v26, v15, v16
	v_fma_f32 v25, -v8, v23, v14
	v_fmac_f32_e32 v22, v24, v11
	v_mul_f32_e32 v4, v4, v4
	v_div_scale_f32 v18, null, v21, v21, 1.0
	v_fma_f32 v24, -v13, v26, v15
	v_fmac_f32_e32 v23, v25, v12
	v_fma_f32 v6, -v6, v22, v9
	v_mul_f32_e32 v9, v27, v27
	v_rcp_f32_e32 v25, v18
	v_fmac_f32_e32 v26, v24, v16
	v_fma_f32 v8, -v8, v23, v14
	v_div_fmas_f32 v6, v6, v11, v22
	s_mov_b32 vcc_lo, s0
	v_fma_f32 v28, -v20, v19, 1.0
	v_fma_f32 v11, -v13, v26, v15
	v_div_fmas_f32 v8, v8, v12, v23
	s_mov_b32 vcc_lo, s1
	v_div_scale_f32 v12, null, v4, v4, 1.0
	v_div_fmas_f32 v11, v11, v16, v26
	v_div_scale_f32 v13, null, v9, v9, 1.0
	v_add_f32_e32 v16, v27, v27
	v_rcp_f32_e32 v15, v12
	v_fmac_f32_e32 v19, v28, v19
	v_rcp_f32_e32 v23, v13
	v_div_scale_f32 v14, vcc_lo, 1.0, v17, 1.0
	v_div_scale_f32 v26, null, v16, v16, 1.0
	v_fma_f32 v22, -v18, v25, 1.0
	v_mul_f32_e32 v24, v14, v19
	v_div_fixup_f32 v1, v6, v1, 1.0
	v_rcp_f32_e32 v29, v26
	v_fma_f32 v28, -v12, v15, 1.0
	v_fmac_f32_e32 v25, v22, v25
	v_div_scale_f32 v22, s0, 1.0, v21, 1.0
	v_fma_f32 v31, -v13, v23, 1.0
	v_fma_f32 v30, -v20, v24, v14
	v_fmac_f32_e32 v15, v28, v15
	v_div_scale_f32 v28, s1, 1.0, v4, 1.0
	v_mul_f32_e32 v32, v22, v25
	v_fmac_f32_e32 v23, v31, v23
	v_div_scale_f32 v31, s2, 1.0, v9, 1.0
	v_fma_f32 v33, -v26, v29, 1.0
	v_fmac_f32_e32 v24, v30, v19
	v_mul_f32_e32 v34, v28, v15
	v_fma_f32 v30, -v18, v32, v22
	v_mul_f32_e32 v35, v31, v23
	v_fmac_f32_e32 v29, v33, v29
	v_div_scale_f32 v33, s3, 1.0, v16, 1.0
	v_fma_f32 v14, -v20, v24, v14
	v_fma_f32 v20, -v12, v34, v28
	v_fmac_f32_e32 v32, v30, v25
	v_fma_f32 v30, -v13, v35, v31
	v_mul_f32_e32 v36, v33, v29
	v_div_fmas_f32 v14, v14, v19, v24
	v_fmac_f32_e32 v34, v20, v15
	v_fma_f32 v18, -v18, v32, v22
	v_fmac_f32_e32 v35, v30, v23
	v_fma_f32 v19, -v26, v36, v33
	s_mov_b32 vcc_lo, s0
	v_fma_f32 v12, -v12, v34, v28
	v_div_fmas_f32 v18, v18, v25, v32
	v_fma_f32 v13, -v13, v35, v31
	v_fmac_f32_e32 v36, v19, v29
	s_mov_b32 vcc_lo, s1
	s_mov_b32 s0, 0xbcc30c31
	v_div_fmas_f32 v12, v12, v15, v34
	s_mov_b32 vcc_lo, s2
	v_fma_f32 v15, -v26, v36, v33
	v_div_fmas_f32 v13, v13, v23, v35
	s_mov_b32 vcc_lo, s3
	v_add_f32_e32 v1, v3, v1
	v_div_fixup_f32 v3, v8, v5, 1.0
	v_div_fmas_f32 v15, v15, v29, v36
	v_div_fixup_f32 v9, v13, v9, 1.0
	v_add_f32_e32 v1, v1, v3
	v_div_fixup_f32 v13, v15, v16, 1.0
	v_fmaak_f32 v15, s0, v9, 0x3d088889
	v_div_fixup_f32 v3, v11, v10, 1.0
	v_add_f32_e32 v13, 1.0, v13
	v_fma_f32 v15, -v9, v15, 0x3e2aaaab
	v_add_f32_e32 v1, v1, v3
	v_div_fixup_f32 v3, v14, v17, 1.0
	v_fmac_f32_e32 v13, v9, v15
	v_add_f32_e32 v1, v1, v3
	v_div_fixup_f32 v3, v18, v21, 1.0
	v_div_scale_f32 v9, null, v27, v27, v13
	v_div_scale_f32 v5, vcc_lo, v13, v27, v13
	v_add_f32_e32 v1, v1, v3
	v_rcp_f32_e32 v15, v9
	v_div_fixup_f32 v3, v12, v4, 1.0
	v_add_f32_e32 v1, v1, v3
	v_fma_f32 v6, -v9, v15, 1.0
	v_fmac_f32_e32 v15, v6, v15
	v_mul_f32_e32 v6, v5, v15
	v_fma_f32 v8, -v9, v6, v5
	v_fmac_f32_e32 v6, v8, v15
	v_fma_f32 v5, -v9, v6, v5
	v_div_fmas_f32 v4, v5, v15, v6
	v_div_fixup_f32 v3, v4, v27, v13
	v_add_f32_e32 v1, v1, v3
	v_fma_mixlo_f16 v1, v2, v1, 0
	global_store_short v0, v1, s[4:5]
	s_or_b32 exec_lo, exec_lo, s30
	s_mov_b32 s30, exec_lo
	v_cmpx_gt_i32_e64 s27, v7
	s_cbranch_execnz .LBB65_194
.LBB65_215:
	s_or_b32 exec_lo, exec_lo, s30
	s_mov_b32 s30, exec_lo
	v_cmpx_gt_i32_e64 s27, v7
	s_cbranch_execz .LBB65_237
.LBB65_216:
	s_andn2_b32 vcc_lo, exec_lo, s24
	s_cbranch_vccnz .LBB65_221
; %bb.217:
	s_andn2_b32 vcc_lo, exec_lo, s29
	s_cbranch_vccnz .LBB65_222
; %bb.218:
	s_add_i32 s33, s28, 1
	s_cmp_eq_u32 s23, 2
	s_cbranch_scc1 .LBB65_245
; %bb.219:
	v_mov_b32_e32 v2, 0
	v_mov_b32_e32 v0, 0
	;; [unrolled: 1-line block ×3, first 2 shown]
	s_and_b32 s31, s33, 28
	s_mov_b32 s34, 0
	s_mov_b64 s[0:1], s[16:17]
	s_mov_b64 s[2:3], s[20:21]
.LBB65_220:                             ; =>This Inner Loop Header: Depth=1
	s_clause 0x1
	s_load_dwordx8 s[36:43], s[0:1], 0x4
	s_load_dwordx4 s[52:55], s[0:1], 0x24
	s_load_dwordx8 s[44:51], s[2:3], 0x0
	s_add_u32 s0, s0, 48
	s_addc_u32 s1, s1, 0
	s_add_i32 s34, s34, 4
	s_add_u32 s2, s2, 32
	s_addc_u32 s3, s3, 0
	s_cmp_eq_u32 s31, s34
	s_waitcnt lgkmcnt(0)
	v_mul_hi_u32 v3, s37, v1
	v_add_nc_u32_e32 v3, v1, v3
	v_lshrrev_b32_e32 v3, s38, v3
	v_mul_hi_u32 v4, s40, v3
	v_mul_lo_u32 v6, v3, s36
	v_add_nc_u32_e32 v4, v3, v4
	v_sub_nc_u32_e32 v1, v1, v6
	v_lshrrev_b32_e32 v4, s41, v4
	v_mul_lo_u32 v6, v1, s44
	v_mul_lo_u32 v9, v1, s45
	v_mul_hi_u32 v5, s43, v4
	v_add_nc_u32_e32 v5, v4, v5
	v_lshrrev_b32_e32 v5, s52, v5
	v_mul_hi_u32 v8, s54, v5
	v_mul_lo_u32 v10, v5, s42
	v_add_nc_u32_e32 v1, v5, v8
	v_mul_lo_u32 v8, v4, s39
	v_sub_nc_u32_e32 v4, v4, v10
	v_lshrrev_b32_e32 v1, s55, v1
	v_mul_lo_u32 v10, v4, s48
	v_mul_lo_u32 v4, v4, s49
	v_sub_nc_u32_e32 v3, v3, v8
	v_mul_lo_u32 v11, v1, s53
	v_mul_lo_u32 v8, v3, s46
	v_mul_lo_u32 v3, v3, s47
	v_sub_nc_u32_e32 v5, v5, v11
	v_add3_u32 v0, v6, v0, v8
	v_mul_lo_u32 v11, v5, s50
	v_mul_lo_u32 v5, v5, s51
	v_add3_u32 v2, v9, v2, v3
	v_add3_u32 v0, v10, v0, v11
	v_add3_u32 v2, v4, v2, v5
	s_cbranch_scc0 .LBB65_220
	s_branch .LBB65_246
.LBB65_221:
                                        ; implicit-def: $vgpr0
                                        ; implicit-def: $vgpr2
	s_branch .LBB65_250
.LBB65_222:
	v_mov_b32_e32 v0, 0
	v_mov_b32_e32 v2, 0
	s_branch .LBB65_249
.LBB65_223:
	v_mov_b32_e32 v0, 0
	v_mov_b32_e32 v2, 0
	;; [unrolled: 1-line block ×3, first 2 shown]
	s_mov_b32 s31, 0
.LBB65_224:
	s_and_b32 s33, s33, 3
	s_cmp_eq_u32 s33, 0
	s_cbranch_scc1 .LBB65_227
; %bb.225:
	s_lshl_b32 s0, s31, 3
	s_mul_i32 s2, s31, 12
	s_add_u32 s0, s16, s0
	s_addc_u32 s1, s17, 0
	s_add_u32 s0, s0, 0xc4
	s_addc_u32 s1, s1, 0
	;; [unrolled: 2-line block ×3, first 2 shown]
	.p2align	6
.LBB65_226:                             ; =>This Inner Loop Header: Depth=1
	s_clause 0x1
	s_load_dwordx2 s[34:35], s[2:3], 0x4
	s_load_dword s31, s[2:3], 0xc
	s_load_dwordx2 s[36:37], s[0:1], 0x0
	s_add_u32 s2, s2, 12
	s_addc_u32 s3, s3, 0
	s_add_u32 s0, s0, 8
	s_addc_u32 s1, s1, 0
	s_add_i32 s33, s33, -1
	s_cmp_lg_u32 s33, 0
	s_waitcnt lgkmcnt(0)
	v_mul_hi_u32 v3, s35, v1
	v_add_nc_u32_e32 v3, v1, v3
	v_lshrrev_b32_e32 v4, s31, v3
	v_mul_lo_u32 v3, v4, s34
	v_sub_nc_u32_e32 v3, v1, v3
	v_mad_u64_u32 v[0:1], null, v3, s36, v[0:1]
	v_mad_u64_u32 v[2:3], null, v3, s37, v[2:3]
	v_mov_b32_e32 v1, v4
	s_cbranch_scc1 .LBB65_226
.LBB65_227:
	s_cbranch_execnz .LBB65_230
.LBB65_228:
	s_waitcnt lgkmcnt(0)
	v_mul_hi_u32 v0, s13, v7
	s_andn2_b32 vcc_lo, exec_lo, s26
	v_add_nc_u32_e32 v0, v7, v0
	v_lshrrev_b32_e32 v1, s14, v0
	v_mul_lo_u32 v0, v1, s12
	v_sub_nc_u32_e32 v2, v7, v0
	v_mul_lo_u32 v0, v2, s8
	v_mul_lo_u32 v2, v2, s9
	s_cbranch_vccnz .LBB65_230
; %bb.229:
	v_mul_hi_u32 v3, s18, v1
	v_add_nc_u32_e32 v3, v1, v3
	v_lshrrev_b32_e32 v3, s19, v3
	v_mul_lo_u32 v3, v3, s15
	v_sub_nc_u32_e32 v3, v1, v3
	v_mad_u64_u32 v[0:1], null, v3, s10, v[0:1]
	v_mad_u64_u32 v[2:3], null, v3, s11, v[2:3]
.LBB65_230:
	s_waitcnt lgkmcnt(0)
	global_load_ushort v2, v2, s[6:7]
	v_mov_b32_e32 v3, 0
	s_waitcnt vmcnt(0)
	v_cvt_f32_f16_e32 v1, v2
	v_cmp_gt_f16_e32 vcc_lo, 0.5, v2
	v_mov_b32_e32 v2, 1.0
	s_and_saveexec_b32 s2, vcc_lo
	s_cbranch_execz .LBB65_236
; %bb.231:
	v_mul_f32_e32 v2, 0x40490fdb, v1
                                        ; implicit-def: $vgpr5
                                        ; implicit-def: $vgpr4
	s_mov_b32 s1, exec_lo
	v_and_b32_e32 v3, 0x7fffffff, v2
	v_cmpx_ngt_f32_e64 0x48000000, |v2|
	s_xor_b32 s3, exec_lo, s1
	s_cbranch_execz .LBB65_233
; %bb.232:
	s_mov_b32 s0, 0x7fffff
	v_mov_b32_e32 v6, 0
	v_and_or_b32 v14, v3, s0, 0x800000
	v_lshrrev_b32_e32 v12, 23, v3
	v_mad_u64_u32 v[4:5], null, 0xfe5163ab, v14, 0
	v_add_nc_u32_e32 v13, 0xffffff88, v12
	v_cmp_lt_u32_e32 vcc_lo, 63, v13
	v_mad_u64_u32 v[8:9], null, 0x3c439041, v14, v[5:6]
	v_cndmask_b32_e64 v15, 0, 0xffffffc0, vcc_lo
	v_mov_b32_e32 v5, v9
	v_add_nc_u32_e32 v15, v15, v13
	v_mad_u64_u32 v[9:10], null, 0xdb629599, v14, v[5:6]
	v_cmp_lt_u32_e64 s0, 31, v15
	v_cndmask_b32_e64 v16, 0, 0xffffffe0, s0
	v_mov_b32_e32 v5, v10
	v_cndmask_b32_e32 v4, v9, v4, vcc_lo
	v_mad_u64_u32 v[10:11], null, 0xf534ddc0, v14, v[5:6]
	v_mov_b32_e32 v5, v11
	v_cndmask_b32_e32 v8, v10, v8, vcc_lo
	v_mad_u64_u32 v[11:12], null, 0xfc2757d1, v14, v[5:6]
	v_cndmask_b32_e64 v4, v8, v4, s0
	v_mov_b32_e32 v5, v12
	v_mad_u64_u32 v[12:13], null, 0x4e441529, v14, v[5:6]
	v_mov_b32_e32 v5, v13
	v_add_nc_u32_e32 v13, v16, v15
	v_cndmask_b32_e32 v15, v12, v10, vcc_lo
	v_mad_u64_u32 v[5:6], null, 0xa2f9836e, v14, v[5:6]
	v_cmp_lt_u32_e64 s1, 31, v13
	v_cndmask_b32_e64 v14, 0, 0xffffffe0, s1
	v_cndmask_b32_e32 v5, v5, v11, vcc_lo
	v_cndmask_b32_e32 v6, v6, v12, vcc_lo
	;; [unrolled: 1-line block ×3, first 2 shown]
	v_add_nc_u32_e32 v12, v14, v13
	v_cndmask_b32_e64 v10, v5, v15, s0
	v_cndmask_b32_e64 v5, v6, v5, s0
	;; [unrolled: 1-line block ×4, first 2 shown]
	v_sub_nc_u32_e32 v13, 32, v12
	v_cmp_eq_u32_e32 vcc_lo, 0, v12
	v_cndmask_b32_e64 v5, v5, v10, s1
	v_cndmask_b32_e64 v10, v10, v6, s1
	;; [unrolled: 1-line block ×4, first 2 shown]
	v_alignbit_b32 v14, v5, v10, v13
	v_alignbit_b32 v9, v10, v6, v13
	;; [unrolled: 1-line block ×3, first 2 shown]
	v_cndmask_b32_e32 v5, v14, v5, vcc_lo
	v_cndmask_b32_e32 v8, v9, v10, vcc_lo
	;; [unrolled: 1-line block ×3, first 2 shown]
	v_bfe_u32 v9, v5, 29, 1
	v_alignbit_b32 v10, v5, v8, 30
	v_alignbit_b32 v8, v8, v6, 30
	;; [unrolled: 1-line block ×3, first 2 shown]
	v_sub_nc_u32_e32 v11, 0, v9
	v_xor_b32_e32 v10, v10, v11
	v_xor_b32_e32 v6, v8, v11
	;; [unrolled: 1-line block ×3, first 2 shown]
	v_lshrrev_b32_e32 v11, 29, v5
	v_lshrrev_b32_e32 v5, 30, v5
	v_ffbh_u32_e32 v12, v10
	v_add_nc_u32_e32 v5, v9, v5
	v_min_u32_e32 v12, 32, v12
	v_sub_nc_u32_e32 v8, 31, v12
	v_lshlrev_b32_e32 v13, 23, v12
	v_alignbit_b32 v10, v10, v6, v8
	v_alignbit_b32 v4, v6, v4, v8
	v_lshlrev_b32_e32 v6, 31, v11
	v_alignbit_b32 v8, v10, v4, 9
	v_or_b32_e32 v11, 0.5, v6
	v_lshrrev_b32_e32 v10, 9, v10
	v_or_b32_e32 v6, 0x33000000, v6
	v_ffbh_u32_e32 v14, v8
	v_sub_nc_u32_e32 v11, v11, v13
	v_min_u32_e32 v13, 32, v14
	v_or_b32_e32 v10, v10, v11
	v_not_b32_e32 v11, v13
	v_mul_f32_e32 v14, 0x3fc90fda, v10
	v_add_lshl_u32 v12, v13, v12, 23
	v_alignbit_b32 v4, v8, v4, v11
	v_fma_f32 v8, 0x3fc90fda, v10, -v14
	v_sub_nc_u32_e32 v6, v6, v12
	v_lshrrev_b32_e32 v4, 9, v4
	v_fmamk_f32 v8, v10, 0x33a22168, v8
	v_or_b32_e32 v4, v6, v4
	v_fmac_f32_e32 v8, 0x3fc90fda, v4
	v_add_f32_e32 v4, v14, v8
.LBB65_233:
	s_andn2_saveexec_b32 s0, s3
; %bb.234:
	v_mul_f32_e64 v4, 0x3f22f983, |v2|
	v_rndne_f32_e32 v5, v4
	v_fma_f32 v4, 0xbfc90fda, v5, |v2|
	v_fmamk_f32 v4, v5, 0xb3a22168, v4
	v_fmamk_f32 v4, v5, 0xa7c234c4, v4
	v_cvt_i32_f32_e32 v5, v5
; %bb.235:
	s_or_b32 exec_lo, exec_lo, s0
	v_mul_f32_e32 v6, v4, v4
	s_mov_b32 s0, 0xb94c1982
	s_mov_b32 s1, 0x37d75334
	v_and_b32_e32 v10, 1, v5
	v_lshlrev_b32_e32 v5, 30, v5
	v_fmaak_f32 v8, s0, v6, 0x3c0881c4
	v_fmaak_f32 v9, s1, v6, 0xbab64f3b
	v_xor_b32_e32 v3, v3, v2
	v_cmp_eq_u32_e32 vcc_lo, 0, v10
	v_and_b32_e32 v5, 0x80000000, v5
	v_fmaak_f32 v8, v6, v8, 0xbe2aaa9d
	v_fmaak_f32 v9, v6, v9, 0x3d2aabf7
	v_sub_f32_e32 v1, 1.0, v1
	v_mul_f32_e32 v8, v6, v8
	v_fmaak_f32 v9, v6, v9, 0xbf000004
	v_fmac_f32_e32 v4, v4, v8
	v_fma_f32 v6, v6, v9, 1.0
	v_cndmask_b32_e32 v4, v6, v4, vcc_lo
	v_cmp_class_f32_e64 vcc_lo, v2, 0x1f8
	v_xor3_b32 v3, v3, v5, v4
	v_cndmask_b32_e32 v2, 0x7fc00000, v3, vcc_lo
	v_mul_f32_e32 v2, v2, v2
	v_div_scale_f32 v3, null, v2, v2, 0xc11de9e7
	v_div_scale_f32 v6, vcc_lo, 0xc11de9e7, v2, 0xc11de9e7
	v_rcp_f32_e32 v4, v3
	v_fma_f32 v5, -v3, v4, 1.0
	v_fmac_f32_e32 v4, v5, v4
	v_mul_f32_e32 v5, v6, v4
	v_fma_f32 v8, -v3, v5, v6
	v_fmac_f32_e32 v5, v8, v4
	v_fma_f32 v3, -v3, v5, v6
	v_div_fmas_f32 v3, v3, v4, v5
	v_div_fixup_f32 v2, v3, v2, 0xc11de9e7
	v_add_f32_e32 v3, 0, v2
	v_mov_b32_e32 v2, -1.0
.LBB65_236:
	s_or_b32 exec_lo, exec_lo, s2
	v_add_f32_e32 v4, 1.0, v1
	v_mul_f32_e32 v1, v1, v1
	v_add_nc_u32_e32 v7, 0x80, v7
	v_mul_f32_e32 v5, v4, v4
	v_add_f32_e32 v4, 1.0, v4
	v_div_scale_f32 v6, null, v1, v1, 1.0
	v_div_scale_f32 v9, vcc_lo, 1.0, v1, 1.0
	v_mul_f32_e32 v10, v4, v4
	v_div_scale_f32 v8, null, v5, v5, 1.0
	v_rcp_f32_e32 v11, v6
	v_div_scale_f32 v14, s0, 1.0, v5, 1.0
	v_div_scale_f32 v13, null, v10, v10, 1.0
	v_rcp_f32_e32 v12, v8
	v_add_f32_e32 v4, 1.0, v4
	v_div_scale_f32 v15, s1, 1.0, v10, 1.0
	v_rcp_f32_e32 v16, v13
	v_fma_f32 v18, -v6, v11, 1.0
	v_mul_f32_e32 v17, v4, v4
	v_add_f32_e32 v4, 1.0, v4
	v_fma_f32 v19, -v8, v12, 1.0
	v_fmac_f32_e32 v11, v18, v11
	v_mul_f32_e32 v21, v4, v4
	v_add_f32_e32 v4, 1.0, v4
	v_fma_f32 v18, -v13, v16, 1.0
	v_fmac_f32_e32 v12, v19, v12
	v_mul_f32_e32 v22, v9, v11
	v_div_scale_f32 v20, null, v17, v17, 1.0
	v_fmac_f32_e32 v16, v18, v16
	v_mul_f32_e32 v23, v14, v12
	v_fma_f32 v24, -v6, v22, v9
	v_add_f32_e32 v27, 1.0, v4
	v_rcp_f32_e32 v19, v20
	v_mul_f32_e32 v26, v15, v16
	v_fma_f32 v25, -v8, v23, v14
	v_fmac_f32_e32 v22, v24, v11
	v_mul_f32_e32 v4, v4, v4
	v_div_scale_f32 v18, null, v21, v21, 1.0
	v_fma_f32 v24, -v13, v26, v15
	v_fmac_f32_e32 v23, v25, v12
	v_fma_f32 v6, -v6, v22, v9
	v_mul_f32_e32 v9, v27, v27
	v_rcp_f32_e32 v25, v18
	v_fmac_f32_e32 v26, v24, v16
	v_fma_f32 v8, -v8, v23, v14
	v_div_fmas_f32 v6, v6, v11, v22
	s_mov_b32 vcc_lo, s0
	v_fma_f32 v28, -v20, v19, 1.0
	v_fma_f32 v11, -v13, v26, v15
	v_div_fmas_f32 v8, v8, v12, v23
	s_mov_b32 vcc_lo, s1
	v_div_scale_f32 v12, null, v4, v4, 1.0
	v_div_fmas_f32 v11, v11, v16, v26
	v_div_scale_f32 v13, null, v9, v9, 1.0
	v_add_f32_e32 v16, v27, v27
	v_rcp_f32_e32 v15, v12
	v_fmac_f32_e32 v19, v28, v19
	v_rcp_f32_e32 v23, v13
	v_div_scale_f32 v14, vcc_lo, 1.0, v17, 1.0
	v_div_scale_f32 v26, null, v16, v16, 1.0
	v_fma_f32 v22, -v18, v25, 1.0
	v_mul_f32_e32 v24, v14, v19
	v_div_fixup_f32 v1, v6, v1, 1.0
	v_rcp_f32_e32 v29, v26
	v_fma_f32 v28, -v12, v15, 1.0
	v_fmac_f32_e32 v25, v22, v25
	v_div_scale_f32 v22, s0, 1.0, v21, 1.0
	v_fma_f32 v31, -v13, v23, 1.0
	v_fma_f32 v30, -v20, v24, v14
	v_fmac_f32_e32 v15, v28, v15
	v_div_scale_f32 v28, s1, 1.0, v4, 1.0
	v_mul_f32_e32 v32, v22, v25
	v_fmac_f32_e32 v23, v31, v23
	v_div_scale_f32 v31, s2, 1.0, v9, 1.0
	v_fma_f32 v33, -v26, v29, 1.0
	v_fmac_f32_e32 v24, v30, v19
	v_mul_f32_e32 v34, v28, v15
	v_fma_f32 v30, -v18, v32, v22
	v_mul_f32_e32 v35, v31, v23
	v_fmac_f32_e32 v29, v33, v29
	v_div_scale_f32 v33, s3, 1.0, v16, 1.0
	v_fma_f32 v14, -v20, v24, v14
	v_fma_f32 v20, -v12, v34, v28
	v_fmac_f32_e32 v32, v30, v25
	v_fma_f32 v30, -v13, v35, v31
	v_mul_f32_e32 v36, v33, v29
	v_div_fmas_f32 v14, v14, v19, v24
	v_fmac_f32_e32 v34, v20, v15
	v_fma_f32 v18, -v18, v32, v22
	v_fmac_f32_e32 v35, v30, v23
	v_fma_f32 v19, -v26, v36, v33
	s_mov_b32 vcc_lo, s0
	v_fma_f32 v12, -v12, v34, v28
	v_div_fmas_f32 v18, v18, v25, v32
	v_fma_f32 v13, -v13, v35, v31
	v_fmac_f32_e32 v36, v19, v29
	s_mov_b32 vcc_lo, s1
	s_mov_b32 s0, 0xbcc30c31
	v_div_fmas_f32 v12, v12, v15, v34
	s_mov_b32 vcc_lo, s2
	v_fma_f32 v15, -v26, v36, v33
	v_div_fmas_f32 v13, v13, v23, v35
	s_mov_b32 vcc_lo, s3
	v_add_f32_e32 v1, v3, v1
	v_div_fixup_f32 v3, v8, v5, 1.0
	v_div_fmas_f32 v15, v15, v29, v36
	v_div_fixup_f32 v9, v13, v9, 1.0
	v_add_f32_e32 v1, v1, v3
	v_div_fixup_f32 v13, v15, v16, 1.0
	v_fmaak_f32 v15, s0, v9, 0x3d088889
	v_div_fixup_f32 v3, v11, v10, 1.0
	v_add_f32_e32 v13, 1.0, v13
	v_fma_f32 v15, -v9, v15, 0x3e2aaaab
	v_add_f32_e32 v1, v1, v3
	v_div_fixup_f32 v3, v14, v17, 1.0
	v_fmac_f32_e32 v13, v9, v15
	v_add_f32_e32 v1, v1, v3
	v_div_fixup_f32 v3, v18, v21, 1.0
	v_div_scale_f32 v9, null, v27, v27, v13
	v_div_scale_f32 v5, vcc_lo, v13, v27, v13
	v_add_f32_e32 v1, v1, v3
	v_rcp_f32_e32 v15, v9
	v_div_fixup_f32 v3, v12, v4, 1.0
	v_add_f32_e32 v1, v1, v3
	v_fma_f32 v6, -v9, v15, 1.0
	v_fmac_f32_e32 v15, v6, v15
	v_mul_f32_e32 v6, v5, v15
	v_fma_f32 v8, -v9, v6, v5
	v_fmac_f32_e32 v6, v8, v15
	v_fma_f32 v5, -v9, v6, v5
	v_div_fmas_f32 v4, v5, v15, v6
	v_div_fixup_f32 v3, v4, v27, v13
	v_add_f32_e32 v1, v1, v3
	v_fma_mixlo_f16 v1, v2, v1, 0
	global_store_short v0, v1, s[4:5]
	s_or_b32 exec_lo, exec_lo, s30
	s_mov_b32 s30, exec_lo
	v_cmpx_gt_i32_e64 s27, v7
	s_cbranch_execnz .LBB65_216
.LBB65_237:
	s_or_b32 exec_lo, exec_lo, s30
	s_mov_b32 s30, exec_lo
	v_cmpx_gt_i32_e64 s27, v7
	s_cbranch_execz .LBB65_259
.LBB65_238:
	s_andn2_b32 vcc_lo, exec_lo, s24
	s_cbranch_vccnz .LBB65_243
; %bb.239:
	s_andn2_b32 vcc_lo, exec_lo, s29
	s_cbranch_vccnz .LBB65_244
; %bb.240:
	s_add_i32 s33, s28, 1
	s_cmp_eq_u32 s23, 2
	s_cbranch_scc1 .LBB65_267
; %bb.241:
	v_mov_b32_e32 v2, 0
	v_mov_b32_e32 v0, 0
	v_mov_b32_e32 v1, v7
	s_and_b32 s31, s33, 28
	s_mov_b32 s34, 0
	s_mov_b64 s[0:1], s[16:17]
	s_mov_b64 s[2:3], s[20:21]
.LBB65_242:                             ; =>This Inner Loop Header: Depth=1
	s_clause 0x1
	s_load_dwordx8 s[36:43], s[0:1], 0x4
	s_load_dwordx4 s[52:55], s[0:1], 0x24
	s_load_dwordx8 s[44:51], s[2:3], 0x0
	s_add_u32 s0, s0, 48
	s_addc_u32 s1, s1, 0
	s_add_i32 s34, s34, 4
	s_add_u32 s2, s2, 32
	s_addc_u32 s3, s3, 0
	s_cmp_eq_u32 s31, s34
	s_waitcnt lgkmcnt(0)
	v_mul_hi_u32 v3, s37, v1
	v_add_nc_u32_e32 v3, v1, v3
	v_lshrrev_b32_e32 v3, s38, v3
	v_mul_hi_u32 v4, s40, v3
	v_mul_lo_u32 v6, v3, s36
	v_add_nc_u32_e32 v4, v3, v4
	v_sub_nc_u32_e32 v1, v1, v6
	v_lshrrev_b32_e32 v4, s41, v4
	v_mul_lo_u32 v6, v1, s44
	v_mul_lo_u32 v9, v1, s45
	v_mul_hi_u32 v5, s43, v4
	v_add_nc_u32_e32 v5, v4, v5
	v_lshrrev_b32_e32 v5, s52, v5
	v_mul_hi_u32 v8, s54, v5
	v_mul_lo_u32 v10, v5, s42
	v_add_nc_u32_e32 v1, v5, v8
	v_mul_lo_u32 v8, v4, s39
	v_sub_nc_u32_e32 v4, v4, v10
	v_lshrrev_b32_e32 v1, s55, v1
	v_mul_lo_u32 v10, v4, s48
	v_mul_lo_u32 v4, v4, s49
	v_sub_nc_u32_e32 v3, v3, v8
	v_mul_lo_u32 v11, v1, s53
	v_mul_lo_u32 v8, v3, s46
	;; [unrolled: 1-line block ×3, first 2 shown]
	v_sub_nc_u32_e32 v5, v5, v11
	v_add3_u32 v0, v6, v0, v8
	v_mul_lo_u32 v11, v5, s50
	v_mul_lo_u32 v5, v5, s51
	v_add3_u32 v2, v9, v2, v3
	v_add3_u32 v0, v10, v0, v11
	v_add3_u32 v2, v4, v2, v5
	s_cbranch_scc0 .LBB65_242
	s_branch .LBB65_268
.LBB65_243:
                                        ; implicit-def: $vgpr0
                                        ; implicit-def: $vgpr2
	s_branch .LBB65_272
.LBB65_244:
	v_mov_b32_e32 v0, 0
	v_mov_b32_e32 v2, 0
	s_branch .LBB65_271
.LBB65_245:
	v_mov_b32_e32 v0, 0
	v_mov_b32_e32 v2, 0
	;; [unrolled: 1-line block ×3, first 2 shown]
	s_mov_b32 s31, 0
.LBB65_246:
	s_and_b32 s33, s33, 3
	s_cmp_eq_u32 s33, 0
	s_cbranch_scc1 .LBB65_249
; %bb.247:
	s_lshl_b32 s0, s31, 3
	s_mul_i32 s2, s31, 12
	s_add_u32 s0, s16, s0
	s_addc_u32 s1, s17, 0
	s_add_u32 s0, s0, 0xc4
	s_addc_u32 s1, s1, 0
	;; [unrolled: 2-line block ×3, first 2 shown]
	.p2align	6
.LBB65_248:                             ; =>This Inner Loop Header: Depth=1
	s_clause 0x1
	s_load_dwordx2 s[34:35], s[2:3], 0x4
	s_load_dword s31, s[2:3], 0xc
	s_load_dwordx2 s[36:37], s[0:1], 0x0
	s_add_u32 s2, s2, 12
	s_addc_u32 s3, s3, 0
	s_add_u32 s0, s0, 8
	s_addc_u32 s1, s1, 0
	s_add_i32 s33, s33, -1
	s_cmp_lg_u32 s33, 0
	s_waitcnt lgkmcnt(0)
	v_mul_hi_u32 v3, s35, v1
	v_add_nc_u32_e32 v3, v1, v3
	v_lshrrev_b32_e32 v4, s31, v3
	v_mul_lo_u32 v3, v4, s34
	v_sub_nc_u32_e32 v3, v1, v3
	v_mad_u64_u32 v[0:1], null, v3, s36, v[0:1]
	v_mad_u64_u32 v[2:3], null, v3, s37, v[2:3]
	v_mov_b32_e32 v1, v4
	s_cbranch_scc1 .LBB65_248
.LBB65_249:
	s_cbranch_execnz .LBB65_252
.LBB65_250:
	s_waitcnt lgkmcnt(0)
	v_mul_hi_u32 v0, s13, v7
	s_andn2_b32 vcc_lo, exec_lo, s26
	v_add_nc_u32_e32 v0, v7, v0
	v_lshrrev_b32_e32 v1, s14, v0
	v_mul_lo_u32 v0, v1, s12
	v_sub_nc_u32_e32 v2, v7, v0
	v_mul_lo_u32 v0, v2, s8
	v_mul_lo_u32 v2, v2, s9
	s_cbranch_vccnz .LBB65_252
; %bb.251:
	v_mul_hi_u32 v3, s18, v1
	v_add_nc_u32_e32 v3, v1, v3
	v_lshrrev_b32_e32 v3, s19, v3
	v_mul_lo_u32 v3, v3, s15
	v_sub_nc_u32_e32 v3, v1, v3
	v_mad_u64_u32 v[0:1], null, v3, s10, v[0:1]
	v_mad_u64_u32 v[2:3], null, v3, s11, v[2:3]
.LBB65_252:
	s_waitcnt lgkmcnt(0)
	global_load_ushort v2, v2, s[6:7]
	v_mov_b32_e32 v3, 0
	s_waitcnt vmcnt(0)
	v_cvt_f32_f16_e32 v1, v2
	v_cmp_gt_f16_e32 vcc_lo, 0.5, v2
	v_mov_b32_e32 v2, 1.0
	s_and_saveexec_b32 s2, vcc_lo
	s_cbranch_execz .LBB65_258
; %bb.253:
	v_mul_f32_e32 v2, 0x40490fdb, v1
                                        ; implicit-def: $vgpr5
                                        ; implicit-def: $vgpr4
	s_mov_b32 s1, exec_lo
	v_and_b32_e32 v3, 0x7fffffff, v2
	v_cmpx_ngt_f32_e64 0x48000000, |v2|
	s_xor_b32 s3, exec_lo, s1
	s_cbranch_execz .LBB65_255
; %bb.254:
	s_mov_b32 s0, 0x7fffff
	v_mov_b32_e32 v6, 0
	v_and_or_b32 v14, v3, s0, 0x800000
	v_lshrrev_b32_e32 v12, 23, v3
	v_mad_u64_u32 v[4:5], null, 0xfe5163ab, v14, 0
	v_add_nc_u32_e32 v13, 0xffffff88, v12
	v_cmp_lt_u32_e32 vcc_lo, 63, v13
	v_mad_u64_u32 v[8:9], null, 0x3c439041, v14, v[5:6]
	v_cndmask_b32_e64 v15, 0, 0xffffffc0, vcc_lo
	v_mov_b32_e32 v5, v9
	v_add_nc_u32_e32 v15, v15, v13
	v_mad_u64_u32 v[9:10], null, 0xdb629599, v14, v[5:6]
	v_cmp_lt_u32_e64 s0, 31, v15
	v_cndmask_b32_e64 v16, 0, 0xffffffe0, s0
	v_mov_b32_e32 v5, v10
	v_cndmask_b32_e32 v4, v9, v4, vcc_lo
	v_mad_u64_u32 v[10:11], null, 0xf534ddc0, v14, v[5:6]
	v_mov_b32_e32 v5, v11
	v_cndmask_b32_e32 v8, v10, v8, vcc_lo
	v_mad_u64_u32 v[11:12], null, 0xfc2757d1, v14, v[5:6]
	v_cndmask_b32_e64 v4, v8, v4, s0
	v_mov_b32_e32 v5, v12
	v_mad_u64_u32 v[12:13], null, 0x4e441529, v14, v[5:6]
	v_mov_b32_e32 v5, v13
	v_add_nc_u32_e32 v13, v16, v15
	v_cndmask_b32_e32 v15, v12, v10, vcc_lo
	v_mad_u64_u32 v[5:6], null, 0xa2f9836e, v14, v[5:6]
	v_cmp_lt_u32_e64 s1, 31, v13
	v_cndmask_b32_e64 v14, 0, 0xffffffe0, s1
	v_cndmask_b32_e32 v5, v5, v11, vcc_lo
	v_cndmask_b32_e32 v6, v6, v12, vcc_lo
	;; [unrolled: 1-line block ×3, first 2 shown]
	v_add_nc_u32_e32 v12, v14, v13
	v_cndmask_b32_e64 v10, v5, v15, s0
	v_cndmask_b32_e64 v5, v6, v5, s0
	;; [unrolled: 1-line block ×4, first 2 shown]
	v_sub_nc_u32_e32 v13, 32, v12
	v_cmp_eq_u32_e32 vcc_lo, 0, v12
	v_cndmask_b32_e64 v5, v5, v10, s1
	v_cndmask_b32_e64 v10, v10, v6, s1
	;; [unrolled: 1-line block ×4, first 2 shown]
	v_alignbit_b32 v14, v5, v10, v13
	v_alignbit_b32 v9, v10, v6, v13
	;; [unrolled: 1-line block ×3, first 2 shown]
	v_cndmask_b32_e32 v5, v14, v5, vcc_lo
	v_cndmask_b32_e32 v8, v9, v10, vcc_lo
	;; [unrolled: 1-line block ×3, first 2 shown]
	v_bfe_u32 v9, v5, 29, 1
	v_alignbit_b32 v10, v5, v8, 30
	v_alignbit_b32 v8, v8, v6, 30
	v_alignbit_b32 v4, v6, v4, 30
	v_sub_nc_u32_e32 v11, 0, v9
	v_xor_b32_e32 v10, v10, v11
	v_xor_b32_e32 v6, v8, v11
	;; [unrolled: 1-line block ×3, first 2 shown]
	v_lshrrev_b32_e32 v11, 29, v5
	v_lshrrev_b32_e32 v5, 30, v5
	v_ffbh_u32_e32 v12, v10
	v_add_nc_u32_e32 v5, v9, v5
	v_min_u32_e32 v12, 32, v12
	v_sub_nc_u32_e32 v8, 31, v12
	v_lshlrev_b32_e32 v13, 23, v12
	v_alignbit_b32 v10, v10, v6, v8
	v_alignbit_b32 v4, v6, v4, v8
	v_lshlrev_b32_e32 v6, 31, v11
	v_alignbit_b32 v8, v10, v4, 9
	v_or_b32_e32 v11, 0.5, v6
	v_lshrrev_b32_e32 v10, 9, v10
	v_or_b32_e32 v6, 0x33000000, v6
	v_ffbh_u32_e32 v14, v8
	v_sub_nc_u32_e32 v11, v11, v13
	v_min_u32_e32 v13, 32, v14
	v_or_b32_e32 v10, v10, v11
	v_not_b32_e32 v11, v13
	v_mul_f32_e32 v14, 0x3fc90fda, v10
	v_add_lshl_u32 v12, v13, v12, 23
	v_alignbit_b32 v4, v8, v4, v11
	v_fma_f32 v8, 0x3fc90fda, v10, -v14
	v_sub_nc_u32_e32 v6, v6, v12
	v_lshrrev_b32_e32 v4, 9, v4
	v_fmamk_f32 v8, v10, 0x33a22168, v8
	v_or_b32_e32 v4, v6, v4
	v_fmac_f32_e32 v8, 0x3fc90fda, v4
	v_add_f32_e32 v4, v14, v8
.LBB65_255:
	s_andn2_saveexec_b32 s0, s3
; %bb.256:
	v_mul_f32_e64 v4, 0x3f22f983, |v2|
	v_rndne_f32_e32 v5, v4
	v_fma_f32 v4, 0xbfc90fda, v5, |v2|
	v_fmamk_f32 v4, v5, 0xb3a22168, v4
	v_fmamk_f32 v4, v5, 0xa7c234c4, v4
	v_cvt_i32_f32_e32 v5, v5
; %bb.257:
	s_or_b32 exec_lo, exec_lo, s0
	v_mul_f32_e32 v6, v4, v4
	s_mov_b32 s0, 0xb94c1982
	s_mov_b32 s1, 0x37d75334
	v_and_b32_e32 v10, 1, v5
	v_lshlrev_b32_e32 v5, 30, v5
	v_fmaak_f32 v8, s0, v6, 0x3c0881c4
	v_fmaak_f32 v9, s1, v6, 0xbab64f3b
	v_xor_b32_e32 v3, v3, v2
	v_cmp_eq_u32_e32 vcc_lo, 0, v10
	v_and_b32_e32 v5, 0x80000000, v5
	v_fmaak_f32 v8, v6, v8, 0xbe2aaa9d
	v_fmaak_f32 v9, v6, v9, 0x3d2aabf7
	v_sub_f32_e32 v1, 1.0, v1
	v_mul_f32_e32 v8, v6, v8
	v_fmaak_f32 v9, v6, v9, 0xbf000004
	v_fmac_f32_e32 v4, v4, v8
	v_fma_f32 v6, v6, v9, 1.0
	v_cndmask_b32_e32 v4, v6, v4, vcc_lo
	v_cmp_class_f32_e64 vcc_lo, v2, 0x1f8
	v_xor3_b32 v3, v3, v5, v4
	v_cndmask_b32_e32 v2, 0x7fc00000, v3, vcc_lo
	v_mul_f32_e32 v2, v2, v2
	v_div_scale_f32 v3, null, v2, v2, 0xc11de9e7
	v_div_scale_f32 v6, vcc_lo, 0xc11de9e7, v2, 0xc11de9e7
	v_rcp_f32_e32 v4, v3
	v_fma_f32 v5, -v3, v4, 1.0
	v_fmac_f32_e32 v4, v5, v4
	v_mul_f32_e32 v5, v6, v4
	v_fma_f32 v8, -v3, v5, v6
	v_fmac_f32_e32 v5, v8, v4
	v_fma_f32 v3, -v3, v5, v6
	v_div_fmas_f32 v3, v3, v4, v5
	v_div_fixup_f32 v2, v3, v2, 0xc11de9e7
	v_add_f32_e32 v3, 0, v2
	v_mov_b32_e32 v2, -1.0
.LBB65_258:
	s_or_b32 exec_lo, exec_lo, s2
	v_add_f32_e32 v4, 1.0, v1
	v_mul_f32_e32 v1, v1, v1
	v_add_nc_u32_e32 v7, 0x80, v7
	v_mul_f32_e32 v5, v4, v4
	v_add_f32_e32 v4, 1.0, v4
	v_div_scale_f32 v6, null, v1, v1, 1.0
	v_div_scale_f32 v9, vcc_lo, 1.0, v1, 1.0
	v_mul_f32_e32 v10, v4, v4
	v_div_scale_f32 v8, null, v5, v5, 1.0
	v_rcp_f32_e32 v11, v6
	v_div_scale_f32 v14, s0, 1.0, v5, 1.0
	v_div_scale_f32 v13, null, v10, v10, 1.0
	v_rcp_f32_e32 v12, v8
	v_add_f32_e32 v4, 1.0, v4
	v_div_scale_f32 v15, s1, 1.0, v10, 1.0
	v_rcp_f32_e32 v16, v13
	v_fma_f32 v18, -v6, v11, 1.0
	v_mul_f32_e32 v17, v4, v4
	v_add_f32_e32 v4, 1.0, v4
	v_fma_f32 v19, -v8, v12, 1.0
	v_fmac_f32_e32 v11, v18, v11
	v_mul_f32_e32 v21, v4, v4
	v_add_f32_e32 v4, 1.0, v4
	v_fma_f32 v18, -v13, v16, 1.0
	v_fmac_f32_e32 v12, v19, v12
	v_mul_f32_e32 v22, v9, v11
	v_div_scale_f32 v20, null, v17, v17, 1.0
	v_fmac_f32_e32 v16, v18, v16
	v_mul_f32_e32 v23, v14, v12
	v_fma_f32 v24, -v6, v22, v9
	v_add_f32_e32 v27, 1.0, v4
	v_rcp_f32_e32 v19, v20
	v_mul_f32_e32 v26, v15, v16
	v_fma_f32 v25, -v8, v23, v14
	v_fmac_f32_e32 v22, v24, v11
	v_mul_f32_e32 v4, v4, v4
	v_div_scale_f32 v18, null, v21, v21, 1.0
	v_fma_f32 v24, -v13, v26, v15
	v_fmac_f32_e32 v23, v25, v12
	v_fma_f32 v6, -v6, v22, v9
	v_mul_f32_e32 v9, v27, v27
	v_rcp_f32_e32 v25, v18
	v_fmac_f32_e32 v26, v24, v16
	v_fma_f32 v8, -v8, v23, v14
	v_div_fmas_f32 v6, v6, v11, v22
	s_mov_b32 vcc_lo, s0
	v_fma_f32 v28, -v20, v19, 1.0
	v_fma_f32 v11, -v13, v26, v15
	v_div_fmas_f32 v8, v8, v12, v23
	s_mov_b32 vcc_lo, s1
	v_div_scale_f32 v12, null, v4, v4, 1.0
	v_div_fmas_f32 v11, v11, v16, v26
	v_div_scale_f32 v13, null, v9, v9, 1.0
	v_add_f32_e32 v16, v27, v27
	v_rcp_f32_e32 v15, v12
	v_fmac_f32_e32 v19, v28, v19
	v_rcp_f32_e32 v23, v13
	v_div_scale_f32 v14, vcc_lo, 1.0, v17, 1.0
	v_div_scale_f32 v26, null, v16, v16, 1.0
	v_fma_f32 v22, -v18, v25, 1.0
	v_mul_f32_e32 v24, v14, v19
	v_div_fixup_f32 v1, v6, v1, 1.0
	v_rcp_f32_e32 v29, v26
	v_fma_f32 v28, -v12, v15, 1.0
	v_fmac_f32_e32 v25, v22, v25
	v_div_scale_f32 v22, s0, 1.0, v21, 1.0
	v_fma_f32 v31, -v13, v23, 1.0
	v_fma_f32 v30, -v20, v24, v14
	v_fmac_f32_e32 v15, v28, v15
	v_div_scale_f32 v28, s1, 1.0, v4, 1.0
	v_mul_f32_e32 v32, v22, v25
	v_fmac_f32_e32 v23, v31, v23
	v_div_scale_f32 v31, s2, 1.0, v9, 1.0
	v_fma_f32 v33, -v26, v29, 1.0
	v_fmac_f32_e32 v24, v30, v19
	v_mul_f32_e32 v34, v28, v15
	v_fma_f32 v30, -v18, v32, v22
	v_mul_f32_e32 v35, v31, v23
	v_fmac_f32_e32 v29, v33, v29
	v_div_scale_f32 v33, s3, 1.0, v16, 1.0
	v_fma_f32 v14, -v20, v24, v14
	v_fma_f32 v20, -v12, v34, v28
	v_fmac_f32_e32 v32, v30, v25
	v_fma_f32 v30, -v13, v35, v31
	v_mul_f32_e32 v36, v33, v29
	v_div_fmas_f32 v14, v14, v19, v24
	v_fmac_f32_e32 v34, v20, v15
	v_fma_f32 v18, -v18, v32, v22
	v_fmac_f32_e32 v35, v30, v23
	v_fma_f32 v19, -v26, v36, v33
	s_mov_b32 vcc_lo, s0
	v_fma_f32 v12, -v12, v34, v28
	v_div_fmas_f32 v18, v18, v25, v32
	v_fma_f32 v13, -v13, v35, v31
	v_fmac_f32_e32 v36, v19, v29
	s_mov_b32 vcc_lo, s1
	s_mov_b32 s0, 0xbcc30c31
	v_div_fmas_f32 v12, v12, v15, v34
	s_mov_b32 vcc_lo, s2
	v_fma_f32 v15, -v26, v36, v33
	v_div_fmas_f32 v13, v13, v23, v35
	s_mov_b32 vcc_lo, s3
	v_add_f32_e32 v1, v3, v1
	v_div_fixup_f32 v3, v8, v5, 1.0
	v_div_fmas_f32 v15, v15, v29, v36
	v_div_fixup_f32 v9, v13, v9, 1.0
	v_add_f32_e32 v1, v1, v3
	v_div_fixup_f32 v13, v15, v16, 1.0
	v_fmaak_f32 v15, s0, v9, 0x3d088889
	v_div_fixup_f32 v3, v11, v10, 1.0
	v_add_f32_e32 v13, 1.0, v13
	v_fma_f32 v15, -v9, v15, 0x3e2aaaab
	v_add_f32_e32 v1, v1, v3
	v_div_fixup_f32 v3, v14, v17, 1.0
	v_fmac_f32_e32 v13, v9, v15
	v_add_f32_e32 v1, v1, v3
	v_div_fixup_f32 v3, v18, v21, 1.0
	v_div_scale_f32 v9, null, v27, v27, v13
	v_div_scale_f32 v5, vcc_lo, v13, v27, v13
	v_add_f32_e32 v1, v1, v3
	v_rcp_f32_e32 v15, v9
	v_div_fixup_f32 v3, v12, v4, 1.0
	v_add_f32_e32 v1, v1, v3
	v_fma_f32 v6, -v9, v15, 1.0
	v_fmac_f32_e32 v15, v6, v15
	v_mul_f32_e32 v6, v5, v15
	v_fma_f32 v8, -v9, v6, v5
	v_fmac_f32_e32 v6, v8, v15
	v_fma_f32 v5, -v9, v6, v5
	v_div_fmas_f32 v4, v5, v15, v6
	v_div_fixup_f32 v3, v4, v27, v13
	v_add_f32_e32 v1, v1, v3
	v_fma_mixlo_f16 v1, v2, v1, 0
	global_store_short v0, v1, s[4:5]
	s_or_b32 exec_lo, exec_lo, s30
	s_mov_b32 s30, exec_lo
	v_cmpx_gt_i32_e64 s27, v7
	s_cbranch_execnz .LBB65_238
.LBB65_259:
	s_or_b32 exec_lo, exec_lo, s30
	s_mov_b32 s30, exec_lo
	v_cmpx_gt_i32_e64 s27, v7
	s_cbranch_execz .LBB65_281
.LBB65_260:
	s_andn2_b32 vcc_lo, exec_lo, s24
	s_cbranch_vccnz .LBB65_265
; %bb.261:
	s_andn2_b32 vcc_lo, exec_lo, s29
	s_cbranch_vccnz .LBB65_266
; %bb.262:
	s_add_i32 s33, s28, 1
	s_cmp_eq_u32 s23, 2
	s_cbranch_scc1 .LBB65_289
; %bb.263:
	v_mov_b32_e32 v2, 0
	v_mov_b32_e32 v0, 0
	;; [unrolled: 1-line block ×3, first 2 shown]
	s_and_b32 s31, s33, 28
	s_mov_b32 s34, 0
	s_mov_b64 s[0:1], s[16:17]
	s_mov_b64 s[2:3], s[20:21]
.LBB65_264:                             ; =>This Inner Loop Header: Depth=1
	s_clause 0x1
	s_load_dwordx8 s[36:43], s[0:1], 0x4
	s_load_dwordx4 s[52:55], s[0:1], 0x24
	s_load_dwordx8 s[44:51], s[2:3], 0x0
	s_add_u32 s0, s0, 48
	s_addc_u32 s1, s1, 0
	s_add_i32 s34, s34, 4
	s_add_u32 s2, s2, 32
	s_addc_u32 s3, s3, 0
	s_cmp_eq_u32 s31, s34
	s_waitcnt lgkmcnt(0)
	v_mul_hi_u32 v3, s37, v1
	v_add_nc_u32_e32 v3, v1, v3
	v_lshrrev_b32_e32 v3, s38, v3
	v_mul_hi_u32 v4, s40, v3
	v_mul_lo_u32 v6, v3, s36
	v_add_nc_u32_e32 v4, v3, v4
	v_sub_nc_u32_e32 v1, v1, v6
	v_lshrrev_b32_e32 v4, s41, v4
	v_mul_lo_u32 v6, v1, s44
	v_mul_lo_u32 v9, v1, s45
	v_mul_hi_u32 v5, s43, v4
	v_add_nc_u32_e32 v5, v4, v5
	v_lshrrev_b32_e32 v5, s52, v5
	v_mul_hi_u32 v8, s54, v5
	v_mul_lo_u32 v10, v5, s42
	v_add_nc_u32_e32 v1, v5, v8
	v_mul_lo_u32 v8, v4, s39
	v_sub_nc_u32_e32 v4, v4, v10
	v_lshrrev_b32_e32 v1, s55, v1
	v_mul_lo_u32 v10, v4, s48
	v_mul_lo_u32 v4, v4, s49
	v_sub_nc_u32_e32 v3, v3, v8
	v_mul_lo_u32 v11, v1, s53
	v_mul_lo_u32 v8, v3, s46
	;; [unrolled: 1-line block ×3, first 2 shown]
	v_sub_nc_u32_e32 v5, v5, v11
	v_add3_u32 v0, v6, v0, v8
	v_mul_lo_u32 v11, v5, s50
	v_mul_lo_u32 v5, v5, s51
	v_add3_u32 v2, v9, v2, v3
	v_add3_u32 v0, v10, v0, v11
	;; [unrolled: 1-line block ×3, first 2 shown]
	s_cbranch_scc0 .LBB65_264
	s_branch .LBB65_290
.LBB65_265:
                                        ; implicit-def: $vgpr0
                                        ; implicit-def: $vgpr2
	s_branch .LBB65_294
.LBB65_266:
	v_mov_b32_e32 v0, 0
	v_mov_b32_e32 v2, 0
	s_branch .LBB65_293
.LBB65_267:
	v_mov_b32_e32 v0, 0
	v_mov_b32_e32 v2, 0
	;; [unrolled: 1-line block ×3, first 2 shown]
	s_mov_b32 s31, 0
.LBB65_268:
	s_and_b32 s33, s33, 3
	s_cmp_eq_u32 s33, 0
	s_cbranch_scc1 .LBB65_271
; %bb.269:
	s_lshl_b32 s0, s31, 3
	s_mul_i32 s2, s31, 12
	s_add_u32 s0, s16, s0
	s_addc_u32 s1, s17, 0
	s_add_u32 s0, s0, 0xc4
	s_addc_u32 s1, s1, 0
	;; [unrolled: 2-line block ×3, first 2 shown]
	.p2align	6
.LBB65_270:                             ; =>This Inner Loop Header: Depth=1
	s_clause 0x1
	s_load_dwordx2 s[34:35], s[2:3], 0x4
	s_load_dword s31, s[2:3], 0xc
	s_load_dwordx2 s[36:37], s[0:1], 0x0
	s_add_u32 s2, s2, 12
	s_addc_u32 s3, s3, 0
	s_add_u32 s0, s0, 8
	s_addc_u32 s1, s1, 0
	s_add_i32 s33, s33, -1
	s_cmp_lg_u32 s33, 0
	s_waitcnt lgkmcnt(0)
	v_mul_hi_u32 v3, s35, v1
	v_add_nc_u32_e32 v3, v1, v3
	v_lshrrev_b32_e32 v4, s31, v3
	v_mul_lo_u32 v3, v4, s34
	v_sub_nc_u32_e32 v3, v1, v3
	v_mad_u64_u32 v[0:1], null, v3, s36, v[0:1]
	v_mad_u64_u32 v[2:3], null, v3, s37, v[2:3]
	v_mov_b32_e32 v1, v4
	s_cbranch_scc1 .LBB65_270
.LBB65_271:
	s_cbranch_execnz .LBB65_274
.LBB65_272:
	s_waitcnt lgkmcnt(0)
	v_mul_hi_u32 v0, s13, v7
	s_andn2_b32 vcc_lo, exec_lo, s26
	v_add_nc_u32_e32 v0, v7, v0
	v_lshrrev_b32_e32 v1, s14, v0
	v_mul_lo_u32 v0, v1, s12
	v_sub_nc_u32_e32 v2, v7, v0
	v_mul_lo_u32 v0, v2, s8
	v_mul_lo_u32 v2, v2, s9
	s_cbranch_vccnz .LBB65_274
; %bb.273:
	v_mul_hi_u32 v3, s18, v1
	v_add_nc_u32_e32 v3, v1, v3
	v_lshrrev_b32_e32 v3, s19, v3
	v_mul_lo_u32 v3, v3, s15
	v_sub_nc_u32_e32 v3, v1, v3
	v_mad_u64_u32 v[0:1], null, v3, s10, v[0:1]
	v_mad_u64_u32 v[2:3], null, v3, s11, v[2:3]
.LBB65_274:
	s_waitcnt lgkmcnt(0)
	global_load_ushort v2, v2, s[6:7]
	v_mov_b32_e32 v3, 0
	s_waitcnt vmcnt(0)
	v_cvt_f32_f16_e32 v1, v2
	v_cmp_gt_f16_e32 vcc_lo, 0.5, v2
	v_mov_b32_e32 v2, 1.0
	s_and_saveexec_b32 s2, vcc_lo
	s_cbranch_execz .LBB65_280
; %bb.275:
	v_mul_f32_e32 v2, 0x40490fdb, v1
                                        ; implicit-def: $vgpr5
                                        ; implicit-def: $vgpr4
	s_mov_b32 s1, exec_lo
	v_and_b32_e32 v3, 0x7fffffff, v2
	v_cmpx_ngt_f32_e64 0x48000000, |v2|
	s_xor_b32 s3, exec_lo, s1
	s_cbranch_execz .LBB65_277
; %bb.276:
	s_mov_b32 s0, 0x7fffff
	v_mov_b32_e32 v6, 0
	v_and_or_b32 v14, v3, s0, 0x800000
	v_lshrrev_b32_e32 v12, 23, v3
	v_mad_u64_u32 v[4:5], null, 0xfe5163ab, v14, 0
	v_add_nc_u32_e32 v13, 0xffffff88, v12
	v_cmp_lt_u32_e32 vcc_lo, 63, v13
	v_mad_u64_u32 v[8:9], null, 0x3c439041, v14, v[5:6]
	v_cndmask_b32_e64 v15, 0, 0xffffffc0, vcc_lo
	v_mov_b32_e32 v5, v9
	v_add_nc_u32_e32 v15, v15, v13
	v_mad_u64_u32 v[9:10], null, 0xdb629599, v14, v[5:6]
	v_cmp_lt_u32_e64 s0, 31, v15
	v_cndmask_b32_e64 v16, 0, 0xffffffe0, s0
	v_mov_b32_e32 v5, v10
	v_cndmask_b32_e32 v4, v9, v4, vcc_lo
	v_mad_u64_u32 v[10:11], null, 0xf534ddc0, v14, v[5:6]
	v_mov_b32_e32 v5, v11
	v_cndmask_b32_e32 v8, v10, v8, vcc_lo
	v_mad_u64_u32 v[11:12], null, 0xfc2757d1, v14, v[5:6]
	v_cndmask_b32_e64 v4, v8, v4, s0
	v_mov_b32_e32 v5, v12
	v_mad_u64_u32 v[12:13], null, 0x4e441529, v14, v[5:6]
	v_mov_b32_e32 v5, v13
	v_add_nc_u32_e32 v13, v16, v15
	v_cndmask_b32_e32 v15, v12, v10, vcc_lo
	v_mad_u64_u32 v[5:6], null, 0xa2f9836e, v14, v[5:6]
	v_cmp_lt_u32_e64 s1, 31, v13
	v_cndmask_b32_e64 v14, 0, 0xffffffe0, s1
	v_cndmask_b32_e32 v5, v5, v11, vcc_lo
	v_cndmask_b32_e32 v6, v6, v12, vcc_lo
	;; [unrolled: 1-line block ×3, first 2 shown]
	v_add_nc_u32_e32 v12, v14, v13
	v_cndmask_b32_e64 v10, v5, v15, s0
	v_cndmask_b32_e64 v5, v6, v5, s0
	;; [unrolled: 1-line block ×4, first 2 shown]
	v_sub_nc_u32_e32 v13, 32, v12
	v_cmp_eq_u32_e32 vcc_lo, 0, v12
	v_cndmask_b32_e64 v5, v5, v10, s1
	v_cndmask_b32_e64 v10, v10, v6, s1
	v_cndmask_b32_e64 v6, v6, v11, s1
	v_cndmask_b32_e64 v4, v11, v4, s1
	v_alignbit_b32 v14, v5, v10, v13
	v_alignbit_b32 v9, v10, v6, v13
	;; [unrolled: 1-line block ×3, first 2 shown]
	v_cndmask_b32_e32 v5, v14, v5, vcc_lo
	v_cndmask_b32_e32 v8, v9, v10, vcc_lo
	;; [unrolled: 1-line block ×3, first 2 shown]
	v_bfe_u32 v9, v5, 29, 1
	v_alignbit_b32 v10, v5, v8, 30
	v_alignbit_b32 v8, v8, v6, 30
	;; [unrolled: 1-line block ×3, first 2 shown]
	v_sub_nc_u32_e32 v11, 0, v9
	v_xor_b32_e32 v10, v10, v11
	v_xor_b32_e32 v6, v8, v11
	;; [unrolled: 1-line block ×3, first 2 shown]
	v_lshrrev_b32_e32 v11, 29, v5
	v_lshrrev_b32_e32 v5, 30, v5
	v_ffbh_u32_e32 v12, v10
	v_add_nc_u32_e32 v5, v9, v5
	v_min_u32_e32 v12, 32, v12
	v_sub_nc_u32_e32 v8, 31, v12
	v_lshlrev_b32_e32 v13, 23, v12
	v_alignbit_b32 v10, v10, v6, v8
	v_alignbit_b32 v4, v6, v4, v8
	v_lshlrev_b32_e32 v6, 31, v11
	v_alignbit_b32 v8, v10, v4, 9
	v_or_b32_e32 v11, 0.5, v6
	v_lshrrev_b32_e32 v10, 9, v10
	v_or_b32_e32 v6, 0x33000000, v6
	v_ffbh_u32_e32 v14, v8
	v_sub_nc_u32_e32 v11, v11, v13
	v_min_u32_e32 v13, 32, v14
	v_or_b32_e32 v10, v10, v11
	v_not_b32_e32 v11, v13
	v_mul_f32_e32 v14, 0x3fc90fda, v10
	v_add_lshl_u32 v12, v13, v12, 23
	v_alignbit_b32 v4, v8, v4, v11
	v_fma_f32 v8, 0x3fc90fda, v10, -v14
	v_sub_nc_u32_e32 v6, v6, v12
	v_lshrrev_b32_e32 v4, 9, v4
	v_fmamk_f32 v8, v10, 0x33a22168, v8
	v_or_b32_e32 v4, v6, v4
	v_fmac_f32_e32 v8, 0x3fc90fda, v4
	v_add_f32_e32 v4, v14, v8
.LBB65_277:
	s_andn2_saveexec_b32 s0, s3
; %bb.278:
	v_mul_f32_e64 v4, 0x3f22f983, |v2|
	v_rndne_f32_e32 v5, v4
	v_fma_f32 v4, 0xbfc90fda, v5, |v2|
	v_fmamk_f32 v4, v5, 0xb3a22168, v4
	v_fmamk_f32 v4, v5, 0xa7c234c4, v4
	v_cvt_i32_f32_e32 v5, v5
; %bb.279:
	s_or_b32 exec_lo, exec_lo, s0
	v_mul_f32_e32 v6, v4, v4
	s_mov_b32 s0, 0xb94c1982
	s_mov_b32 s1, 0x37d75334
	v_and_b32_e32 v10, 1, v5
	v_lshlrev_b32_e32 v5, 30, v5
	v_fmaak_f32 v8, s0, v6, 0x3c0881c4
	v_fmaak_f32 v9, s1, v6, 0xbab64f3b
	v_xor_b32_e32 v3, v3, v2
	v_cmp_eq_u32_e32 vcc_lo, 0, v10
	v_and_b32_e32 v5, 0x80000000, v5
	v_fmaak_f32 v8, v6, v8, 0xbe2aaa9d
	v_fmaak_f32 v9, v6, v9, 0x3d2aabf7
	v_sub_f32_e32 v1, 1.0, v1
	v_mul_f32_e32 v8, v6, v8
	v_fmaak_f32 v9, v6, v9, 0xbf000004
	v_fmac_f32_e32 v4, v4, v8
	v_fma_f32 v6, v6, v9, 1.0
	v_cndmask_b32_e32 v4, v6, v4, vcc_lo
	v_cmp_class_f32_e64 vcc_lo, v2, 0x1f8
	v_xor3_b32 v3, v3, v5, v4
	v_cndmask_b32_e32 v2, 0x7fc00000, v3, vcc_lo
	v_mul_f32_e32 v2, v2, v2
	v_div_scale_f32 v3, null, v2, v2, 0xc11de9e7
	v_div_scale_f32 v6, vcc_lo, 0xc11de9e7, v2, 0xc11de9e7
	v_rcp_f32_e32 v4, v3
	v_fma_f32 v5, -v3, v4, 1.0
	v_fmac_f32_e32 v4, v5, v4
	v_mul_f32_e32 v5, v6, v4
	v_fma_f32 v8, -v3, v5, v6
	v_fmac_f32_e32 v5, v8, v4
	v_fma_f32 v3, -v3, v5, v6
	v_div_fmas_f32 v3, v3, v4, v5
	v_div_fixup_f32 v2, v3, v2, 0xc11de9e7
	v_add_f32_e32 v3, 0, v2
	v_mov_b32_e32 v2, -1.0
.LBB65_280:
	s_or_b32 exec_lo, exec_lo, s2
	v_add_f32_e32 v4, 1.0, v1
	v_mul_f32_e32 v1, v1, v1
	v_add_nc_u32_e32 v7, 0x80, v7
	v_mul_f32_e32 v5, v4, v4
	v_add_f32_e32 v4, 1.0, v4
	v_div_scale_f32 v6, null, v1, v1, 1.0
	v_div_scale_f32 v9, vcc_lo, 1.0, v1, 1.0
	v_mul_f32_e32 v10, v4, v4
	v_div_scale_f32 v8, null, v5, v5, 1.0
	v_rcp_f32_e32 v11, v6
	v_div_scale_f32 v14, s0, 1.0, v5, 1.0
	v_div_scale_f32 v13, null, v10, v10, 1.0
	v_rcp_f32_e32 v12, v8
	v_add_f32_e32 v4, 1.0, v4
	v_div_scale_f32 v15, s1, 1.0, v10, 1.0
	v_rcp_f32_e32 v16, v13
	v_fma_f32 v18, -v6, v11, 1.0
	v_mul_f32_e32 v17, v4, v4
	v_add_f32_e32 v4, 1.0, v4
	v_fma_f32 v19, -v8, v12, 1.0
	v_fmac_f32_e32 v11, v18, v11
	v_mul_f32_e32 v21, v4, v4
	v_add_f32_e32 v4, 1.0, v4
	v_fma_f32 v18, -v13, v16, 1.0
	v_fmac_f32_e32 v12, v19, v12
	v_mul_f32_e32 v22, v9, v11
	v_div_scale_f32 v20, null, v17, v17, 1.0
	v_fmac_f32_e32 v16, v18, v16
	v_mul_f32_e32 v23, v14, v12
	v_fma_f32 v24, -v6, v22, v9
	v_add_f32_e32 v27, 1.0, v4
	v_rcp_f32_e32 v19, v20
	v_mul_f32_e32 v26, v15, v16
	v_fma_f32 v25, -v8, v23, v14
	v_fmac_f32_e32 v22, v24, v11
	v_mul_f32_e32 v4, v4, v4
	v_div_scale_f32 v18, null, v21, v21, 1.0
	v_fma_f32 v24, -v13, v26, v15
	v_fmac_f32_e32 v23, v25, v12
	v_fma_f32 v6, -v6, v22, v9
	v_mul_f32_e32 v9, v27, v27
	v_rcp_f32_e32 v25, v18
	v_fmac_f32_e32 v26, v24, v16
	v_fma_f32 v8, -v8, v23, v14
	v_div_fmas_f32 v6, v6, v11, v22
	s_mov_b32 vcc_lo, s0
	v_fma_f32 v28, -v20, v19, 1.0
	v_fma_f32 v11, -v13, v26, v15
	v_div_fmas_f32 v8, v8, v12, v23
	s_mov_b32 vcc_lo, s1
	v_div_scale_f32 v12, null, v4, v4, 1.0
	v_div_fmas_f32 v11, v11, v16, v26
	v_div_scale_f32 v13, null, v9, v9, 1.0
	v_add_f32_e32 v16, v27, v27
	v_rcp_f32_e32 v15, v12
	v_fmac_f32_e32 v19, v28, v19
	v_rcp_f32_e32 v23, v13
	v_div_scale_f32 v14, vcc_lo, 1.0, v17, 1.0
	v_div_scale_f32 v26, null, v16, v16, 1.0
	v_fma_f32 v22, -v18, v25, 1.0
	v_mul_f32_e32 v24, v14, v19
	v_div_fixup_f32 v1, v6, v1, 1.0
	v_rcp_f32_e32 v29, v26
	v_fma_f32 v28, -v12, v15, 1.0
	v_fmac_f32_e32 v25, v22, v25
	v_div_scale_f32 v22, s0, 1.0, v21, 1.0
	v_fma_f32 v31, -v13, v23, 1.0
	v_fma_f32 v30, -v20, v24, v14
	v_fmac_f32_e32 v15, v28, v15
	v_div_scale_f32 v28, s1, 1.0, v4, 1.0
	v_mul_f32_e32 v32, v22, v25
	v_fmac_f32_e32 v23, v31, v23
	v_div_scale_f32 v31, s2, 1.0, v9, 1.0
	v_fma_f32 v33, -v26, v29, 1.0
	v_fmac_f32_e32 v24, v30, v19
	v_mul_f32_e32 v34, v28, v15
	v_fma_f32 v30, -v18, v32, v22
	v_mul_f32_e32 v35, v31, v23
	v_fmac_f32_e32 v29, v33, v29
	v_div_scale_f32 v33, s3, 1.0, v16, 1.0
	v_fma_f32 v14, -v20, v24, v14
	v_fma_f32 v20, -v12, v34, v28
	v_fmac_f32_e32 v32, v30, v25
	v_fma_f32 v30, -v13, v35, v31
	v_mul_f32_e32 v36, v33, v29
	v_div_fmas_f32 v14, v14, v19, v24
	v_fmac_f32_e32 v34, v20, v15
	v_fma_f32 v18, -v18, v32, v22
	v_fmac_f32_e32 v35, v30, v23
	v_fma_f32 v19, -v26, v36, v33
	s_mov_b32 vcc_lo, s0
	v_fma_f32 v12, -v12, v34, v28
	v_div_fmas_f32 v18, v18, v25, v32
	v_fma_f32 v13, -v13, v35, v31
	v_fmac_f32_e32 v36, v19, v29
	s_mov_b32 vcc_lo, s1
	s_mov_b32 s0, 0xbcc30c31
	v_div_fmas_f32 v12, v12, v15, v34
	s_mov_b32 vcc_lo, s2
	v_fma_f32 v15, -v26, v36, v33
	v_div_fmas_f32 v13, v13, v23, v35
	s_mov_b32 vcc_lo, s3
	v_add_f32_e32 v1, v3, v1
	v_div_fixup_f32 v3, v8, v5, 1.0
	v_div_fmas_f32 v15, v15, v29, v36
	v_div_fixup_f32 v9, v13, v9, 1.0
	v_add_f32_e32 v1, v1, v3
	v_div_fixup_f32 v13, v15, v16, 1.0
	v_fmaak_f32 v15, s0, v9, 0x3d088889
	v_div_fixup_f32 v3, v11, v10, 1.0
	v_add_f32_e32 v13, 1.0, v13
	v_fma_f32 v15, -v9, v15, 0x3e2aaaab
	v_add_f32_e32 v1, v1, v3
	v_div_fixup_f32 v3, v14, v17, 1.0
	v_fmac_f32_e32 v13, v9, v15
	v_add_f32_e32 v1, v1, v3
	v_div_fixup_f32 v3, v18, v21, 1.0
	v_div_scale_f32 v9, null, v27, v27, v13
	v_div_scale_f32 v5, vcc_lo, v13, v27, v13
	v_add_f32_e32 v1, v1, v3
	v_rcp_f32_e32 v15, v9
	v_div_fixup_f32 v3, v12, v4, 1.0
	v_add_f32_e32 v1, v1, v3
	v_fma_f32 v6, -v9, v15, 1.0
	v_fmac_f32_e32 v15, v6, v15
	v_mul_f32_e32 v6, v5, v15
	v_fma_f32 v8, -v9, v6, v5
	v_fmac_f32_e32 v6, v8, v15
	v_fma_f32 v5, -v9, v6, v5
	v_div_fmas_f32 v4, v5, v15, v6
	v_div_fixup_f32 v3, v4, v27, v13
	v_add_f32_e32 v1, v1, v3
	v_fma_mixlo_f16 v1, v2, v1, 0
	global_store_short v0, v1, s[4:5]
	s_or_b32 exec_lo, exec_lo, s30
	s_mov_b32 s30, exec_lo
	v_cmpx_gt_i32_e64 s27, v7
	s_cbranch_execnz .LBB65_260
.LBB65_281:
	s_or_b32 exec_lo, exec_lo, s30
	s_mov_b32 s30, exec_lo
	v_cmpx_gt_i32_e64 s27, v7
	s_cbranch_execz .LBB65_303
.LBB65_282:
	s_andn2_b32 vcc_lo, exec_lo, s24
	s_cbranch_vccnz .LBB65_287
; %bb.283:
	s_andn2_b32 vcc_lo, exec_lo, s29
	s_cbranch_vccnz .LBB65_288
; %bb.284:
	s_add_i32 s33, s28, 1
	s_cmp_eq_u32 s23, 2
	s_cbranch_scc1 .LBB65_306
; %bb.285:
	v_mov_b32_e32 v2, 0
	v_mov_b32_e32 v0, 0
	;; [unrolled: 1-line block ×3, first 2 shown]
	s_and_b32 s31, s33, 28
	s_mov_b32 s34, 0
	s_mov_b64 s[0:1], s[16:17]
	s_mov_b64 s[2:3], s[20:21]
.LBB65_286:                             ; =>This Inner Loop Header: Depth=1
	s_clause 0x1
	s_load_dwordx8 s[36:43], s[0:1], 0x4
	s_load_dwordx4 s[52:55], s[0:1], 0x24
	s_load_dwordx8 s[44:51], s[2:3], 0x0
	s_add_u32 s0, s0, 48
	s_addc_u32 s1, s1, 0
	s_add_i32 s34, s34, 4
	s_add_u32 s2, s2, 32
	s_addc_u32 s3, s3, 0
	s_cmp_eq_u32 s31, s34
	s_waitcnt lgkmcnt(0)
	v_mul_hi_u32 v3, s37, v1
	v_add_nc_u32_e32 v3, v1, v3
	v_lshrrev_b32_e32 v3, s38, v3
	v_mul_hi_u32 v4, s40, v3
	v_mul_lo_u32 v6, v3, s36
	v_add_nc_u32_e32 v4, v3, v4
	v_sub_nc_u32_e32 v1, v1, v6
	v_lshrrev_b32_e32 v4, s41, v4
	v_mul_lo_u32 v6, v1, s44
	v_mul_lo_u32 v9, v1, s45
	v_mul_hi_u32 v5, s43, v4
	v_add_nc_u32_e32 v5, v4, v5
	v_lshrrev_b32_e32 v5, s52, v5
	v_mul_hi_u32 v8, s54, v5
	v_mul_lo_u32 v10, v5, s42
	v_add_nc_u32_e32 v1, v5, v8
	v_mul_lo_u32 v8, v4, s39
	v_sub_nc_u32_e32 v4, v4, v10
	v_lshrrev_b32_e32 v1, s55, v1
	v_mul_lo_u32 v10, v4, s48
	v_mul_lo_u32 v4, v4, s49
	v_sub_nc_u32_e32 v3, v3, v8
	v_mul_lo_u32 v11, v1, s53
	v_mul_lo_u32 v8, v3, s46
	;; [unrolled: 1-line block ×3, first 2 shown]
	v_sub_nc_u32_e32 v5, v5, v11
	v_add3_u32 v0, v6, v0, v8
	v_mul_lo_u32 v11, v5, s50
	v_mul_lo_u32 v5, v5, s51
	v_add3_u32 v2, v9, v2, v3
	v_add3_u32 v0, v10, v0, v11
	;; [unrolled: 1-line block ×3, first 2 shown]
	s_cbranch_scc0 .LBB65_286
	s_branch .LBB65_307
.LBB65_287:
                                        ; implicit-def: $vgpr0
                                        ; implicit-def: $vgpr2
	s_branch .LBB65_311
.LBB65_288:
	v_mov_b32_e32 v0, 0
	v_mov_b32_e32 v2, 0
	s_branch .LBB65_310
.LBB65_289:
	v_mov_b32_e32 v0, 0
	v_mov_b32_e32 v2, 0
	;; [unrolled: 1-line block ×3, first 2 shown]
	s_mov_b32 s31, 0
.LBB65_290:
	s_and_b32 s33, s33, 3
	s_cmp_eq_u32 s33, 0
	s_cbranch_scc1 .LBB65_293
; %bb.291:
	s_lshl_b32 s0, s31, 3
	s_mul_i32 s2, s31, 12
	s_add_u32 s0, s16, s0
	s_addc_u32 s1, s17, 0
	s_add_u32 s0, s0, 0xc4
	s_addc_u32 s1, s1, 0
	;; [unrolled: 2-line block ×3, first 2 shown]
	.p2align	6
.LBB65_292:                             ; =>This Inner Loop Header: Depth=1
	s_clause 0x1
	s_load_dwordx2 s[34:35], s[2:3], 0x4
	s_load_dword s31, s[2:3], 0xc
	s_load_dwordx2 s[36:37], s[0:1], 0x0
	s_add_u32 s2, s2, 12
	s_addc_u32 s3, s3, 0
	s_add_u32 s0, s0, 8
	s_addc_u32 s1, s1, 0
	s_add_i32 s33, s33, -1
	s_cmp_lg_u32 s33, 0
	s_waitcnt lgkmcnt(0)
	v_mul_hi_u32 v3, s35, v1
	v_add_nc_u32_e32 v3, v1, v3
	v_lshrrev_b32_e32 v4, s31, v3
	v_mul_lo_u32 v3, v4, s34
	v_sub_nc_u32_e32 v3, v1, v3
	v_mad_u64_u32 v[0:1], null, v3, s36, v[0:1]
	v_mad_u64_u32 v[2:3], null, v3, s37, v[2:3]
	v_mov_b32_e32 v1, v4
	s_cbranch_scc1 .LBB65_292
.LBB65_293:
	s_cbranch_execnz .LBB65_296
.LBB65_294:
	s_waitcnt lgkmcnt(0)
	v_mul_hi_u32 v0, s13, v7
	s_andn2_b32 vcc_lo, exec_lo, s26
	v_add_nc_u32_e32 v0, v7, v0
	v_lshrrev_b32_e32 v1, s14, v0
	v_mul_lo_u32 v0, v1, s12
	v_sub_nc_u32_e32 v2, v7, v0
	v_mul_lo_u32 v0, v2, s8
	v_mul_lo_u32 v2, v2, s9
	s_cbranch_vccnz .LBB65_296
; %bb.295:
	v_mul_hi_u32 v3, s18, v1
	v_add_nc_u32_e32 v3, v1, v3
	v_lshrrev_b32_e32 v3, s19, v3
	v_mul_lo_u32 v3, v3, s15
	v_sub_nc_u32_e32 v3, v1, v3
	v_mad_u64_u32 v[0:1], null, v3, s10, v[0:1]
	v_mad_u64_u32 v[2:3], null, v3, s11, v[2:3]
.LBB65_296:
	s_waitcnt lgkmcnt(0)
	global_load_ushort v2, v2, s[6:7]
	v_mov_b32_e32 v3, 0
	s_waitcnt vmcnt(0)
	v_cvt_f32_f16_e32 v1, v2
	v_cmp_gt_f16_e32 vcc_lo, 0.5, v2
	v_mov_b32_e32 v2, 1.0
	s_and_saveexec_b32 s2, vcc_lo
	s_cbranch_execz .LBB65_302
; %bb.297:
	v_mul_f32_e32 v2, 0x40490fdb, v1
                                        ; implicit-def: $vgpr5
                                        ; implicit-def: $vgpr4
	s_mov_b32 s1, exec_lo
	v_and_b32_e32 v3, 0x7fffffff, v2
	v_cmpx_ngt_f32_e64 0x48000000, |v2|
	s_xor_b32 s3, exec_lo, s1
	s_cbranch_execz .LBB65_299
; %bb.298:
	s_mov_b32 s0, 0x7fffff
	v_mov_b32_e32 v6, 0
	v_and_or_b32 v14, v3, s0, 0x800000
	v_lshrrev_b32_e32 v12, 23, v3
	v_mad_u64_u32 v[4:5], null, 0xfe5163ab, v14, 0
	v_add_nc_u32_e32 v13, 0xffffff88, v12
	v_cmp_lt_u32_e32 vcc_lo, 63, v13
	v_mad_u64_u32 v[8:9], null, 0x3c439041, v14, v[5:6]
	v_cndmask_b32_e64 v15, 0, 0xffffffc0, vcc_lo
	v_mov_b32_e32 v5, v9
	v_add_nc_u32_e32 v15, v15, v13
	v_mad_u64_u32 v[9:10], null, 0xdb629599, v14, v[5:6]
	v_cmp_lt_u32_e64 s0, 31, v15
	v_cndmask_b32_e64 v16, 0, 0xffffffe0, s0
	v_mov_b32_e32 v5, v10
	v_cndmask_b32_e32 v4, v9, v4, vcc_lo
	v_mad_u64_u32 v[10:11], null, 0xf534ddc0, v14, v[5:6]
	v_mov_b32_e32 v5, v11
	v_cndmask_b32_e32 v8, v10, v8, vcc_lo
	v_mad_u64_u32 v[11:12], null, 0xfc2757d1, v14, v[5:6]
	v_cndmask_b32_e64 v4, v8, v4, s0
	v_mov_b32_e32 v5, v12
	v_mad_u64_u32 v[12:13], null, 0x4e441529, v14, v[5:6]
	v_mov_b32_e32 v5, v13
	v_add_nc_u32_e32 v13, v16, v15
	v_cndmask_b32_e32 v15, v12, v10, vcc_lo
	v_mad_u64_u32 v[5:6], null, 0xa2f9836e, v14, v[5:6]
	v_cmp_lt_u32_e64 s1, 31, v13
	v_cndmask_b32_e64 v14, 0, 0xffffffe0, s1
	v_cndmask_b32_e32 v5, v5, v11, vcc_lo
	v_cndmask_b32_e32 v6, v6, v12, vcc_lo
	;; [unrolled: 1-line block ×3, first 2 shown]
	v_add_nc_u32_e32 v12, v14, v13
	v_cndmask_b32_e64 v10, v5, v15, s0
	v_cndmask_b32_e64 v5, v6, v5, s0
	;; [unrolled: 1-line block ×4, first 2 shown]
	v_sub_nc_u32_e32 v13, 32, v12
	v_cmp_eq_u32_e32 vcc_lo, 0, v12
	v_cndmask_b32_e64 v5, v5, v10, s1
	v_cndmask_b32_e64 v10, v10, v6, s1
	;; [unrolled: 1-line block ×4, first 2 shown]
	v_alignbit_b32 v14, v5, v10, v13
	v_alignbit_b32 v9, v10, v6, v13
	;; [unrolled: 1-line block ×3, first 2 shown]
	v_cndmask_b32_e32 v5, v14, v5, vcc_lo
	v_cndmask_b32_e32 v8, v9, v10, vcc_lo
	;; [unrolled: 1-line block ×3, first 2 shown]
	v_bfe_u32 v9, v5, 29, 1
	v_alignbit_b32 v10, v5, v8, 30
	v_alignbit_b32 v8, v8, v6, 30
	;; [unrolled: 1-line block ×3, first 2 shown]
	v_sub_nc_u32_e32 v11, 0, v9
	v_xor_b32_e32 v10, v10, v11
	v_xor_b32_e32 v6, v8, v11
	;; [unrolled: 1-line block ×3, first 2 shown]
	v_lshrrev_b32_e32 v11, 29, v5
	v_lshrrev_b32_e32 v5, 30, v5
	v_ffbh_u32_e32 v12, v10
	v_add_nc_u32_e32 v5, v9, v5
	v_min_u32_e32 v12, 32, v12
	v_sub_nc_u32_e32 v8, 31, v12
	v_lshlrev_b32_e32 v13, 23, v12
	v_alignbit_b32 v10, v10, v6, v8
	v_alignbit_b32 v4, v6, v4, v8
	v_lshlrev_b32_e32 v6, 31, v11
	v_alignbit_b32 v8, v10, v4, 9
	v_or_b32_e32 v11, 0.5, v6
	v_lshrrev_b32_e32 v10, 9, v10
	v_or_b32_e32 v6, 0x33000000, v6
	v_ffbh_u32_e32 v14, v8
	v_sub_nc_u32_e32 v11, v11, v13
	v_min_u32_e32 v13, 32, v14
	v_or_b32_e32 v10, v10, v11
	v_not_b32_e32 v11, v13
	v_mul_f32_e32 v14, 0x3fc90fda, v10
	v_add_lshl_u32 v12, v13, v12, 23
	v_alignbit_b32 v4, v8, v4, v11
	v_fma_f32 v8, 0x3fc90fda, v10, -v14
	v_sub_nc_u32_e32 v6, v6, v12
	v_lshrrev_b32_e32 v4, 9, v4
	v_fmamk_f32 v8, v10, 0x33a22168, v8
	v_or_b32_e32 v4, v6, v4
	v_fmac_f32_e32 v8, 0x3fc90fda, v4
	v_add_f32_e32 v4, v14, v8
.LBB65_299:
	s_andn2_saveexec_b32 s0, s3
; %bb.300:
	v_mul_f32_e64 v4, 0x3f22f983, |v2|
	v_rndne_f32_e32 v5, v4
	v_fma_f32 v4, 0xbfc90fda, v5, |v2|
	v_fmamk_f32 v4, v5, 0xb3a22168, v4
	v_fmamk_f32 v4, v5, 0xa7c234c4, v4
	v_cvt_i32_f32_e32 v5, v5
; %bb.301:
	s_or_b32 exec_lo, exec_lo, s0
	v_mul_f32_e32 v6, v4, v4
	s_mov_b32 s0, 0xb94c1982
	s_mov_b32 s1, 0x37d75334
	v_and_b32_e32 v10, 1, v5
	v_lshlrev_b32_e32 v5, 30, v5
	v_fmaak_f32 v8, s0, v6, 0x3c0881c4
	v_fmaak_f32 v9, s1, v6, 0xbab64f3b
	v_xor_b32_e32 v3, v3, v2
	v_cmp_eq_u32_e32 vcc_lo, 0, v10
	v_and_b32_e32 v5, 0x80000000, v5
	v_fmaak_f32 v8, v6, v8, 0xbe2aaa9d
	v_fmaak_f32 v9, v6, v9, 0x3d2aabf7
	v_sub_f32_e32 v1, 1.0, v1
	v_mul_f32_e32 v8, v6, v8
	v_fmaak_f32 v9, v6, v9, 0xbf000004
	v_fmac_f32_e32 v4, v4, v8
	v_fma_f32 v6, v6, v9, 1.0
	v_cndmask_b32_e32 v4, v6, v4, vcc_lo
	v_cmp_class_f32_e64 vcc_lo, v2, 0x1f8
	v_xor3_b32 v3, v3, v5, v4
	v_cndmask_b32_e32 v2, 0x7fc00000, v3, vcc_lo
	v_mul_f32_e32 v2, v2, v2
	v_div_scale_f32 v3, null, v2, v2, 0xc11de9e7
	v_div_scale_f32 v6, vcc_lo, 0xc11de9e7, v2, 0xc11de9e7
	v_rcp_f32_e32 v4, v3
	v_fma_f32 v5, -v3, v4, 1.0
	v_fmac_f32_e32 v4, v5, v4
	v_mul_f32_e32 v5, v6, v4
	v_fma_f32 v8, -v3, v5, v6
	v_fmac_f32_e32 v5, v8, v4
	v_fma_f32 v3, -v3, v5, v6
	v_div_fmas_f32 v3, v3, v4, v5
	v_div_fixup_f32 v2, v3, v2, 0xc11de9e7
	v_add_f32_e32 v3, 0, v2
	v_mov_b32_e32 v2, -1.0
.LBB65_302:
	s_or_b32 exec_lo, exec_lo, s2
	v_add_f32_e32 v4, 1.0, v1
	v_mul_f32_e32 v1, v1, v1
	v_add_nc_u32_e32 v7, 0x80, v7
	v_mul_f32_e32 v5, v4, v4
	v_add_f32_e32 v4, 1.0, v4
	v_div_scale_f32 v6, null, v1, v1, 1.0
	v_div_scale_f32 v9, vcc_lo, 1.0, v1, 1.0
	v_mul_f32_e32 v10, v4, v4
	v_div_scale_f32 v8, null, v5, v5, 1.0
	v_rcp_f32_e32 v11, v6
	v_div_scale_f32 v14, s0, 1.0, v5, 1.0
	v_div_scale_f32 v13, null, v10, v10, 1.0
	v_rcp_f32_e32 v12, v8
	v_add_f32_e32 v4, 1.0, v4
	v_div_scale_f32 v15, s1, 1.0, v10, 1.0
	v_rcp_f32_e32 v16, v13
	v_fma_f32 v18, -v6, v11, 1.0
	v_mul_f32_e32 v17, v4, v4
	v_add_f32_e32 v4, 1.0, v4
	v_fma_f32 v19, -v8, v12, 1.0
	v_fmac_f32_e32 v11, v18, v11
	v_mul_f32_e32 v21, v4, v4
	v_add_f32_e32 v4, 1.0, v4
	v_fma_f32 v18, -v13, v16, 1.0
	v_fmac_f32_e32 v12, v19, v12
	v_mul_f32_e32 v22, v9, v11
	v_div_scale_f32 v20, null, v17, v17, 1.0
	v_fmac_f32_e32 v16, v18, v16
	v_mul_f32_e32 v23, v14, v12
	v_fma_f32 v24, -v6, v22, v9
	v_add_f32_e32 v27, 1.0, v4
	v_rcp_f32_e32 v19, v20
	v_mul_f32_e32 v26, v15, v16
	v_fma_f32 v25, -v8, v23, v14
	v_fmac_f32_e32 v22, v24, v11
	v_mul_f32_e32 v4, v4, v4
	v_div_scale_f32 v18, null, v21, v21, 1.0
	v_fma_f32 v24, -v13, v26, v15
	v_fmac_f32_e32 v23, v25, v12
	v_fma_f32 v6, -v6, v22, v9
	v_mul_f32_e32 v9, v27, v27
	v_rcp_f32_e32 v25, v18
	v_fmac_f32_e32 v26, v24, v16
	v_fma_f32 v8, -v8, v23, v14
	v_div_fmas_f32 v6, v6, v11, v22
	s_mov_b32 vcc_lo, s0
	v_fma_f32 v28, -v20, v19, 1.0
	v_fma_f32 v11, -v13, v26, v15
	v_div_fmas_f32 v8, v8, v12, v23
	s_mov_b32 vcc_lo, s1
	v_div_scale_f32 v12, null, v4, v4, 1.0
	v_div_fmas_f32 v11, v11, v16, v26
	v_div_scale_f32 v13, null, v9, v9, 1.0
	v_add_f32_e32 v16, v27, v27
	v_rcp_f32_e32 v15, v12
	v_fmac_f32_e32 v19, v28, v19
	v_rcp_f32_e32 v23, v13
	v_div_scale_f32 v14, vcc_lo, 1.0, v17, 1.0
	v_div_scale_f32 v26, null, v16, v16, 1.0
	v_fma_f32 v22, -v18, v25, 1.0
	v_mul_f32_e32 v24, v14, v19
	v_div_fixup_f32 v1, v6, v1, 1.0
	v_rcp_f32_e32 v29, v26
	v_fma_f32 v28, -v12, v15, 1.0
	v_fmac_f32_e32 v25, v22, v25
	v_div_scale_f32 v22, s0, 1.0, v21, 1.0
	v_fma_f32 v31, -v13, v23, 1.0
	v_fma_f32 v30, -v20, v24, v14
	v_fmac_f32_e32 v15, v28, v15
	v_div_scale_f32 v28, s1, 1.0, v4, 1.0
	v_mul_f32_e32 v32, v22, v25
	v_fmac_f32_e32 v23, v31, v23
	v_div_scale_f32 v31, s2, 1.0, v9, 1.0
	v_fma_f32 v33, -v26, v29, 1.0
	v_fmac_f32_e32 v24, v30, v19
	v_mul_f32_e32 v34, v28, v15
	v_fma_f32 v30, -v18, v32, v22
	v_mul_f32_e32 v35, v31, v23
	v_fmac_f32_e32 v29, v33, v29
	v_div_scale_f32 v33, s3, 1.0, v16, 1.0
	v_fma_f32 v14, -v20, v24, v14
	v_fma_f32 v20, -v12, v34, v28
	v_fmac_f32_e32 v32, v30, v25
	v_fma_f32 v30, -v13, v35, v31
	v_mul_f32_e32 v36, v33, v29
	v_div_fmas_f32 v14, v14, v19, v24
	v_fmac_f32_e32 v34, v20, v15
	v_fma_f32 v18, -v18, v32, v22
	v_fmac_f32_e32 v35, v30, v23
	v_fma_f32 v19, -v26, v36, v33
	s_mov_b32 vcc_lo, s0
	v_fma_f32 v12, -v12, v34, v28
	v_div_fmas_f32 v18, v18, v25, v32
	v_fma_f32 v13, -v13, v35, v31
	v_fmac_f32_e32 v36, v19, v29
	s_mov_b32 vcc_lo, s1
	s_mov_b32 s0, 0xbcc30c31
	v_div_fmas_f32 v12, v12, v15, v34
	s_mov_b32 vcc_lo, s2
	v_fma_f32 v15, -v26, v36, v33
	v_div_fmas_f32 v13, v13, v23, v35
	s_mov_b32 vcc_lo, s3
	v_add_f32_e32 v1, v3, v1
	v_div_fixup_f32 v3, v8, v5, 1.0
	v_div_fmas_f32 v15, v15, v29, v36
	v_div_fixup_f32 v9, v13, v9, 1.0
	v_add_f32_e32 v1, v1, v3
	v_div_fixup_f32 v13, v15, v16, 1.0
	v_fmaak_f32 v15, s0, v9, 0x3d088889
	v_div_fixup_f32 v3, v11, v10, 1.0
	v_add_f32_e32 v13, 1.0, v13
	v_fma_f32 v15, -v9, v15, 0x3e2aaaab
	v_add_f32_e32 v1, v1, v3
	v_div_fixup_f32 v3, v14, v17, 1.0
	v_fmac_f32_e32 v13, v9, v15
	v_add_f32_e32 v1, v1, v3
	v_div_fixup_f32 v3, v18, v21, 1.0
	v_div_scale_f32 v9, null, v27, v27, v13
	v_div_scale_f32 v5, vcc_lo, v13, v27, v13
	v_add_f32_e32 v1, v1, v3
	v_rcp_f32_e32 v15, v9
	v_div_fixup_f32 v3, v12, v4, 1.0
	v_add_f32_e32 v1, v1, v3
	v_fma_f32 v6, -v9, v15, 1.0
	v_fmac_f32_e32 v15, v6, v15
	v_mul_f32_e32 v6, v5, v15
	v_fma_f32 v8, -v9, v6, v5
	v_fmac_f32_e32 v6, v8, v15
	v_fma_f32 v5, -v9, v6, v5
	v_div_fmas_f32 v4, v5, v15, v6
	v_div_fixup_f32 v3, v4, v27, v13
	v_add_f32_e32 v1, v1, v3
	v_fma_mixlo_f16 v1, v2, v1, 0
	global_store_short v0, v1, s[4:5]
	s_or_b32 exec_lo, exec_lo, s30
	s_mov_b32 s30, exec_lo
	v_cmpx_gt_i32_e64 s27, v7
	s_cbranch_execnz .LBB65_282
.LBB65_303:
	s_or_b32 exec_lo, exec_lo, s30
	v_cmp_gt_i32_e32 vcc_lo, s27, v7
	s_and_saveexec_b32 s27, vcc_lo
	s_cbranch_execnz .LBB65_320
.LBB65_304:
	s_or_b32 exec_lo, exec_lo, s27
                                        ; implicit-def: $vgpr18
                                        ; implicit-def: $vgpr7
	s_andn2_saveexec_b32 s0, s25
	s_cbranch_execnz .LBB65_8
.LBB65_305:
	s_endpgm
.LBB65_306:
	v_mov_b32_e32 v0, 0
	v_mov_b32_e32 v2, 0
	;; [unrolled: 1-line block ×3, first 2 shown]
	s_mov_b32 s31, 0
.LBB65_307:
	s_and_b32 s33, s33, 3
	s_cmp_eq_u32 s33, 0
	s_cbranch_scc1 .LBB65_310
; %bb.308:
	s_lshl_b32 s0, s31, 3
	s_mul_i32 s2, s31, 12
	s_add_u32 s0, s16, s0
	s_addc_u32 s1, s17, 0
	s_add_u32 s0, s0, 0xc4
	s_addc_u32 s1, s1, 0
	;; [unrolled: 2-line block ×3, first 2 shown]
	.p2align	6
.LBB65_309:                             ; =>This Inner Loop Header: Depth=1
	s_clause 0x1
	s_load_dwordx2 s[34:35], s[2:3], 0x4
	s_load_dword s31, s[2:3], 0xc
	s_load_dwordx2 s[36:37], s[0:1], 0x0
	s_add_u32 s2, s2, 12
	s_addc_u32 s3, s3, 0
	s_add_u32 s0, s0, 8
	s_addc_u32 s1, s1, 0
	s_add_i32 s33, s33, -1
	s_cmp_lg_u32 s33, 0
	s_waitcnt lgkmcnt(0)
	v_mul_hi_u32 v3, s35, v1
	v_add_nc_u32_e32 v3, v1, v3
	v_lshrrev_b32_e32 v4, s31, v3
	v_mul_lo_u32 v3, v4, s34
	v_sub_nc_u32_e32 v3, v1, v3
	v_mad_u64_u32 v[0:1], null, v3, s36, v[0:1]
	v_mad_u64_u32 v[2:3], null, v3, s37, v[2:3]
	v_mov_b32_e32 v1, v4
	s_cbranch_scc1 .LBB65_309
.LBB65_310:
	s_cbranch_execnz .LBB65_313
.LBB65_311:
	s_waitcnt lgkmcnt(0)
	v_mul_hi_u32 v0, s13, v7
	s_andn2_b32 vcc_lo, exec_lo, s26
	v_add_nc_u32_e32 v0, v7, v0
	v_lshrrev_b32_e32 v1, s14, v0
	v_mul_lo_u32 v0, v1, s12
	v_sub_nc_u32_e32 v2, v7, v0
	v_mul_lo_u32 v0, v2, s8
	v_mul_lo_u32 v2, v2, s9
	s_cbranch_vccnz .LBB65_313
; %bb.312:
	v_mul_hi_u32 v3, s18, v1
	v_add_nc_u32_e32 v3, v1, v3
	v_lshrrev_b32_e32 v3, s19, v3
	v_mul_lo_u32 v3, v3, s15
	v_sub_nc_u32_e32 v3, v1, v3
	v_mad_u64_u32 v[0:1], null, v3, s10, v[0:1]
	v_mad_u64_u32 v[2:3], null, v3, s11, v[2:3]
.LBB65_313:
	s_waitcnt lgkmcnt(0)
	global_load_ushort v2, v2, s[6:7]
	v_mov_b32_e32 v3, 0
	s_waitcnt vmcnt(0)
	v_cvt_f32_f16_e32 v1, v2
	v_cmp_gt_f16_e32 vcc_lo, 0.5, v2
	v_mov_b32_e32 v2, 1.0
	s_and_saveexec_b32 s2, vcc_lo
	s_cbranch_execz .LBB65_319
; %bb.314:
	v_mul_f32_e32 v2, 0x40490fdb, v1
                                        ; implicit-def: $vgpr5
                                        ; implicit-def: $vgpr4
	s_mov_b32 s1, exec_lo
	v_and_b32_e32 v3, 0x7fffffff, v2
	v_cmpx_ngt_f32_e64 0x48000000, |v2|
	s_xor_b32 s3, exec_lo, s1
	s_cbranch_execz .LBB65_316
; %bb.315:
	s_mov_b32 s0, 0x7fffff
	v_mov_b32_e32 v6, 0
	v_and_or_b32 v14, v3, s0, 0x800000
	v_lshrrev_b32_e32 v12, 23, v3
	v_mad_u64_u32 v[4:5], null, 0xfe5163ab, v14, 0
	v_add_nc_u32_e32 v13, 0xffffff88, v12
	v_cmp_lt_u32_e32 vcc_lo, 63, v13
	v_mad_u64_u32 v[8:9], null, 0x3c439041, v14, v[5:6]
	v_cndmask_b32_e64 v15, 0, 0xffffffc0, vcc_lo
	v_mov_b32_e32 v5, v9
	v_add_nc_u32_e32 v15, v15, v13
	v_mad_u64_u32 v[9:10], null, 0xdb629599, v14, v[5:6]
	v_cmp_lt_u32_e64 s0, 31, v15
	v_cndmask_b32_e64 v16, 0, 0xffffffe0, s0
	v_mov_b32_e32 v5, v10
	v_cndmask_b32_e32 v4, v9, v4, vcc_lo
	v_mad_u64_u32 v[10:11], null, 0xf534ddc0, v14, v[5:6]
	v_mov_b32_e32 v5, v11
	v_cndmask_b32_e32 v8, v10, v8, vcc_lo
	v_mad_u64_u32 v[11:12], null, 0xfc2757d1, v14, v[5:6]
	v_cndmask_b32_e64 v4, v8, v4, s0
	v_mov_b32_e32 v5, v12
	v_mad_u64_u32 v[12:13], null, 0x4e441529, v14, v[5:6]
	v_mov_b32_e32 v5, v13
	v_add_nc_u32_e32 v13, v16, v15
	v_cndmask_b32_e32 v15, v12, v10, vcc_lo
	v_mad_u64_u32 v[5:6], null, 0xa2f9836e, v14, v[5:6]
	v_cmp_lt_u32_e64 s1, 31, v13
	v_cndmask_b32_e64 v14, 0, 0xffffffe0, s1
	v_cndmask_b32_e32 v5, v5, v11, vcc_lo
	v_cndmask_b32_e32 v6, v6, v12, vcc_lo
	;; [unrolled: 1-line block ×3, first 2 shown]
	v_add_nc_u32_e32 v12, v14, v13
	v_cndmask_b32_e64 v10, v5, v15, s0
	v_cndmask_b32_e64 v5, v6, v5, s0
	;; [unrolled: 1-line block ×4, first 2 shown]
	v_sub_nc_u32_e32 v13, 32, v12
	v_cmp_eq_u32_e32 vcc_lo, 0, v12
	v_cndmask_b32_e64 v5, v5, v10, s1
	v_cndmask_b32_e64 v10, v10, v6, s1
	;; [unrolled: 1-line block ×4, first 2 shown]
	v_alignbit_b32 v14, v5, v10, v13
	v_alignbit_b32 v9, v10, v6, v13
	;; [unrolled: 1-line block ×3, first 2 shown]
	v_cndmask_b32_e32 v5, v14, v5, vcc_lo
	v_cndmask_b32_e32 v8, v9, v10, vcc_lo
	;; [unrolled: 1-line block ×3, first 2 shown]
	v_bfe_u32 v9, v5, 29, 1
	v_alignbit_b32 v10, v5, v8, 30
	v_alignbit_b32 v8, v8, v6, 30
	;; [unrolled: 1-line block ×3, first 2 shown]
	v_sub_nc_u32_e32 v11, 0, v9
	v_xor_b32_e32 v10, v10, v11
	v_xor_b32_e32 v6, v8, v11
	;; [unrolled: 1-line block ×3, first 2 shown]
	v_lshrrev_b32_e32 v11, 29, v5
	v_lshrrev_b32_e32 v5, 30, v5
	v_ffbh_u32_e32 v12, v10
	v_add_nc_u32_e32 v5, v9, v5
	v_min_u32_e32 v12, 32, v12
	v_sub_nc_u32_e32 v8, 31, v12
	v_lshlrev_b32_e32 v13, 23, v12
	v_alignbit_b32 v10, v10, v6, v8
	v_alignbit_b32 v4, v6, v4, v8
	v_lshlrev_b32_e32 v6, 31, v11
	v_alignbit_b32 v8, v10, v4, 9
	v_or_b32_e32 v11, 0.5, v6
	v_lshrrev_b32_e32 v10, 9, v10
	v_or_b32_e32 v6, 0x33000000, v6
	v_ffbh_u32_e32 v14, v8
	v_sub_nc_u32_e32 v11, v11, v13
	v_min_u32_e32 v13, 32, v14
	v_or_b32_e32 v10, v10, v11
	v_not_b32_e32 v11, v13
	v_mul_f32_e32 v14, 0x3fc90fda, v10
	v_add_lshl_u32 v12, v13, v12, 23
	v_alignbit_b32 v4, v8, v4, v11
	v_fma_f32 v8, 0x3fc90fda, v10, -v14
	v_sub_nc_u32_e32 v6, v6, v12
	v_lshrrev_b32_e32 v4, 9, v4
	v_fmamk_f32 v8, v10, 0x33a22168, v8
	v_or_b32_e32 v4, v6, v4
	v_fmac_f32_e32 v8, 0x3fc90fda, v4
	v_add_f32_e32 v4, v14, v8
.LBB65_316:
	s_andn2_saveexec_b32 s0, s3
; %bb.317:
	v_mul_f32_e64 v4, 0x3f22f983, |v2|
	v_rndne_f32_e32 v5, v4
	v_fma_f32 v4, 0xbfc90fda, v5, |v2|
	v_fmamk_f32 v4, v5, 0xb3a22168, v4
	v_fmamk_f32 v4, v5, 0xa7c234c4, v4
	v_cvt_i32_f32_e32 v5, v5
; %bb.318:
	s_or_b32 exec_lo, exec_lo, s0
	v_mul_f32_e32 v6, v4, v4
	s_mov_b32 s0, 0xb94c1982
	s_mov_b32 s1, 0x37d75334
	v_and_b32_e32 v10, 1, v5
	v_lshlrev_b32_e32 v5, 30, v5
	v_fmaak_f32 v8, s0, v6, 0x3c0881c4
	v_fmaak_f32 v9, s1, v6, 0xbab64f3b
	v_xor_b32_e32 v3, v3, v2
	v_cmp_eq_u32_e32 vcc_lo, 0, v10
	v_and_b32_e32 v5, 0x80000000, v5
	v_fmaak_f32 v8, v6, v8, 0xbe2aaa9d
	v_fmaak_f32 v9, v6, v9, 0x3d2aabf7
	v_sub_f32_e32 v1, 1.0, v1
	v_mul_f32_e32 v8, v6, v8
	v_fmaak_f32 v9, v6, v9, 0xbf000004
	v_fmac_f32_e32 v4, v4, v8
	v_fma_f32 v6, v6, v9, 1.0
	v_cndmask_b32_e32 v4, v6, v4, vcc_lo
	v_cmp_class_f32_e64 vcc_lo, v2, 0x1f8
	v_xor3_b32 v3, v3, v5, v4
	v_cndmask_b32_e32 v2, 0x7fc00000, v3, vcc_lo
	v_mul_f32_e32 v2, v2, v2
	v_div_scale_f32 v3, null, v2, v2, 0xc11de9e7
	v_div_scale_f32 v6, vcc_lo, 0xc11de9e7, v2, 0xc11de9e7
	v_rcp_f32_e32 v4, v3
	v_fma_f32 v5, -v3, v4, 1.0
	v_fmac_f32_e32 v4, v5, v4
	v_mul_f32_e32 v5, v6, v4
	v_fma_f32 v8, -v3, v5, v6
	v_fmac_f32_e32 v5, v8, v4
	v_fma_f32 v3, -v3, v5, v6
	v_div_fmas_f32 v3, v3, v4, v5
	v_div_fixup_f32 v2, v3, v2, 0xc11de9e7
	v_add_f32_e32 v3, 0, v2
	v_mov_b32_e32 v2, -1.0
.LBB65_319:
	s_or_b32 exec_lo, exec_lo, s2
	v_add_f32_e32 v4, 1.0, v1
	v_mul_f32_e32 v1, v1, v1
	v_add_nc_u32_e32 v7, 0x80, v7
	v_mul_f32_e32 v5, v4, v4
	v_add_f32_e32 v4, 1.0, v4
	v_div_scale_f32 v6, null, v1, v1, 1.0
	v_div_scale_f32 v9, vcc_lo, 1.0, v1, 1.0
	v_mul_f32_e32 v10, v4, v4
	v_div_scale_f32 v8, null, v5, v5, 1.0
	v_rcp_f32_e32 v11, v6
	v_div_scale_f32 v14, s0, 1.0, v5, 1.0
	v_div_scale_f32 v13, null, v10, v10, 1.0
	v_rcp_f32_e32 v12, v8
	v_add_f32_e32 v4, 1.0, v4
	v_div_scale_f32 v15, s1, 1.0, v10, 1.0
	v_rcp_f32_e32 v16, v13
	v_fma_f32 v18, -v6, v11, 1.0
	v_mul_f32_e32 v17, v4, v4
	v_add_f32_e32 v4, 1.0, v4
	v_fma_f32 v19, -v8, v12, 1.0
	v_fmac_f32_e32 v11, v18, v11
	v_mul_f32_e32 v21, v4, v4
	v_add_f32_e32 v4, 1.0, v4
	v_fma_f32 v18, -v13, v16, 1.0
	v_fmac_f32_e32 v12, v19, v12
	v_mul_f32_e32 v22, v9, v11
	v_div_scale_f32 v20, null, v17, v17, 1.0
	v_fmac_f32_e32 v16, v18, v16
	v_mul_f32_e32 v23, v14, v12
	v_fma_f32 v24, -v6, v22, v9
	v_add_f32_e32 v27, 1.0, v4
	v_rcp_f32_e32 v19, v20
	v_mul_f32_e32 v26, v15, v16
	v_fma_f32 v25, -v8, v23, v14
	v_fmac_f32_e32 v22, v24, v11
	v_mul_f32_e32 v4, v4, v4
	v_div_scale_f32 v18, null, v21, v21, 1.0
	v_fma_f32 v24, -v13, v26, v15
	v_fmac_f32_e32 v23, v25, v12
	v_fma_f32 v6, -v6, v22, v9
	v_mul_f32_e32 v9, v27, v27
	v_rcp_f32_e32 v25, v18
	v_fmac_f32_e32 v26, v24, v16
	v_fma_f32 v8, -v8, v23, v14
	v_div_fmas_f32 v6, v6, v11, v22
	s_mov_b32 vcc_lo, s0
	v_fma_f32 v28, -v20, v19, 1.0
	v_fma_f32 v11, -v13, v26, v15
	v_div_fmas_f32 v8, v8, v12, v23
	s_mov_b32 vcc_lo, s1
	v_div_scale_f32 v12, null, v4, v4, 1.0
	v_div_fmas_f32 v11, v11, v16, v26
	v_div_scale_f32 v13, null, v9, v9, 1.0
	v_add_f32_e32 v16, v27, v27
	v_rcp_f32_e32 v15, v12
	v_fmac_f32_e32 v19, v28, v19
	v_rcp_f32_e32 v23, v13
	v_div_scale_f32 v14, vcc_lo, 1.0, v17, 1.0
	v_div_scale_f32 v26, null, v16, v16, 1.0
	v_fma_f32 v22, -v18, v25, 1.0
	v_mul_f32_e32 v24, v14, v19
	v_div_fixup_f32 v1, v6, v1, 1.0
	v_rcp_f32_e32 v29, v26
	v_fma_f32 v28, -v12, v15, 1.0
	v_fmac_f32_e32 v25, v22, v25
	v_div_scale_f32 v22, s0, 1.0, v21, 1.0
	v_fma_f32 v31, -v13, v23, 1.0
	v_fma_f32 v30, -v20, v24, v14
	v_fmac_f32_e32 v15, v28, v15
	v_div_scale_f32 v28, s1, 1.0, v4, 1.0
	v_mul_f32_e32 v32, v22, v25
	v_fmac_f32_e32 v23, v31, v23
	v_div_scale_f32 v31, s2, 1.0, v9, 1.0
	v_fma_f32 v33, -v26, v29, 1.0
	v_fmac_f32_e32 v24, v30, v19
	v_mul_f32_e32 v34, v28, v15
	v_fma_f32 v30, -v18, v32, v22
	v_mul_f32_e32 v35, v31, v23
	v_fmac_f32_e32 v29, v33, v29
	v_div_scale_f32 v33, s3, 1.0, v16, 1.0
	v_fma_f32 v14, -v20, v24, v14
	v_fma_f32 v20, -v12, v34, v28
	v_fmac_f32_e32 v32, v30, v25
	v_fma_f32 v30, -v13, v35, v31
	v_mul_f32_e32 v36, v33, v29
	v_div_fmas_f32 v14, v14, v19, v24
	v_fmac_f32_e32 v34, v20, v15
	v_fma_f32 v18, -v18, v32, v22
	v_fmac_f32_e32 v35, v30, v23
	v_fma_f32 v19, -v26, v36, v33
	s_mov_b32 vcc_lo, s0
	v_fma_f32 v12, -v12, v34, v28
	v_div_fmas_f32 v18, v18, v25, v32
	v_fma_f32 v13, -v13, v35, v31
	v_fmac_f32_e32 v36, v19, v29
	s_mov_b32 vcc_lo, s1
	s_mov_b32 s0, 0xbcc30c31
	v_div_fmas_f32 v12, v12, v15, v34
	s_mov_b32 vcc_lo, s2
	v_fma_f32 v15, -v26, v36, v33
	v_div_fmas_f32 v13, v13, v23, v35
	s_mov_b32 vcc_lo, s3
	v_add_f32_e32 v1, v3, v1
	v_div_fixup_f32 v3, v8, v5, 1.0
	v_div_fmas_f32 v15, v15, v29, v36
	v_div_fixup_f32 v9, v13, v9, 1.0
	v_add_f32_e32 v1, v1, v3
	v_div_fixup_f32 v13, v15, v16, 1.0
	v_fmaak_f32 v15, s0, v9, 0x3d088889
	v_div_fixup_f32 v3, v11, v10, 1.0
	v_add_f32_e32 v13, 1.0, v13
	v_fma_f32 v15, -v9, v15, 0x3e2aaaab
	v_add_f32_e32 v1, v1, v3
	v_div_fixup_f32 v3, v14, v17, 1.0
	v_fmac_f32_e32 v13, v9, v15
	v_add_f32_e32 v1, v1, v3
	v_div_fixup_f32 v3, v18, v21, 1.0
	v_div_scale_f32 v9, null, v27, v27, v13
	v_div_scale_f32 v5, vcc_lo, v13, v27, v13
	v_add_f32_e32 v1, v1, v3
	v_rcp_f32_e32 v15, v9
	v_div_fixup_f32 v3, v12, v4, 1.0
	v_add_f32_e32 v1, v1, v3
	v_fma_f32 v6, -v9, v15, 1.0
	v_fmac_f32_e32 v15, v6, v15
	v_mul_f32_e32 v6, v5, v15
	v_fma_f32 v8, -v9, v6, v5
	v_fmac_f32_e32 v6, v8, v15
	v_fma_f32 v5, -v9, v6, v5
	v_div_fmas_f32 v4, v5, v15, v6
	v_div_fixup_f32 v3, v4, v27, v13
	v_add_f32_e32 v1, v1, v3
	v_fma_mixlo_f16 v1, v2, v1, 0
	global_store_short v0, v1, s[4:5]
	s_or_b32 exec_lo, exec_lo, s30
	v_cmp_gt_i32_e32 vcc_lo, s27, v7
	s_and_saveexec_b32 s27, vcc_lo
	s_cbranch_execz .LBB65_304
.LBB65_320:
	s_andn2_b32 vcc_lo, exec_lo, s24
	s_cbranch_vccnz .LBB65_325
; %bb.321:
	s_andn2_b32 vcc_lo, exec_lo, s29
	s_cbranch_vccnz .LBB65_326
; %bb.322:
	s_add_i32 s28, s28, 1
	s_cmp_eq_u32 s23, 2
	s_cbranch_scc1 .LBB65_327
; %bb.323:
	v_mov_b32_e32 v2, 0
	v_mov_b32_e32 v0, 0
	;; [unrolled: 1-line block ×3, first 2 shown]
	s_and_b32 s2, s28, 28
	s_mov_b32 s3, 0
	s_mov_b64 s[0:1], s[16:17]
.LBB65_324:                             ; =>This Inner Loop Header: Depth=1
	s_clause 0x1
	s_load_dwordx8 s[36:43], s[0:1], 0x4
	s_load_dwordx4 s[52:55], s[0:1], 0x24
	s_load_dwordx8 s[44:51], s[20:21], 0x0
	s_add_u32 s0, s0, 48
	s_addc_u32 s1, s1, 0
	s_add_i32 s3, s3, 4
	s_add_u32 s20, s20, 32
	s_addc_u32 s21, s21, 0
	s_cmp_eq_u32 s2, s3
	s_waitcnt lgkmcnt(0)
	v_mul_hi_u32 v3, s37, v1
	v_add_nc_u32_e32 v3, v1, v3
	v_lshrrev_b32_e32 v3, s38, v3
	v_mul_hi_u32 v4, s40, v3
	v_mul_lo_u32 v6, v3, s36
	v_add_nc_u32_e32 v4, v3, v4
	v_sub_nc_u32_e32 v1, v1, v6
	v_lshrrev_b32_e32 v4, s41, v4
	v_mul_lo_u32 v6, v1, s44
	v_mul_lo_u32 v9, v1, s45
	v_mul_hi_u32 v5, s43, v4
	v_add_nc_u32_e32 v5, v4, v5
	v_lshrrev_b32_e32 v5, s52, v5
	v_mul_hi_u32 v8, s54, v5
	v_mul_lo_u32 v10, v5, s42
	v_add_nc_u32_e32 v1, v5, v8
	v_mul_lo_u32 v8, v4, s39
	v_sub_nc_u32_e32 v4, v4, v10
	v_lshrrev_b32_e32 v1, s55, v1
	v_mul_lo_u32 v10, v4, s48
	v_mul_lo_u32 v4, v4, s49
	v_sub_nc_u32_e32 v3, v3, v8
	v_mul_lo_u32 v11, v1, s53
	v_mul_lo_u32 v8, v3, s46
	;; [unrolled: 1-line block ×3, first 2 shown]
	v_sub_nc_u32_e32 v5, v5, v11
	v_add3_u32 v0, v6, v0, v8
	v_mul_lo_u32 v11, v5, s50
	v_mul_lo_u32 v5, v5, s51
	v_add3_u32 v2, v9, v2, v3
	v_add3_u32 v0, v10, v0, v11
	;; [unrolled: 1-line block ×3, first 2 shown]
	s_cbranch_scc0 .LBB65_324
	s_branch .LBB65_328
.LBB65_325:
                                        ; implicit-def: $vgpr0
                                        ; implicit-def: $vgpr2
	s_branch .LBB65_332
.LBB65_326:
	v_mov_b32_e32 v0, 0
	v_mov_b32_e32 v2, 0
	s_branch .LBB65_331
.LBB65_327:
	v_mov_b32_e32 v0, 0
	v_mov_b32_e32 v2, 0
	;; [unrolled: 1-line block ×3, first 2 shown]
	s_mov_b32 s2, 0
.LBB65_328:
	s_and_b32 s20, s28, 3
	s_cmp_eq_u32 s20, 0
	s_cbranch_scc1 .LBB65_331
; %bb.329:
	s_lshl_b32 s0, s2, 3
	s_mul_i32 s2, s2, 12
	s_add_u32 s0, s16, s0
	s_addc_u32 s1, s17, 0
	s_add_u32 s0, s0, 0xc4
	s_addc_u32 s1, s1, 0
	;; [unrolled: 2-line block ×3, first 2 shown]
	.p2align	6
.LBB65_330:                             ; =>This Inner Loop Header: Depth=1
	s_clause 0x1
	s_load_dwordx2 s[28:29], s[2:3], 0x4
	s_load_dword s21, s[2:3], 0xc
	s_load_dwordx2 s[30:31], s[0:1], 0x0
	s_add_u32 s2, s2, 12
	s_addc_u32 s3, s3, 0
	s_add_u32 s0, s0, 8
	s_addc_u32 s1, s1, 0
	s_add_i32 s20, s20, -1
	s_cmp_lg_u32 s20, 0
	s_waitcnt lgkmcnt(0)
	v_mul_hi_u32 v3, s29, v1
	v_add_nc_u32_e32 v3, v1, v3
	v_lshrrev_b32_e32 v4, s21, v3
	v_mul_lo_u32 v3, v4, s28
	v_sub_nc_u32_e32 v3, v1, v3
	v_mad_u64_u32 v[0:1], null, v3, s30, v[0:1]
	v_mad_u64_u32 v[2:3], null, v3, s31, v[2:3]
	v_mov_b32_e32 v1, v4
	s_cbranch_scc1 .LBB65_330
.LBB65_331:
	s_cbranch_execnz .LBB65_334
.LBB65_332:
	s_waitcnt lgkmcnt(0)
	v_mul_hi_u32 v0, s13, v7
	s_andn2_b32 vcc_lo, exec_lo, s26
	v_add_nc_u32_e32 v0, v7, v0
	v_lshrrev_b32_e32 v1, s14, v0
	v_mul_lo_u32 v0, v1, s12
	v_sub_nc_u32_e32 v2, v7, v0
	v_mul_lo_u32 v0, v2, s8
	v_mul_lo_u32 v2, v2, s9
	s_cbranch_vccnz .LBB65_334
; %bb.333:
	v_mul_hi_u32 v3, s18, v1
	v_add_nc_u32_e32 v3, v1, v3
	v_lshrrev_b32_e32 v3, s19, v3
	v_mul_lo_u32 v3, v3, s15
	v_sub_nc_u32_e32 v3, v1, v3
	v_mad_u64_u32 v[0:1], null, v3, s10, v[0:1]
	v_mad_u64_u32 v[2:3], null, v3, s11, v[2:3]
.LBB65_334:
	s_waitcnt lgkmcnt(0)
	global_load_ushort v2, v2, s[6:7]
	v_mov_b32_e32 v3, 0
	s_waitcnt vmcnt(0)
	v_cvt_f32_f16_e32 v1, v2
	v_cmp_gt_f16_e32 vcc_lo, 0.5, v2
	v_mov_b32_e32 v2, 1.0
	s_and_saveexec_b32 s2, vcc_lo
	s_cbranch_execz .LBB65_340
; %bb.335:
	v_mul_f32_e32 v2, 0x40490fdb, v1
                                        ; implicit-def: $vgpr5
                                        ; implicit-def: $vgpr4
	s_mov_b32 s1, exec_lo
	v_and_b32_e32 v3, 0x7fffffff, v2
	v_cmpx_ngt_f32_e64 0x48000000, |v2|
	s_xor_b32 s3, exec_lo, s1
	s_cbranch_execz .LBB65_337
; %bb.336:
	s_mov_b32 s0, 0x7fffff
	v_mov_b32_e32 v6, 0
	v_and_or_b32 v13, v3, s0, 0x800000
	v_lshrrev_b32_e32 v11, 23, v3
	v_mad_u64_u32 v[4:5], null, 0xfe5163ab, v13, 0
	v_add_nc_u32_e32 v12, 0xffffff88, v11
	v_cmp_lt_u32_e32 vcc_lo, 63, v12
	v_mad_u64_u32 v[7:8], null, 0x3c439041, v13, v[5:6]
	v_cndmask_b32_e64 v14, 0, 0xffffffc0, vcc_lo
	v_mov_b32_e32 v5, v8
	v_add_nc_u32_e32 v14, v14, v12
	v_mad_u64_u32 v[8:9], null, 0xdb629599, v13, v[5:6]
	v_cmp_lt_u32_e64 s0, 31, v14
	v_cndmask_b32_e64 v15, 0, 0xffffffe0, s0
	v_mov_b32_e32 v5, v9
	v_cndmask_b32_e32 v4, v8, v4, vcc_lo
	v_mad_u64_u32 v[9:10], null, 0xf534ddc0, v13, v[5:6]
	v_mov_b32_e32 v5, v10
	v_cndmask_b32_e32 v7, v9, v7, vcc_lo
	v_mad_u64_u32 v[10:11], null, 0xfc2757d1, v13, v[5:6]
	v_cndmask_b32_e64 v4, v7, v4, s0
	v_mov_b32_e32 v5, v11
	v_mad_u64_u32 v[11:12], null, 0x4e441529, v13, v[5:6]
	v_mov_b32_e32 v5, v12
	v_add_nc_u32_e32 v12, v15, v14
	v_cndmask_b32_e32 v14, v11, v9, vcc_lo
	v_mad_u64_u32 v[5:6], null, 0xa2f9836e, v13, v[5:6]
	v_cmp_lt_u32_e64 s1, 31, v12
	v_cndmask_b32_e64 v13, 0, 0xffffffe0, s1
	v_cndmask_b32_e32 v5, v5, v10, vcc_lo
	v_cndmask_b32_e32 v6, v6, v11, vcc_lo
	;; [unrolled: 1-line block ×3, first 2 shown]
	v_add_nc_u32_e32 v11, v13, v12
	v_cndmask_b32_e64 v9, v5, v14, s0
	v_cndmask_b32_e64 v5, v6, v5, s0
	;; [unrolled: 1-line block ×4, first 2 shown]
	v_sub_nc_u32_e32 v12, 32, v11
	v_cmp_eq_u32_e32 vcc_lo, 0, v11
	v_cndmask_b32_e64 v5, v5, v9, s1
	v_cndmask_b32_e64 v9, v9, v6, s1
	;; [unrolled: 1-line block ×4, first 2 shown]
	v_alignbit_b32 v13, v5, v9, v12
	v_alignbit_b32 v8, v9, v6, v12
	;; [unrolled: 1-line block ×3, first 2 shown]
	v_cndmask_b32_e32 v5, v13, v5, vcc_lo
	v_cndmask_b32_e32 v7, v8, v9, vcc_lo
	;; [unrolled: 1-line block ×3, first 2 shown]
	v_bfe_u32 v8, v5, 29, 1
	v_alignbit_b32 v9, v5, v7, 30
	v_alignbit_b32 v7, v7, v6, 30
	;; [unrolled: 1-line block ×3, first 2 shown]
	v_sub_nc_u32_e32 v10, 0, v8
	v_xor_b32_e32 v9, v9, v10
	v_xor_b32_e32 v6, v7, v10
	;; [unrolled: 1-line block ×3, first 2 shown]
	v_lshrrev_b32_e32 v10, 29, v5
	v_lshrrev_b32_e32 v5, 30, v5
	v_ffbh_u32_e32 v11, v9
	v_add_nc_u32_e32 v5, v8, v5
	v_min_u32_e32 v11, 32, v11
	v_sub_nc_u32_e32 v7, 31, v11
	v_lshlrev_b32_e32 v12, 23, v11
	v_alignbit_b32 v9, v9, v6, v7
	v_alignbit_b32 v4, v6, v4, v7
	v_lshlrev_b32_e32 v6, 31, v10
	v_alignbit_b32 v7, v9, v4, 9
	v_or_b32_e32 v10, 0.5, v6
	v_lshrrev_b32_e32 v9, 9, v9
	v_or_b32_e32 v6, 0x33000000, v6
	v_ffbh_u32_e32 v13, v7
	v_sub_nc_u32_e32 v10, v10, v12
	v_min_u32_e32 v12, 32, v13
	v_or_b32_e32 v9, v9, v10
	v_not_b32_e32 v10, v12
	v_mul_f32_e32 v13, 0x3fc90fda, v9
	v_add_lshl_u32 v11, v12, v11, 23
	v_alignbit_b32 v4, v7, v4, v10
	v_fma_f32 v7, 0x3fc90fda, v9, -v13
	v_sub_nc_u32_e32 v6, v6, v11
	v_lshrrev_b32_e32 v4, 9, v4
	v_fmamk_f32 v7, v9, 0x33a22168, v7
	v_or_b32_e32 v4, v6, v4
	v_fmac_f32_e32 v7, 0x3fc90fda, v4
	v_add_f32_e32 v4, v13, v7
.LBB65_337:
	s_andn2_saveexec_b32 s0, s3
; %bb.338:
	v_mul_f32_e64 v4, 0x3f22f983, |v2|
	v_rndne_f32_e32 v5, v4
	v_fma_f32 v4, 0xbfc90fda, v5, |v2|
	v_fmamk_f32 v4, v5, 0xb3a22168, v4
	v_fmamk_f32 v4, v5, 0xa7c234c4, v4
	v_cvt_i32_f32_e32 v5, v5
; %bb.339:
	s_or_b32 exec_lo, exec_lo, s0
	v_mul_f32_e32 v6, v4, v4
	s_mov_b32 s0, 0xb94c1982
	s_mov_b32 s1, 0x37d75334
	v_and_b32_e32 v9, 1, v5
	v_lshlrev_b32_e32 v5, 30, v5
	v_fmaak_f32 v7, s0, v6, 0x3c0881c4
	v_fmaak_f32 v8, s1, v6, 0xbab64f3b
	v_xor_b32_e32 v3, v3, v2
	v_cmp_eq_u32_e32 vcc_lo, 0, v9
	v_and_b32_e32 v5, 0x80000000, v5
	v_fmaak_f32 v7, v6, v7, 0xbe2aaa9d
	v_fmaak_f32 v8, v6, v8, 0x3d2aabf7
	v_sub_f32_e32 v1, 1.0, v1
	v_mul_f32_e32 v7, v6, v7
	v_fmaak_f32 v8, v6, v8, 0xbf000004
	v_fmac_f32_e32 v4, v4, v7
	v_fma_f32 v6, v6, v8, 1.0
	v_cndmask_b32_e32 v4, v6, v4, vcc_lo
	v_cmp_class_f32_e64 vcc_lo, v2, 0x1f8
	v_xor3_b32 v3, v3, v5, v4
	v_cndmask_b32_e32 v2, 0x7fc00000, v3, vcc_lo
	v_mul_f32_e32 v2, v2, v2
	v_div_scale_f32 v3, null, v2, v2, 0xc11de9e7
	v_div_scale_f32 v6, vcc_lo, 0xc11de9e7, v2, 0xc11de9e7
	v_rcp_f32_e32 v4, v3
	v_fma_f32 v5, -v3, v4, 1.0
	v_fmac_f32_e32 v4, v5, v4
	v_mul_f32_e32 v5, v6, v4
	v_fma_f32 v7, -v3, v5, v6
	v_fmac_f32_e32 v5, v7, v4
	v_fma_f32 v3, -v3, v5, v6
	v_div_fmas_f32 v3, v3, v4, v5
	v_div_fixup_f32 v2, v3, v2, 0xc11de9e7
	v_add_f32_e32 v3, 0, v2
	v_mov_b32_e32 v2, -1.0
.LBB65_340:
	s_or_b32 exec_lo, exec_lo, s2
	v_add_f32_e32 v4, 1.0, v1
	v_mul_f32_e32 v1, v1, v1
	v_mul_f32_e32 v5, v4, v4
	v_add_f32_e32 v4, 1.0, v4
	v_div_scale_f32 v6, null, v1, v1, 1.0
	v_div_scale_f32 v8, vcc_lo, 1.0, v1, 1.0
	v_mul_f32_e32 v9, v4, v4
	v_div_scale_f32 v7, null, v5, v5, 1.0
	v_rcp_f32_e32 v10, v6
	v_div_scale_f32 v13, s0, 1.0, v5, 1.0
	v_div_scale_f32 v12, null, v9, v9, 1.0
	v_rcp_f32_e32 v11, v7
	v_add_f32_e32 v4, 1.0, v4
	v_div_scale_f32 v14, s1, 1.0, v9, 1.0
	v_rcp_f32_e32 v15, v12
	v_fma_f32 v17, -v6, v10, 1.0
	v_mul_f32_e32 v16, v4, v4
	v_add_f32_e32 v4, 1.0, v4
	v_fma_f32 v18, -v7, v11, 1.0
	v_fmac_f32_e32 v10, v17, v10
	v_mul_f32_e32 v20, v4, v4
	v_add_f32_e32 v4, 1.0, v4
	v_fma_f32 v17, -v12, v15, 1.0
	v_fmac_f32_e32 v11, v18, v11
	v_mul_f32_e32 v21, v8, v10
	v_div_scale_f32 v19, null, v16, v16, 1.0
	v_fmac_f32_e32 v15, v17, v15
	v_mul_f32_e32 v22, v13, v11
	v_fma_f32 v23, -v6, v21, v8
	v_add_f32_e32 v26, 1.0, v4
	v_rcp_f32_e32 v18, v19
	v_mul_f32_e32 v25, v14, v15
	v_fma_f32 v24, -v7, v22, v13
	v_fmac_f32_e32 v21, v23, v10
	v_mul_f32_e32 v4, v4, v4
	v_div_scale_f32 v17, null, v20, v20, 1.0
	v_fma_f32 v23, -v12, v25, v14
	v_fmac_f32_e32 v22, v24, v11
	v_fma_f32 v6, -v6, v21, v8
	v_mul_f32_e32 v8, v26, v26
	v_rcp_f32_e32 v24, v17
	v_fmac_f32_e32 v25, v23, v15
	v_fma_f32 v7, -v7, v22, v13
	v_div_fmas_f32 v6, v6, v10, v21
	s_mov_b32 vcc_lo, s0
	v_fma_f32 v27, -v19, v18, 1.0
	v_fma_f32 v10, -v12, v25, v14
	v_div_fmas_f32 v7, v7, v11, v22
	s_mov_b32 vcc_lo, s1
	v_div_scale_f32 v11, null, v4, v4, 1.0
	v_div_fmas_f32 v10, v10, v15, v25
	v_div_scale_f32 v12, null, v8, v8, 1.0
	v_add_f32_e32 v15, v26, v26
	v_rcp_f32_e32 v14, v11
	v_fmac_f32_e32 v18, v27, v18
	v_rcp_f32_e32 v22, v12
	v_div_scale_f32 v13, vcc_lo, 1.0, v16, 1.0
	v_div_scale_f32 v25, null, v15, v15, 1.0
	v_fma_f32 v21, -v17, v24, 1.0
	v_mul_f32_e32 v23, v13, v18
	v_div_fixup_f32 v1, v6, v1, 1.0
	v_rcp_f32_e32 v28, v25
	v_fma_f32 v27, -v11, v14, 1.0
	v_fmac_f32_e32 v24, v21, v24
	v_div_scale_f32 v21, s0, 1.0, v20, 1.0
	v_fma_f32 v30, -v12, v22, 1.0
	v_fma_f32 v29, -v19, v23, v13
	v_fmac_f32_e32 v14, v27, v14
	v_div_scale_f32 v27, s1, 1.0, v4, 1.0
	v_mul_f32_e32 v31, v21, v24
	v_fmac_f32_e32 v22, v30, v22
	v_div_scale_f32 v30, s2, 1.0, v8, 1.0
	v_fma_f32 v32, -v25, v28, 1.0
	v_fmac_f32_e32 v23, v29, v18
	v_mul_f32_e32 v33, v27, v14
	v_fma_f32 v29, -v17, v31, v21
	v_mul_f32_e32 v34, v30, v22
	v_fmac_f32_e32 v28, v32, v28
	v_div_scale_f32 v32, s3, 1.0, v15, 1.0
	v_fma_f32 v13, -v19, v23, v13
	v_fma_f32 v19, -v11, v33, v27
	v_fmac_f32_e32 v31, v29, v24
	v_fma_f32 v29, -v12, v34, v30
	v_mul_f32_e32 v35, v32, v28
	v_div_fmas_f32 v13, v13, v18, v23
	v_fmac_f32_e32 v33, v19, v14
	v_fma_f32 v17, -v17, v31, v21
	v_fmac_f32_e32 v34, v29, v22
	v_fma_f32 v18, -v25, v35, v32
	s_mov_b32 vcc_lo, s0
	v_fma_f32 v11, -v11, v33, v27
	v_div_fmas_f32 v17, v17, v24, v31
	v_fma_f32 v12, -v12, v34, v30
	v_fmac_f32_e32 v35, v18, v28
	s_mov_b32 vcc_lo, s1
	s_mov_b32 s0, 0xbcc30c31
	v_div_fmas_f32 v11, v11, v14, v33
	s_mov_b32 vcc_lo, s2
	v_fma_f32 v14, -v25, v35, v32
	v_div_fmas_f32 v12, v12, v22, v34
	s_mov_b32 vcc_lo, s3
	v_add_f32_e32 v1, v3, v1
	v_div_fixup_f32 v3, v7, v5, 1.0
	v_div_fmas_f32 v14, v14, v28, v35
	v_div_fixup_f32 v8, v12, v8, 1.0
	v_add_f32_e32 v1, v1, v3
	v_div_fixup_f32 v12, v14, v15, 1.0
	v_fmaak_f32 v14, s0, v8, 0x3d088889
	v_div_fixup_f32 v3, v10, v9, 1.0
	v_add_f32_e32 v12, 1.0, v12
	v_fma_f32 v14, -v8, v14, 0x3e2aaaab
	v_add_f32_e32 v1, v1, v3
	v_div_fixup_f32 v3, v13, v16, 1.0
	v_fmac_f32_e32 v12, v8, v14
	v_add_f32_e32 v1, v1, v3
	v_div_fixup_f32 v3, v17, v20, 1.0
	v_div_scale_f32 v8, null, v26, v26, v12
	v_div_scale_f32 v5, vcc_lo, v12, v26, v12
	v_add_f32_e32 v1, v1, v3
	v_rcp_f32_e32 v14, v8
	v_div_fixup_f32 v3, v11, v4, 1.0
	v_add_f32_e32 v1, v1, v3
	v_fma_f32 v6, -v8, v14, 1.0
	v_fmac_f32_e32 v14, v6, v14
	v_mul_f32_e32 v6, v5, v14
	v_fma_f32 v7, -v8, v6, v5
	v_fmac_f32_e32 v6, v7, v14
	v_fma_f32 v5, -v8, v6, v5
	v_div_fmas_f32 v4, v5, v14, v6
	v_div_fixup_f32 v3, v4, v26, v12
	v_add_f32_e32 v1, v1, v3
	v_fma_mixlo_f16 v1, v2, v1, 0
	global_store_short v0, v1, s[4:5]
	s_or_b32 exec_lo, exec_lo, s27
                                        ; implicit-def: $vgpr18
                                        ; implicit-def: $vgpr7
	s_andn2_saveexec_b32 s0, s25
	s_cbranch_execz .LBB65_305
	s_branch .LBB65_8
	.section	.rodata,"a",@progbits
	.p2align	6, 0x0
	.amdhsa_kernel _ZN2at6native32elementwise_kernel_manual_unrollILi128ELi8EZNS0_22gpu_kernel_impl_nocastIZZZNS0_20trigamma_kernel_cudaERNS_18TensorIteratorBaseEENKUlvE_clEvENKUlvE1_clEvEUlN3c104HalfEE_EEvS4_RKT_EUlibE_EEviT1_
		.amdhsa_group_segment_fixed_size 0
		.amdhsa_private_segment_fixed_size 0
		.amdhsa_kernarg_size 360
		.amdhsa_user_sgpr_count 6
		.amdhsa_user_sgpr_private_segment_buffer 1
		.amdhsa_user_sgpr_dispatch_ptr 0
		.amdhsa_user_sgpr_queue_ptr 0
		.amdhsa_user_sgpr_kernarg_segment_ptr 1
		.amdhsa_user_sgpr_dispatch_id 0
		.amdhsa_user_sgpr_flat_scratch_init 0
		.amdhsa_user_sgpr_private_segment_size 0
		.amdhsa_wavefront_size32 1
		.amdhsa_uses_dynamic_stack 0
		.amdhsa_system_sgpr_private_segment_wavefront_offset 0
		.amdhsa_system_sgpr_workgroup_id_x 1
		.amdhsa_system_sgpr_workgroup_id_y 0
		.amdhsa_system_sgpr_workgroup_id_z 0
		.amdhsa_system_sgpr_workgroup_info 0
		.amdhsa_system_vgpr_workitem_id 0
		.amdhsa_next_free_vgpr 153
		.amdhsa_next_free_sgpr 56
		.amdhsa_reserve_vcc 1
		.amdhsa_reserve_flat_scratch 0
		.amdhsa_float_round_mode_32 0
		.amdhsa_float_round_mode_16_64 0
		.amdhsa_float_denorm_mode_32 3
		.amdhsa_float_denorm_mode_16_64 3
		.amdhsa_dx10_clamp 1
		.amdhsa_ieee_mode 1
		.amdhsa_fp16_overflow 0
		.amdhsa_workgroup_processor_mode 1
		.amdhsa_memory_ordered 1
		.amdhsa_forward_progress 1
		.amdhsa_shared_vgpr_count 0
		.amdhsa_exception_fp_ieee_invalid_op 0
		.amdhsa_exception_fp_denorm_src 0
		.amdhsa_exception_fp_ieee_div_zero 0
		.amdhsa_exception_fp_ieee_overflow 0
		.amdhsa_exception_fp_ieee_underflow 0
		.amdhsa_exception_fp_ieee_inexact 0
		.amdhsa_exception_int_div_zero 0
	.end_amdhsa_kernel
	.section	.text._ZN2at6native32elementwise_kernel_manual_unrollILi128ELi8EZNS0_22gpu_kernel_impl_nocastIZZZNS0_20trigamma_kernel_cudaERNS_18TensorIteratorBaseEENKUlvE_clEvENKUlvE1_clEvEUlN3c104HalfEE_EEvS4_RKT_EUlibE_EEviT1_,"axG",@progbits,_ZN2at6native32elementwise_kernel_manual_unrollILi128ELi8EZNS0_22gpu_kernel_impl_nocastIZZZNS0_20trigamma_kernel_cudaERNS_18TensorIteratorBaseEENKUlvE_clEvENKUlvE1_clEvEUlN3c104HalfEE_EEvS4_RKT_EUlibE_EEviT1_,comdat
.Lfunc_end65:
	.size	_ZN2at6native32elementwise_kernel_manual_unrollILi128ELi8EZNS0_22gpu_kernel_impl_nocastIZZZNS0_20trigamma_kernel_cudaERNS_18TensorIteratorBaseEENKUlvE_clEvENKUlvE1_clEvEUlN3c104HalfEE_EEvS4_RKT_EUlibE_EEviT1_, .Lfunc_end65-_ZN2at6native32elementwise_kernel_manual_unrollILi128ELi8EZNS0_22gpu_kernel_impl_nocastIZZZNS0_20trigamma_kernel_cudaERNS_18TensorIteratorBaseEENKUlvE_clEvENKUlvE1_clEvEUlN3c104HalfEE_EEvS4_RKT_EUlibE_EEviT1_
                                        ; -- End function
	.set _ZN2at6native32elementwise_kernel_manual_unrollILi128ELi8EZNS0_22gpu_kernel_impl_nocastIZZZNS0_20trigamma_kernel_cudaERNS_18TensorIteratorBaseEENKUlvE_clEvENKUlvE1_clEvEUlN3c104HalfEE_EEvS4_RKT_EUlibE_EEviT1_.num_vgpr, 153
	.set _ZN2at6native32elementwise_kernel_manual_unrollILi128ELi8EZNS0_22gpu_kernel_impl_nocastIZZZNS0_20trigamma_kernel_cudaERNS_18TensorIteratorBaseEENKUlvE_clEvENKUlvE1_clEvEUlN3c104HalfEE_EEvS4_RKT_EUlibE_EEviT1_.num_agpr, 0
	.set _ZN2at6native32elementwise_kernel_manual_unrollILi128ELi8EZNS0_22gpu_kernel_impl_nocastIZZZNS0_20trigamma_kernel_cudaERNS_18TensorIteratorBaseEENKUlvE_clEvENKUlvE1_clEvEUlN3c104HalfEE_EEvS4_RKT_EUlibE_EEviT1_.numbered_sgpr, 56
	.set _ZN2at6native32elementwise_kernel_manual_unrollILi128ELi8EZNS0_22gpu_kernel_impl_nocastIZZZNS0_20trigamma_kernel_cudaERNS_18TensorIteratorBaseEENKUlvE_clEvENKUlvE1_clEvEUlN3c104HalfEE_EEvS4_RKT_EUlibE_EEviT1_.num_named_barrier, 0
	.set _ZN2at6native32elementwise_kernel_manual_unrollILi128ELi8EZNS0_22gpu_kernel_impl_nocastIZZZNS0_20trigamma_kernel_cudaERNS_18TensorIteratorBaseEENKUlvE_clEvENKUlvE1_clEvEUlN3c104HalfEE_EEvS4_RKT_EUlibE_EEviT1_.private_seg_size, 0
	.set _ZN2at6native32elementwise_kernel_manual_unrollILi128ELi8EZNS0_22gpu_kernel_impl_nocastIZZZNS0_20trigamma_kernel_cudaERNS_18TensorIteratorBaseEENKUlvE_clEvENKUlvE1_clEvEUlN3c104HalfEE_EEvS4_RKT_EUlibE_EEviT1_.uses_vcc, 1
	.set _ZN2at6native32elementwise_kernel_manual_unrollILi128ELi8EZNS0_22gpu_kernel_impl_nocastIZZZNS0_20trigamma_kernel_cudaERNS_18TensorIteratorBaseEENKUlvE_clEvENKUlvE1_clEvEUlN3c104HalfEE_EEvS4_RKT_EUlibE_EEviT1_.uses_flat_scratch, 0
	.set _ZN2at6native32elementwise_kernel_manual_unrollILi128ELi8EZNS0_22gpu_kernel_impl_nocastIZZZNS0_20trigamma_kernel_cudaERNS_18TensorIteratorBaseEENKUlvE_clEvENKUlvE1_clEvEUlN3c104HalfEE_EEvS4_RKT_EUlibE_EEviT1_.has_dyn_sized_stack, 0
	.set _ZN2at6native32elementwise_kernel_manual_unrollILi128ELi8EZNS0_22gpu_kernel_impl_nocastIZZZNS0_20trigamma_kernel_cudaERNS_18TensorIteratorBaseEENKUlvE_clEvENKUlvE1_clEvEUlN3c104HalfEE_EEvS4_RKT_EUlibE_EEviT1_.has_recursion, 0
	.set _ZN2at6native32elementwise_kernel_manual_unrollILi128ELi8EZNS0_22gpu_kernel_impl_nocastIZZZNS0_20trigamma_kernel_cudaERNS_18TensorIteratorBaseEENKUlvE_clEvENKUlvE1_clEvEUlN3c104HalfEE_EEvS4_RKT_EUlibE_EEviT1_.has_indirect_call, 0
	.section	.AMDGPU.csdata,"",@progbits
; Kernel info:
; codeLenInByte = 39596
; TotalNumSgprs: 58
; NumVgprs: 153
; ScratchSize: 0
; MemoryBound: 0
; FloatMode: 240
; IeeeMode: 1
; LDSByteSize: 0 bytes/workgroup (compile time only)
; SGPRBlocks: 0
; VGPRBlocks: 19
; NumSGPRsForWavesPerEU: 58
; NumVGPRsForWavesPerEU: 153
; Occupancy: 6
; WaveLimiterHint : 1
; COMPUTE_PGM_RSRC2:SCRATCH_EN: 0
; COMPUTE_PGM_RSRC2:USER_SGPR: 6
; COMPUTE_PGM_RSRC2:TRAP_HANDLER: 0
; COMPUTE_PGM_RSRC2:TGID_X_EN: 1
; COMPUTE_PGM_RSRC2:TGID_Y_EN: 0
; COMPUTE_PGM_RSRC2:TGID_Z_EN: 0
; COMPUTE_PGM_RSRC2:TIDIG_COMP_CNT: 0
	.section	.text._ZN2at6native32elementwise_kernel_manual_unrollILi128ELi4EZNS0_15gpu_kernel_implIZZZNS0_20trigamma_kernel_cudaERNS_18TensorIteratorBaseEENKUlvE_clEvENKUlvE1_clEvEUlN3c104HalfEE_EEvS4_RKT_EUlibE_EEviT1_,"axG",@progbits,_ZN2at6native32elementwise_kernel_manual_unrollILi128ELi4EZNS0_15gpu_kernel_implIZZZNS0_20trigamma_kernel_cudaERNS_18TensorIteratorBaseEENKUlvE_clEvENKUlvE1_clEvEUlN3c104HalfEE_EEvS4_RKT_EUlibE_EEviT1_,comdat
	.globl	_ZN2at6native32elementwise_kernel_manual_unrollILi128ELi4EZNS0_15gpu_kernel_implIZZZNS0_20trigamma_kernel_cudaERNS_18TensorIteratorBaseEENKUlvE_clEvENKUlvE1_clEvEUlN3c104HalfEE_EEvS4_RKT_EUlibE_EEviT1_ ; -- Begin function _ZN2at6native32elementwise_kernel_manual_unrollILi128ELi4EZNS0_15gpu_kernel_implIZZZNS0_20trigamma_kernel_cudaERNS_18TensorIteratorBaseEENKUlvE_clEvENKUlvE1_clEvEUlN3c104HalfEE_EEvS4_RKT_EUlibE_EEviT1_
	.p2align	8
	.type	_ZN2at6native32elementwise_kernel_manual_unrollILi128ELi4EZNS0_15gpu_kernel_implIZZZNS0_20trigamma_kernel_cudaERNS_18TensorIteratorBaseEENKUlvE_clEvENKUlvE1_clEvEUlN3c104HalfEE_EEvS4_RKT_EUlibE_EEviT1_,@function
_ZN2at6native32elementwise_kernel_manual_unrollILi128ELi4EZNS0_15gpu_kernel_implIZZZNS0_20trigamma_kernel_cudaERNS_18TensorIteratorBaseEENKUlvE_clEvENKUlvE1_clEvEUlN3c104HalfEE_EEvS4_RKT_EUlibE_EEviT1_: ; @_ZN2at6native32elementwise_kernel_manual_unrollILi128ELi4EZNS0_15gpu_kernel_implIZZZNS0_20trigamma_kernel_cudaERNS_18TensorIteratorBaseEENKUlvE_clEvENKUlvE1_clEvEUlN3c104HalfEE_EEvS4_RKT_EUlibE_EEviT1_
; %bb.0:
	v_mov_b32_e32 v1, 0
	s_clause 0x2
	s_load_dword s15, s[4:5], 0x0
	s_load_dwordx2 s[12:13], s[4:5], 0x18
	s_load_dwordx4 s[8:11], s[4:5], 0x8
	v_lshl_or_b32 v2, s6, 9, v0
	s_mov_b32 s14, 0
	global_load_ushort v1, v1, s[4:5] offset:33
	s_mov_b32 s5, 0
	v_or_b32_e32 v0, 0x180, v2
	s_waitcnt vmcnt(0)
	v_readfirstlane_b32 s4, v1
	s_and_b32 s0, 0xffff, s4
	s_lshr_b32 s6, s0, 8
	s_mov_b32 s0, exec_lo
	s_waitcnt lgkmcnt(0)
	v_cmpx_le_i32_e64 s15, v0
	s_xor_b32 s7, exec_lo, s0
	s_cbranch_execz .LBB66_1055
; %bb.1:
	s_mov_b32 s1, -1
	s_mov_b32 s18, 0
	s_mov_b32 s16, 0
	s_mov_b32 s17, exec_lo
	v_cmpx_gt_i32_e64 s15, v2
	s_cbranch_execz .LBB66_258
; %bb.2:
	v_mul_lo_u32 v0, v2, s13
	s_and_b32 s0, 0xffff, s6
	s_cmp_lt_i32 s0, 11
	v_ashrrev_i32_e32 v1, 31, v0
	v_add_co_u32 v0, vcc_lo, s10, v0
	v_add_co_ci_u32_e64 v1, null, s11, v1, vcc_lo
	s_cbranch_scc1 .LBB66_9
; %bb.3:
	s_cmp_gt_i32 s0, 25
	s_cbranch_scc0 .LBB66_24
; %bb.4:
	s_cmp_gt_i32 s0, 28
	s_cbranch_scc0 .LBB66_27
	;; [unrolled: 3-line block ×4, first 2 shown]
; %bb.7:
	s_cmp_eq_u32 s0, 46
	s_mov_b32 s2, 0
	s_cbranch_scc0 .LBB66_33
; %bb.8:
	global_load_dword v3, v[0:1], off
	s_waitcnt vmcnt(0)
	v_lshlrev_b32_e32 v3, 16, v3
	v_cvt_f16_f32_e32 v3, v3
	s_branch .LBB66_35
.LBB66_9:
	s_mov_b32 s1, 0
                                        ; implicit-def: $vgpr3
	s_cbranch_execnz .LBB66_208
.LBB66_10:
	s_andn2_b32 vcc_lo, exec_lo, s1
	s_cbranch_vccnz .LBB66_255
.LBB66_11:
	s_waitcnt vmcnt(0)
	v_cvt_f32_f16_e32 v0, v3
	v_cmp_gt_f16_e32 vcc_lo, 0.5, v3
	v_mov_b32_e32 v1, 0
	v_mov_b32_e32 v3, 1.0
	s_and_saveexec_b32 s2, vcc_lo
	s_cbranch_execz .LBB66_17
; %bb.12:
	v_mul_f32_e32 v1, 0x40490fdb, v0
                                        ; implicit-def: $vgpr5
                                        ; implicit-def: $vgpr4
	s_mov_b32 s1, exec_lo
	v_and_b32_e32 v3, 0x7fffffff, v1
	v_cmpx_ngt_f32_e64 0x48000000, |v1|
	s_xor_b32 s3, exec_lo, s1
	s_cbranch_execz .LBB66_14
; %bb.13:
	s_mov_b32 s0, 0x7fffff
	v_mov_b32_e32 v6, 0
	v_and_or_b32 v13, v3, s0, 0x800000
	v_lshrrev_b32_e32 v11, 23, v3
	v_mad_u64_u32 v[4:5], null, 0xfe5163ab, v13, 0
	v_add_nc_u32_e32 v12, 0xffffff88, v11
	v_cmp_lt_u32_e32 vcc_lo, 63, v12
	v_mad_u64_u32 v[7:8], null, 0x3c439041, v13, v[5:6]
	v_cndmask_b32_e64 v14, 0, 0xffffffc0, vcc_lo
	v_mov_b32_e32 v5, v8
	v_add_nc_u32_e32 v14, v14, v12
	v_mad_u64_u32 v[8:9], null, 0xdb629599, v13, v[5:6]
	v_cmp_lt_u32_e64 s0, 31, v14
	v_cndmask_b32_e64 v15, 0, 0xffffffe0, s0
	v_mov_b32_e32 v5, v9
	v_cndmask_b32_e32 v4, v8, v4, vcc_lo
	v_mad_u64_u32 v[9:10], null, 0xf534ddc0, v13, v[5:6]
	v_mov_b32_e32 v5, v10
	v_cndmask_b32_e32 v7, v9, v7, vcc_lo
	v_mad_u64_u32 v[10:11], null, 0xfc2757d1, v13, v[5:6]
	v_cndmask_b32_e64 v4, v7, v4, s0
	v_mov_b32_e32 v5, v11
	v_mad_u64_u32 v[11:12], null, 0x4e441529, v13, v[5:6]
	v_mov_b32_e32 v5, v12
	v_add_nc_u32_e32 v12, v15, v14
	v_cndmask_b32_e32 v14, v11, v9, vcc_lo
	v_mad_u64_u32 v[5:6], null, 0xa2f9836e, v13, v[5:6]
	v_cmp_lt_u32_e64 s1, 31, v12
	v_cndmask_b32_e64 v13, 0, 0xffffffe0, s1
	v_cndmask_b32_e32 v5, v5, v10, vcc_lo
	v_cndmask_b32_e32 v6, v6, v11, vcc_lo
	;; [unrolled: 1-line block ×3, first 2 shown]
	v_add_nc_u32_e32 v11, v13, v12
	v_cndmask_b32_e64 v9, v5, v14, s0
	v_cndmask_b32_e64 v5, v6, v5, s0
	;; [unrolled: 1-line block ×4, first 2 shown]
	v_sub_nc_u32_e32 v12, 32, v11
	v_cmp_eq_u32_e32 vcc_lo, 0, v11
	v_cndmask_b32_e64 v5, v5, v9, s1
	v_cndmask_b32_e64 v9, v9, v6, s1
	;; [unrolled: 1-line block ×4, first 2 shown]
	v_alignbit_b32 v13, v5, v9, v12
	v_alignbit_b32 v8, v9, v6, v12
	v_alignbit_b32 v11, v6, v4, v12
	v_cndmask_b32_e32 v5, v13, v5, vcc_lo
	v_cndmask_b32_e32 v7, v8, v9, vcc_lo
	;; [unrolled: 1-line block ×3, first 2 shown]
	v_bfe_u32 v8, v5, 29, 1
	v_alignbit_b32 v9, v5, v7, 30
	v_alignbit_b32 v7, v7, v6, 30
	;; [unrolled: 1-line block ×3, first 2 shown]
	v_sub_nc_u32_e32 v10, 0, v8
	v_xor_b32_e32 v9, v9, v10
	v_xor_b32_e32 v6, v7, v10
	;; [unrolled: 1-line block ×3, first 2 shown]
	v_lshrrev_b32_e32 v10, 29, v5
	v_lshrrev_b32_e32 v5, 30, v5
	v_ffbh_u32_e32 v11, v9
	v_add_nc_u32_e32 v5, v8, v5
	v_min_u32_e32 v11, 32, v11
	v_sub_nc_u32_e32 v7, 31, v11
	v_lshlrev_b32_e32 v12, 23, v11
	v_alignbit_b32 v9, v9, v6, v7
	v_alignbit_b32 v4, v6, v4, v7
	v_lshlrev_b32_e32 v6, 31, v10
	v_alignbit_b32 v7, v9, v4, 9
	v_or_b32_e32 v10, 0.5, v6
	v_lshrrev_b32_e32 v9, 9, v9
	v_or_b32_e32 v6, 0x33000000, v6
	v_ffbh_u32_e32 v13, v7
	v_sub_nc_u32_e32 v10, v10, v12
	v_min_u32_e32 v12, 32, v13
	v_or_b32_e32 v9, v9, v10
	v_not_b32_e32 v10, v12
	v_mul_f32_e32 v13, 0x3fc90fda, v9
	v_add_lshl_u32 v11, v12, v11, 23
	v_alignbit_b32 v4, v7, v4, v10
	v_fma_f32 v7, 0x3fc90fda, v9, -v13
	v_sub_nc_u32_e32 v6, v6, v11
	v_lshrrev_b32_e32 v4, 9, v4
	v_fmamk_f32 v7, v9, 0x33a22168, v7
	v_or_b32_e32 v4, v6, v4
	v_fmac_f32_e32 v7, 0x3fc90fda, v4
	v_add_f32_e32 v4, v13, v7
.LBB66_14:
	s_andn2_saveexec_b32 s0, s3
; %bb.15:
	v_mul_f32_e64 v4, 0x3f22f983, |v1|
	v_rndne_f32_e32 v5, v4
	v_fma_f32 v4, 0xbfc90fda, v5, |v1|
	v_fmamk_f32 v4, v5, 0xb3a22168, v4
	v_fmamk_f32 v4, v5, 0xa7c234c4, v4
	v_cvt_i32_f32_e32 v5, v5
; %bb.16:
	s_or_b32 exec_lo, exec_lo, s0
	v_mul_f32_e32 v6, v4, v4
	s_mov_b32 s0, 0xb94c1982
	s_mov_b32 s1, 0x37d75334
	v_and_b32_e32 v9, 1, v5
	v_lshlrev_b32_e32 v5, 30, v5
	v_fmaak_f32 v7, s0, v6, 0x3c0881c4
	v_fmaak_f32 v8, s1, v6, 0xbab64f3b
	v_xor_b32_e32 v3, v3, v1
	v_cmp_eq_u32_e32 vcc_lo, 0, v9
	v_and_b32_e32 v5, 0x80000000, v5
	v_fmaak_f32 v7, v6, v7, 0xbe2aaa9d
	v_fmaak_f32 v8, v6, v8, 0x3d2aabf7
	v_sub_f32_e32 v0, 1.0, v0
	v_mul_f32_e32 v7, v6, v7
	v_fmaak_f32 v8, v6, v8, 0xbf000004
	v_fmac_f32_e32 v4, v4, v7
	v_fma_f32 v6, v6, v8, 1.0
	v_cndmask_b32_e32 v4, v6, v4, vcc_lo
	v_cmp_class_f32_e64 vcc_lo, v1, 0x1f8
	v_xor3_b32 v3, v3, v5, v4
	v_cndmask_b32_e32 v1, 0x7fc00000, v3, vcc_lo
	v_mul_f32_e32 v1, v1, v1
	v_div_scale_f32 v3, null, v1, v1, 0xc11de9e7
	v_div_scale_f32 v6, vcc_lo, 0xc11de9e7, v1, 0xc11de9e7
	v_rcp_f32_e32 v4, v3
	v_fma_f32 v5, -v3, v4, 1.0
	v_fmac_f32_e32 v4, v5, v4
	v_mul_f32_e32 v5, v6, v4
	v_fma_f32 v7, -v3, v5, v6
	v_fmac_f32_e32 v5, v7, v4
	v_fma_f32 v3, -v3, v5, v6
	v_div_fmas_f32 v3, v3, v4, v5
	v_div_fixup_f32 v1, v3, v1, 0xc11de9e7
	v_mov_b32_e32 v3, -1.0
	v_add_f32_e32 v1, 0, v1
.LBB66_17:
	s_or_b32 exec_lo, exec_lo, s2
	v_add_f32_e32 v4, 1.0, v0
	v_mul_f32_e32 v0, v0, v0
	v_mul_f32_e32 v5, v4, v4
	v_add_f32_e32 v4, 1.0, v4
	v_div_scale_f32 v6, null, v0, v0, 1.0
	v_div_scale_f32 v8, vcc_lo, 1.0, v0, 1.0
	v_mul_f32_e32 v9, v4, v4
	v_div_scale_f32 v7, null, v5, v5, 1.0
	v_rcp_f32_e32 v10, v6
	v_div_scale_f32 v13, s0, 1.0, v5, 1.0
	v_div_scale_f32 v12, null, v9, v9, 1.0
	v_rcp_f32_e32 v11, v7
	v_add_f32_e32 v4, 1.0, v4
	v_div_scale_f32 v14, s1, 1.0, v9, 1.0
	v_rcp_f32_e32 v15, v12
	v_fma_f32 v17, -v6, v10, 1.0
	v_mul_f32_e32 v16, v4, v4
	v_add_f32_e32 v4, 1.0, v4
	v_fma_f32 v18, -v7, v11, 1.0
	v_fmac_f32_e32 v10, v17, v10
	v_mul_f32_e32 v20, v4, v4
	v_add_f32_e32 v4, 1.0, v4
	v_fma_f32 v17, -v12, v15, 1.0
	v_fmac_f32_e32 v11, v18, v11
	v_mul_f32_e32 v21, v8, v10
	v_div_scale_f32 v19, null, v16, v16, 1.0
	v_fmac_f32_e32 v15, v17, v15
	v_mul_f32_e32 v22, v13, v11
	v_fma_f32 v23, -v6, v21, v8
	v_add_f32_e32 v26, 1.0, v4
	v_rcp_f32_e32 v18, v19
	v_mul_f32_e32 v25, v14, v15
	v_fma_f32 v24, -v7, v22, v13
	v_fmac_f32_e32 v21, v23, v10
	v_mul_f32_e32 v4, v4, v4
	v_div_scale_f32 v17, null, v20, v20, 1.0
	v_fma_f32 v23, -v12, v25, v14
	v_fmac_f32_e32 v22, v24, v11
	v_fma_f32 v6, -v6, v21, v8
	v_mul_f32_e32 v8, v26, v26
	v_rcp_f32_e32 v24, v17
	v_fmac_f32_e32 v25, v23, v15
	v_fma_f32 v7, -v7, v22, v13
	v_div_fmas_f32 v6, v6, v10, v21
	s_mov_b32 vcc_lo, s0
	v_fma_f32 v27, -v19, v18, 1.0
	v_fma_f32 v10, -v12, v25, v14
	v_div_fmas_f32 v7, v7, v11, v22
	s_mov_b32 vcc_lo, s1
	v_div_scale_f32 v11, null, v4, v4, 1.0
	v_div_fmas_f32 v10, v10, v15, v25
	v_div_scale_f32 v12, null, v8, v8, 1.0
	v_add_f32_e32 v15, v26, v26
	v_rcp_f32_e32 v14, v11
	v_fmac_f32_e32 v18, v27, v18
	v_rcp_f32_e32 v22, v12
	v_div_scale_f32 v13, vcc_lo, 1.0, v16, 1.0
	v_div_scale_f32 v25, null, v15, v15, 1.0
	v_fma_f32 v21, -v17, v24, 1.0
	v_mul_f32_e32 v23, v13, v18
	v_div_fixup_f32 v0, v6, v0, 1.0
	v_rcp_f32_e32 v28, v25
	v_fma_f32 v27, -v11, v14, 1.0
	v_fmac_f32_e32 v24, v21, v24
	v_div_scale_f32 v21, s0, 1.0, v20, 1.0
	v_fma_f32 v30, -v12, v22, 1.0
	v_fma_f32 v29, -v19, v23, v13
	v_fmac_f32_e32 v14, v27, v14
	v_div_scale_f32 v27, s1, 1.0, v4, 1.0
	v_mul_f32_e32 v31, v21, v24
	v_fmac_f32_e32 v22, v30, v22
	v_div_scale_f32 v30, s2, 1.0, v8, 1.0
	v_fma_f32 v32, -v25, v28, 1.0
	v_fmac_f32_e32 v23, v29, v18
	v_mul_f32_e32 v33, v27, v14
	v_fma_f32 v29, -v17, v31, v21
	v_mul_f32_e32 v34, v30, v22
	v_fmac_f32_e32 v28, v32, v28
	v_div_scale_f32 v32, s3, 1.0, v15, 1.0
	v_fma_f32 v13, -v19, v23, v13
	v_fma_f32 v19, -v11, v33, v27
	v_fmac_f32_e32 v31, v29, v24
	v_fma_f32 v29, -v12, v34, v30
	v_mul_f32_e32 v35, v32, v28
	v_div_fmas_f32 v13, v13, v18, v23
	v_fmac_f32_e32 v33, v19, v14
	v_fma_f32 v17, -v17, v31, v21
	v_fmac_f32_e32 v34, v29, v22
	v_fma_f32 v18, -v25, v35, v32
	s_mov_b32 vcc_lo, s0
	v_fma_f32 v11, -v11, v33, v27
	v_div_fmas_f32 v17, v17, v24, v31
	v_fma_f32 v12, -v12, v34, v30
	v_fmac_f32_e32 v35, v18, v28
	s_mov_b32 vcc_lo, s1
	s_mov_b32 s0, 0xbcc30c31
	v_div_fmas_f32 v11, v11, v14, v33
	s_mov_b32 vcc_lo, s2
	v_fma_f32 v14, -v25, v35, v32
	v_div_fmas_f32 v12, v12, v22, v34
	s_mov_b32 vcc_lo, s3
	v_add_f32_e32 v0, v1, v0
	v_div_fixup_f32 v1, v7, v5, 1.0
	v_div_fmas_f32 v14, v14, v28, v35
	v_div_fixup_f32 v8, v12, v8, 1.0
	s_and_b32 s1, s4, 0xff
	v_add_f32_e32 v0, v0, v1
	v_div_fixup_f32 v12, v14, v15, 1.0
	v_fmaak_f32 v14, s0, v8, 0x3d088889
	v_div_fixup_f32 v1, v10, v9, 1.0
	s_cmp_lt_i32 s1, 11
	v_add_f32_e32 v12, 1.0, v12
	v_fma_f32 v14, -v8, v14, 0x3e2aaaab
	v_add_f32_e32 v0, v0, v1
	v_div_fixup_f32 v1, v13, v16, 1.0
	v_fmac_f32_e32 v12, v8, v14
	v_add_f32_e32 v0, v0, v1
	v_div_fixup_f32 v1, v17, v20, 1.0
	v_div_scale_f32 v8, null, v26, v26, v12
	v_div_scale_f32 v5, vcc_lo, v12, v26, v12
	v_add_f32_e32 v0, v0, v1
	v_rcp_f32_e32 v14, v8
	v_div_fixup_f32 v1, v11, v4, 1.0
	v_add_f32_e32 v0, v0, v1
	v_fma_f32 v6, -v8, v14, 1.0
	v_fmac_f32_e32 v14, v6, v14
	v_mul_f32_e32 v6, v5, v14
	v_fma_f32 v7, -v8, v6, v5
	v_fmac_f32_e32 v6, v7, v14
	v_fma_f32 v5, -v8, v6, v5
	v_div_fmas_f32 v4, v5, v14, v6
	v_mul_lo_u32 v5, v2, s12
	v_div_fixup_f32 v1, v4, v26, v12
	v_ashrrev_i32_e32 v4, 31, v5
	v_add_f32_e32 v6, v0, v1
	v_add_co_u32 v0, vcc_lo, s8, v5
	v_add_co_ci_u32_e64 v1, null, s9, v4, vcc_lo
	v_fma_mixlo_f16 v3, v3, v6, 0
	s_cbranch_scc1 .LBB66_25
; %bb.18:
	s_and_b32 s2, 0xffff, s1
	s_cmp_gt_i32 s2, 25
	s_cbranch_scc0 .LBB66_28
; %bb.19:
	s_cmp_gt_i32 s2, 28
	s_cbranch_scc0 .LBB66_30
; %bb.20:
	;; [unrolled: 3-line block ×4, first 2 shown]
	s_mov_b32 s0, -1
	s_cmp_eq_u32 s2, 46
	s_mov_b32 s3, 0
	s_cbranch_scc0 .LBB66_39
; %bb.23:
	v_cvt_f32_f16_e32 v4, v3
	v_cmp_o_f16_e32 vcc_lo, v3, v3
	s_mov_b32 s3, -1
	s_mov_b32 s0, 0
	v_bfe_u32 v5, v4, 16, 1
	v_add3_u32 v4, v4, v5, 0x7fff
	v_mov_b32_e32 v5, 0x7fc0
	v_cndmask_b32_sdwa v4, v5, v4, vcc_lo dst_sel:DWORD dst_unused:UNUSED_PAD src0_sel:DWORD src1_sel:WORD_1
	global_store_dword v[0:1], v4, off
	s_branch .LBB66_39
.LBB66_24:
	s_mov_b32 s1, 0
                                        ; implicit-def: $vgpr3
	s_cbranch_execnz .LBB66_173
	s_branch .LBB66_207
.LBB66_25:
	s_mov_b32 s0, 0
	s_mov_b32 s3, 0
	s_cbranch_execnz .LBB66_108
.LBB66_26:
	s_andn2_b32 vcc_lo, exec_lo, s3
	s_cbranch_vccnz .LBB66_256
	s_branch .LBB66_146
.LBB66_27:
	s_mov_b32 s2, -1
	s_mov_b32 s1, 0
                                        ; implicit-def: $vgpr3
	s_branch .LBB66_154
.LBB66_28:
	s_mov_b32 s14, -1
	s_mov_b32 s0, 0
	s_mov_b32 s3, 0
	s_branch .LBB66_66
.LBB66_29:
	s_mov_b32 s2, -1
	s_mov_b32 s1, 0
                                        ; implicit-def: $vgpr3
	s_branch .LBB66_149
.LBB66_30:
	s_mov_b32 s14, -1
	s_mov_b32 s0, 0
	s_mov_b32 s3, 0
	s_branch .LBB66_49
.LBB66_31:
	s_mov_b32 s2, -1
	s_branch .LBB66_34
.LBB66_32:
	s_mov_b32 s14, -1
	s_mov_b32 s0, 0
	s_mov_b32 s3, 0
	s_branch .LBB66_45
.LBB66_33:
	s_mov_b32 s16, -1
.LBB66_34:
	s_mov_b32 s1, 0
                                        ; implicit-def: $vgpr3
.LBB66_35:
	s_and_b32 vcc_lo, exec_lo, s2
	s_cbranch_vccz .LBB66_148
; %bb.36:
	s_cmp_eq_u32 s0, 44
	s_cbranch_scc0 .LBB66_147
; %bb.37:
	global_load_ubyte v3, v[0:1], off
	s_mov_b32 s16, 0
	s_mov_b32 s1, -1
	s_waitcnt vmcnt(0)
	v_lshlrev_b32_e32 v4, 23, v3
	v_cmp_ne_u32_e32 vcc_lo, 0xff, v3
	v_cvt_f16_f32_e32 v4, v4
	v_cndmask_b32_e32 v4, 0x7e00, v4, vcc_lo
	v_cmp_ne_u32_e32 vcc_lo, 0, v3
	v_cndmask_b32_e32 v3, 0, v4, vcc_lo
	s_branch .LBB66_148
.LBB66_38:
	s_mov_b32 s14, -1
	s_mov_b32 s0, 0
	s_mov_b32 s3, 0
.LBB66_39:
	s_and_b32 vcc_lo, exec_lo, s14
	s_cbranch_vccz .LBB66_44
; %bb.40:
	s_cmp_eq_u32 s2, 44
	s_mov_b32 s0, -1
	s_cbranch_scc0 .LBB66_44
; %bb.41:
	v_cvt_f32_f16_e32 v4, v3
	v_mov_b32_e32 v5, 0xff
	s_mov_b32 s3, exec_lo
	v_bfe_u32 v6, v4, 23, 8
	v_cmpx_ne_u32_e32 0xff, v6
	s_cbranch_execz .LBB66_43
; %bb.42:
	v_and_b32_e32 v5, 0x400000, v4
	v_and_or_b32 v6, 0x3fffff, v4, v6
	v_lshrrev_b32_e32 v4, 23, v4
	v_cmp_ne_u32_e32 vcc_lo, 0, v5
	v_cmp_ne_u32_e64 s0, 0, v6
	s_and_b32 s0, vcc_lo, s0
	v_cndmask_b32_e64 v5, 0, 1, s0
	v_add_nc_u32_e32 v5, v4, v5
.LBB66_43:
	s_or_b32 exec_lo, exec_lo, s3
	s_mov_b32 s3, -1
	s_mov_b32 s0, 0
	global_store_byte v[0:1], v5, off
.LBB66_44:
	s_mov_b32 s14, 0
.LBB66_45:
	s_and_b32 vcc_lo, exec_lo, s14
	s_cbranch_vccz .LBB66_48
; %bb.46:
	s_cmp_eq_u32 s2, 29
	s_mov_b32 s0, -1
	s_cbranch_scc0 .LBB66_48
; %bb.47:
	v_cvt_f32_f16_e32 v4, v3
	v_mov_b32_e32 v5, 0
	s_mov_b32 s3, -1
	s_mov_b32 s0, 0
	s_mov_b32 s14, 0
	v_cvt_u32_f32_e32 v4, v4
	global_store_dwordx2 v[0:1], v[4:5], off
	s_branch .LBB66_49
.LBB66_48:
	s_mov_b32 s14, 0
.LBB66_49:
	s_and_b32 vcc_lo, exec_lo, s14
	s_cbranch_vccz .LBB66_65
; %bb.50:
	s_cmp_lt_i32 s2, 27
	s_mov_b32 s3, -1
	s_cbranch_scc1 .LBB66_56
; %bb.51:
	s_cmp_gt_i32 s2, 27
	s_cbranch_scc0 .LBB66_53
; %bb.52:
	v_cvt_f32_f16_e32 v4, v3
	s_mov_b32 s3, 0
	v_cvt_u32_f32_e32 v4, v4
	global_store_dword v[0:1], v4, off
.LBB66_53:
	s_andn2_b32 vcc_lo, exec_lo, s3
	s_cbranch_vccnz .LBB66_55
; %bb.54:
	v_cvt_u16_f16_e32 v4, v3
	global_store_short v[0:1], v4, off
.LBB66_55:
	s_mov_b32 s3, 0
.LBB66_56:
	s_andn2_b32 vcc_lo, exec_lo, s3
	s_cbranch_vccnz .LBB66_64
; %bb.57:
	v_cvt_f32_f16_e32 v4, v3
	v_mov_b32_e32 v6, 0x80
	s_mov_b32 s3, exec_lo
	v_and_b32_e32 v5, 0x7fffffff, v4
	v_cmpx_gt_u32_e32 0x43800000, v5
	s_cbranch_execz .LBB66_63
; %bb.58:
	v_cmp_lt_u32_e32 vcc_lo, 0x3bffffff, v5
	s_mov_b32 s14, 0
                                        ; implicit-def: $vgpr5
	s_and_saveexec_b32 s19, vcc_lo
	s_xor_b32 s19, exec_lo, s19
	s_cbranch_execz .LBB66_291
; %bb.59:
	v_bfe_u32 v5, v4, 20, 1
	s_mov_b32 s14, exec_lo
	v_add3_u32 v5, v4, v5, 0x487ffff
	v_lshrrev_b32_e32 v5, 20, v5
	s_andn2_saveexec_b32 s19, s19
	s_cbranch_execnz .LBB66_292
.LBB66_60:
	s_or_b32 exec_lo, exec_lo, s19
	v_mov_b32_e32 v6, 0
	s_and_saveexec_b32 s19, s14
.LBB66_61:
	v_lshrrev_b32_e32 v4, 24, v4
	v_and_or_b32 v6, 0x80, v4, v5
.LBB66_62:
	s_or_b32 exec_lo, exec_lo, s19
.LBB66_63:
	s_or_b32 exec_lo, exec_lo, s3
	global_store_byte v[0:1], v6, off
.LBB66_64:
	s_mov_b32 s3, -1
.LBB66_65:
	s_mov_b32 s14, 0
.LBB66_66:
	s_and_b32 vcc_lo, exec_lo, s14
	s_cbranch_vccz .LBB66_107
; %bb.67:
	s_cmp_gt_i32 s2, 22
	s_mov_b32 s14, -1
	s_cbranch_scc0 .LBB66_99
; %bb.68:
	s_cmp_lt_i32 s2, 24
	s_mov_b32 s3, -1
	s_cbranch_scc1 .LBB66_88
; %bb.69:
	s_cmp_gt_i32 s2, 24
	s_cbranch_scc0 .LBB66_77
; %bb.70:
	v_cvt_f32_f16_e32 v4, v3
	v_mov_b32_e32 v6, 0x80
	s_mov_b32 s3, exec_lo
	v_and_b32_e32 v5, 0x7fffffff, v4
	v_cmpx_gt_u32_e32 0x47800000, v5
	s_cbranch_execz .LBB66_76
; %bb.71:
	v_cmp_lt_u32_e32 vcc_lo, 0x37ffffff, v5
	s_mov_b32 s14, 0
                                        ; implicit-def: $vgpr5
	s_and_saveexec_b32 s19, vcc_lo
	s_xor_b32 s19, exec_lo, s19
	s_cbranch_execz .LBB66_295
; %bb.72:
	v_bfe_u32 v5, v4, 21, 1
	s_mov_b32 s14, exec_lo
	v_add3_u32 v5, v4, v5, 0x88fffff
	v_lshrrev_b32_e32 v5, 21, v5
	s_andn2_saveexec_b32 s19, s19
	s_cbranch_execnz .LBB66_296
.LBB66_73:
	s_or_b32 exec_lo, exec_lo, s19
	v_mov_b32_e32 v6, 0
	s_and_saveexec_b32 s19, s14
.LBB66_74:
	v_lshrrev_b32_e32 v4, 24, v4
	v_and_or_b32 v6, 0x80, v4, v5
.LBB66_75:
	s_or_b32 exec_lo, exec_lo, s19
.LBB66_76:
	s_or_b32 exec_lo, exec_lo, s3
	s_mov_b32 s3, 0
	global_store_byte v[0:1], v6, off
.LBB66_77:
	s_and_b32 vcc_lo, exec_lo, s3
	s_cbranch_vccz .LBB66_87
; %bb.78:
	v_cvt_f32_f16_e32 v4, v3
	s_mov_b32 s3, exec_lo
                                        ; implicit-def: $vgpr5
	v_and_b32_e32 v6, 0x7fffffff, v4
	v_cmpx_gt_u32_e32 0x43f00000, v6
	s_xor_b32 s3, exec_lo, s3
	s_cbranch_execz .LBB66_84
; %bb.79:
	s_mov_b32 s14, exec_lo
                                        ; implicit-def: $vgpr5
	v_cmpx_lt_u32_e32 0x3c7fffff, v6
	s_xor_b32 s14, exec_lo, s14
; %bb.80:
	v_bfe_u32 v5, v4, 20, 1
	v_add3_u32 v5, v4, v5, 0x407ffff
	v_and_b32_e32 v6, 0xff00000, v5
	v_lshrrev_b32_e32 v5, 20, v5
	v_cmp_ne_u32_e32 vcc_lo, 0x7f00000, v6
	v_cndmask_b32_e32 v5, 0x7e, v5, vcc_lo
; %bb.81:
	s_andn2_saveexec_b32 s14, s14
; %bb.82:
	v_add_f32_e64 v5, 0x46800000, |v4|
; %bb.83:
	s_or_b32 exec_lo, exec_lo, s14
                                        ; implicit-def: $vgpr6
.LBB66_84:
	s_andn2_saveexec_b32 s3, s3
; %bb.85:
	v_mov_b32_e32 v5, 0x7f
	v_cmp_lt_u32_e32 vcc_lo, 0x7f800000, v6
	v_cndmask_b32_e32 v5, 0x7e, v5, vcc_lo
; %bb.86:
	s_or_b32 exec_lo, exec_lo, s3
	v_lshrrev_b32_e32 v4, 24, v4
	v_and_or_b32 v4, 0x80, v4, v5
	global_store_byte v[0:1], v4, off
.LBB66_87:
	s_mov_b32 s3, 0
.LBB66_88:
	s_andn2_b32 vcc_lo, exec_lo, s3
	s_cbranch_vccnz .LBB66_98
; %bb.89:
	v_cvt_f32_f16_e32 v4, v3
	s_mov_b32 s3, exec_lo
                                        ; implicit-def: $vgpr5
	v_and_b32_e32 v6, 0x7fffffff, v4
	v_cmpx_gt_u32_e32 0x47800000, v6
	s_xor_b32 s3, exec_lo, s3
	s_cbranch_execz .LBB66_95
; %bb.90:
	s_mov_b32 s14, exec_lo
                                        ; implicit-def: $vgpr5
	v_cmpx_lt_u32_e32 0x387fffff, v6
	s_xor_b32 s14, exec_lo, s14
; %bb.91:
	v_bfe_u32 v5, v4, 21, 1
	v_add3_u32 v5, v4, v5, 0x80fffff
	v_lshrrev_b32_e32 v5, 21, v5
; %bb.92:
	s_andn2_saveexec_b32 s14, s14
; %bb.93:
	v_add_f32_e64 v5, 0x43000000, |v4|
; %bb.94:
	s_or_b32 exec_lo, exec_lo, s14
                                        ; implicit-def: $vgpr6
.LBB66_95:
	s_andn2_saveexec_b32 s3, s3
; %bb.96:
	v_mov_b32_e32 v5, 0x7f
	v_cmp_lt_u32_e32 vcc_lo, 0x7f800000, v6
	v_cndmask_b32_e32 v5, 0x7c, v5, vcc_lo
; %bb.97:
	s_or_b32 exec_lo, exec_lo, s3
	v_lshrrev_b32_e32 v4, 24, v4
	v_and_or_b32 v4, 0x80, v4, v5
	global_store_byte v[0:1], v4, off
.LBB66_98:
	s_mov_b32 s14, 0
	s_mov_b32 s3, -1
.LBB66_99:
	s_andn2_b32 vcc_lo, exec_lo, s14
	s_cbranch_vccnz .LBB66_107
; %bb.100:
	s_cmp_gt_i32 s2, 14
	s_mov_b32 s14, -1
	s_cbranch_scc0 .LBB66_104
; %bb.101:
	s_cmp_eq_u32 s2, 15
	s_mov_b32 s0, -1
	s_cbranch_scc0 .LBB66_103
; %bb.102:
	v_cvt_f32_f16_e32 v4, v3
	v_cmp_o_f16_e32 vcc_lo, v3, v3
	s_mov_b32 s3, -1
	s_mov_b32 s0, 0
	v_bfe_u32 v5, v4, 16, 1
	v_add3_u32 v4, v4, v5, 0x7fff
	v_mov_b32_e32 v5, 0x7fc0
	v_cndmask_b32_sdwa v4, v5, v4, vcc_lo dst_sel:DWORD dst_unused:UNUSED_PAD src0_sel:DWORD src1_sel:WORD_1
	global_store_short v[0:1], v4, off
.LBB66_103:
	s_mov_b32 s14, 0
.LBB66_104:
	s_and_b32 vcc_lo, exec_lo, s14
	s_cbranch_vccz .LBB66_107
; %bb.105:
	s_cmp_eq_u32 s2, 11
	s_mov_b32 s0, -1
	s_cbranch_scc0 .LBB66_107
; %bb.106:
	v_cmp_neq_f16_e32 vcc_lo, 0, v3
	s_mov_b32 s0, 0
	s_mov_b32 s3, -1
	v_cndmask_b32_e64 v4, 0, 1, vcc_lo
	global_store_byte v[0:1], v4, off
.LBB66_107:
	s_branch .LBB66_26
.LBB66_108:
	s_and_b32 s1, 0xffff, s1
	s_mov_b32 s2, -1
	s_cmp_lt_i32 s1, 5
	s_cbranch_scc1 .LBB66_129
; %bb.109:
	s_cmp_lt_i32 s1, 8
	s_cbranch_scc1 .LBB66_119
; %bb.110:
	;; [unrolled: 3-line block ×3, first 2 shown]
	s_cmp_gt_i32 s1, 9
	s_cbranch_scc0 .LBB66_113
; %bb.112:
	v_cvt_f32_f16_e32 v4, v3
	v_mov_b32_e32 v6, 0
	s_mov_b32 s2, 0
	v_cvt_f64_f32_e32 v[4:5], v4
	v_mov_b32_e32 v7, v6
	global_store_dwordx4 v[0:1], v[4:7], off
.LBB66_113:
	s_andn2_b32 vcc_lo, exec_lo, s2
	s_cbranch_vccnz .LBB66_115
; %bb.114:
	v_cvt_f32_f16_e32 v4, v3
	v_mov_b32_e32 v5, 0
	global_store_dwordx2 v[0:1], v[4:5], off
.LBB66_115:
	s_mov_b32 s2, 0
.LBB66_116:
	s_andn2_b32 vcc_lo, exec_lo, s2
	s_cbranch_vccnz .LBB66_118
; %bb.117:
	v_and_b32_e32 v4, 0xffff, v3
	global_store_dword v[0:1], v4, off
.LBB66_118:
	s_mov_b32 s2, 0
.LBB66_119:
	s_andn2_b32 vcc_lo, exec_lo, s2
	s_cbranch_vccnz .LBB66_128
; %bb.120:
	s_cmp_lt_i32 s1, 6
	s_mov_b32 s2, -1
	s_cbranch_scc1 .LBB66_126
; %bb.121:
	s_cmp_gt_i32 s1, 6
	s_cbranch_scc0 .LBB66_123
; %bb.122:
	v_cvt_f32_f16_e32 v4, v3
	s_mov_b32 s2, 0
	v_cvt_f64_f32_e32 v[4:5], v4
	global_store_dwordx2 v[0:1], v[4:5], off
.LBB66_123:
	s_andn2_b32 vcc_lo, exec_lo, s2
	s_cbranch_vccnz .LBB66_125
; %bb.124:
	v_cvt_f32_f16_e32 v4, v3
	global_store_dword v[0:1], v4, off
.LBB66_125:
	s_mov_b32 s2, 0
.LBB66_126:
	s_andn2_b32 vcc_lo, exec_lo, s2
	s_cbranch_vccnz .LBB66_128
; %bb.127:
	global_store_short v[0:1], v3, off
.LBB66_128:
	s_mov_b32 s2, 0
.LBB66_129:
	s_andn2_b32 vcc_lo, exec_lo, s2
	s_cbranch_vccnz .LBB66_145
; %bb.130:
	s_cmp_lt_i32 s1, 2
	s_mov_b32 s2, -1
	s_cbranch_scc1 .LBB66_140
; %bb.131:
	s_cmp_lt_i32 s1, 3
	s_cbranch_scc1 .LBB66_137
; %bb.132:
	s_cmp_gt_i32 s1, 3
	s_cbranch_scc0 .LBB66_134
; %bb.133:
	v_cvt_f32_f16_e32 v4, v3
	s_mov_b32 s2, 0
	v_cvt_i32_f32_e32 v4, v4
	v_ashrrev_i32_e32 v5, 31, v4
	global_store_dwordx2 v[0:1], v[4:5], off
.LBB66_134:
	s_andn2_b32 vcc_lo, exec_lo, s2
	s_cbranch_vccnz .LBB66_136
; %bb.135:
	v_cvt_f32_f16_e32 v4, v3
	v_cvt_i32_f32_e32 v4, v4
	global_store_dword v[0:1], v4, off
.LBB66_136:
	s_mov_b32 s2, 0
.LBB66_137:
	s_andn2_b32 vcc_lo, exec_lo, s2
	s_cbranch_vccnz .LBB66_139
; %bb.138:
	v_cvt_i16_f16_e32 v4, v3
	global_store_short v[0:1], v4, off
.LBB66_139:
	s_mov_b32 s2, 0
.LBB66_140:
	s_andn2_b32 vcc_lo, exec_lo, s2
	s_cbranch_vccnz .LBB66_145
; %bb.141:
	s_cmp_gt_i32 s1, 0
	s_mov_b32 s1, -1
	s_cbranch_scc0 .LBB66_143
; %bb.142:
	v_cvt_i16_f16_e32 v4, v3
	s_mov_b32 s1, 0
	global_store_byte v[0:1], v4, off
.LBB66_143:
	s_andn2_b32 vcc_lo, exec_lo, s1
	s_cbranch_vccnz .LBB66_145
; %bb.144:
	v_cvt_f32_f16_e32 v3, v3
	v_cvt_i32_f32_e32 v3, v3
	global_store_byte v[0:1], v3, off
.LBB66_145:
.LBB66_146:
	v_add_nc_u32_e32 v2, 0x80, v2
	s_mov_b32 s1, -1
	s_branch .LBB66_257
.LBB66_147:
	s_mov_b32 s16, -1
                                        ; implicit-def: $vgpr3
.LBB66_148:
	s_mov_b32 s2, 0
.LBB66_149:
	s_and_b32 vcc_lo, exec_lo, s2
	s_cbranch_vccz .LBB66_153
; %bb.150:
	s_cmp_eq_u32 s0, 29
	s_cbranch_scc0 .LBB66_152
; %bb.151:
	global_load_dwordx2 v[3:4], v[0:1], off
	s_mov_b32 s1, -1
	s_mov_b32 s16, 0
	s_mov_b32 s2, 0
	s_waitcnt vmcnt(0)
	v_ffbh_u32_e32 v5, v4
	v_min_u32_e32 v5, 32, v5
	v_lshlrev_b64 v[3:4], v5, v[3:4]
	v_min_u32_e32 v3, 1, v3
	v_or_b32_e32 v3, v4, v3
	v_sub_nc_u32_e32 v4, 32, v5
	v_cvt_f32_u32_e32 v3, v3
	v_ldexp_f32 v3, v3, v4
	v_cvt_f16_f32_e32 v3, v3
	s_branch .LBB66_154
.LBB66_152:
	s_mov_b32 s16, -1
                                        ; implicit-def: $vgpr3
.LBB66_153:
	s_mov_b32 s2, 0
.LBB66_154:
	s_and_b32 vcc_lo, exec_lo, s2
	s_cbranch_vccz .LBB66_172
; %bb.155:
	s_cmp_lt_i32 s0, 27
	s_cbranch_scc1 .LBB66_158
; %bb.156:
	s_cmp_gt_i32 s0, 27
	s_cbranch_scc0 .LBB66_159
; %bb.157:
	global_load_dword v3, v[0:1], off
	s_mov_b32 s1, 0
	s_waitcnt vmcnt(0)
	v_cvt_f32_u32_e32 v3, v3
	v_cvt_f16_f32_e32 v3, v3
	s_branch .LBB66_160
.LBB66_158:
	s_mov_b32 s1, -1
                                        ; implicit-def: $vgpr3
	s_branch .LBB66_163
.LBB66_159:
	s_mov_b32 s1, -1
                                        ; implicit-def: $vgpr3
.LBB66_160:
	s_andn2_b32 vcc_lo, exec_lo, s1
	s_cbranch_vccnz .LBB66_162
; %bb.161:
	global_load_ushort v3, v[0:1], off
	s_waitcnt vmcnt(0)
	v_cvt_f16_u16_e32 v3, v3
.LBB66_162:
	s_mov_b32 s1, 0
.LBB66_163:
	s_andn2_b32 vcc_lo, exec_lo, s1
	s_cbranch_vccnz .LBB66_171
; %bb.164:
	global_load_ubyte v4, v[0:1], off
	s_mov_b32 s1, 0
	s_mov_b32 s2, exec_lo
	s_waitcnt vmcnt(0)
	v_cmpx_lt_i16_e32 0x7f, v4
	s_xor_b32 s2, exec_lo, s2
	s_cbranch_execz .LBB66_184
; %bb.165:
	s_mov_b32 s1, -1
	s_mov_b32 s3, exec_lo
	v_cmpx_eq_u16_e32 0x80, v4
; %bb.166:
	s_xor_b32 s1, exec_lo, -1
; %bb.167:
	s_or_b32 exec_lo, exec_lo, s3
	s_and_b32 s1, s1, exec_lo
	s_or_saveexec_b32 s2, s2
	v_mov_b32_e32 v3, 0x7e00
	s_xor_b32 exec_lo, exec_lo, s2
	s_cbranch_execnz .LBB66_185
.LBB66_168:
	s_or_b32 exec_lo, exec_lo, s2
	s_and_saveexec_b32 s2, s1
	s_cbranch_execz .LBB66_170
.LBB66_169:
	v_and_b32_e32 v3, 0xffff, v4
	v_lshlrev_b32_e32 v4, 24, v4
	v_and_b32_e32 v5, 7, v3
	v_bfe_u32 v8, v3, 3, 4
	v_and_b32_e32 v4, 0x80000000, v4
	v_ffbh_u32_e32 v6, v5
	v_cmp_eq_u32_e32 vcc_lo, 0, v8
	v_min_u32_e32 v6, 32, v6
	v_subrev_nc_u32_e32 v7, 28, v6
	v_sub_nc_u32_e32 v6, 29, v6
	v_lshlrev_b32_e32 v3, v7, v3
	v_cndmask_b32_e32 v6, v8, v6, vcc_lo
	v_and_b32_e32 v3, 7, v3
	v_cndmask_b32_e32 v3, v5, v3, vcc_lo
	v_lshl_add_u32 v5, v6, 23, 0x3b800000
	v_lshlrev_b32_e32 v3, 20, v3
	v_or3_b32 v3, v4, v5, v3
	v_cvt_f16_f32_e32 v3, v3
.LBB66_170:
	s_or_b32 exec_lo, exec_lo, s2
.LBB66_171:
	s_mov_b32 s1, -1
.LBB66_172:
	s_branch .LBB66_207
.LBB66_173:
	s_cmp_gt_i32 s0, 22
	s_cbranch_scc0 .LBB66_183
; %bb.174:
	s_cmp_lt_i32 s0, 24
	s_cbranch_scc1 .LBB66_186
; %bb.175:
	s_cmp_gt_i32 s0, 24
	s_cbranch_scc0 .LBB66_187
; %bb.176:
	global_load_ubyte v4, v[0:1], off
	s_mov_b32 s1, 0
	s_mov_b32 s2, exec_lo
	s_waitcnt vmcnt(0)
	v_cmpx_lt_i16_e32 0x7f, v4
	s_xor_b32 s2, exec_lo, s2
	s_cbranch_execz .LBB66_199
; %bb.177:
	s_mov_b32 s1, -1
	s_mov_b32 s3, exec_lo
	v_cmpx_eq_u16_e32 0x80, v4
; %bb.178:
	s_xor_b32 s1, exec_lo, -1
; %bb.179:
	s_or_b32 exec_lo, exec_lo, s3
	s_and_b32 s1, s1, exec_lo
	s_or_saveexec_b32 s2, s2
	v_mov_b32_e32 v3, 0x7e00
	s_xor_b32 exec_lo, exec_lo, s2
	s_cbranch_execnz .LBB66_200
.LBB66_180:
	s_or_b32 exec_lo, exec_lo, s2
	s_and_saveexec_b32 s2, s1
	s_cbranch_execz .LBB66_182
.LBB66_181:
	v_and_b32_e32 v3, 0xffff, v4
	v_lshlrev_b32_e32 v4, 24, v4
	v_and_b32_e32 v5, 3, v3
	v_bfe_u32 v8, v3, 2, 5
	v_and_b32_e32 v4, 0x80000000, v4
	v_ffbh_u32_e32 v6, v5
	v_cmp_eq_u32_e32 vcc_lo, 0, v8
	v_min_u32_e32 v6, 32, v6
	v_subrev_nc_u32_e32 v7, 29, v6
	v_sub_nc_u32_e32 v6, 30, v6
	v_lshlrev_b32_e32 v3, v7, v3
	v_cndmask_b32_e32 v6, v8, v6, vcc_lo
	v_and_b32_e32 v3, 3, v3
	v_cndmask_b32_e32 v3, v5, v3, vcc_lo
	v_lshl_add_u32 v5, v6, 23, 0x37800000
	v_lshlrev_b32_e32 v3, 21, v3
	v_or3_b32 v3, v4, v5, v3
	v_cvt_f16_f32_e32 v3, v3
.LBB66_182:
	s_or_b32 exec_lo, exec_lo, s2
	s_mov_b32 s1, 0
	s_branch .LBB66_188
.LBB66_183:
	s_mov_b32 s2, -1
                                        ; implicit-def: $vgpr3
	s_branch .LBB66_194
.LBB66_184:
	s_or_saveexec_b32 s2, s2
	v_mov_b32_e32 v3, 0x7e00
	s_xor_b32 exec_lo, exec_lo, s2
	s_cbranch_execz .LBB66_168
.LBB66_185:
	v_cmp_ne_u16_e32 vcc_lo, 0, v4
	v_mov_b32_e32 v3, v4
	s_andn2_b32 s1, s1, exec_lo
	s_and_b32 s3, vcc_lo, exec_lo
	s_or_b32 s1, s1, s3
	s_or_b32 exec_lo, exec_lo, s2
	s_and_saveexec_b32 s2, s1
	s_cbranch_execnz .LBB66_169
	s_branch .LBB66_170
.LBB66_186:
	s_mov_b32 s1, -1
                                        ; implicit-def: $vgpr3
	s_branch .LBB66_191
.LBB66_187:
	s_mov_b32 s1, -1
                                        ; implicit-def: $vgpr3
.LBB66_188:
	s_and_b32 vcc_lo, exec_lo, s1
	s_cbranch_vccz .LBB66_190
; %bb.189:
	global_load_ubyte v3, v[0:1], off
	s_waitcnt vmcnt(0)
	v_lshlrev_b32_e32 v3, 24, v3
	v_and_b32_e32 v4, 0x7f000000, v3
	v_ffbh_u32_e32 v5, v4
	v_add_nc_u32_e32 v7, 0x1000000, v4
	v_cmp_ne_u32_e32 vcc_lo, 0, v4
	v_min_u32_e32 v5, 32, v5
	v_sub_nc_u32_e64 v5, v5, 4 clamp
	v_lshlrev_b32_e32 v6, v5, v4
	v_lshlrev_b32_e32 v5, 23, v5
	v_lshrrev_b32_e32 v6, 4, v6
	v_sub_nc_u32_e32 v5, v6, v5
	v_ashrrev_i32_e32 v6, 8, v7
	v_add_nc_u32_e32 v5, 0x3c000000, v5
	v_and_or_b32 v5, 0x7f800000, v6, v5
	v_cndmask_b32_e32 v4, 0, v5, vcc_lo
	v_and_or_b32 v3, 0x80000000, v3, v4
	v_cvt_f16_f32_e32 v3, v3
.LBB66_190:
	s_mov_b32 s1, 0
.LBB66_191:
	s_andn2_b32 vcc_lo, exec_lo, s1
	s_cbranch_vccnz .LBB66_193
; %bb.192:
	global_load_ubyte v3, v[0:1], off
	s_waitcnt vmcnt(0)
	v_lshlrev_b32_e32 v4, 25, v3
	v_lshlrev_b16 v3, 8, v3
	v_lshrrev_b32_e32 v5, 4, v4
	v_and_or_b32 v6, 0x7f00, v3, 0.5
	v_cmp_gt_u32_e32 vcc_lo, 0x8000000, v4
	v_bfe_i32 v3, v3, 0, 16
	v_or_b32_e32 v5, 0x70000000, v5
	v_add_f32_e32 v6, -0.5, v6
	v_mul_f32_e32 v5, 0x7800000, v5
	v_cndmask_b32_e32 v4, v5, v6, vcc_lo
	v_and_or_b32 v3, 0x80000000, v3, v4
	v_cvt_f16_f32_e32 v3, v3
.LBB66_193:
	s_mov_b32 s2, 0
	s_mov_b32 s1, -1
.LBB66_194:
	s_andn2_b32 vcc_lo, exec_lo, s2
	s_cbranch_vccnz .LBB66_207
; %bb.195:
	s_cmp_gt_i32 s0, 14
	s_cbranch_scc0 .LBB66_198
; %bb.196:
	s_cmp_eq_u32 s0, 15
	s_cbranch_scc0 .LBB66_201
; %bb.197:
	global_load_ushort v3, v[0:1], off
	s_mov_b32 s1, -1
	s_mov_b32 s16, 0
	s_waitcnt vmcnt(0)
	v_lshlrev_b32_e32 v3, 16, v3
	v_cvt_f16_f32_e32 v3, v3
	s_branch .LBB66_202
.LBB66_198:
	s_mov_b32 s2, -1
                                        ; implicit-def: $vgpr3
	s_branch .LBB66_203
.LBB66_199:
	s_or_saveexec_b32 s2, s2
	v_mov_b32_e32 v3, 0x7e00
	s_xor_b32 exec_lo, exec_lo, s2
	s_cbranch_execz .LBB66_180
.LBB66_200:
	v_cmp_ne_u16_e32 vcc_lo, 0, v4
	v_mov_b32_e32 v3, v4
	s_andn2_b32 s1, s1, exec_lo
	s_and_b32 s3, vcc_lo, exec_lo
	s_or_b32 s1, s1, s3
	s_or_b32 exec_lo, exec_lo, s2
	s_and_saveexec_b32 s2, s1
	s_cbranch_execnz .LBB66_181
	s_branch .LBB66_182
.LBB66_201:
	s_mov_b32 s16, -1
                                        ; implicit-def: $vgpr3
.LBB66_202:
	s_mov_b32 s2, 0
.LBB66_203:
	s_and_b32 vcc_lo, exec_lo, s2
	s_cbranch_vccz .LBB66_207
; %bb.204:
	s_cmp_eq_u32 s0, 11
	s_cbranch_scc0 .LBB66_206
; %bb.205:
	global_load_ubyte v3, v[0:1], off
	s_mov_b32 s16, 0
	s_mov_b32 s1, -1
	s_waitcnt vmcnt(0)
	v_cmp_ne_u16_e32 vcc_lo, 0, v3
	v_cndmask_b32_e64 v3, 0, 0x3c00, vcc_lo
	s_branch .LBB66_207
.LBB66_206:
	s_mov_b32 s16, -1
                                        ; implicit-def: $vgpr3
.LBB66_207:
	s_branch .LBB66_10
.LBB66_208:
	s_cmp_lt_i32 s0, 5
	s_cbranch_scc1 .LBB66_213
; %bb.209:
	s_cmp_lt_i32 s0, 8
	s_cbranch_scc1 .LBB66_214
; %bb.210:
	;; [unrolled: 3-line block ×3, first 2 shown]
	s_cmp_gt_i32 s0, 9
	s_cbranch_scc0 .LBB66_216
; %bb.212:
	global_load_dwordx2 v[3:4], v[0:1], off
	s_mov_b32 s1, 0
	s_waitcnt vmcnt(0)
	v_and_or_b32 v3, 0x1ff, v4, v3
	v_lshrrev_b32_e32 v5, 8, v4
	v_bfe_u32 v6, v4, 20, 11
	v_lshrrev_b32_e32 v4, 16, v4
	v_cmp_ne_u32_e32 vcc_lo, 0, v3
	v_sub_nc_u32_e32 v7, 0x3f1, v6
	v_add_nc_u32_e32 v6, 0xfffffc10, v6
	v_cndmask_b32_e64 v3, 0, 1, vcc_lo
	v_and_or_b32 v3, 0xffe, v5, v3
	v_med3_i32 v5, v7, 0, 13
	v_or_b32_e32 v7, 0x1000, v3
	v_lshrrev_b32_e32 v8, v5, v7
	v_lshlrev_b32_e32 v5, v5, v8
	v_cmp_ne_u32_e32 vcc_lo, v5, v7
	v_lshl_or_b32 v7, v6, 12, v3
	v_cndmask_b32_e64 v5, 0, 1, vcc_lo
	v_cmp_gt_i32_e32 vcc_lo, 1, v6
	v_or_b32_e32 v5, v8, v5
	v_cndmask_b32_e32 v5, v7, v5, vcc_lo
	v_and_b32_e32 v7, 7, v5
	v_lshrrev_b32_e32 v5, 2, v5
	v_cmp_lt_i32_e32 vcc_lo, 5, v7
	v_cndmask_b32_e64 v8, 0, 1, vcc_lo
	v_cmp_eq_u32_e32 vcc_lo, 3, v7
	v_cndmask_b32_e64 v7, 0, 1, vcc_lo
	v_cmp_ne_u32_e32 vcc_lo, 0, v3
	v_or_b32_e32 v7, v7, v8
	v_mov_b32_e32 v8, 0x7e00
	v_add_nc_u32_e32 v5, v5, v7
	v_cndmask_b32_e32 v3, 0x7c00, v8, vcc_lo
	v_cmp_gt_i32_e32 vcc_lo, 31, v6
	v_cndmask_b32_e32 v5, 0x7c00, v5, vcc_lo
	v_cmp_eq_u32_e32 vcc_lo, 0x40f, v6
	v_cndmask_b32_e32 v3, v5, v3, vcc_lo
	v_and_or_b32 v3, 0x8000, v4, v3
	s_branch .LBB66_217
.LBB66_213:
                                        ; implicit-def: $vgpr3
	s_branch .LBB66_235
.LBB66_214:
	s_mov_b32 s1, -1
                                        ; implicit-def: $vgpr3
	s_branch .LBB66_223
.LBB66_215:
	s_mov_b32 s1, -1
                                        ; implicit-def: $vgpr3
	s_branch .LBB66_220
.LBB66_216:
	s_mov_b32 s1, -1
                                        ; implicit-def: $vgpr3
.LBB66_217:
	s_andn2_b32 vcc_lo, exec_lo, s1
	s_cbranch_vccnz .LBB66_219
; %bb.218:
	global_load_dword v3, v[0:1], off
	s_waitcnt vmcnt(0)
	v_cvt_f16_f32_e32 v3, v3
.LBB66_219:
	s_mov_b32 s1, 0
.LBB66_220:
	s_andn2_b32 vcc_lo, exec_lo, s1
	s_cbranch_vccnz .LBB66_222
; %bb.221:
	global_load_dword v3, v[0:1], off
.LBB66_222:
	s_mov_b32 s1, 0
.LBB66_223:
	s_andn2_b32 vcc_lo, exec_lo, s1
	s_cbranch_vccnz .LBB66_234
; %bb.224:
	s_cmp_lt_i32 s0, 6
	s_cbranch_scc1 .LBB66_227
; %bb.225:
	s_cmp_gt_i32 s0, 6
	s_cbranch_scc0 .LBB66_228
; %bb.226:
	global_load_dwordx2 v[3:4], v[0:1], off
	s_mov_b32 s1, 0
	s_waitcnt vmcnt(0)
	v_and_or_b32 v3, 0x1ff, v4, v3
	v_lshrrev_b32_e32 v5, 8, v4
	v_bfe_u32 v6, v4, 20, 11
	v_lshrrev_b32_e32 v4, 16, v4
	v_cmp_ne_u32_e32 vcc_lo, 0, v3
	v_sub_nc_u32_e32 v7, 0x3f1, v6
	v_add_nc_u32_e32 v6, 0xfffffc10, v6
	v_cndmask_b32_e64 v3, 0, 1, vcc_lo
	v_and_or_b32 v3, 0xffe, v5, v3
	v_med3_i32 v5, v7, 0, 13
	v_or_b32_e32 v7, 0x1000, v3
	v_lshrrev_b32_e32 v8, v5, v7
	v_lshlrev_b32_e32 v5, v5, v8
	v_cmp_ne_u32_e32 vcc_lo, v5, v7
	v_lshl_or_b32 v7, v6, 12, v3
	v_cndmask_b32_e64 v5, 0, 1, vcc_lo
	v_cmp_gt_i32_e32 vcc_lo, 1, v6
	v_or_b32_e32 v5, v8, v5
	v_cndmask_b32_e32 v5, v7, v5, vcc_lo
	v_and_b32_e32 v7, 7, v5
	v_lshrrev_b32_e32 v5, 2, v5
	v_cmp_lt_i32_e32 vcc_lo, 5, v7
	v_cndmask_b32_e64 v8, 0, 1, vcc_lo
	v_cmp_eq_u32_e32 vcc_lo, 3, v7
	v_cndmask_b32_e64 v7, 0, 1, vcc_lo
	v_cmp_ne_u32_e32 vcc_lo, 0, v3
	v_or_b32_e32 v7, v7, v8
	v_mov_b32_e32 v8, 0x7e00
	v_add_nc_u32_e32 v5, v5, v7
	v_cndmask_b32_e32 v3, 0x7c00, v8, vcc_lo
	v_cmp_gt_i32_e32 vcc_lo, 31, v6
	v_cndmask_b32_e32 v5, 0x7c00, v5, vcc_lo
	v_cmp_eq_u32_e32 vcc_lo, 0x40f, v6
	v_cndmask_b32_e32 v3, v5, v3, vcc_lo
	v_and_or_b32 v3, 0x8000, v4, v3
	s_branch .LBB66_229
.LBB66_227:
	s_mov_b32 s1, -1
                                        ; implicit-def: $vgpr3
	s_branch .LBB66_232
.LBB66_228:
	s_mov_b32 s1, -1
                                        ; implicit-def: $vgpr3
.LBB66_229:
	s_andn2_b32 vcc_lo, exec_lo, s1
	s_cbranch_vccnz .LBB66_231
; %bb.230:
	global_load_dword v3, v[0:1], off
	s_waitcnt vmcnt(0)
	v_cvt_f16_f32_e32 v3, v3
.LBB66_231:
	s_mov_b32 s1, 0
.LBB66_232:
	s_andn2_b32 vcc_lo, exec_lo, s1
	s_cbranch_vccnz .LBB66_234
; %bb.233:
	global_load_ushort v3, v[0:1], off
.LBB66_234:
	s_cbranch_execnz .LBB66_254
.LBB66_235:
	s_cmp_lt_i32 s0, 2
	s_cbranch_scc1 .LBB66_239
; %bb.236:
	s_cmp_lt_i32 s0, 3
	s_cbranch_scc1 .LBB66_240
; %bb.237:
	s_cmp_gt_i32 s0, 3
	s_cbranch_scc0 .LBB66_241
; %bb.238:
	global_load_dwordx2 v[3:4], v[0:1], off
	s_mov_b32 s1, 0
	s_waitcnt vmcnt(0)
	v_xor_b32_e32 v5, v3, v4
	v_ffbh_i32_e32 v6, v4
	v_ashrrev_i32_e32 v5, 31, v5
	v_add_nc_u32_e32 v6, -1, v6
	v_add_nc_u32_e32 v5, 32, v5
	v_min_u32_e32 v5, v6, v5
	v_lshlrev_b64 v[3:4], v5, v[3:4]
	v_min_u32_e32 v3, 1, v3
	v_or_b32_e32 v3, v4, v3
	v_sub_nc_u32_e32 v4, 32, v5
	v_cvt_f32_i32_e32 v3, v3
	v_ldexp_f32 v3, v3, v4
	v_cvt_f16_f32_e32 v3, v3
	s_branch .LBB66_242
.LBB66_239:
	s_mov_b32 s1, -1
                                        ; implicit-def: $vgpr3
	s_branch .LBB66_248
.LBB66_240:
	s_mov_b32 s1, -1
                                        ; implicit-def: $vgpr3
	s_branch .LBB66_245
.LBB66_241:
	s_mov_b32 s1, -1
                                        ; implicit-def: $vgpr3
.LBB66_242:
	s_andn2_b32 vcc_lo, exec_lo, s1
	s_cbranch_vccnz .LBB66_244
; %bb.243:
	global_load_dword v3, v[0:1], off
	s_waitcnt vmcnt(0)
	v_cvt_f32_i32_e32 v3, v3
	v_cvt_f16_f32_e32 v3, v3
.LBB66_244:
	s_mov_b32 s1, 0
.LBB66_245:
	s_andn2_b32 vcc_lo, exec_lo, s1
	s_cbranch_vccnz .LBB66_247
; %bb.246:
	global_load_ushort v3, v[0:1], off
	s_waitcnt vmcnt(0)
	v_cvt_f16_i16_e32 v3, v3
.LBB66_247:
	s_mov_b32 s1, 0
.LBB66_248:
	s_andn2_b32 vcc_lo, exec_lo, s1
	s_cbranch_vccnz .LBB66_254
; %bb.249:
	s_cmp_gt_i32 s0, 0
	s_mov_b32 s0, 0
	s_cbranch_scc0 .LBB66_251
; %bb.250:
	global_load_sbyte v3, v[0:1], off
	s_waitcnt vmcnt(0)
	v_cvt_f16_i16_e32 v3, v3
	s_branch .LBB66_252
.LBB66_251:
	s_mov_b32 s0, -1
                                        ; implicit-def: $vgpr3
.LBB66_252:
	s_andn2_b32 vcc_lo, exec_lo, s0
	s_cbranch_vccnz .LBB66_254
; %bb.253:
	global_load_ubyte v0, v[0:1], off
	s_waitcnt vmcnt(0)
	v_cvt_f16_u16_e32 v3, v0
.LBB66_254:
	s_branch .LBB66_11
.LBB66_255:
	s_mov_b32 s0, 0
.LBB66_256:
	s_mov_b32 s1, 0
                                        ; implicit-def: $vgpr2
.LBB66_257:
	s_and_b32 s14, s0, exec_lo
	s_and_b32 s16, s16, exec_lo
	s_orn2_b32 s1, s1, exec_lo
.LBB66_258:
	s_or_b32 exec_lo, exec_lo, s17
	s_mov_b32 s2, 0
	s_mov_b32 s0, 0
                                        ; implicit-def: $vgpr0_vgpr1
                                        ; implicit-def: $vgpr4
	s_and_saveexec_b32 s17, s1
	s_cbranch_execz .LBB66_267
; %bb.259:
	s_mov_b32 s0, -1
	s_mov_b32 s18, s16
	s_mov_b32 s19, s14
	s_mov_b32 s20, exec_lo
	v_cmpx_gt_i32_e64 s15, v2
	s_cbranch_execz .LBB66_527
; %bb.260:
	v_mul_lo_u32 v0, v2, s13
	s_and_b32 s0, 0xffff, s6
	s_cmp_lt_i32 s0, 11
	v_ashrrev_i32_e32 v1, 31, v0
	v_add_co_u32 v0, vcc_lo, s10, v0
	v_add_co_ci_u32_e64 v1, null, s11, v1, vcc_lo
	s_cbranch_scc1 .LBB66_270
; %bb.261:
	s_cmp_gt_i32 s0, 25
	s_cbranch_scc0 .LBB66_285
; %bb.262:
	s_cmp_gt_i32 s0, 28
	s_cbranch_scc0 .LBB66_287
; %bb.263:
	s_cmp_gt_i32 s0, 43
	s_cbranch_scc0 .LBB66_289
; %bb.264:
	s_cmp_gt_i32 s0, 45
	s_cbranch_scc0 .LBB66_293
; %bb.265:
	s_cmp_eq_u32 s0, 46
	s_cbranch_scc0 .LBB66_297
; %bb.266:
	global_load_dword v3, v[0:1], off
	s_mov_b32 s1, -1
	s_mov_b32 s18, 0
	s_waitcnt vmcnt(0)
	v_lshlrev_b32_e32 v3, 16, v3
	v_cvt_f16_f32_e32 v3, v3
	s_branch .LBB66_299
.LBB66_267:
	s_or_b32 exec_lo, exec_lo, s17
	s_mov_b32 s15, 0
	s_and_saveexec_b32 s1, s16
	s_cbranch_execnz .LBB66_881
.LBB66_268:
	s_or_b32 exec_lo, exec_lo, s1
	s_and_saveexec_b32 s1, s18
	s_xor_b32 s1, exec_lo, s1
	s_cbranch_execz .LBB66_882
.LBB66_269:
	global_load_ubyte v3, v[0:1], off
	s_or_b32 s0, s0, exec_lo
	s_waitcnt vmcnt(0)
	v_cmp_ne_u16_e32 vcc_lo, 0, v3
	v_cndmask_b32_e64 v4, 0, 0x3c00, vcc_lo
	s_or_b32 exec_lo, exec_lo, s1
	s_and_saveexec_b32 s1, s2
	s_cbranch_execz .LBB66_928
	s_branch .LBB66_883
.LBB66_270:
	s_mov_b32 s1, 0
	s_mov_b32 s18, s16
                                        ; implicit-def: $vgpr3
	s_cbranch_execnz .LBB66_476
.LBB66_271:
	s_andn2_b32 vcc_lo, exec_lo, s1
	s_cbranch_vccnz .LBB66_524
.LBB66_272:
	s_waitcnt vmcnt(0)
	v_cvt_f32_f16_e32 v0, v3
	v_cmp_gt_f16_e32 vcc_lo, 0.5, v3
	v_mov_b32_e32 v1, 0
	v_mov_b32_e32 v3, 1.0
	s_and_saveexec_b32 s2, vcc_lo
	s_cbranch_execz .LBB66_278
; %bb.273:
	v_mul_f32_e32 v1, 0x40490fdb, v0
                                        ; implicit-def: $vgpr5
                                        ; implicit-def: $vgpr4
	s_mov_b32 s1, exec_lo
	v_and_b32_e32 v3, 0x7fffffff, v1
	v_cmpx_ngt_f32_e64 0x48000000, |v1|
	s_xor_b32 s3, exec_lo, s1
	s_cbranch_execz .LBB66_275
; %bb.274:
	s_mov_b32 s0, 0x7fffff
	v_mov_b32_e32 v6, 0
	v_and_or_b32 v13, v3, s0, 0x800000
	v_lshrrev_b32_e32 v11, 23, v3
	v_mad_u64_u32 v[4:5], null, 0xfe5163ab, v13, 0
	v_add_nc_u32_e32 v12, 0xffffff88, v11
	v_cmp_lt_u32_e32 vcc_lo, 63, v12
	v_mad_u64_u32 v[7:8], null, 0x3c439041, v13, v[5:6]
	v_cndmask_b32_e64 v14, 0, 0xffffffc0, vcc_lo
	v_mov_b32_e32 v5, v8
	v_add_nc_u32_e32 v14, v14, v12
	v_mad_u64_u32 v[8:9], null, 0xdb629599, v13, v[5:6]
	v_cmp_lt_u32_e64 s0, 31, v14
	v_cndmask_b32_e64 v15, 0, 0xffffffe0, s0
	v_mov_b32_e32 v5, v9
	v_cndmask_b32_e32 v4, v8, v4, vcc_lo
	v_mad_u64_u32 v[9:10], null, 0xf534ddc0, v13, v[5:6]
	v_mov_b32_e32 v5, v10
	v_cndmask_b32_e32 v7, v9, v7, vcc_lo
	v_mad_u64_u32 v[10:11], null, 0xfc2757d1, v13, v[5:6]
	v_cndmask_b32_e64 v4, v7, v4, s0
	v_mov_b32_e32 v5, v11
	v_mad_u64_u32 v[11:12], null, 0x4e441529, v13, v[5:6]
	v_mov_b32_e32 v5, v12
	v_add_nc_u32_e32 v12, v15, v14
	v_cndmask_b32_e32 v14, v11, v9, vcc_lo
	v_mad_u64_u32 v[5:6], null, 0xa2f9836e, v13, v[5:6]
	v_cmp_lt_u32_e64 s1, 31, v12
	v_cndmask_b32_e64 v13, 0, 0xffffffe0, s1
	v_cndmask_b32_e32 v5, v5, v10, vcc_lo
	v_cndmask_b32_e32 v6, v6, v11, vcc_lo
	;; [unrolled: 1-line block ×3, first 2 shown]
	v_add_nc_u32_e32 v11, v13, v12
	v_cndmask_b32_e64 v9, v5, v14, s0
	v_cndmask_b32_e64 v5, v6, v5, s0
	;; [unrolled: 1-line block ×4, first 2 shown]
	v_sub_nc_u32_e32 v12, 32, v11
	v_cmp_eq_u32_e32 vcc_lo, 0, v11
	v_cndmask_b32_e64 v5, v5, v9, s1
	v_cndmask_b32_e64 v9, v9, v6, s1
	;; [unrolled: 1-line block ×4, first 2 shown]
	v_alignbit_b32 v13, v5, v9, v12
	v_alignbit_b32 v8, v9, v6, v12
	;; [unrolled: 1-line block ×3, first 2 shown]
	v_cndmask_b32_e32 v5, v13, v5, vcc_lo
	v_cndmask_b32_e32 v7, v8, v9, vcc_lo
	;; [unrolled: 1-line block ×3, first 2 shown]
	v_bfe_u32 v8, v5, 29, 1
	v_alignbit_b32 v9, v5, v7, 30
	v_alignbit_b32 v7, v7, v6, 30
	;; [unrolled: 1-line block ×3, first 2 shown]
	v_sub_nc_u32_e32 v10, 0, v8
	v_xor_b32_e32 v9, v9, v10
	v_xor_b32_e32 v6, v7, v10
	;; [unrolled: 1-line block ×3, first 2 shown]
	v_lshrrev_b32_e32 v10, 29, v5
	v_lshrrev_b32_e32 v5, 30, v5
	v_ffbh_u32_e32 v11, v9
	v_add_nc_u32_e32 v5, v8, v5
	v_min_u32_e32 v11, 32, v11
	v_sub_nc_u32_e32 v7, 31, v11
	v_lshlrev_b32_e32 v12, 23, v11
	v_alignbit_b32 v9, v9, v6, v7
	v_alignbit_b32 v4, v6, v4, v7
	v_lshlrev_b32_e32 v6, 31, v10
	v_alignbit_b32 v7, v9, v4, 9
	v_or_b32_e32 v10, 0.5, v6
	v_lshrrev_b32_e32 v9, 9, v9
	v_or_b32_e32 v6, 0x33000000, v6
	v_ffbh_u32_e32 v13, v7
	v_sub_nc_u32_e32 v10, v10, v12
	v_min_u32_e32 v12, 32, v13
	v_or_b32_e32 v9, v9, v10
	v_not_b32_e32 v10, v12
	v_mul_f32_e32 v13, 0x3fc90fda, v9
	v_add_lshl_u32 v11, v12, v11, 23
	v_alignbit_b32 v4, v7, v4, v10
	v_fma_f32 v7, 0x3fc90fda, v9, -v13
	v_sub_nc_u32_e32 v6, v6, v11
	v_lshrrev_b32_e32 v4, 9, v4
	v_fmamk_f32 v7, v9, 0x33a22168, v7
	v_or_b32_e32 v4, v6, v4
	v_fmac_f32_e32 v7, 0x3fc90fda, v4
	v_add_f32_e32 v4, v13, v7
.LBB66_275:
	s_andn2_saveexec_b32 s0, s3
; %bb.276:
	v_mul_f32_e64 v4, 0x3f22f983, |v1|
	v_rndne_f32_e32 v5, v4
	v_fma_f32 v4, 0xbfc90fda, v5, |v1|
	v_fmamk_f32 v4, v5, 0xb3a22168, v4
	v_fmamk_f32 v4, v5, 0xa7c234c4, v4
	v_cvt_i32_f32_e32 v5, v5
; %bb.277:
	s_or_b32 exec_lo, exec_lo, s0
	v_mul_f32_e32 v6, v4, v4
	s_mov_b32 s0, 0xb94c1982
	s_mov_b32 s1, 0x37d75334
	v_and_b32_e32 v9, 1, v5
	v_lshlrev_b32_e32 v5, 30, v5
	v_fmaak_f32 v7, s0, v6, 0x3c0881c4
	v_fmaak_f32 v8, s1, v6, 0xbab64f3b
	v_xor_b32_e32 v3, v3, v1
	v_cmp_eq_u32_e32 vcc_lo, 0, v9
	v_and_b32_e32 v5, 0x80000000, v5
	v_fmaak_f32 v7, v6, v7, 0xbe2aaa9d
	v_fmaak_f32 v8, v6, v8, 0x3d2aabf7
	v_sub_f32_e32 v0, 1.0, v0
	v_mul_f32_e32 v7, v6, v7
	v_fmaak_f32 v8, v6, v8, 0xbf000004
	v_fmac_f32_e32 v4, v4, v7
	v_fma_f32 v6, v6, v8, 1.0
	v_cndmask_b32_e32 v4, v6, v4, vcc_lo
	v_cmp_class_f32_e64 vcc_lo, v1, 0x1f8
	v_xor3_b32 v3, v3, v5, v4
	v_cndmask_b32_e32 v1, 0x7fc00000, v3, vcc_lo
	v_mul_f32_e32 v1, v1, v1
	v_div_scale_f32 v3, null, v1, v1, 0xc11de9e7
	v_div_scale_f32 v6, vcc_lo, 0xc11de9e7, v1, 0xc11de9e7
	v_rcp_f32_e32 v4, v3
	v_fma_f32 v5, -v3, v4, 1.0
	v_fmac_f32_e32 v4, v5, v4
	v_mul_f32_e32 v5, v6, v4
	v_fma_f32 v7, -v3, v5, v6
	v_fmac_f32_e32 v5, v7, v4
	v_fma_f32 v3, -v3, v5, v6
	v_div_fmas_f32 v3, v3, v4, v5
	v_div_fixup_f32 v1, v3, v1, 0xc11de9e7
	v_mov_b32_e32 v3, -1.0
	v_add_f32_e32 v1, 0, v1
.LBB66_278:
	s_or_b32 exec_lo, exec_lo, s2
	v_add_f32_e32 v4, 1.0, v0
	v_mul_f32_e32 v0, v0, v0
	v_mul_f32_e32 v5, v4, v4
	v_add_f32_e32 v4, 1.0, v4
	v_div_scale_f32 v6, null, v0, v0, 1.0
	v_div_scale_f32 v8, vcc_lo, 1.0, v0, 1.0
	v_mul_f32_e32 v9, v4, v4
	v_div_scale_f32 v7, null, v5, v5, 1.0
	v_rcp_f32_e32 v10, v6
	v_div_scale_f32 v13, s0, 1.0, v5, 1.0
	v_div_scale_f32 v12, null, v9, v9, 1.0
	v_rcp_f32_e32 v11, v7
	v_add_f32_e32 v4, 1.0, v4
	v_div_scale_f32 v14, s1, 1.0, v9, 1.0
	v_rcp_f32_e32 v15, v12
	v_fma_f32 v17, -v6, v10, 1.0
	v_mul_f32_e32 v16, v4, v4
	v_add_f32_e32 v4, 1.0, v4
	v_fma_f32 v18, -v7, v11, 1.0
	v_fmac_f32_e32 v10, v17, v10
	v_mul_f32_e32 v20, v4, v4
	v_add_f32_e32 v4, 1.0, v4
	v_fma_f32 v17, -v12, v15, 1.0
	v_fmac_f32_e32 v11, v18, v11
	v_mul_f32_e32 v21, v8, v10
	v_div_scale_f32 v19, null, v16, v16, 1.0
	v_fmac_f32_e32 v15, v17, v15
	v_mul_f32_e32 v22, v13, v11
	v_fma_f32 v23, -v6, v21, v8
	v_add_f32_e32 v26, 1.0, v4
	v_rcp_f32_e32 v18, v19
	v_mul_f32_e32 v25, v14, v15
	v_fma_f32 v24, -v7, v22, v13
	v_fmac_f32_e32 v21, v23, v10
	v_mul_f32_e32 v4, v4, v4
	v_div_scale_f32 v17, null, v20, v20, 1.0
	v_fma_f32 v23, -v12, v25, v14
	v_fmac_f32_e32 v22, v24, v11
	v_fma_f32 v6, -v6, v21, v8
	v_mul_f32_e32 v8, v26, v26
	v_rcp_f32_e32 v24, v17
	v_fmac_f32_e32 v25, v23, v15
	v_fma_f32 v7, -v7, v22, v13
	v_div_fmas_f32 v6, v6, v10, v21
	s_mov_b32 vcc_lo, s0
	v_fma_f32 v27, -v19, v18, 1.0
	v_fma_f32 v10, -v12, v25, v14
	v_div_fmas_f32 v7, v7, v11, v22
	s_mov_b32 vcc_lo, s1
	v_div_scale_f32 v11, null, v4, v4, 1.0
	v_div_fmas_f32 v10, v10, v15, v25
	v_div_scale_f32 v12, null, v8, v8, 1.0
	v_add_f32_e32 v15, v26, v26
	v_rcp_f32_e32 v14, v11
	v_fmac_f32_e32 v18, v27, v18
	v_rcp_f32_e32 v22, v12
	v_div_scale_f32 v13, vcc_lo, 1.0, v16, 1.0
	v_div_scale_f32 v25, null, v15, v15, 1.0
	v_fma_f32 v21, -v17, v24, 1.0
	v_mul_f32_e32 v23, v13, v18
	v_div_fixup_f32 v0, v6, v0, 1.0
	v_rcp_f32_e32 v28, v25
	v_fma_f32 v27, -v11, v14, 1.0
	v_fmac_f32_e32 v24, v21, v24
	v_div_scale_f32 v21, s0, 1.0, v20, 1.0
	v_fma_f32 v30, -v12, v22, 1.0
	v_fma_f32 v29, -v19, v23, v13
	v_fmac_f32_e32 v14, v27, v14
	v_div_scale_f32 v27, s1, 1.0, v4, 1.0
	v_mul_f32_e32 v31, v21, v24
	v_fmac_f32_e32 v22, v30, v22
	v_div_scale_f32 v30, s2, 1.0, v8, 1.0
	v_fma_f32 v32, -v25, v28, 1.0
	v_fmac_f32_e32 v23, v29, v18
	v_mul_f32_e32 v33, v27, v14
	v_fma_f32 v29, -v17, v31, v21
	v_mul_f32_e32 v34, v30, v22
	v_fmac_f32_e32 v28, v32, v28
	v_div_scale_f32 v32, s3, 1.0, v15, 1.0
	v_fma_f32 v13, -v19, v23, v13
	v_fma_f32 v19, -v11, v33, v27
	v_fmac_f32_e32 v31, v29, v24
	v_fma_f32 v29, -v12, v34, v30
	v_mul_f32_e32 v35, v32, v28
	v_div_fmas_f32 v13, v13, v18, v23
	v_fmac_f32_e32 v33, v19, v14
	v_fma_f32 v17, -v17, v31, v21
	v_fmac_f32_e32 v34, v29, v22
	v_fma_f32 v18, -v25, v35, v32
	s_mov_b32 vcc_lo, s0
	v_fma_f32 v11, -v11, v33, v27
	v_div_fmas_f32 v17, v17, v24, v31
	v_fma_f32 v12, -v12, v34, v30
	v_fmac_f32_e32 v35, v18, v28
	s_mov_b32 vcc_lo, s1
	s_mov_b32 s0, 0xbcc30c31
	v_div_fmas_f32 v11, v11, v14, v33
	s_mov_b32 vcc_lo, s2
	v_fma_f32 v14, -v25, v35, v32
	v_div_fmas_f32 v12, v12, v22, v34
	s_mov_b32 vcc_lo, s3
	v_add_f32_e32 v0, v1, v0
	v_div_fixup_f32 v1, v7, v5, 1.0
	v_div_fmas_f32 v14, v14, v28, v35
	v_div_fixup_f32 v8, v12, v8, 1.0
	s_and_b32 s1, s4, 0xff
	v_add_f32_e32 v0, v0, v1
	v_div_fixup_f32 v12, v14, v15, 1.0
	v_fmaak_f32 v14, s0, v8, 0x3d088889
	v_div_fixup_f32 v1, v10, v9, 1.0
	s_cmp_lt_i32 s1, 11
	v_add_f32_e32 v12, 1.0, v12
	v_fma_f32 v14, -v8, v14, 0x3e2aaaab
	v_add_f32_e32 v0, v0, v1
	v_div_fixup_f32 v1, v13, v16, 1.0
	v_fmac_f32_e32 v12, v8, v14
	v_add_f32_e32 v0, v0, v1
	v_div_fixup_f32 v1, v17, v20, 1.0
	v_div_scale_f32 v8, null, v26, v26, v12
	v_div_scale_f32 v5, vcc_lo, v12, v26, v12
	v_add_f32_e32 v0, v0, v1
	v_rcp_f32_e32 v14, v8
	v_div_fixup_f32 v1, v11, v4, 1.0
	v_add_f32_e32 v0, v0, v1
	v_fma_f32 v6, -v8, v14, 1.0
	v_fmac_f32_e32 v14, v6, v14
	v_mul_f32_e32 v6, v5, v14
	v_fma_f32 v7, -v8, v6, v5
	v_fmac_f32_e32 v6, v7, v14
	v_fma_f32 v5, -v8, v6, v5
	v_div_fmas_f32 v4, v5, v14, v6
	v_mul_lo_u32 v5, v2, s12
	v_div_fixup_f32 v1, v4, v26, v12
	v_ashrrev_i32_e32 v4, 31, v5
	v_add_f32_e32 v6, v0, v1
	v_add_co_u32 v0, vcc_lo, s8, v5
	v_add_co_ci_u32_e64 v1, null, s9, v4, vcc_lo
	v_fma_mixlo_f16 v3, v3, v6, 0
	s_cbranch_scc1 .LBB66_286
; %bb.279:
	s_and_b32 s2, 0xffff, s1
	s_cmp_gt_i32 s2, 25
	s_cbranch_scc0 .LBB66_288
; %bb.280:
	s_cmp_gt_i32 s2, 28
	s_cbranch_scc0 .LBB66_290
; %bb.281:
	;; [unrolled: 3-line block ×4, first 2 shown]
	s_mov_b32 s19, 0
	s_mov_b32 s0, -1
	s_cmp_eq_u32 s2, 46
	s_mov_b32 s3, 0
	s_cbranch_scc0 .LBB66_303
; %bb.284:
	v_cvt_f32_f16_e32 v4, v3
	v_cmp_o_f16_e32 vcc_lo, v3, v3
	s_mov_b32 s3, -1
	s_mov_b32 s0, 0
	v_bfe_u32 v5, v4, 16, 1
	v_add3_u32 v4, v4, v5, 0x7fff
	v_mov_b32_e32 v5, 0x7fc0
	v_cndmask_b32_sdwa v4, v5, v4, vcc_lo dst_sel:DWORD dst_unused:UNUSED_PAD src0_sel:DWORD src1_sel:WORD_1
	global_store_dword v[0:1], v4, off
	s_branch .LBB66_303
.LBB66_285:
	s_mov_b32 s2, -1
	s_mov_b32 s1, 0
	s_mov_b32 s18, s16
                                        ; implicit-def: $vgpr3
	s_branch .LBB66_440
.LBB66_286:
	s_mov_b32 s2, -1
	s_mov_b32 s3, 0
	s_mov_b32 s0, s14
	s_branch .LBB66_372
.LBB66_287:
	s_mov_b32 s2, -1
	s_mov_b32 s1, 0
	s_mov_b32 s18, s16
                                        ; implicit-def: $vgpr3
	s_branch .LBB66_421
.LBB66_288:
	s_mov_b32 s19, -1
	s_mov_b32 s3, 0
	s_mov_b32 s0, s14
	s_branch .LBB66_330
.LBB66_289:
	s_mov_b32 s2, -1
	s_mov_b32 s1, 0
	s_mov_b32 s18, s16
                                        ; implicit-def: $vgpr3
	s_branch .LBB66_416
.LBB66_290:
	s_mov_b32 s19, -1
	s_mov_b32 s3, 0
	s_mov_b32 s0, s14
	s_branch .LBB66_313
.LBB66_291:
	s_andn2_saveexec_b32 s19, s19
	s_cbranch_execz .LBB66_60
.LBB66_292:
	v_add_f32_e64 v5, 0x46000000, |v4|
	s_andn2_b32 s14, s14, exec_lo
	v_and_b32_e32 v5, 0xff, v5
	v_cmp_ne_u32_e32 vcc_lo, 0, v5
	s_and_b32 s20, vcc_lo, exec_lo
	s_or_b32 s14, s14, s20
	s_or_b32 exec_lo, exec_lo, s19
	v_mov_b32_e32 v6, 0
	s_and_saveexec_b32 s19, s14
	s_cbranch_execnz .LBB66_61
	s_branch .LBB66_62
.LBB66_293:
	s_mov_b32 s2, -1
	s_mov_b32 s1, 0
	s_mov_b32 s18, s16
	s_branch .LBB66_298
.LBB66_294:
	s_mov_b32 s19, -1
	s_mov_b32 s3, 0
	s_mov_b32 s0, s14
	s_branch .LBB66_309
.LBB66_295:
	s_andn2_saveexec_b32 s19, s19
	s_cbranch_execz .LBB66_73
.LBB66_296:
	v_add_f32_e64 v5, 0x42800000, |v4|
	s_andn2_b32 s14, s14, exec_lo
	v_and_b32_e32 v5, 0xff, v5
	v_cmp_ne_u32_e32 vcc_lo, 0, v5
	s_and_b32 s20, vcc_lo, exec_lo
	s_or_b32 s14, s14, s20
	s_or_b32 exec_lo, exec_lo, s19
	v_mov_b32_e32 v6, 0
	s_and_saveexec_b32 s19, s14
	s_cbranch_execnz .LBB66_74
	s_branch .LBB66_75
.LBB66_297:
	s_mov_b32 s18, -1
	s_mov_b32 s1, 0
.LBB66_298:
                                        ; implicit-def: $vgpr3
.LBB66_299:
	s_and_b32 vcc_lo, exec_lo, s2
	s_cbranch_vccz .LBB66_415
; %bb.300:
	s_cmp_eq_u32 s0, 44
	s_cbranch_scc0 .LBB66_414
; %bb.301:
	global_load_ubyte v3, v[0:1], off
	s_mov_b32 s18, 0
	s_mov_b32 s1, -1
	s_waitcnt vmcnt(0)
	v_lshlrev_b32_e32 v4, 23, v3
	v_cmp_ne_u32_e32 vcc_lo, 0xff, v3
	v_cvt_f16_f32_e32 v4, v4
	v_cndmask_b32_e32 v4, 0x7e00, v4, vcc_lo
	v_cmp_ne_u32_e32 vcc_lo, 0, v3
	v_cndmask_b32_e32 v3, 0, v4, vcc_lo
	s_branch .LBB66_415
.LBB66_302:
	s_mov_b32 s19, -1
	s_mov_b32 s3, 0
	s_mov_b32 s0, s14
.LBB66_303:
	s_and_b32 vcc_lo, exec_lo, s19
	s_cbranch_vccz .LBB66_308
; %bb.304:
	s_cmp_eq_u32 s2, 44
	s_mov_b32 s0, -1
	s_cbranch_scc0 .LBB66_308
; %bb.305:
	v_cvt_f32_f16_e32 v4, v3
	v_mov_b32_e32 v5, 0xff
	s_mov_b32 s3, exec_lo
	v_bfe_u32 v6, v4, 23, 8
	v_cmpx_ne_u32_e32 0xff, v6
	s_cbranch_execz .LBB66_307
; %bb.306:
	v_and_b32_e32 v5, 0x400000, v4
	v_and_or_b32 v6, 0x3fffff, v4, v6
	v_lshrrev_b32_e32 v4, 23, v4
	v_cmp_ne_u32_e32 vcc_lo, 0, v5
	v_cmp_ne_u32_e64 s0, 0, v6
	s_and_b32 s0, vcc_lo, s0
	v_cndmask_b32_e64 v5, 0, 1, s0
	v_add_nc_u32_e32 v5, v4, v5
.LBB66_307:
	s_or_b32 exec_lo, exec_lo, s3
	s_mov_b32 s3, -1
	s_mov_b32 s0, 0
	global_store_byte v[0:1], v5, off
.LBB66_308:
	s_mov_b32 s19, 0
.LBB66_309:
	s_and_b32 vcc_lo, exec_lo, s19
	s_cbranch_vccz .LBB66_312
; %bb.310:
	s_cmp_eq_u32 s2, 29
	s_mov_b32 s0, -1
	s_cbranch_scc0 .LBB66_312
; %bb.311:
	v_cvt_f32_f16_e32 v4, v3
	v_mov_b32_e32 v5, 0
	s_mov_b32 s3, -1
	s_mov_b32 s0, 0
	s_mov_b32 s19, 0
	v_cvt_u32_f32_e32 v4, v4
	global_store_dwordx2 v[0:1], v[4:5], off
	s_branch .LBB66_313
.LBB66_312:
	s_mov_b32 s19, 0
.LBB66_313:
	s_and_b32 vcc_lo, exec_lo, s19
	s_cbranch_vccz .LBB66_329
; %bb.314:
	s_cmp_lt_i32 s2, 27
	s_mov_b32 s3, -1
	s_cbranch_scc1 .LBB66_320
; %bb.315:
	s_cmp_gt_i32 s2, 27
	s_cbranch_scc0 .LBB66_317
; %bb.316:
	v_cvt_f32_f16_e32 v4, v3
	s_mov_b32 s3, 0
	v_cvt_u32_f32_e32 v4, v4
	global_store_dword v[0:1], v4, off
.LBB66_317:
	s_andn2_b32 vcc_lo, exec_lo, s3
	s_cbranch_vccnz .LBB66_319
; %bb.318:
	v_cvt_u16_f16_e32 v4, v3
	global_store_short v[0:1], v4, off
.LBB66_319:
	s_mov_b32 s3, 0
.LBB66_320:
	s_andn2_b32 vcc_lo, exec_lo, s3
	s_cbranch_vccnz .LBB66_328
; %bb.321:
	v_cvt_f32_f16_e32 v4, v3
	v_mov_b32_e32 v6, 0x80
	s_mov_b32 s3, exec_lo
	v_and_b32_e32 v5, 0x7fffffff, v4
	v_cmpx_gt_u32_e32 0x43800000, v5
	s_cbranch_execz .LBB66_327
; %bb.322:
	v_cmp_lt_u32_e32 vcc_lo, 0x3bffffff, v5
	s_mov_b32 s19, 0
                                        ; implicit-def: $vgpr5
	s_and_saveexec_b32 s21, vcc_lo
	s_xor_b32 s21, exec_lo, s21
	s_cbranch_execz .LBB66_540
; %bb.323:
	v_bfe_u32 v5, v4, 20, 1
	s_mov_b32 s19, exec_lo
	v_add3_u32 v5, v4, v5, 0x487ffff
	v_lshrrev_b32_e32 v5, 20, v5
	s_andn2_saveexec_b32 s21, s21
	s_cbranch_execnz .LBB66_541
.LBB66_324:
	s_or_b32 exec_lo, exec_lo, s21
	v_mov_b32_e32 v6, 0
	s_and_saveexec_b32 s21, s19
.LBB66_325:
	v_lshrrev_b32_e32 v4, 24, v4
	v_and_or_b32 v6, 0x80, v4, v5
.LBB66_326:
	s_or_b32 exec_lo, exec_lo, s21
.LBB66_327:
	s_or_b32 exec_lo, exec_lo, s3
	global_store_byte v[0:1], v6, off
.LBB66_328:
	s_mov_b32 s3, -1
.LBB66_329:
	s_mov_b32 s19, 0
.LBB66_330:
	s_and_b32 vcc_lo, exec_lo, s19
	s_cbranch_vccz .LBB66_371
; %bb.331:
	s_cmp_gt_i32 s2, 22
	s_mov_b32 s19, -1
	s_cbranch_scc0 .LBB66_363
; %bb.332:
	s_cmp_lt_i32 s2, 24
	s_mov_b32 s3, -1
	s_cbranch_scc1 .LBB66_352
; %bb.333:
	s_cmp_gt_i32 s2, 24
	s_cbranch_scc0 .LBB66_341
; %bb.334:
	v_cvt_f32_f16_e32 v4, v3
	v_mov_b32_e32 v6, 0x80
	s_mov_b32 s3, exec_lo
	v_and_b32_e32 v5, 0x7fffffff, v4
	v_cmpx_gt_u32_e32 0x47800000, v5
	s_cbranch_execz .LBB66_340
; %bb.335:
	v_cmp_lt_u32_e32 vcc_lo, 0x37ffffff, v5
	s_mov_b32 s19, 0
                                        ; implicit-def: $vgpr5
	s_and_saveexec_b32 s21, vcc_lo
	s_xor_b32 s21, exec_lo, s21
	s_cbranch_execz .LBB66_543
; %bb.336:
	v_bfe_u32 v5, v4, 21, 1
	s_mov_b32 s19, exec_lo
	v_add3_u32 v5, v4, v5, 0x88fffff
	v_lshrrev_b32_e32 v5, 21, v5
	s_andn2_saveexec_b32 s21, s21
	s_cbranch_execnz .LBB66_544
.LBB66_337:
	s_or_b32 exec_lo, exec_lo, s21
	v_mov_b32_e32 v6, 0
	s_and_saveexec_b32 s21, s19
.LBB66_338:
	v_lshrrev_b32_e32 v4, 24, v4
	v_and_or_b32 v6, 0x80, v4, v5
.LBB66_339:
	s_or_b32 exec_lo, exec_lo, s21
.LBB66_340:
	s_or_b32 exec_lo, exec_lo, s3
	s_mov_b32 s3, 0
	global_store_byte v[0:1], v6, off
.LBB66_341:
	s_and_b32 vcc_lo, exec_lo, s3
	s_cbranch_vccz .LBB66_351
; %bb.342:
	v_cvt_f32_f16_e32 v4, v3
	s_mov_b32 s3, exec_lo
                                        ; implicit-def: $vgpr5
	v_and_b32_e32 v6, 0x7fffffff, v4
	v_cmpx_gt_u32_e32 0x43f00000, v6
	s_xor_b32 s3, exec_lo, s3
	s_cbranch_execz .LBB66_348
; %bb.343:
	s_mov_b32 s19, exec_lo
                                        ; implicit-def: $vgpr5
	v_cmpx_lt_u32_e32 0x3c7fffff, v6
	s_xor_b32 s19, exec_lo, s19
; %bb.344:
	v_bfe_u32 v5, v4, 20, 1
	v_add3_u32 v5, v4, v5, 0x407ffff
	v_and_b32_e32 v6, 0xff00000, v5
	v_lshrrev_b32_e32 v5, 20, v5
	v_cmp_ne_u32_e32 vcc_lo, 0x7f00000, v6
	v_cndmask_b32_e32 v5, 0x7e, v5, vcc_lo
; %bb.345:
	s_andn2_saveexec_b32 s19, s19
; %bb.346:
	v_add_f32_e64 v5, 0x46800000, |v4|
; %bb.347:
	s_or_b32 exec_lo, exec_lo, s19
                                        ; implicit-def: $vgpr6
.LBB66_348:
	s_andn2_saveexec_b32 s3, s3
; %bb.349:
	v_mov_b32_e32 v5, 0x7f
	v_cmp_lt_u32_e32 vcc_lo, 0x7f800000, v6
	v_cndmask_b32_e32 v5, 0x7e, v5, vcc_lo
; %bb.350:
	s_or_b32 exec_lo, exec_lo, s3
	v_lshrrev_b32_e32 v4, 24, v4
	v_and_or_b32 v4, 0x80, v4, v5
	global_store_byte v[0:1], v4, off
.LBB66_351:
	s_mov_b32 s3, 0
.LBB66_352:
	s_andn2_b32 vcc_lo, exec_lo, s3
	s_cbranch_vccnz .LBB66_362
; %bb.353:
	v_cvt_f32_f16_e32 v4, v3
	s_mov_b32 s3, exec_lo
                                        ; implicit-def: $vgpr5
	v_and_b32_e32 v6, 0x7fffffff, v4
	v_cmpx_gt_u32_e32 0x47800000, v6
	s_xor_b32 s3, exec_lo, s3
	s_cbranch_execz .LBB66_359
; %bb.354:
	s_mov_b32 s19, exec_lo
                                        ; implicit-def: $vgpr5
	v_cmpx_lt_u32_e32 0x387fffff, v6
	s_xor_b32 s19, exec_lo, s19
; %bb.355:
	v_bfe_u32 v5, v4, 21, 1
	v_add3_u32 v5, v4, v5, 0x80fffff
	v_lshrrev_b32_e32 v5, 21, v5
; %bb.356:
	s_andn2_saveexec_b32 s19, s19
; %bb.357:
	v_add_f32_e64 v5, 0x43000000, |v4|
; %bb.358:
	s_or_b32 exec_lo, exec_lo, s19
                                        ; implicit-def: $vgpr6
.LBB66_359:
	s_andn2_saveexec_b32 s3, s3
; %bb.360:
	v_mov_b32_e32 v5, 0x7f
	v_cmp_lt_u32_e32 vcc_lo, 0x7f800000, v6
	v_cndmask_b32_e32 v5, 0x7c, v5, vcc_lo
; %bb.361:
	s_or_b32 exec_lo, exec_lo, s3
	v_lshrrev_b32_e32 v4, 24, v4
	v_and_or_b32 v4, 0x80, v4, v5
	global_store_byte v[0:1], v4, off
.LBB66_362:
	s_mov_b32 s19, 0
	s_mov_b32 s3, -1
.LBB66_363:
	s_andn2_b32 vcc_lo, exec_lo, s19
	s_cbranch_vccnz .LBB66_371
; %bb.364:
	s_cmp_gt_i32 s2, 14
	s_mov_b32 s19, -1
	s_cbranch_scc0 .LBB66_368
; %bb.365:
	s_cmp_eq_u32 s2, 15
	s_mov_b32 s0, -1
	s_cbranch_scc0 .LBB66_367
; %bb.366:
	v_cvt_f32_f16_e32 v4, v3
	v_cmp_o_f16_e32 vcc_lo, v3, v3
	s_mov_b32 s3, -1
	s_mov_b32 s0, 0
	v_bfe_u32 v5, v4, 16, 1
	v_add3_u32 v4, v4, v5, 0x7fff
	v_mov_b32_e32 v5, 0x7fc0
	v_cndmask_b32_sdwa v4, v5, v4, vcc_lo dst_sel:DWORD dst_unused:UNUSED_PAD src0_sel:DWORD src1_sel:WORD_1
	global_store_short v[0:1], v4, off
.LBB66_367:
	s_mov_b32 s19, 0
.LBB66_368:
	s_and_b32 vcc_lo, exec_lo, s19
	s_cbranch_vccz .LBB66_371
; %bb.369:
	s_cmp_eq_u32 s2, 11
	s_mov_b32 s0, -1
	s_cbranch_scc0 .LBB66_371
; %bb.370:
	v_cmp_neq_f16_e32 vcc_lo, 0, v3
	s_mov_b32 s0, 0
	s_mov_b32 s3, -1
	v_cndmask_b32_e64 v4, 0, 1, vcc_lo
	global_store_byte v[0:1], v4, off
.LBB66_371:
	s_mov_b32 s2, 0
.LBB66_372:
	s_and_b32 vcc_lo, exec_lo, s2
	s_cbranch_vccz .LBB66_411
; %bb.373:
	s_and_b32 s1, 0xffff, s1
	s_mov_b32 s2, -1
	s_cmp_lt_i32 s1, 5
	s_cbranch_scc1 .LBB66_394
; %bb.374:
	s_cmp_lt_i32 s1, 8
	s_cbranch_scc1 .LBB66_384
; %bb.375:
	;; [unrolled: 3-line block ×3, first 2 shown]
	s_cmp_gt_i32 s1, 9
	s_cbranch_scc0 .LBB66_378
; %bb.377:
	v_cvt_f32_f16_e32 v4, v3
	v_mov_b32_e32 v6, 0
	s_mov_b32 s2, 0
	v_cvt_f64_f32_e32 v[4:5], v4
	v_mov_b32_e32 v7, v6
	global_store_dwordx4 v[0:1], v[4:7], off
.LBB66_378:
	s_andn2_b32 vcc_lo, exec_lo, s2
	s_cbranch_vccnz .LBB66_380
; %bb.379:
	v_cvt_f32_f16_e32 v4, v3
	v_mov_b32_e32 v5, 0
	global_store_dwordx2 v[0:1], v[4:5], off
.LBB66_380:
	s_mov_b32 s2, 0
.LBB66_381:
	s_andn2_b32 vcc_lo, exec_lo, s2
	s_cbranch_vccnz .LBB66_383
; %bb.382:
	v_and_b32_e32 v4, 0xffff, v3
	global_store_dword v[0:1], v4, off
.LBB66_383:
	s_mov_b32 s2, 0
.LBB66_384:
	s_andn2_b32 vcc_lo, exec_lo, s2
	s_cbranch_vccnz .LBB66_393
; %bb.385:
	s_cmp_lt_i32 s1, 6
	s_mov_b32 s2, -1
	s_cbranch_scc1 .LBB66_391
; %bb.386:
	s_cmp_gt_i32 s1, 6
	s_cbranch_scc0 .LBB66_388
; %bb.387:
	v_cvt_f32_f16_e32 v4, v3
	s_mov_b32 s2, 0
	v_cvt_f64_f32_e32 v[4:5], v4
	global_store_dwordx2 v[0:1], v[4:5], off
.LBB66_388:
	s_andn2_b32 vcc_lo, exec_lo, s2
	s_cbranch_vccnz .LBB66_390
; %bb.389:
	v_cvt_f32_f16_e32 v4, v3
	global_store_dword v[0:1], v4, off
.LBB66_390:
	s_mov_b32 s2, 0
.LBB66_391:
	s_andn2_b32 vcc_lo, exec_lo, s2
	s_cbranch_vccnz .LBB66_393
; %bb.392:
	global_store_short v[0:1], v3, off
.LBB66_393:
	s_mov_b32 s2, 0
.LBB66_394:
	s_andn2_b32 vcc_lo, exec_lo, s2
	s_cbranch_vccnz .LBB66_410
; %bb.395:
	s_cmp_lt_i32 s1, 2
	s_mov_b32 s2, -1
	s_cbranch_scc1 .LBB66_405
; %bb.396:
	s_cmp_lt_i32 s1, 3
	s_cbranch_scc1 .LBB66_402
; %bb.397:
	s_cmp_gt_i32 s1, 3
	s_cbranch_scc0 .LBB66_399
; %bb.398:
	v_cvt_f32_f16_e32 v4, v3
	s_mov_b32 s2, 0
	v_cvt_i32_f32_e32 v4, v4
	v_ashrrev_i32_e32 v5, 31, v4
	global_store_dwordx2 v[0:1], v[4:5], off
.LBB66_399:
	s_andn2_b32 vcc_lo, exec_lo, s2
	s_cbranch_vccnz .LBB66_401
; %bb.400:
	v_cvt_f32_f16_e32 v4, v3
	v_cvt_i32_f32_e32 v4, v4
	global_store_dword v[0:1], v4, off
.LBB66_401:
	s_mov_b32 s2, 0
.LBB66_402:
	s_andn2_b32 vcc_lo, exec_lo, s2
	s_cbranch_vccnz .LBB66_404
; %bb.403:
	v_cvt_i16_f16_e32 v4, v3
	global_store_short v[0:1], v4, off
.LBB66_404:
	s_mov_b32 s2, 0
.LBB66_405:
	s_andn2_b32 vcc_lo, exec_lo, s2
	s_cbranch_vccnz .LBB66_410
; %bb.406:
	s_cmp_gt_i32 s1, 0
	s_mov_b32 s1, -1
	s_cbranch_scc0 .LBB66_408
; %bb.407:
	v_cvt_i16_f16_e32 v4, v3
	s_mov_b32 s1, 0
	global_store_byte v[0:1], v4, off
.LBB66_408:
	s_andn2_b32 vcc_lo, exec_lo, s1
	s_cbranch_vccnz .LBB66_410
; %bb.409:
	v_cvt_f32_f16_e32 v3, v3
	v_cvt_i32_f32_e32 v3, v3
	global_store_byte v[0:1], v3, off
.LBB66_410:
	s_mov_b32 s3, -1
.LBB66_411:
	s_andn2_b32 vcc_lo, exec_lo, s3
	s_cbranch_vccnz .LBB66_413
; %bb.412:
	v_add_nc_u32_e32 v2, 0x80, v2
	s_mov_b32 s1, -1
	s_branch .LBB66_526
.LBB66_413:
	s_mov_b32 s1, 0
	s_branch .LBB66_525
.LBB66_414:
	s_mov_b32 s18, -1
                                        ; implicit-def: $vgpr3
.LBB66_415:
	s_mov_b32 s2, 0
.LBB66_416:
	s_and_b32 vcc_lo, exec_lo, s2
	s_cbranch_vccz .LBB66_420
; %bb.417:
	s_cmp_eq_u32 s0, 29
	s_cbranch_scc0 .LBB66_419
; %bb.418:
	global_load_dwordx2 v[3:4], v[0:1], off
	s_mov_b32 s1, -1
	s_mov_b32 s18, 0
	s_mov_b32 s2, 0
	s_waitcnt vmcnt(0)
	v_ffbh_u32_e32 v5, v4
	v_min_u32_e32 v5, 32, v5
	v_lshlrev_b64 v[3:4], v5, v[3:4]
	v_min_u32_e32 v3, 1, v3
	v_or_b32_e32 v3, v4, v3
	v_sub_nc_u32_e32 v4, 32, v5
	v_cvt_f32_u32_e32 v3, v3
	v_ldexp_f32 v3, v3, v4
	v_cvt_f16_f32_e32 v3, v3
	s_branch .LBB66_421
.LBB66_419:
	s_mov_b32 s18, -1
                                        ; implicit-def: $vgpr3
.LBB66_420:
	s_mov_b32 s2, 0
.LBB66_421:
	s_and_b32 vcc_lo, exec_lo, s2
	s_cbranch_vccz .LBB66_439
; %bb.422:
	s_cmp_lt_i32 s0, 27
	s_cbranch_scc1 .LBB66_425
; %bb.423:
	s_cmp_gt_i32 s0, 27
	s_cbranch_scc0 .LBB66_426
; %bb.424:
	global_load_dword v3, v[0:1], off
	s_mov_b32 s1, 0
	s_waitcnt vmcnt(0)
	v_cvt_f32_u32_e32 v3, v3
	v_cvt_f16_f32_e32 v3, v3
	s_branch .LBB66_427
.LBB66_425:
	s_mov_b32 s1, -1
                                        ; implicit-def: $vgpr3
	s_branch .LBB66_430
.LBB66_426:
	s_mov_b32 s1, -1
                                        ; implicit-def: $vgpr3
.LBB66_427:
	s_andn2_b32 vcc_lo, exec_lo, s1
	s_cbranch_vccnz .LBB66_429
; %bb.428:
	global_load_ushort v3, v[0:1], off
	s_waitcnt vmcnt(0)
	v_cvt_f16_u16_e32 v3, v3
.LBB66_429:
	s_mov_b32 s1, 0
.LBB66_430:
	s_andn2_b32 vcc_lo, exec_lo, s1
	s_cbranch_vccnz .LBB66_438
; %bb.431:
	global_load_ubyte v4, v[0:1], off
	s_mov_b32 s1, 0
	s_mov_b32 s2, exec_lo
	s_waitcnt vmcnt(0)
	v_cmpx_lt_i16_e32 0x7f, v4
	s_xor_b32 s2, exec_lo, s2
	s_cbranch_execz .LBB66_452
; %bb.432:
	s_mov_b32 s1, -1
	s_mov_b32 s3, exec_lo
	v_cmpx_eq_u16_e32 0x80, v4
; %bb.433:
	s_xor_b32 s1, exec_lo, -1
; %bb.434:
	s_or_b32 exec_lo, exec_lo, s3
	s_and_b32 s1, s1, exec_lo
	s_or_saveexec_b32 s2, s2
	v_mov_b32_e32 v3, 0x7e00
	s_xor_b32 exec_lo, exec_lo, s2
	s_cbranch_execnz .LBB66_453
.LBB66_435:
	s_or_b32 exec_lo, exec_lo, s2
	s_and_saveexec_b32 s2, s1
	s_cbranch_execz .LBB66_437
.LBB66_436:
	v_and_b32_e32 v3, 0xffff, v4
	v_lshlrev_b32_e32 v4, 24, v4
	v_and_b32_e32 v5, 7, v3
	v_bfe_u32 v8, v3, 3, 4
	v_and_b32_e32 v4, 0x80000000, v4
	v_ffbh_u32_e32 v6, v5
	v_cmp_eq_u32_e32 vcc_lo, 0, v8
	v_min_u32_e32 v6, 32, v6
	v_subrev_nc_u32_e32 v7, 28, v6
	v_sub_nc_u32_e32 v6, 29, v6
	v_lshlrev_b32_e32 v3, v7, v3
	v_cndmask_b32_e32 v6, v8, v6, vcc_lo
	v_and_b32_e32 v3, 7, v3
	v_cndmask_b32_e32 v3, v5, v3, vcc_lo
	v_lshl_add_u32 v5, v6, 23, 0x3b800000
	v_lshlrev_b32_e32 v3, 20, v3
	v_or3_b32 v3, v4, v5, v3
	v_cvt_f16_f32_e32 v3, v3
.LBB66_437:
	s_or_b32 exec_lo, exec_lo, s2
.LBB66_438:
	s_mov_b32 s1, -1
.LBB66_439:
	s_mov_b32 s2, 0
.LBB66_440:
	s_and_b32 vcc_lo, exec_lo, s2
	s_cbranch_vccz .LBB66_475
; %bb.441:
	s_cmp_gt_i32 s0, 22
	s_cbranch_scc0 .LBB66_451
; %bb.442:
	s_cmp_lt_i32 s0, 24
	s_cbranch_scc1 .LBB66_454
; %bb.443:
	s_cmp_gt_i32 s0, 24
	s_cbranch_scc0 .LBB66_455
; %bb.444:
	global_load_ubyte v4, v[0:1], off
	s_mov_b32 s1, 0
	s_mov_b32 s2, exec_lo
	s_waitcnt vmcnt(0)
	v_cmpx_lt_i16_e32 0x7f, v4
	s_xor_b32 s2, exec_lo, s2
	s_cbranch_execz .LBB66_467
; %bb.445:
	s_mov_b32 s1, -1
	s_mov_b32 s3, exec_lo
	v_cmpx_eq_u16_e32 0x80, v4
; %bb.446:
	s_xor_b32 s1, exec_lo, -1
; %bb.447:
	s_or_b32 exec_lo, exec_lo, s3
	s_and_b32 s1, s1, exec_lo
	s_or_saveexec_b32 s2, s2
	v_mov_b32_e32 v3, 0x7e00
	s_xor_b32 exec_lo, exec_lo, s2
	s_cbranch_execnz .LBB66_468
.LBB66_448:
	s_or_b32 exec_lo, exec_lo, s2
	s_and_saveexec_b32 s2, s1
	s_cbranch_execz .LBB66_450
.LBB66_449:
	v_and_b32_e32 v3, 0xffff, v4
	v_lshlrev_b32_e32 v4, 24, v4
	v_and_b32_e32 v5, 3, v3
	v_bfe_u32 v8, v3, 2, 5
	v_and_b32_e32 v4, 0x80000000, v4
	v_ffbh_u32_e32 v6, v5
	v_cmp_eq_u32_e32 vcc_lo, 0, v8
	v_min_u32_e32 v6, 32, v6
	v_subrev_nc_u32_e32 v7, 29, v6
	v_sub_nc_u32_e32 v6, 30, v6
	v_lshlrev_b32_e32 v3, v7, v3
	v_cndmask_b32_e32 v6, v8, v6, vcc_lo
	v_and_b32_e32 v3, 3, v3
	v_cndmask_b32_e32 v3, v5, v3, vcc_lo
	v_lshl_add_u32 v5, v6, 23, 0x37800000
	v_lshlrev_b32_e32 v3, 21, v3
	v_or3_b32 v3, v4, v5, v3
	v_cvt_f16_f32_e32 v3, v3
.LBB66_450:
	s_or_b32 exec_lo, exec_lo, s2
	s_mov_b32 s1, 0
	s_branch .LBB66_456
.LBB66_451:
	s_mov_b32 s2, -1
                                        ; implicit-def: $vgpr3
	s_branch .LBB66_462
.LBB66_452:
	s_or_saveexec_b32 s2, s2
	v_mov_b32_e32 v3, 0x7e00
	s_xor_b32 exec_lo, exec_lo, s2
	s_cbranch_execz .LBB66_435
.LBB66_453:
	v_cmp_ne_u16_e32 vcc_lo, 0, v4
	v_mov_b32_e32 v3, v4
	s_andn2_b32 s1, s1, exec_lo
	s_and_b32 s3, vcc_lo, exec_lo
	s_or_b32 s1, s1, s3
	s_or_b32 exec_lo, exec_lo, s2
	s_and_saveexec_b32 s2, s1
	s_cbranch_execnz .LBB66_436
	s_branch .LBB66_437
.LBB66_454:
	s_mov_b32 s1, -1
                                        ; implicit-def: $vgpr3
	s_branch .LBB66_459
.LBB66_455:
	s_mov_b32 s1, -1
                                        ; implicit-def: $vgpr3
.LBB66_456:
	s_and_b32 vcc_lo, exec_lo, s1
	s_cbranch_vccz .LBB66_458
; %bb.457:
	global_load_ubyte v3, v[0:1], off
	s_waitcnt vmcnt(0)
	v_lshlrev_b32_e32 v3, 24, v3
	v_and_b32_e32 v4, 0x7f000000, v3
	v_ffbh_u32_e32 v5, v4
	v_add_nc_u32_e32 v7, 0x1000000, v4
	v_cmp_ne_u32_e32 vcc_lo, 0, v4
	v_min_u32_e32 v5, 32, v5
	v_sub_nc_u32_e64 v5, v5, 4 clamp
	v_lshlrev_b32_e32 v6, v5, v4
	v_lshlrev_b32_e32 v5, 23, v5
	v_lshrrev_b32_e32 v6, 4, v6
	v_sub_nc_u32_e32 v5, v6, v5
	v_ashrrev_i32_e32 v6, 8, v7
	v_add_nc_u32_e32 v5, 0x3c000000, v5
	v_and_or_b32 v5, 0x7f800000, v6, v5
	v_cndmask_b32_e32 v4, 0, v5, vcc_lo
	v_and_or_b32 v3, 0x80000000, v3, v4
	v_cvt_f16_f32_e32 v3, v3
.LBB66_458:
	s_mov_b32 s1, 0
.LBB66_459:
	s_andn2_b32 vcc_lo, exec_lo, s1
	s_cbranch_vccnz .LBB66_461
; %bb.460:
	global_load_ubyte v3, v[0:1], off
	s_waitcnt vmcnt(0)
	v_lshlrev_b32_e32 v4, 25, v3
	v_lshlrev_b16 v3, 8, v3
	v_lshrrev_b32_e32 v5, 4, v4
	v_and_or_b32 v6, 0x7f00, v3, 0.5
	v_cmp_gt_u32_e32 vcc_lo, 0x8000000, v4
	v_bfe_i32 v3, v3, 0, 16
	v_or_b32_e32 v5, 0x70000000, v5
	v_add_f32_e32 v6, -0.5, v6
	v_mul_f32_e32 v5, 0x7800000, v5
	v_cndmask_b32_e32 v4, v5, v6, vcc_lo
	v_and_or_b32 v3, 0x80000000, v3, v4
	v_cvt_f16_f32_e32 v3, v3
.LBB66_461:
	s_mov_b32 s2, 0
	s_mov_b32 s1, -1
.LBB66_462:
	s_andn2_b32 vcc_lo, exec_lo, s2
	s_cbranch_vccnz .LBB66_475
; %bb.463:
	s_cmp_gt_i32 s0, 14
	s_cbranch_scc0 .LBB66_466
; %bb.464:
	s_cmp_eq_u32 s0, 15
	s_cbranch_scc0 .LBB66_469
; %bb.465:
	global_load_ushort v3, v[0:1], off
	s_mov_b32 s1, -1
	s_mov_b32 s18, 0
	s_waitcnt vmcnt(0)
	v_lshlrev_b32_e32 v3, 16, v3
	v_cvt_f16_f32_e32 v3, v3
	s_branch .LBB66_470
.LBB66_466:
	s_mov_b32 s2, -1
                                        ; implicit-def: $vgpr3
	s_branch .LBB66_471
.LBB66_467:
	s_or_saveexec_b32 s2, s2
	v_mov_b32_e32 v3, 0x7e00
	s_xor_b32 exec_lo, exec_lo, s2
	s_cbranch_execz .LBB66_448
.LBB66_468:
	v_cmp_ne_u16_e32 vcc_lo, 0, v4
	v_mov_b32_e32 v3, v4
	s_andn2_b32 s1, s1, exec_lo
	s_and_b32 s3, vcc_lo, exec_lo
	s_or_b32 s1, s1, s3
	s_or_b32 exec_lo, exec_lo, s2
	s_and_saveexec_b32 s2, s1
	s_cbranch_execnz .LBB66_449
	s_branch .LBB66_450
.LBB66_469:
	s_mov_b32 s18, -1
                                        ; implicit-def: $vgpr3
.LBB66_470:
	s_mov_b32 s2, 0
.LBB66_471:
	s_and_b32 vcc_lo, exec_lo, s2
	s_cbranch_vccz .LBB66_475
; %bb.472:
	s_cmp_eq_u32 s0, 11
	s_cbranch_scc0 .LBB66_474
; %bb.473:
	global_load_ubyte v3, v[0:1], off
	s_mov_b32 s18, 0
	s_mov_b32 s1, -1
	s_waitcnt vmcnt(0)
	v_cmp_ne_u16_e32 vcc_lo, 0, v3
	v_cndmask_b32_e64 v3, 0, 0x3c00, vcc_lo
	s_branch .LBB66_475
.LBB66_474:
	s_mov_b32 s18, -1
                                        ; implicit-def: $vgpr3
.LBB66_475:
	s_branch .LBB66_271
.LBB66_476:
	s_cmp_lt_i32 s0, 5
	s_cbranch_scc1 .LBB66_481
; %bb.477:
	s_cmp_lt_i32 s0, 8
	s_cbranch_scc1 .LBB66_482
; %bb.478:
	;; [unrolled: 3-line block ×3, first 2 shown]
	s_cmp_gt_i32 s0, 9
	s_cbranch_scc0 .LBB66_484
; %bb.480:
	global_load_dwordx2 v[3:4], v[0:1], off
	s_mov_b32 s1, 0
	s_waitcnt vmcnt(0)
	v_and_or_b32 v3, 0x1ff, v4, v3
	v_lshrrev_b32_e32 v5, 8, v4
	v_bfe_u32 v6, v4, 20, 11
	v_lshrrev_b32_e32 v4, 16, v4
	v_cmp_ne_u32_e32 vcc_lo, 0, v3
	v_sub_nc_u32_e32 v7, 0x3f1, v6
	v_add_nc_u32_e32 v6, 0xfffffc10, v6
	v_cndmask_b32_e64 v3, 0, 1, vcc_lo
	v_and_or_b32 v3, 0xffe, v5, v3
	v_med3_i32 v5, v7, 0, 13
	v_or_b32_e32 v7, 0x1000, v3
	v_lshrrev_b32_e32 v8, v5, v7
	v_lshlrev_b32_e32 v5, v5, v8
	v_cmp_ne_u32_e32 vcc_lo, v5, v7
	v_lshl_or_b32 v7, v6, 12, v3
	v_cndmask_b32_e64 v5, 0, 1, vcc_lo
	v_cmp_gt_i32_e32 vcc_lo, 1, v6
	v_or_b32_e32 v5, v8, v5
	v_cndmask_b32_e32 v5, v7, v5, vcc_lo
	v_and_b32_e32 v7, 7, v5
	v_lshrrev_b32_e32 v5, 2, v5
	v_cmp_lt_i32_e32 vcc_lo, 5, v7
	v_cndmask_b32_e64 v8, 0, 1, vcc_lo
	v_cmp_eq_u32_e32 vcc_lo, 3, v7
	v_cndmask_b32_e64 v7, 0, 1, vcc_lo
	v_cmp_ne_u32_e32 vcc_lo, 0, v3
	v_or_b32_e32 v7, v7, v8
	v_mov_b32_e32 v8, 0x7e00
	v_add_nc_u32_e32 v5, v5, v7
	v_cndmask_b32_e32 v3, 0x7c00, v8, vcc_lo
	v_cmp_gt_i32_e32 vcc_lo, 31, v6
	v_cndmask_b32_e32 v5, 0x7c00, v5, vcc_lo
	v_cmp_eq_u32_e32 vcc_lo, 0x40f, v6
	v_cndmask_b32_e32 v3, v5, v3, vcc_lo
	v_and_or_b32 v3, 0x8000, v4, v3
	s_branch .LBB66_485
.LBB66_481:
	s_mov_b32 s1, -1
                                        ; implicit-def: $vgpr3
	s_branch .LBB66_503
.LBB66_482:
	s_mov_b32 s1, -1
                                        ; implicit-def: $vgpr3
	s_branch .LBB66_491
.LBB66_483:
	s_mov_b32 s1, -1
                                        ; implicit-def: $vgpr3
	s_branch .LBB66_488
.LBB66_484:
	s_mov_b32 s1, -1
                                        ; implicit-def: $vgpr3
.LBB66_485:
	s_andn2_b32 vcc_lo, exec_lo, s1
	s_cbranch_vccnz .LBB66_487
; %bb.486:
	global_load_dword v3, v[0:1], off
	s_waitcnt vmcnt(0)
	v_cvt_f16_f32_e32 v3, v3
.LBB66_487:
	s_mov_b32 s1, 0
.LBB66_488:
	s_andn2_b32 vcc_lo, exec_lo, s1
	s_cbranch_vccnz .LBB66_490
; %bb.489:
	global_load_dword v3, v[0:1], off
.LBB66_490:
	s_mov_b32 s1, 0
.LBB66_491:
	s_andn2_b32 vcc_lo, exec_lo, s1
	s_cbranch_vccnz .LBB66_502
; %bb.492:
	s_cmp_lt_i32 s0, 6
	s_cbranch_scc1 .LBB66_495
; %bb.493:
	s_cmp_gt_i32 s0, 6
	s_cbranch_scc0 .LBB66_496
; %bb.494:
	global_load_dwordx2 v[3:4], v[0:1], off
	s_mov_b32 s1, 0
	s_waitcnt vmcnt(0)
	v_and_or_b32 v3, 0x1ff, v4, v3
	v_lshrrev_b32_e32 v5, 8, v4
	v_bfe_u32 v6, v4, 20, 11
	v_lshrrev_b32_e32 v4, 16, v4
	v_cmp_ne_u32_e32 vcc_lo, 0, v3
	v_sub_nc_u32_e32 v7, 0x3f1, v6
	v_add_nc_u32_e32 v6, 0xfffffc10, v6
	v_cndmask_b32_e64 v3, 0, 1, vcc_lo
	v_and_or_b32 v3, 0xffe, v5, v3
	v_med3_i32 v5, v7, 0, 13
	v_or_b32_e32 v7, 0x1000, v3
	v_lshrrev_b32_e32 v8, v5, v7
	v_lshlrev_b32_e32 v5, v5, v8
	v_cmp_ne_u32_e32 vcc_lo, v5, v7
	v_lshl_or_b32 v7, v6, 12, v3
	v_cndmask_b32_e64 v5, 0, 1, vcc_lo
	v_cmp_gt_i32_e32 vcc_lo, 1, v6
	v_or_b32_e32 v5, v8, v5
	v_cndmask_b32_e32 v5, v7, v5, vcc_lo
	v_and_b32_e32 v7, 7, v5
	v_lshrrev_b32_e32 v5, 2, v5
	v_cmp_lt_i32_e32 vcc_lo, 5, v7
	v_cndmask_b32_e64 v8, 0, 1, vcc_lo
	v_cmp_eq_u32_e32 vcc_lo, 3, v7
	v_cndmask_b32_e64 v7, 0, 1, vcc_lo
	v_cmp_ne_u32_e32 vcc_lo, 0, v3
	v_or_b32_e32 v7, v7, v8
	v_mov_b32_e32 v8, 0x7e00
	v_add_nc_u32_e32 v5, v5, v7
	v_cndmask_b32_e32 v3, 0x7c00, v8, vcc_lo
	v_cmp_gt_i32_e32 vcc_lo, 31, v6
	v_cndmask_b32_e32 v5, 0x7c00, v5, vcc_lo
	v_cmp_eq_u32_e32 vcc_lo, 0x40f, v6
	v_cndmask_b32_e32 v3, v5, v3, vcc_lo
	v_and_or_b32 v3, 0x8000, v4, v3
	s_branch .LBB66_497
.LBB66_495:
	s_mov_b32 s1, -1
                                        ; implicit-def: $vgpr3
	s_branch .LBB66_500
.LBB66_496:
	s_mov_b32 s1, -1
                                        ; implicit-def: $vgpr3
.LBB66_497:
	s_andn2_b32 vcc_lo, exec_lo, s1
	s_cbranch_vccnz .LBB66_499
; %bb.498:
	global_load_dword v3, v[0:1], off
	s_waitcnt vmcnt(0)
	v_cvt_f16_f32_e32 v3, v3
.LBB66_499:
	s_mov_b32 s1, 0
.LBB66_500:
	s_andn2_b32 vcc_lo, exec_lo, s1
	s_cbranch_vccnz .LBB66_502
; %bb.501:
	global_load_ushort v3, v[0:1], off
.LBB66_502:
	s_mov_b32 s1, 0
.LBB66_503:
	s_andn2_b32 vcc_lo, exec_lo, s1
	s_cbranch_vccnz .LBB66_523
; %bb.504:
	s_cmp_lt_i32 s0, 2
	s_cbranch_scc1 .LBB66_508
; %bb.505:
	s_cmp_lt_i32 s0, 3
	s_cbranch_scc1 .LBB66_509
; %bb.506:
	s_cmp_gt_i32 s0, 3
	s_cbranch_scc0 .LBB66_510
; %bb.507:
	global_load_dwordx2 v[3:4], v[0:1], off
	s_mov_b32 s1, 0
	s_waitcnt vmcnt(0)
	v_xor_b32_e32 v5, v3, v4
	v_ffbh_i32_e32 v6, v4
	v_ashrrev_i32_e32 v5, 31, v5
	v_add_nc_u32_e32 v6, -1, v6
	v_add_nc_u32_e32 v5, 32, v5
	v_min_u32_e32 v5, v6, v5
	v_lshlrev_b64 v[3:4], v5, v[3:4]
	v_min_u32_e32 v3, 1, v3
	v_or_b32_e32 v3, v4, v3
	v_sub_nc_u32_e32 v4, 32, v5
	v_cvt_f32_i32_e32 v3, v3
	v_ldexp_f32 v3, v3, v4
	v_cvt_f16_f32_e32 v3, v3
	s_branch .LBB66_511
.LBB66_508:
	s_mov_b32 s1, -1
                                        ; implicit-def: $vgpr3
	s_branch .LBB66_517
.LBB66_509:
	s_mov_b32 s1, -1
                                        ; implicit-def: $vgpr3
	s_branch .LBB66_514
.LBB66_510:
	s_mov_b32 s1, -1
                                        ; implicit-def: $vgpr3
.LBB66_511:
	s_andn2_b32 vcc_lo, exec_lo, s1
	s_cbranch_vccnz .LBB66_513
; %bb.512:
	global_load_dword v3, v[0:1], off
	s_waitcnt vmcnt(0)
	v_cvt_f32_i32_e32 v3, v3
	v_cvt_f16_f32_e32 v3, v3
.LBB66_513:
	s_mov_b32 s1, 0
.LBB66_514:
	s_andn2_b32 vcc_lo, exec_lo, s1
	s_cbranch_vccnz .LBB66_516
; %bb.515:
	global_load_ushort v3, v[0:1], off
	s_waitcnt vmcnt(0)
	v_cvt_f16_i16_e32 v3, v3
.LBB66_516:
	s_mov_b32 s1, 0
.LBB66_517:
	s_andn2_b32 vcc_lo, exec_lo, s1
	s_cbranch_vccnz .LBB66_523
; %bb.518:
	s_cmp_gt_i32 s0, 0
	s_mov_b32 s0, 0
	s_cbranch_scc0 .LBB66_520
; %bb.519:
	global_load_sbyte v3, v[0:1], off
	s_waitcnt vmcnt(0)
	v_cvt_f16_i16_e32 v3, v3
	s_branch .LBB66_521
.LBB66_520:
	s_mov_b32 s0, -1
                                        ; implicit-def: $vgpr3
.LBB66_521:
	s_andn2_b32 vcc_lo, exec_lo, s0
	s_cbranch_vccnz .LBB66_523
; %bb.522:
	global_load_ubyte v0, v[0:1], off
	s_waitcnt vmcnt(0)
	v_cvt_f16_u16_e32 v3, v0
.LBB66_523:
	s_branch .LBB66_272
.LBB66_524:
	s_mov_b32 s1, 0
	s_mov_b32 s0, s14
.LBB66_525:
                                        ; implicit-def: $vgpr2
.LBB66_526:
	s_andn2_b32 s2, s14, exec_lo
	s_and_b32 s0, s0, exec_lo
	s_andn2_b32 s3, s16, exec_lo
	s_and_b32 s18, s18, exec_lo
	s_or_b32 s19, s2, s0
	s_or_b32 s18, s3, s18
	s_orn2_b32 s0, s1, exec_lo
.LBB66_527:
	s_or_b32 exec_lo, exec_lo, s20
	s_mov_b32 s1, 0
	s_mov_b32 s2, 0
	;; [unrolled: 1-line block ×3, first 2 shown]
                                        ; implicit-def: $vgpr0_vgpr1
                                        ; implicit-def: $vgpr4
	s_and_saveexec_b32 s20, s0
	s_cbranch_execz .LBB66_880
; %bb.528:
	s_mov_b32 s23, -1
	s_mov_b32 s0, s18
	s_mov_b32 s1, s19
	s_mov_b32 s21, exec_lo
	v_cmpx_gt_i32_e64 s15, v2
	s_cbranch_execz .LBB66_794
; %bb.529:
	v_mul_lo_u32 v0, v2, s13
	s_and_b32 s0, 0xffff, s6
	s_cmp_lt_i32 s0, 11
	v_ashrrev_i32_e32 v1, 31, v0
	v_add_co_u32 v0, vcc_lo, s10, v0
	v_add_co_ci_u32_e64 v1, null, s11, v1, vcc_lo
	s_cbranch_scc1 .LBB66_536
; %bb.530:
	s_cmp_gt_i32 s0, 25
	s_cbranch_scc0 .LBB66_537
; %bb.531:
	s_cmp_gt_i32 s0, 28
	s_cbranch_scc0 .LBB66_538
	;; [unrolled: 3-line block ×4, first 2 shown]
; %bb.534:
	s_cmp_eq_u32 s0, 46
	s_cbranch_scc0 .LBB66_545
; %bb.535:
	global_load_dword v3, v[0:1], off
	s_mov_b32 s1, -1
	s_mov_b32 s22, 0
	s_waitcnt vmcnt(0)
	v_lshlrev_b32_e32 v3, 16, v3
	v_cvt_f16_f32_e32 v3, v3
	s_branch .LBB66_547
.LBB66_536:
	s_mov_b32 s2, -1
	s_mov_b32 s1, 0
	s_mov_b32 s22, s18
                                        ; implicit-def: $vgpr3
	s_branch .LBB66_612
.LBB66_537:
	s_mov_b32 s2, -1
	s_mov_b32 s1, 0
	s_mov_b32 s22, s18
                                        ; implicit-def: $vgpr3
	s_branch .LBB66_576
.LBB66_538:
	s_mov_b32 s2, -1
	s_mov_b32 s1, 0
	s_mov_b32 s22, s18
                                        ; implicit-def: $vgpr3
	s_branch .LBB66_557
.LBB66_539:
	s_mov_b32 s2, -1
	s_mov_b32 s1, 0
	s_mov_b32 s22, s18
                                        ; implicit-def: $vgpr3
	s_branch .LBB66_552
.LBB66_540:
	s_andn2_saveexec_b32 s21, s21
	s_cbranch_execz .LBB66_324
.LBB66_541:
	v_add_f32_e64 v5, 0x46000000, |v4|
	s_andn2_b32 s19, s19, exec_lo
	v_and_b32_e32 v5, 0xff, v5
	v_cmp_ne_u32_e32 vcc_lo, 0, v5
	s_and_b32 s22, vcc_lo, exec_lo
	s_or_b32 s19, s19, s22
	s_or_b32 exec_lo, exec_lo, s21
	v_mov_b32_e32 v6, 0
	s_and_saveexec_b32 s21, s19
	s_cbranch_execnz .LBB66_325
	s_branch .LBB66_326
.LBB66_542:
	s_mov_b32 s2, -1
	s_mov_b32 s1, 0
	s_mov_b32 s22, s18
	s_branch .LBB66_546
.LBB66_543:
	s_andn2_saveexec_b32 s21, s21
	s_cbranch_execz .LBB66_337
.LBB66_544:
	v_add_f32_e64 v5, 0x42800000, |v4|
	s_andn2_b32 s19, s19, exec_lo
	v_and_b32_e32 v5, 0xff, v5
	v_cmp_ne_u32_e32 vcc_lo, 0, v5
	s_and_b32 s22, vcc_lo, exec_lo
	s_or_b32 s19, s19, s22
	s_or_b32 exec_lo, exec_lo, s21
	v_mov_b32_e32 v6, 0
	s_and_saveexec_b32 s21, s19
	s_cbranch_execnz .LBB66_338
	s_branch .LBB66_339
.LBB66_545:
	s_mov_b32 s22, -1
	s_mov_b32 s1, 0
.LBB66_546:
                                        ; implicit-def: $vgpr3
.LBB66_547:
	s_and_b32 vcc_lo, exec_lo, s2
	s_cbranch_vccz .LBB66_551
; %bb.548:
	s_cmp_eq_u32 s0, 44
	s_cbranch_scc0 .LBB66_550
; %bb.549:
	global_load_ubyte v3, v[0:1], off
	s_mov_b32 s22, 0
	s_mov_b32 s1, -1
	s_waitcnt vmcnt(0)
	v_lshlrev_b32_e32 v4, 23, v3
	v_cmp_ne_u32_e32 vcc_lo, 0xff, v3
	v_cvt_f16_f32_e32 v4, v4
	v_cndmask_b32_e32 v4, 0x7e00, v4, vcc_lo
	v_cmp_ne_u32_e32 vcc_lo, 0, v3
	v_cndmask_b32_e32 v3, 0, v4, vcc_lo
	s_branch .LBB66_551
.LBB66_550:
	s_mov_b32 s22, -1
                                        ; implicit-def: $vgpr3
.LBB66_551:
	s_mov_b32 s2, 0
.LBB66_552:
	s_and_b32 vcc_lo, exec_lo, s2
	s_cbranch_vccz .LBB66_556
; %bb.553:
	s_cmp_eq_u32 s0, 29
	s_cbranch_scc0 .LBB66_555
; %bb.554:
	global_load_dwordx2 v[3:4], v[0:1], off
	s_mov_b32 s1, -1
	s_mov_b32 s22, 0
	s_mov_b32 s2, 0
	s_waitcnt vmcnt(0)
	v_ffbh_u32_e32 v5, v4
	v_min_u32_e32 v5, 32, v5
	v_lshlrev_b64 v[3:4], v5, v[3:4]
	v_min_u32_e32 v3, 1, v3
	v_or_b32_e32 v3, v4, v3
	v_sub_nc_u32_e32 v4, 32, v5
	v_cvt_f32_u32_e32 v3, v3
	v_ldexp_f32 v3, v3, v4
	v_cvt_f16_f32_e32 v3, v3
	s_branch .LBB66_557
.LBB66_555:
	s_mov_b32 s22, -1
                                        ; implicit-def: $vgpr3
.LBB66_556:
	s_mov_b32 s2, 0
.LBB66_557:
	s_and_b32 vcc_lo, exec_lo, s2
	s_cbranch_vccz .LBB66_575
; %bb.558:
	s_cmp_lt_i32 s0, 27
	s_cbranch_scc1 .LBB66_561
; %bb.559:
	s_cmp_gt_i32 s0, 27
	s_cbranch_scc0 .LBB66_562
; %bb.560:
	global_load_dword v3, v[0:1], off
	s_mov_b32 s1, 0
	s_waitcnt vmcnt(0)
	v_cvt_f32_u32_e32 v3, v3
	v_cvt_f16_f32_e32 v3, v3
	s_branch .LBB66_563
.LBB66_561:
	s_mov_b32 s1, -1
                                        ; implicit-def: $vgpr3
	s_branch .LBB66_566
.LBB66_562:
	s_mov_b32 s1, -1
                                        ; implicit-def: $vgpr3
.LBB66_563:
	s_andn2_b32 vcc_lo, exec_lo, s1
	s_cbranch_vccnz .LBB66_565
; %bb.564:
	global_load_ushort v3, v[0:1], off
	s_waitcnt vmcnt(0)
	v_cvt_f16_u16_e32 v3, v3
.LBB66_565:
	s_mov_b32 s1, 0
.LBB66_566:
	s_andn2_b32 vcc_lo, exec_lo, s1
	s_cbranch_vccnz .LBB66_574
; %bb.567:
	global_load_ubyte v4, v[0:1], off
	s_mov_b32 s1, 0
	s_mov_b32 s2, exec_lo
	s_waitcnt vmcnt(0)
	v_cmpx_lt_i16_e32 0x7f, v4
	s_xor_b32 s2, exec_lo, s2
	s_cbranch_execz .LBB66_588
; %bb.568:
	s_mov_b32 s1, -1
	s_mov_b32 s3, exec_lo
	v_cmpx_eq_u16_e32 0x80, v4
; %bb.569:
	s_xor_b32 s1, exec_lo, -1
; %bb.570:
	s_or_b32 exec_lo, exec_lo, s3
	s_and_b32 s1, s1, exec_lo
	s_or_saveexec_b32 s2, s2
	v_mov_b32_e32 v3, 0x7e00
	s_xor_b32 exec_lo, exec_lo, s2
	s_cbranch_execnz .LBB66_589
.LBB66_571:
	s_or_b32 exec_lo, exec_lo, s2
	s_and_saveexec_b32 s2, s1
	s_cbranch_execz .LBB66_573
.LBB66_572:
	v_and_b32_e32 v3, 0xffff, v4
	v_lshlrev_b32_e32 v4, 24, v4
	v_and_b32_e32 v5, 7, v3
	v_bfe_u32 v8, v3, 3, 4
	v_and_b32_e32 v4, 0x80000000, v4
	v_ffbh_u32_e32 v6, v5
	v_cmp_eq_u32_e32 vcc_lo, 0, v8
	v_min_u32_e32 v6, 32, v6
	v_subrev_nc_u32_e32 v7, 28, v6
	v_sub_nc_u32_e32 v6, 29, v6
	v_lshlrev_b32_e32 v3, v7, v3
	v_cndmask_b32_e32 v6, v8, v6, vcc_lo
	v_and_b32_e32 v3, 7, v3
	v_cndmask_b32_e32 v3, v5, v3, vcc_lo
	v_lshl_add_u32 v5, v6, 23, 0x3b800000
	v_lshlrev_b32_e32 v3, 20, v3
	v_or3_b32 v3, v4, v5, v3
	v_cvt_f16_f32_e32 v3, v3
.LBB66_573:
	s_or_b32 exec_lo, exec_lo, s2
.LBB66_574:
	s_mov_b32 s1, -1
.LBB66_575:
	s_mov_b32 s2, 0
.LBB66_576:
	s_and_b32 vcc_lo, exec_lo, s2
	s_cbranch_vccz .LBB66_611
; %bb.577:
	s_cmp_gt_i32 s0, 22
	s_cbranch_scc0 .LBB66_587
; %bb.578:
	s_cmp_lt_i32 s0, 24
	s_cbranch_scc1 .LBB66_590
; %bb.579:
	s_cmp_gt_i32 s0, 24
	s_cbranch_scc0 .LBB66_591
; %bb.580:
	global_load_ubyte v4, v[0:1], off
	s_mov_b32 s1, 0
	s_mov_b32 s2, exec_lo
	s_waitcnt vmcnt(0)
	v_cmpx_lt_i16_e32 0x7f, v4
	s_xor_b32 s2, exec_lo, s2
	s_cbranch_execz .LBB66_603
; %bb.581:
	s_mov_b32 s1, -1
	s_mov_b32 s3, exec_lo
	v_cmpx_eq_u16_e32 0x80, v4
; %bb.582:
	s_xor_b32 s1, exec_lo, -1
; %bb.583:
	s_or_b32 exec_lo, exec_lo, s3
	s_and_b32 s1, s1, exec_lo
	s_or_saveexec_b32 s2, s2
	v_mov_b32_e32 v3, 0x7e00
	s_xor_b32 exec_lo, exec_lo, s2
	s_cbranch_execnz .LBB66_604
.LBB66_584:
	s_or_b32 exec_lo, exec_lo, s2
	s_and_saveexec_b32 s2, s1
	s_cbranch_execz .LBB66_586
.LBB66_585:
	v_and_b32_e32 v3, 0xffff, v4
	v_lshlrev_b32_e32 v4, 24, v4
	v_and_b32_e32 v5, 3, v3
	v_bfe_u32 v8, v3, 2, 5
	v_and_b32_e32 v4, 0x80000000, v4
	v_ffbh_u32_e32 v6, v5
	v_cmp_eq_u32_e32 vcc_lo, 0, v8
	v_min_u32_e32 v6, 32, v6
	v_subrev_nc_u32_e32 v7, 29, v6
	v_sub_nc_u32_e32 v6, 30, v6
	v_lshlrev_b32_e32 v3, v7, v3
	v_cndmask_b32_e32 v6, v8, v6, vcc_lo
	v_and_b32_e32 v3, 3, v3
	v_cndmask_b32_e32 v3, v5, v3, vcc_lo
	v_lshl_add_u32 v5, v6, 23, 0x37800000
	v_lshlrev_b32_e32 v3, 21, v3
	v_or3_b32 v3, v4, v5, v3
	v_cvt_f16_f32_e32 v3, v3
.LBB66_586:
	s_or_b32 exec_lo, exec_lo, s2
	s_mov_b32 s1, 0
	s_branch .LBB66_592
.LBB66_587:
	s_mov_b32 s2, -1
                                        ; implicit-def: $vgpr3
	s_branch .LBB66_598
.LBB66_588:
	s_or_saveexec_b32 s2, s2
	v_mov_b32_e32 v3, 0x7e00
	s_xor_b32 exec_lo, exec_lo, s2
	s_cbranch_execz .LBB66_571
.LBB66_589:
	v_cmp_ne_u16_e32 vcc_lo, 0, v4
	v_mov_b32_e32 v3, v4
	s_andn2_b32 s1, s1, exec_lo
	s_and_b32 s3, vcc_lo, exec_lo
	s_or_b32 s1, s1, s3
	s_or_b32 exec_lo, exec_lo, s2
	s_and_saveexec_b32 s2, s1
	s_cbranch_execnz .LBB66_572
	s_branch .LBB66_573
.LBB66_590:
	s_mov_b32 s1, -1
                                        ; implicit-def: $vgpr3
	s_branch .LBB66_595
.LBB66_591:
	s_mov_b32 s1, -1
                                        ; implicit-def: $vgpr3
.LBB66_592:
	s_and_b32 vcc_lo, exec_lo, s1
	s_cbranch_vccz .LBB66_594
; %bb.593:
	global_load_ubyte v3, v[0:1], off
	s_waitcnt vmcnt(0)
	v_lshlrev_b32_e32 v3, 24, v3
	v_and_b32_e32 v4, 0x7f000000, v3
	v_ffbh_u32_e32 v5, v4
	v_add_nc_u32_e32 v7, 0x1000000, v4
	v_cmp_ne_u32_e32 vcc_lo, 0, v4
	v_min_u32_e32 v5, 32, v5
	v_sub_nc_u32_e64 v5, v5, 4 clamp
	v_lshlrev_b32_e32 v6, v5, v4
	v_lshlrev_b32_e32 v5, 23, v5
	v_lshrrev_b32_e32 v6, 4, v6
	v_sub_nc_u32_e32 v5, v6, v5
	v_ashrrev_i32_e32 v6, 8, v7
	v_add_nc_u32_e32 v5, 0x3c000000, v5
	v_and_or_b32 v5, 0x7f800000, v6, v5
	v_cndmask_b32_e32 v4, 0, v5, vcc_lo
	v_and_or_b32 v3, 0x80000000, v3, v4
	v_cvt_f16_f32_e32 v3, v3
.LBB66_594:
	s_mov_b32 s1, 0
.LBB66_595:
	s_andn2_b32 vcc_lo, exec_lo, s1
	s_cbranch_vccnz .LBB66_597
; %bb.596:
	global_load_ubyte v3, v[0:1], off
	s_waitcnt vmcnt(0)
	v_lshlrev_b32_e32 v4, 25, v3
	v_lshlrev_b16 v3, 8, v3
	v_lshrrev_b32_e32 v5, 4, v4
	v_and_or_b32 v6, 0x7f00, v3, 0.5
	v_cmp_gt_u32_e32 vcc_lo, 0x8000000, v4
	v_bfe_i32 v3, v3, 0, 16
	v_or_b32_e32 v5, 0x70000000, v5
	v_add_f32_e32 v6, -0.5, v6
	v_mul_f32_e32 v5, 0x7800000, v5
	v_cndmask_b32_e32 v4, v5, v6, vcc_lo
	v_and_or_b32 v3, 0x80000000, v3, v4
	v_cvt_f16_f32_e32 v3, v3
.LBB66_597:
	s_mov_b32 s2, 0
	s_mov_b32 s1, -1
.LBB66_598:
	s_andn2_b32 vcc_lo, exec_lo, s2
	s_cbranch_vccnz .LBB66_611
; %bb.599:
	s_cmp_gt_i32 s0, 14
	s_cbranch_scc0 .LBB66_602
; %bb.600:
	s_cmp_eq_u32 s0, 15
	s_cbranch_scc0 .LBB66_605
; %bb.601:
	global_load_ushort v3, v[0:1], off
	s_mov_b32 s1, -1
	s_mov_b32 s22, 0
	s_waitcnt vmcnt(0)
	v_lshlrev_b32_e32 v3, 16, v3
	v_cvt_f16_f32_e32 v3, v3
	s_branch .LBB66_606
.LBB66_602:
	s_mov_b32 s2, -1
                                        ; implicit-def: $vgpr3
	s_branch .LBB66_607
.LBB66_603:
	s_or_saveexec_b32 s2, s2
	v_mov_b32_e32 v3, 0x7e00
	s_xor_b32 exec_lo, exec_lo, s2
	s_cbranch_execz .LBB66_584
.LBB66_604:
	v_cmp_ne_u16_e32 vcc_lo, 0, v4
	v_mov_b32_e32 v3, v4
	s_andn2_b32 s1, s1, exec_lo
	s_and_b32 s3, vcc_lo, exec_lo
	s_or_b32 s1, s1, s3
	s_or_b32 exec_lo, exec_lo, s2
	s_and_saveexec_b32 s2, s1
	s_cbranch_execnz .LBB66_585
	s_branch .LBB66_586
.LBB66_605:
	s_mov_b32 s22, -1
                                        ; implicit-def: $vgpr3
.LBB66_606:
	s_mov_b32 s2, 0
.LBB66_607:
	s_and_b32 vcc_lo, exec_lo, s2
	s_cbranch_vccz .LBB66_611
; %bb.608:
	s_cmp_eq_u32 s0, 11
	s_cbranch_scc0 .LBB66_610
; %bb.609:
	global_load_ubyte v3, v[0:1], off
	s_mov_b32 s22, 0
	s_mov_b32 s1, -1
	s_waitcnt vmcnt(0)
	v_cmp_ne_u16_e32 vcc_lo, 0, v3
	v_cndmask_b32_e64 v3, 0, 0x3c00, vcc_lo
	s_branch .LBB66_611
.LBB66_610:
	s_mov_b32 s22, -1
                                        ; implicit-def: $vgpr3
.LBB66_611:
	s_mov_b32 s2, 0
.LBB66_612:
	s_and_b32 vcc_lo, exec_lo, s2
	s_cbranch_vccz .LBB66_661
; %bb.613:
	s_cmp_lt_i32 s0, 5
	s_cbranch_scc1 .LBB66_618
; %bb.614:
	s_cmp_lt_i32 s0, 8
	s_cbranch_scc1 .LBB66_619
	;; [unrolled: 3-line block ×3, first 2 shown]
; %bb.616:
	s_cmp_gt_i32 s0, 9
	s_cbranch_scc0 .LBB66_621
; %bb.617:
	global_load_dwordx2 v[3:4], v[0:1], off
	s_mov_b32 s1, 0
	s_waitcnt vmcnt(0)
	v_and_or_b32 v3, 0x1ff, v4, v3
	v_lshrrev_b32_e32 v5, 8, v4
	v_bfe_u32 v6, v4, 20, 11
	v_lshrrev_b32_e32 v4, 16, v4
	v_cmp_ne_u32_e32 vcc_lo, 0, v3
	v_sub_nc_u32_e32 v7, 0x3f1, v6
	v_add_nc_u32_e32 v6, 0xfffffc10, v6
	v_cndmask_b32_e64 v3, 0, 1, vcc_lo
	v_and_or_b32 v3, 0xffe, v5, v3
	v_med3_i32 v5, v7, 0, 13
	v_or_b32_e32 v7, 0x1000, v3
	v_lshrrev_b32_e32 v8, v5, v7
	v_lshlrev_b32_e32 v5, v5, v8
	v_cmp_ne_u32_e32 vcc_lo, v5, v7
	v_lshl_or_b32 v7, v6, 12, v3
	v_cndmask_b32_e64 v5, 0, 1, vcc_lo
	v_cmp_gt_i32_e32 vcc_lo, 1, v6
	v_or_b32_e32 v5, v8, v5
	v_cndmask_b32_e32 v5, v7, v5, vcc_lo
	v_and_b32_e32 v7, 7, v5
	v_lshrrev_b32_e32 v5, 2, v5
	v_cmp_lt_i32_e32 vcc_lo, 5, v7
	v_cndmask_b32_e64 v8, 0, 1, vcc_lo
	v_cmp_eq_u32_e32 vcc_lo, 3, v7
	v_cndmask_b32_e64 v7, 0, 1, vcc_lo
	v_cmp_ne_u32_e32 vcc_lo, 0, v3
	v_or_b32_e32 v7, v7, v8
	v_mov_b32_e32 v8, 0x7e00
	v_add_nc_u32_e32 v5, v5, v7
	v_cndmask_b32_e32 v3, 0x7c00, v8, vcc_lo
	v_cmp_gt_i32_e32 vcc_lo, 31, v6
	v_cndmask_b32_e32 v5, 0x7c00, v5, vcc_lo
	v_cmp_eq_u32_e32 vcc_lo, 0x40f, v6
	v_cndmask_b32_e32 v3, v5, v3, vcc_lo
	v_and_or_b32 v3, 0x8000, v4, v3
	s_branch .LBB66_622
.LBB66_618:
	s_mov_b32 s1, -1
                                        ; implicit-def: $vgpr3
	s_branch .LBB66_640
.LBB66_619:
	s_mov_b32 s1, -1
                                        ; implicit-def: $vgpr3
	s_branch .LBB66_628
.LBB66_620:
	s_mov_b32 s1, -1
                                        ; implicit-def: $vgpr3
	s_branch .LBB66_625
.LBB66_621:
	s_mov_b32 s1, -1
                                        ; implicit-def: $vgpr3
.LBB66_622:
	s_andn2_b32 vcc_lo, exec_lo, s1
	s_cbranch_vccnz .LBB66_624
; %bb.623:
	global_load_dword v3, v[0:1], off
	s_waitcnt vmcnt(0)
	v_cvt_f16_f32_e32 v3, v3
.LBB66_624:
	s_mov_b32 s1, 0
.LBB66_625:
	s_andn2_b32 vcc_lo, exec_lo, s1
	s_cbranch_vccnz .LBB66_627
; %bb.626:
	global_load_dword v3, v[0:1], off
.LBB66_627:
	s_mov_b32 s1, 0
.LBB66_628:
	s_andn2_b32 vcc_lo, exec_lo, s1
	s_cbranch_vccnz .LBB66_639
; %bb.629:
	s_cmp_lt_i32 s0, 6
	s_cbranch_scc1 .LBB66_632
; %bb.630:
	s_cmp_gt_i32 s0, 6
	s_cbranch_scc0 .LBB66_633
; %bb.631:
	global_load_dwordx2 v[3:4], v[0:1], off
	s_mov_b32 s1, 0
	s_waitcnt vmcnt(0)
	v_and_or_b32 v3, 0x1ff, v4, v3
	v_lshrrev_b32_e32 v5, 8, v4
	v_bfe_u32 v6, v4, 20, 11
	v_lshrrev_b32_e32 v4, 16, v4
	v_cmp_ne_u32_e32 vcc_lo, 0, v3
	v_sub_nc_u32_e32 v7, 0x3f1, v6
	v_add_nc_u32_e32 v6, 0xfffffc10, v6
	v_cndmask_b32_e64 v3, 0, 1, vcc_lo
	v_and_or_b32 v3, 0xffe, v5, v3
	v_med3_i32 v5, v7, 0, 13
	v_or_b32_e32 v7, 0x1000, v3
	v_lshrrev_b32_e32 v8, v5, v7
	v_lshlrev_b32_e32 v5, v5, v8
	v_cmp_ne_u32_e32 vcc_lo, v5, v7
	v_lshl_or_b32 v7, v6, 12, v3
	v_cndmask_b32_e64 v5, 0, 1, vcc_lo
	v_cmp_gt_i32_e32 vcc_lo, 1, v6
	v_or_b32_e32 v5, v8, v5
	v_cndmask_b32_e32 v5, v7, v5, vcc_lo
	v_and_b32_e32 v7, 7, v5
	v_lshrrev_b32_e32 v5, 2, v5
	v_cmp_lt_i32_e32 vcc_lo, 5, v7
	v_cndmask_b32_e64 v8, 0, 1, vcc_lo
	v_cmp_eq_u32_e32 vcc_lo, 3, v7
	v_cndmask_b32_e64 v7, 0, 1, vcc_lo
	v_cmp_ne_u32_e32 vcc_lo, 0, v3
	v_or_b32_e32 v7, v7, v8
	v_mov_b32_e32 v8, 0x7e00
	v_add_nc_u32_e32 v5, v5, v7
	v_cndmask_b32_e32 v3, 0x7c00, v8, vcc_lo
	v_cmp_gt_i32_e32 vcc_lo, 31, v6
	v_cndmask_b32_e32 v5, 0x7c00, v5, vcc_lo
	v_cmp_eq_u32_e32 vcc_lo, 0x40f, v6
	v_cndmask_b32_e32 v3, v5, v3, vcc_lo
	v_and_or_b32 v3, 0x8000, v4, v3
	s_branch .LBB66_634
.LBB66_632:
	s_mov_b32 s1, -1
                                        ; implicit-def: $vgpr3
	s_branch .LBB66_637
.LBB66_633:
	s_mov_b32 s1, -1
                                        ; implicit-def: $vgpr3
.LBB66_634:
	s_andn2_b32 vcc_lo, exec_lo, s1
	s_cbranch_vccnz .LBB66_636
; %bb.635:
	global_load_dword v3, v[0:1], off
	s_waitcnt vmcnt(0)
	v_cvt_f16_f32_e32 v3, v3
.LBB66_636:
	s_mov_b32 s1, 0
.LBB66_637:
	s_andn2_b32 vcc_lo, exec_lo, s1
	s_cbranch_vccnz .LBB66_639
; %bb.638:
	global_load_ushort v3, v[0:1], off
.LBB66_639:
	s_mov_b32 s1, 0
.LBB66_640:
	s_andn2_b32 vcc_lo, exec_lo, s1
	s_cbranch_vccnz .LBB66_660
; %bb.641:
	s_cmp_lt_i32 s0, 2
	s_cbranch_scc1 .LBB66_645
; %bb.642:
	s_cmp_lt_i32 s0, 3
	s_cbranch_scc1 .LBB66_646
; %bb.643:
	s_cmp_gt_i32 s0, 3
	s_cbranch_scc0 .LBB66_647
; %bb.644:
	global_load_dwordx2 v[3:4], v[0:1], off
	s_mov_b32 s1, 0
	s_waitcnt vmcnt(0)
	v_xor_b32_e32 v5, v3, v4
	v_ffbh_i32_e32 v6, v4
	v_ashrrev_i32_e32 v5, 31, v5
	v_add_nc_u32_e32 v6, -1, v6
	v_add_nc_u32_e32 v5, 32, v5
	v_min_u32_e32 v5, v6, v5
	v_lshlrev_b64 v[3:4], v5, v[3:4]
	v_min_u32_e32 v3, 1, v3
	v_or_b32_e32 v3, v4, v3
	v_sub_nc_u32_e32 v4, 32, v5
	v_cvt_f32_i32_e32 v3, v3
	v_ldexp_f32 v3, v3, v4
	v_cvt_f16_f32_e32 v3, v3
	s_branch .LBB66_648
.LBB66_645:
	s_mov_b32 s1, -1
                                        ; implicit-def: $vgpr3
	s_branch .LBB66_654
.LBB66_646:
	s_mov_b32 s1, -1
                                        ; implicit-def: $vgpr3
	s_branch .LBB66_651
.LBB66_647:
	s_mov_b32 s1, -1
                                        ; implicit-def: $vgpr3
.LBB66_648:
	s_andn2_b32 vcc_lo, exec_lo, s1
	s_cbranch_vccnz .LBB66_650
; %bb.649:
	global_load_dword v3, v[0:1], off
	s_waitcnt vmcnt(0)
	v_cvt_f32_i32_e32 v3, v3
	v_cvt_f16_f32_e32 v3, v3
.LBB66_650:
	s_mov_b32 s1, 0
.LBB66_651:
	s_andn2_b32 vcc_lo, exec_lo, s1
	s_cbranch_vccnz .LBB66_653
; %bb.652:
	global_load_ushort v3, v[0:1], off
	s_waitcnt vmcnt(0)
	v_cvt_f16_i16_e32 v3, v3
.LBB66_653:
	s_mov_b32 s1, 0
.LBB66_654:
	s_andn2_b32 vcc_lo, exec_lo, s1
	s_cbranch_vccnz .LBB66_660
; %bb.655:
	s_cmp_gt_i32 s0, 0
	s_mov_b32 s0, 0
	s_cbranch_scc0 .LBB66_657
; %bb.656:
	global_load_sbyte v3, v[0:1], off
	s_waitcnt vmcnt(0)
	v_cvt_f16_i16_e32 v3, v3
	s_branch .LBB66_658
.LBB66_657:
	s_mov_b32 s0, -1
                                        ; implicit-def: $vgpr3
.LBB66_658:
	s_andn2_b32 vcc_lo, exec_lo, s0
	s_cbranch_vccnz .LBB66_660
; %bb.659:
	global_load_ubyte v0, v[0:1], off
	s_waitcnt vmcnt(0)
	v_cvt_f16_u16_e32 v3, v0
.LBB66_660:
	s_mov_b32 s1, -1
.LBB66_661:
	s_andn2_b32 vcc_lo, exec_lo, s1
	s_cbranch_vccnz .LBB66_675
; %bb.662:
	s_waitcnt vmcnt(0)
	v_cvt_f32_f16_e32 v0, v3
	v_cmp_gt_f16_e32 vcc_lo, 0.5, v3
	v_mov_b32_e32 v1, 0
	v_mov_b32_e32 v3, 1.0
	s_and_saveexec_b32 s2, vcc_lo
	s_cbranch_execz .LBB66_668
; %bb.663:
	v_mul_f32_e32 v1, 0x40490fdb, v0
                                        ; implicit-def: $vgpr5
                                        ; implicit-def: $vgpr4
	s_mov_b32 s1, exec_lo
	v_and_b32_e32 v3, 0x7fffffff, v1
	v_cmpx_ngt_f32_e64 0x48000000, |v1|
	s_xor_b32 s3, exec_lo, s1
	s_cbranch_execz .LBB66_665
; %bb.664:
	s_mov_b32 s0, 0x7fffff
	v_mov_b32_e32 v6, 0
	v_and_or_b32 v13, v3, s0, 0x800000
	v_lshrrev_b32_e32 v11, 23, v3
	v_mad_u64_u32 v[4:5], null, 0xfe5163ab, v13, 0
	v_add_nc_u32_e32 v12, 0xffffff88, v11
	v_cmp_lt_u32_e32 vcc_lo, 63, v12
	v_mad_u64_u32 v[7:8], null, 0x3c439041, v13, v[5:6]
	v_cndmask_b32_e64 v14, 0, 0xffffffc0, vcc_lo
	v_mov_b32_e32 v5, v8
	v_add_nc_u32_e32 v14, v14, v12
	v_mad_u64_u32 v[8:9], null, 0xdb629599, v13, v[5:6]
	v_cmp_lt_u32_e64 s0, 31, v14
	v_cndmask_b32_e64 v15, 0, 0xffffffe0, s0
	v_mov_b32_e32 v5, v9
	v_cndmask_b32_e32 v4, v8, v4, vcc_lo
	v_mad_u64_u32 v[9:10], null, 0xf534ddc0, v13, v[5:6]
	v_mov_b32_e32 v5, v10
	v_cndmask_b32_e32 v7, v9, v7, vcc_lo
	v_mad_u64_u32 v[10:11], null, 0xfc2757d1, v13, v[5:6]
	v_cndmask_b32_e64 v4, v7, v4, s0
	v_mov_b32_e32 v5, v11
	v_mad_u64_u32 v[11:12], null, 0x4e441529, v13, v[5:6]
	v_mov_b32_e32 v5, v12
	v_add_nc_u32_e32 v12, v15, v14
	v_cndmask_b32_e32 v14, v11, v9, vcc_lo
	v_mad_u64_u32 v[5:6], null, 0xa2f9836e, v13, v[5:6]
	v_cmp_lt_u32_e64 s1, 31, v12
	v_cndmask_b32_e64 v13, 0, 0xffffffe0, s1
	v_cndmask_b32_e32 v5, v5, v10, vcc_lo
	v_cndmask_b32_e32 v6, v6, v11, vcc_lo
	;; [unrolled: 1-line block ×3, first 2 shown]
	v_add_nc_u32_e32 v11, v13, v12
	v_cndmask_b32_e64 v9, v5, v14, s0
	v_cndmask_b32_e64 v5, v6, v5, s0
	;; [unrolled: 1-line block ×4, first 2 shown]
	v_sub_nc_u32_e32 v12, 32, v11
	v_cmp_eq_u32_e32 vcc_lo, 0, v11
	v_cndmask_b32_e64 v5, v5, v9, s1
	v_cndmask_b32_e64 v9, v9, v6, s1
	;; [unrolled: 1-line block ×4, first 2 shown]
	v_alignbit_b32 v13, v5, v9, v12
	v_alignbit_b32 v8, v9, v6, v12
	;; [unrolled: 1-line block ×3, first 2 shown]
	v_cndmask_b32_e32 v5, v13, v5, vcc_lo
	v_cndmask_b32_e32 v7, v8, v9, vcc_lo
	;; [unrolled: 1-line block ×3, first 2 shown]
	v_bfe_u32 v8, v5, 29, 1
	v_alignbit_b32 v9, v5, v7, 30
	v_alignbit_b32 v7, v7, v6, 30
	;; [unrolled: 1-line block ×3, first 2 shown]
	v_sub_nc_u32_e32 v10, 0, v8
	v_xor_b32_e32 v9, v9, v10
	v_xor_b32_e32 v6, v7, v10
	;; [unrolled: 1-line block ×3, first 2 shown]
	v_lshrrev_b32_e32 v10, 29, v5
	v_lshrrev_b32_e32 v5, 30, v5
	v_ffbh_u32_e32 v11, v9
	v_add_nc_u32_e32 v5, v8, v5
	v_min_u32_e32 v11, 32, v11
	v_sub_nc_u32_e32 v7, 31, v11
	v_lshlrev_b32_e32 v12, 23, v11
	v_alignbit_b32 v9, v9, v6, v7
	v_alignbit_b32 v4, v6, v4, v7
	v_lshlrev_b32_e32 v6, 31, v10
	v_alignbit_b32 v7, v9, v4, 9
	v_or_b32_e32 v10, 0.5, v6
	v_lshrrev_b32_e32 v9, 9, v9
	v_or_b32_e32 v6, 0x33000000, v6
	v_ffbh_u32_e32 v13, v7
	v_sub_nc_u32_e32 v10, v10, v12
	v_min_u32_e32 v12, 32, v13
	v_or_b32_e32 v9, v9, v10
	v_not_b32_e32 v10, v12
	v_mul_f32_e32 v13, 0x3fc90fda, v9
	v_add_lshl_u32 v11, v12, v11, 23
	v_alignbit_b32 v4, v7, v4, v10
	v_fma_f32 v7, 0x3fc90fda, v9, -v13
	v_sub_nc_u32_e32 v6, v6, v11
	v_lshrrev_b32_e32 v4, 9, v4
	v_fmamk_f32 v7, v9, 0x33a22168, v7
	v_or_b32_e32 v4, v6, v4
	v_fmac_f32_e32 v7, 0x3fc90fda, v4
	v_add_f32_e32 v4, v13, v7
.LBB66_665:
	s_andn2_saveexec_b32 s0, s3
; %bb.666:
	v_mul_f32_e64 v4, 0x3f22f983, |v1|
	v_rndne_f32_e32 v5, v4
	v_fma_f32 v4, 0xbfc90fda, v5, |v1|
	v_fmamk_f32 v4, v5, 0xb3a22168, v4
	v_fmamk_f32 v4, v5, 0xa7c234c4, v4
	v_cvt_i32_f32_e32 v5, v5
; %bb.667:
	s_or_b32 exec_lo, exec_lo, s0
	v_mul_f32_e32 v6, v4, v4
	s_mov_b32 s0, 0xb94c1982
	s_mov_b32 s1, 0x37d75334
	v_and_b32_e32 v9, 1, v5
	v_lshlrev_b32_e32 v5, 30, v5
	v_fmaak_f32 v7, s0, v6, 0x3c0881c4
	v_fmaak_f32 v8, s1, v6, 0xbab64f3b
	v_xor_b32_e32 v3, v3, v1
	v_cmp_eq_u32_e32 vcc_lo, 0, v9
	v_and_b32_e32 v5, 0x80000000, v5
	v_fmaak_f32 v7, v6, v7, 0xbe2aaa9d
	v_fmaak_f32 v8, v6, v8, 0x3d2aabf7
	v_sub_f32_e32 v0, 1.0, v0
	v_mul_f32_e32 v7, v6, v7
	v_fmaak_f32 v8, v6, v8, 0xbf000004
	v_fmac_f32_e32 v4, v4, v7
	v_fma_f32 v6, v6, v8, 1.0
	v_cndmask_b32_e32 v4, v6, v4, vcc_lo
	v_cmp_class_f32_e64 vcc_lo, v1, 0x1f8
	v_xor3_b32 v3, v3, v5, v4
	v_cndmask_b32_e32 v1, 0x7fc00000, v3, vcc_lo
	v_mul_f32_e32 v1, v1, v1
	v_div_scale_f32 v3, null, v1, v1, 0xc11de9e7
	v_div_scale_f32 v6, vcc_lo, 0xc11de9e7, v1, 0xc11de9e7
	v_rcp_f32_e32 v4, v3
	v_fma_f32 v5, -v3, v4, 1.0
	v_fmac_f32_e32 v4, v5, v4
	v_mul_f32_e32 v5, v6, v4
	v_fma_f32 v7, -v3, v5, v6
	v_fmac_f32_e32 v5, v7, v4
	v_fma_f32 v3, -v3, v5, v6
	v_div_fmas_f32 v3, v3, v4, v5
	v_div_fixup_f32 v1, v3, v1, 0xc11de9e7
	v_mov_b32_e32 v3, -1.0
	v_add_f32_e32 v1, 0, v1
.LBB66_668:
	s_or_b32 exec_lo, exec_lo, s2
	v_add_f32_e32 v4, 1.0, v0
	v_mul_f32_e32 v0, v0, v0
	v_mul_f32_e32 v5, v4, v4
	v_add_f32_e32 v4, 1.0, v4
	v_div_scale_f32 v6, null, v0, v0, 1.0
	v_div_scale_f32 v8, vcc_lo, 1.0, v0, 1.0
	v_mul_f32_e32 v9, v4, v4
	v_div_scale_f32 v7, null, v5, v5, 1.0
	v_rcp_f32_e32 v10, v6
	v_div_scale_f32 v13, s0, 1.0, v5, 1.0
	v_div_scale_f32 v12, null, v9, v9, 1.0
	v_rcp_f32_e32 v11, v7
	v_add_f32_e32 v4, 1.0, v4
	v_div_scale_f32 v14, s1, 1.0, v9, 1.0
	v_rcp_f32_e32 v15, v12
	v_fma_f32 v17, -v6, v10, 1.0
	v_mul_f32_e32 v16, v4, v4
	v_add_f32_e32 v4, 1.0, v4
	v_fma_f32 v18, -v7, v11, 1.0
	v_fmac_f32_e32 v10, v17, v10
	v_mul_f32_e32 v20, v4, v4
	v_add_f32_e32 v4, 1.0, v4
	v_fma_f32 v17, -v12, v15, 1.0
	v_fmac_f32_e32 v11, v18, v11
	v_mul_f32_e32 v21, v8, v10
	v_div_scale_f32 v19, null, v16, v16, 1.0
	v_fmac_f32_e32 v15, v17, v15
	v_mul_f32_e32 v22, v13, v11
	v_fma_f32 v23, -v6, v21, v8
	v_add_f32_e32 v26, 1.0, v4
	v_rcp_f32_e32 v18, v19
	v_mul_f32_e32 v25, v14, v15
	v_fma_f32 v24, -v7, v22, v13
	v_fmac_f32_e32 v21, v23, v10
	v_mul_f32_e32 v4, v4, v4
	v_div_scale_f32 v17, null, v20, v20, 1.0
	v_fma_f32 v23, -v12, v25, v14
	v_fmac_f32_e32 v22, v24, v11
	v_fma_f32 v6, -v6, v21, v8
	v_mul_f32_e32 v8, v26, v26
	v_rcp_f32_e32 v24, v17
	v_fmac_f32_e32 v25, v23, v15
	v_fma_f32 v7, -v7, v22, v13
	v_div_fmas_f32 v6, v6, v10, v21
	s_mov_b32 vcc_lo, s0
	v_fma_f32 v27, -v19, v18, 1.0
	v_fma_f32 v10, -v12, v25, v14
	v_div_fmas_f32 v7, v7, v11, v22
	s_mov_b32 vcc_lo, s1
	v_div_scale_f32 v11, null, v4, v4, 1.0
	v_div_fmas_f32 v10, v10, v15, v25
	v_div_scale_f32 v12, null, v8, v8, 1.0
	v_add_f32_e32 v15, v26, v26
	v_rcp_f32_e32 v14, v11
	v_fmac_f32_e32 v18, v27, v18
	v_rcp_f32_e32 v22, v12
	v_div_scale_f32 v13, vcc_lo, 1.0, v16, 1.0
	v_div_scale_f32 v25, null, v15, v15, 1.0
	v_fma_f32 v21, -v17, v24, 1.0
	v_mul_f32_e32 v23, v13, v18
	v_div_fixup_f32 v0, v6, v0, 1.0
	v_rcp_f32_e32 v28, v25
	v_fma_f32 v27, -v11, v14, 1.0
	v_fmac_f32_e32 v24, v21, v24
	v_div_scale_f32 v21, s0, 1.0, v20, 1.0
	v_fma_f32 v30, -v12, v22, 1.0
	v_fma_f32 v29, -v19, v23, v13
	v_fmac_f32_e32 v14, v27, v14
	v_div_scale_f32 v27, s1, 1.0, v4, 1.0
	v_mul_f32_e32 v31, v21, v24
	v_fmac_f32_e32 v22, v30, v22
	v_div_scale_f32 v30, s2, 1.0, v8, 1.0
	v_fma_f32 v32, -v25, v28, 1.0
	v_fmac_f32_e32 v23, v29, v18
	v_mul_f32_e32 v33, v27, v14
	v_fma_f32 v29, -v17, v31, v21
	v_mul_f32_e32 v34, v30, v22
	v_fmac_f32_e32 v28, v32, v28
	v_div_scale_f32 v32, s3, 1.0, v15, 1.0
	v_fma_f32 v13, -v19, v23, v13
	v_fma_f32 v19, -v11, v33, v27
	v_fmac_f32_e32 v31, v29, v24
	v_fma_f32 v29, -v12, v34, v30
	v_mul_f32_e32 v35, v32, v28
	v_div_fmas_f32 v13, v13, v18, v23
	v_fmac_f32_e32 v33, v19, v14
	v_fma_f32 v17, -v17, v31, v21
	v_fmac_f32_e32 v34, v29, v22
	v_fma_f32 v18, -v25, v35, v32
	s_mov_b32 vcc_lo, s0
	v_fma_f32 v11, -v11, v33, v27
	v_div_fmas_f32 v17, v17, v24, v31
	v_fma_f32 v12, -v12, v34, v30
	v_fmac_f32_e32 v35, v18, v28
	s_mov_b32 vcc_lo, s1
	s_mov_b32 s0, 0xbcc30c31
	v_div_fmas_f32 v11, v11, v14, v33
	s_mov_b32 vcc_lo, s2
	v_fma_f32 v14, -v25, v35, v32
	v_div_fmas_f32 v12, v12, v22, v34
	s_mov_b32 vcc_lo, s3
	v_add_f32_e32 v0, v1, v0
	v_div_fixup_f32 v1, v7, v5, 1.0
	v_div_fmas_f32 v14, v14, v28, v35
	v_div_fixup_f32 v8, v12, v8, 1.0
	s_and_b32 s1, s4, 0xff
	v_add_f32_e32 v0, v0, v1
	v_div_fixup_f32 v12, v14, v15, 1.0
	v_fmaak_f32 v14, s0, v8, 0x3d088889
	v_div_fixup_f32 v1, v10, v9, 1.0
	s_cmp_lt_i32 s1, 11
	v_add_f32_e32 v12, 1.0, v12
	v_fma_f32 v14, -v8, v14, 0x3e2aaaab
	v_add_f32_e32 v0, v0, v1
	v_div_fixup_f32 v1, v13, v16, 1.0
	v_fmac_f32_e32 v12, v8, v14
	v_add_f32_e32 v0, v0, v1
	v_div_fixup_f32 v1, v17, v20, 1.0
	v_div_scale_f32 v8, null, v26, v26, v12
	v_div_scale_f32 v5, vcc_lo, v12, v26, v12
	v_add_f32_e32 v0, v0, v1
	v_rcp_f32_e32 v14, v8
	v_div_fixup_f32 v1, v11, v4, 1.0
	v_add_f32_e32 v0, v0, v1
	v_fma_f32 v6, -v8, v14, 1.0
	v_fmac_f32_e32 v14, v6, v14
	v_mul_f32_e32 v6, v5, v14
	v_fma_f32 v7, -v8, v6, v5
	v_fmac_f32_e32 v6, v7, v14
	v_fma_f32 v5, -v8, v6, v5
	v_div_fmas_f32 v4, v5, v14, v6
	v_mul_lo_u32 v5, v2, s12
	v_div_fixup_f32 v1, v4, v26, v12
	v_ashrrev_i32_e32 v4, 31, v5
	v_add_f32_e32 v6, v0, v1
	v_add_co_u32 v0, vcc_lo, s8, v5
	v_add_co_ci_u32_e64 v1, null, s9, v4, vcc_lo
	v_fma_mixlo_f16 v3, v3, v6, 0
	s_cbranch_scc1 .LBB66_676
; %bb.669:
	s_and_b32 s2, 0xffff, s1
	s_cmp_gt_i32 s2, 25
	s_cbranch_scc0 .LBB66_677
; %bb.670:
	s_cmp_gt_i32 s2, 28
	s_cbranch_scc0 .LBB66_678
; %bb.671:
	;; [unrolled: 3-line block ×4, first 2 shown]
	s_mov_b32 s23, 0
	s_mov_b32 s0, -1
	s_cmp_eq_u32 s2, 46
	s_mov_b32 s3, 0
	s_cbranch_scc0 .LBB66_681
; %bb.674:
	v_cvt_f32_f16_e32 v4, v3
	v_cmp_o_f16_e32 vcc_lo, v3, v3
	s_mov_b32 s3, -1
	s_mov_b32 s0, 0
	v_bfe_u32 v5, v4, 16, 1
	v_add3_u32 v4, v4, v5, 0x7fff
	v_mov_b32_e32 v5, 0x7fc0
	v_cndmask_b32_sdwa v4, v5, v4, vcc_lo dst_sel:DWORD dst_unused:UNUSED_PAD src0_sel:DWORD src1_sel:WORD_1
	global_store_dword v[0:1], v4, off
	s_branch .LBB66_681
.LBB66_675:
	s_mov_b32 s2, 0
	s_mov_b32 s0, s19
	s_branch .LBB66_792
.LBB66_676:
	s_mov_b32 s2, -1
	s_mov_b32 s3, 0
	s_mov_b32 s0, s19
	s_branch .LBB66_750
.LBB66_677:
	s_mov_b32 s3, 0
	s_mov_b32 s0, s19
	s_branch .LBB66_708
.LBB66_678:
	s_mov_b32 s3, 0
	s_mov_b32 s0, s19
	s_branch .LBB66_691
.LBB66_679:
	s_mov_b32 s3, 0
	s_mov_b32 s0, s19
	s_branch .LBB66_687
.LBB66_680:
	s_mov_b32 s3, 0
	s_mov_b32 s0, s19
.LBB66_681:
	s_and_b32 vcc_lo, exec_lo, s23
	s_cbranch_vccz .LBB66_686
; %bb.682:
	s_cmp_eq_u32 s2, 44
	s_mov_b32 s0, -1
	s_cbranch_scc0 .LBB66_686
; %bb.683:
	v_cvt_f32_f16_e32 v4, v3
	v_mov_b32_e32 v5, 0xff
	s_mov_b32 s3, exec_lo
	v_bfe_u32 v6, v4, 23, 8
	v_cmpx_ne_u32_e32 0xff, v6
	s_cbranch_execz .LBB66_685
; %bb.684:
	v_and_b32_e32 v5, 0x400000, v4
	v_and_or_b32 v6, 0x3fffff, v4, v6
	v_lshrrev_b32_e32 v4, 23, v4
	v_cmp_ne_u32_e32 vcc_lo, 0, v5
	v_cmp_ne_u32_e64 s0, 0, v6
	s_and_b32 s0, vcc_lo, s0
	v_cndmask_b32_e64 v5, 0, 1, s0
	v_add_nc_u32_e32 v5, v4, v5
.LBB66_685:
	s_or_b32 exec_lo, exec_lo, s3
	s_mov_b32 s3, -1
	s_mov_b32 s0, 0
	global_store_byte v[0:1], v5, off
.LBB66_686:
	s_mov_b32 s23, 0
.LBB66_687:
	s_and_b32 vcc_lo, exec_lo, s23
	s_cbranch_vccz .LBB66_690
; %bb.688:
	s_cmp_eq_u32 s2, 29
	s_mov_b32 s0, -1
	s_cbranch_scc0 .LBB66_690
; %bb.689:
	v_cvt_f32_f16_e32 v4, v3
	v_mov_b32_e32 v5, 0
	s_mov_b32 s3, -1
	s_mov_b32 s0, 0
	s_mov_b32 s23, 0
	v_cvt_u32_f32_e32 v4, v4
	global_store_dwordx2 v[0:1], v[4:5], off
	s_branch .LBB66_691
.LBB66_690:
	s_mov_b32 s23, 0
.LBB66_691:
	s_and_b32 vcc_lo, exec_lo, s23
	s_cbranch_vccz .LBB66_707
; %bb.692:
	s_cmp_lt_i32 s2, 27
	s_mov_b32 s3, -1
	s_cbranch_scc1 .LBB66_698
; %bb.693:
	s_cmp_gt_i32 s2, 27
	s_cbranch_scc0 .LBB66_695
; %bb.694:
	v_cvt_f32_f16_e32 v4, v3
	s_mov_b32 s3, 0
	v_cvt_u32_f32_e32 v4, v4
	global_store_dword v[0:1], v4, off
.LBB66_695:
	s_andn2_b32 vcc_lo, exec_lo, s3
	s_cbranch_vccnz .LBB66_697
; %bb.696:
	v_cvt_u16_f16_e32 v4, v3
	global_store_short v[0:1], v4, off
.LBB66_697:
	s_mov_b32 s3, 0
.LBB66_698:
	s_andn2_b32 vcc_lo, exec_lo, s3
	s_cbranch_vccnz .LBB66_706
; %bb.699:
	v_cvt_f32_f16_e32 v4, v3
	v_mov_b32_e32 v6, 0x80
	s_mov_b32 s3, exec_lo
	v_and_b32_e32 v5, 0x7fffffff, v4
	v_cmpx_gt_u32_e32 0x43800000, v5
	s_cbranch_execz .LBB66_705
; %bb.700:
	v_cmp_lt_u32_e32 vcc_lo, 0x3bffffff, v5
	s_mov_b32 s23, 0
                                        ; implicit-def: $vgpr5
	s_and_saveexec_b32 s24, vcc_lo
	s_xor_b32 s24, exec_lo, s24
	s_cbranch_execz .LBB66_807
; %bb.701:
	v_bfe_u32 v5, v4, 20, 1
	s_mov_b32 s23, exec_lo
	v_add3_u32 v5, v4, v5, 0x487ffff
	v_lshrrev_b32_e32 v5, 20, v5
	s_andn2_saveexec_b32 s24, s24
	s_cbranch_execnz .LBB66_808
.LBB66_702:
	s_or_b32 exec_lo, exec_lo, s24
	v_mov_b32_e32 v6, 0
	s_and_saveexec_b32 s24, s23
.LBB66_703:
	v_lshrrev_b32_e32 v4, 24, v4
	v_and_or_b32 v6, 0x80, v4, v5
.LBB66_704:
	s_or_b32 exec_lo, exec_lo, s24
.LBB66_705:
	s_or_b32 exec_lo, exec_lo, s3
	global_store_byte v[0:1], v6, off
.LBB66_706:
	s_mov_b32 s3, -1
.LBB66_707:
	s_mov_b32 s23, 0
.LBB66_708:
	s_and_b32 vcc_lo, exec_lo, s23
	s_cbranch_vccz .LBB66_749
; %bb.709:
	s_cmp_gt_i32 s2, 22
	s_mov_b32 s23, -1
	s_cbranch_scc0 .LBB66_741
; %bb.710:
	s_cmp_lt_i32 s2, 24
	s_mov_b32 s3, -1
	s_cbranch_scc1 .LBB66_730
; %bb.711:
	s_cmp_gt_i32 s2, 24
	s_cbranch_scc0 .LBB66_719
; %bb.712:
	v_cvt_f32_f16_e32 v4, v3
	v_mov_b32_e32 v6, 0x80
	s_mov_b32 s3, exec_lo
	v_and_b32_e32 v5, 0x7fffffff, v4
	v_cmpx_gt_u32_e32 0x47800000, v5
	s_cbranch_execz .LBB66_718
; %bb.713:
	v_cmp_lt_u32_e32 vcc_lo, 0x37ffffff, v5
	s_mov_b32 s23, 0
                                        ; implicit-def: $vgpr5
	s_and_saveexec_b32 s24, vcc_lo
	s_xor_b32 s24, exec_lo, s24
	s_cbranch_execz .LBB66_810
; %bb.714:
	v_bfe_u32 v5, v4, 21, 1
	s_mov_b32 s23, exec_lo
	v_add3_u32 v5, v4, v5, 0x88fffff
	v_lshrrev_b32_e32 v5, 21, v5
	s_andn2_saveexec_b32 s24, s24
	s_cbranch_execnz .LBB66_811
.LBB66_715:
	s_or_b32 exec_lo, exec_lo, s24
	v_mov_b32_e32 v6, 0
	s_and_saveexec_b32 s24, s23
.LBB66_716:
	v_lshrrev_b32_e32 v4, 24, v4
	v_and_or_b32 v6, 0x80, v4, v5
.LBB66_717:
	s_or_b32 exec_lo, exec_lo, s24
.LBB66_718:
	s_or_b32 exec_lo, exec_lo, s3
	s_mov_b32 s3, 0
	global_store_byte v[0:1], v6, off
.LBB66_719:
	s_and_b32 vcc_lo, exec_lo, s3
	s_cbranch_vccz .LBB66_729
; %bb.720:
	v_cvt_f32_f16_e32 v4, v3
	s_mov_b32 s3, exec_lo
                                        ; implicit-def: $vgpr5
	v_and_b32_e32 v6, 0x7fffffff, v4
	v_cmpx_gt_u32_e32 0x43f00000, v6
	s_xor_b32 s3, exec_lo, s3
	s_cbranch_execz .LBB66_726
; %bb.721:
	s_mov_b32 s23, exec_lo
                                        ; implicit-def: $vgpr5
	v_cmpx_lt_u32_e32 0x3c7fffff, v6
	s_xor_b32 s23, exec_lo, s23
; %bb.722:
	v_bfe_u32 v5, v4, 20, 1
	v_add3_u32 v5, v4, v5, 0x407ffff
	v_and_b32_e32 v6, 0xff00000, v5
	v_lshrrev_b32_e32 v5, 20, v5
	v_cmp_ne_u32_e32 vcc_lo, 0x7f00000, v6
	v_cndmask_b32_e32 v5, 0x7e, v5, vcc_lo
; %bb.723:
	s_andn2_saveexec_b32 s23, s23
; %bb.724:
	v_add_f32_e64 v5, 0x46800000, |v4|
; %bb.725:
	s_or_b32 exec_lo, exec_lo, s23
                                        ; implicit-def: $vgpr6
.LBB66_726:
	s_andn2_saveexec_b32 s3, s3
; %bb.727:
	v_mov_b32_e32 v5, 0x7f
	v_cmp_lt_u32_e32 vcc_lo, 0x7f800000, v6
	v_cndmask_b32_e32 v5, 0x7e, v5, vcc_lo
; %bb.728:
	s_or_b32 exec_lo, exec_lo, s3
	v_lshrrev_b32_e32 v4, 24, v4
	v_and_or_b32 v4, 0x80, v4, v5
	global_store_byte v[0:1], v4, off
.LBB66_729:
	s_mov_b32 s3, 0
.LBB66_730:
	s_andn2_b32 vcc_lo, exec_lo, s3
	s_cbranch_vccnz .LBB66_740
; %bb.731:
	v_cvt_f32_f16_e32 v4, v3
	s_mov_b32 s3, exec_lo
                                        ; implicit-def: $vgpr5
	v_and_b32_e32 v6, 0x7fffffff, v4
	v_cmpx_gt_u32_e32 0x47800000, v6
	s_xor_b32 s3, exec_lo, s3
	s_cbranch_execz .LBB66_737
; %bb.732:
	s_mov_b32 s23, exec_lo
                                        ; implicit-def: $vgpr5
	v_cmpx_lt_u32_e32 0x387fffff, v6
	s_xor_b32 s23, exec_lo, s23
; %bb.733:
	v_bfe_u32 v5, v4, 21, 1
	v_add3_u32 v5, v4, v5, 0x80fffff
	v_lshrrev_b32_e32 v5, 21, v5
; %bb.734:
	s_andn2_saveexec_b32 s23, s23
; %bb.735:
	v_add_f32_e64 v5, 0x43000000, |v4|
; %bb.736:
	s_or_b32 exec_lo, exec_lo, s23
                                        ; implicit-def: $vgpr6
.LBB66_737:
	s_andn2_saveexec_b32 s3, s3
; %bb.738:
	v_mov_b32_e32 v5, 0x7f
	v_cmp_lt_u32_e32 vcc_lo, 0x7f800000, v6
	v_cndmask_b32_e32 v5, 0x7c, v5, vcc_lo
; %bb.739:
	s_or_b32 exec_lo, exec_lo, s3
	v_lshrrev_b32_e32 v4, 24, v4
	v_and_or_b32 v4, 0x80, v4, v5
	global_store_byte v[0:1], v4, off
.LBB66_740:
	s_mov_b32 s23, 0
	s_mov_b32 s3, -1
.LBB66_741:
	s_andn2_b32 vcc_lo, exec_lo, s23
	s_cbranch_vccnz .LBB66_749
; %bb.742:
	s_cmp_gt_i32 s2, 14
	s_mov_b32 s23, -1
	s_cbranch_scc0 .LBB66_746
; %bb.743:
	s_cmp_eq_u32 s2, 15
	s_mov_b32 s0, -1
	s_cbranch_scc0 .LBB66_745
; %bb.744:
	v_cvt_f32_f16_e32 v4, v3
	v_cmp_o_f16_e32 vcc_lo, v3, v3
	s_mov_b32 s3, -1
	s_mov_b32 s0, 0
	v_bfe_u32 v5, v4, 16, 1
	v_add3_u32 v4, v4, v5, 0x7fff
	v_mov_b32_e32 v5, 0x7fc0
	v_cndmask_b32_sdwa v4, v5, v4, vcc_lo dst_sel:DWORD dst_unused:UNUSED_PAD src0_sel:DWORD src1_sel:WORD_1
	global_store_short v[0:1], v4, off
.LBB66_745:
	s_mov_b32 s23, 0
.LBB66_746:
	s_and_b32 vcc_lo, exec_lo, s23
	s_cbranch_vccz .LBB66_749
; %bb.747:
	s_cmp_eq_u32 s2, 11
	s_mov_b32 s0, -1
	s_cbranch_scc0 .LBB66_749
; %bb.748:
	v_cmp_neq_f16_e32 vcc_lo, 0, v3
	s_mov_b32 s0, 0
	s_mov_b32 s3, -1
	v_cndmask_b32_e64 v4, 0, 1, vcc_lo
	global_store_byte v[0:1], v4, off
.LBB66_749:
	s_mov_b32 s2, 0
.LBB66_750:
	s_and_b32 vcc_lo, exec_lo, s2
	s_cbranch_vccz .LBB66_789
; %bb.751:
	s_and_b32 s1, 0xffff, s1
	s_mov_b32 s2, -1
	s_cmp_lt_i32 s1, 5
	s_cbranch_scc1 .LBB66_772
; %bb.752:
	s_cmp_lt_i32 s1, 8
	s_cbranch_scc1 .LBB66_762
; %bb.753:
	;; [unrolled: 3-line block ×3, first 2 shown]
	s_cmp_gt_i32 s1, 9
	s_cbranch_scc0 .LBB66_756
; %bb.755:
	v_cvt_f32_f16_e32 v4, v3
	v_mov_b32_e32 v6, 0
	s_mov_b32 s2, 0
	v_cvt_f64_f32_e32 v[4:5], v4
	v_mov_b32_e32 v7, v6
	global_store_dwordx4 v[0:1], v[4:7], off
.LBB66_756:
	s_andn2_b32 vcc_lo, exec_lo, s2
	s_cbranch_vccnz .LBB66_758
; %bb.757:
	v_cvt_f32_f16_e32 v4, v3
	v_mov_b32_e32 v5, 0
	global_store_dwordx2 v[0:1], v[4:5], off
.LBB66_758:
	s_mov_b32 s2, 0
.LBB66_759:
	s_andn2_b32 vcc_lo, exec_lo, s2
	s_cbranch_vccnz .LBB66_761
; %bb.760:
	v_and_b32_e32 v4, 0xffff, v3
	global_store_dword v[0:1], v4, off
.LBB66_761:
	s_mov_b32 s2, 0
.LBB66_762:
	s_andn2_b32 vcc_lo, exec_lo, s2
	s_cbranch_vccnz .LBB66_771
; %bb.763:
	s_cmp_lt_i32 s1, 6
	s_mov_b32 s2, -1
	s_cbranch_scc1 .LBB66_769
; %bb.764:
	s_cmp_gt_i32 s1, 6
	s_cbranch_scc0 .LBB66_766
; %bb.765:
	v_cvt_f32_f16_e32 v4, v3
	s_mov_b32 s2, 0
	v_cvt_f64_f32_e32 v[4:5], v4
	global_store_dwordx2 v[0:1], v[4:5], off
.LBB66_766:
	s_andn2_b32 vcc_lo, exec_lo, s2
	s_cbranch_vccnz .LBB66_768
; %bb.767:
	v_cvt_f32_f16_e32 v4, v3
	global_store_dword v[0:1], v4, off
.LBB66_768:
	s_mov_b32 s2, 0
.LBB66_769:
	s_andn2_b32 vcc_lo, exec_lo, s2
	s_cbranch_vccnz .LBB66_771
; %bb.770:
	global_store_short v[0:1], v3, off
.LBB66_771:
	s_mov_b32 s2, 0
.LBB66_772:
	s_andn2_b32 vcc_lo, exec_lo, s2
	s_cbranch_vccnz .LBB66_788
; %bb.773:
	s_cmp_lt_i32 s1, 2
	s_mov_b32 s2, -1
	s_cbranch_scc1 .LBB66_783
; %bb.774:
	s_cmp_lt_i32 s1, 3
	s_cbranch_scc1 .LBB66_780
; %bb.775:
	s_cmp_gt_i32 s1, 3
	s_cbranch_scc0 .LBB66_777
; %bb.776:
	v_cvt_f32_f16_e32 v4, v3
	s_mov_b32 s2, 0
	v_cvt_i32_f32_e32 v4, v4
	v_ashrrev_i32_e32 v5, 31, v4
	global_store_dwordx2 v[0:1], v[4:5], off
.LBB66_777:
	s_andn2_b32 vcc_lo, exec_lo, s2
	s_cbranch_vccnz .LBB66_779
; %bb.778:
	v_cvt_f32_f16_e32 v4, v3
	v_cvt_i32_f32_e32 v4, v4
	global_store_dword v[0:1], v4, off
.LBB66_779:
	s_mov_b32 s2, 0
.LBB66_780:
	s_andn2_b32 vcc_lo, exec_lo, s2
	s_cbranch_vccnz .LBB66_782
; %bb.781:
	v_cvt_i16_f16_e32 v4, v3
	global_store_short v[0:1], v4, off
.LBB66_782:
	s_mov_b32 s2, 0
.LBB66_783:
	s_andn2_b32 vcc_lo, exec_lo, s2
	s_cbranch_vccnz .LBB66_788
; %bb.784:
	s_cmp_gt_i32 s1, 0
	s_mov_b32 s1, -1
	s_cbranch_scc0 .LBB66_786
; %bb.785:
	v_cvt_i16_f16_e32 v4, v3
	s_mov_b32 s1, 0
	global_store_byte v[0:1], v4, off
.LBB66_786:
	s_andn2_b32 vcc_lo, exec_lo, s1
	s_cbranch_vccnz .LBB66_788
; %bb.787:
	v_cvt_f32_f16_e32 v3, v3
	v_cvt_i32_f32_e32 v3, v3
	global_store_byte v[0:1], v3, off
.LBB66_788:
	s_mov_b32 s3, -1
.LBB66_789:
	s_andn2_b32 vcc_lo, exec_lo, s3
	s_cbranch_vccnz .LBB66_791
; %bb.790:
	v_add_nc_u32_e32 v2, 0x80, v2
	s_mov_b32 s2, -1
	s_branch .LBB66_793
.LBB66_791:
	s_mov_b32 s2, 0
.LBB66_792:
                                        ; implicit-def: $vgpr2
.LBB66_793:
	s_andn2_b32 s1, s19, exec_lo
	s_and_b32 s0, s0, exec_lo
	s_andn2_b32 s3, s18, exec_lo
	s_and_b32 s22, s22, exec_lo
	s_or_b32 s1, s1, s0
	s_or_b32 s0, s3, s22
	s_orn2_b32 s23, s2, exec_lo
.LBB66_794:
	s_or_b32 exec_lo, exec_lo, s21
	s_mov_b32 s21, 0
	s_mov_b32 s22, 0
	;; [unrolled: 1-line block ×3, first 2 shown]
                                        ; implicit-def: $vgpr0_vgpr1
                                        ; implicit-def: $vgpr4
	s_and_saveexec_b32 s2, s23
	s_cbranch_execz .LBB66_879
; %bb.795:
	v_cmp_gt_i32_e32 vcc_lo, s15, v2
	s_mov_b32 s15, 0
	s_mov_b32 s21, s0
	s_mov_b32 s23, 0
	s_mov_b32 s24, 0
                                        ; implicit-def: $vgpr0_vgpr1
                                        ; implicit-def: $vgpr4
	s_and_saveexec_b32 s3, vcc_lo
	s_cbranch_execz .LBB66_878
; %bb.796:
	v_mul_lo_u32 v0, v2, s13
	s_and_b32 s15, 0xffff, s6
	s_cmp_lt_i32 s15, 11
	v_ashrrev_i32_e32 v1, 31, v0
	v_add_co_u32 v0, vcc_lo, s10, v0
	v_add_co_ci_u32_e64 v1, null, s11, v1, vcc_lo
	s_cbranch_scc1 .LBB66_803
; %bb.797:
	s_cmp_gt_i32 s15, 25
	s_cbranch_scc0 .LBB66_804
; %bb.798:
	s_cmp_gt_i32 s15, 28
	s_cbranch_scc0 .LBB66_805
	;; [unrolled: 3-line block ×4, first 2 shown]
; %bb.801:
	s_cmp_eq_u32 s15, 46
	s_cbranch_scc0 .LBB66_812
; %bb.802:
	global_load_dword v3, v[0:1], off
	s_mov_b32 s21, 0
	s_mov_b32 s23, -1
	s_waitcnt vmcnt(0)
	v_lshlrev_b32_e32 v3, 16, v3
	v_cvt_f16_f32_e32 v4, v3
	s_branch .LBB66_814
.LBB66_803:
	s_mov_b32 s15, -1
	s_mov_b32 s21, s0
                                        ; implicit-def: $vgpr4
	s_branch .LBB66_877
.LBB66_804:
	s_mov_b32 s24, -1
	s_mov_b32 s21, s0
                                        ; implicit-def: $vgpr4
	s_branch .LBB66_843
.LBB66_805:
	s_mov_b32 s24, -1
	s_mov_b32 s21, s0
                                        ; implicit-def: $vgpr4
	s_branch .LBB66_824
.LBB66_806:
	s_mov_b32 s24, -1
	s_mov_b32 s21, s0
                                        ; implicit-def: $vgpr4
	s_branch .LBB66_819
.LBB66_807:
	s_andn2_saveexec_b32 s24, s24
	s_cbranch_execz .LBB66_702
.LBB66_808:
	v_add_f32_e64 v5, 0x46000000, |v4|
	s_andn2_b32 s23, s23, exec_lo
	v_and_b32_e32 v5, 0xff, v5
	v_cmp_ne_u32_e32 vcc_lo, 0, v5
	s_and_b32 s25, vcc_lo, exec_lo
	s_or_b32 s23, s23, s25
	s_or_b32 exec_lo, exec_lo, s24
	v_mov_b32_e32 v6, 0
	s_and_saveexec_b32 s24, s23
	s_cbranch_execnz .LBB66_703
	s_branch .LBB66_704
.LBB66_809:
	s_mov_b32 s24, -1
	s_mov_b32 s21, s0
	s_branch .LBB66_813
.LBB66_810:
	s_andn2_saveexec_b32 s24, s24
	s_cbranch_execz .LBB66_715
.LBB66_811:
	v_add_f32_e64 v5, 0x42800000, |v4|
	s_andn2_b32 s23, s23, exec_lo
	v_and_b32_e32 v5, 0xff, v5
	v_cmp_ne_u32_e32 vcc_lo, 0, v5
	s_and_b32 s25, vcc_lo, exec_lo
	s_or_b32 s23, s23, s25
	s_or_b32 exec_lo, exec_lo, s24
	v_mov_b32_e32 v6, 0
	s_and_saveexec_b32 s24, s23
	s_cbranch_execnz .LBB66_716
	s_branch .LBB66_717
.LBB66_812:
	s_mov_b32 s21, -1
.LBB66_813:
                                        ; implicit-def: $vgpr4
.LBB66_814:
	s_and_b32 vcc_lo, exec_lo, s24
	s_cbranch_vccz .LBB66_818
; %bb.815:
	s_cmp_eq_u32 s15, 44
	s_cbranch_scc0 .LBB66_817
; %bb.816:
	global_load_ubyte v3, v[0:1], off
	s_mov_b32 s21, 0
	s_mov_b32 s23, -1
	s_waitcnt vmcnt(0)
	v_lshlrev_b32_e32 v4, 23, v3
	v_cmp_ne_u32_e32 vcc_lo, 0xff, v3
	v_cvt_f16_f32_e32 v4, v4
	v_cndmask_b32_e32 v4, 0x7e00, v4, vcc_lo
	v_cmp_ne_u32_e32 vcc_lo, 0, v3
	v_cndmask_b32_e32 v4, 0, v4, vcc_lo
	s_branch .LBB66_818
.LBB66_817:
	s_mov_b32 s21, -1
                                        ; implicit-def: $vgpr4
.LBB66_818:
	s_mov_b32 s24, 0
.LBB66_819:
	s_and_b32 vcc_lo, exec_lo, s24
	s_cbranch_vccz .LBB66_823
; %bb.820:
	s_cmp_eq_u32 s15, 29
	s_cbranch_scc0 .LBB66_822
; %bb.821:
	global_load_dwordx2 v[3:4], v[0:1], off
	s_mov_b32 s21, 0
	s_mov_b32 s23, -1
	s_mov_b32 s24, 0
	s_waitcnt vmcnt(0)
	v_ffbh_u32_e32 v5, v4
	v_min_u32_e32 v5, 32, v5
	v_lshlrev_b64 v[3:4], v5, v[3:4]
	v_min_u32_e32 v3, 1, v3
	v_or_b32_e32 v3, v4, v3
	v_sub_nc_u32_e32 v4, 32, v5
	v_cvt_f32_u32_e32 v3, v3
	v_ldexp_f32 v3, v3, v4
	v_cvt_f16_f32_e32 v4, v3
	s_branch .LBB66_824
.LBB66_822:
	s_mov_b32 s21, -1
                                        ; implicit-def: $vgpr4
.LBB66_823:
	s_mov_b32 s24, 0
.LBB66_824:
	s_and_b32 vcc_lo, exec_lo, s24
	s_cbranch_vccz .LBB66_842
; %bb.825:
	s_cmp_lt_i32 s15, 27
	s_cbranch_scc1 .LBB66_828
; %bb.826:
	s_cmp_gt_i32 s15, 27
	s_cbranch_scc0 .LBB66_829
; %bb.827:
	global_load_dword v3, v[0:1], off
	s_mov_b32 s23, 0
	s_waitcnt vmcnt(0)
	v_cvt_f32_u32_e32 v3, v3
	v_cvt_f16_f32_e32 v4, v3
	s_branch .LBB66_830
.LBB66_828:
	s_mov_b32 s23, -1
                                        ; implicit-def: $vgpr4
	s_branch .LBB66_833
.LBB66_829:
	s_mov_b32 s23, -1
                                        ; implicit-def: $vgpr4
.LBB66_830:
	s_andn2_b32 vcc_lo, exec_lo, s23
	s_cbranch_vccnz .LBB66_832
; %bb.831:
	global_load_ushort v3, v[0:1], off
	s_waitcnt vmcnt(0)
	v_cvt_f16_u16_e32 v4, v3
.LBB66_832:
	s_mov_b32 s23, 0
.LBB66_833:
	s_andn2_b32 vcc_lo, exec_lo, s23
	s_cbranch_vccnz .LBB66_841
; %bb.834:
	global_load_ubyte v3, v[0:1], off
	s_mov_b32 s23, 0
	s_mov_b32 s24, exec_lo
	s_waitcnt vmcnt(0)
	v_cmpx_lt_i16_e32 0x7f, v3
	s_xor_b32 s24, exec_lo, s24
	s_cbranch_execz .LBB66_855
; %bb.835:
	s_mov_b32 s23, -1
	s_mov_b32 s25, exec_lo
	v_cmpx_eq_u16_e32 0x80, v3
; %bb.836:
	s_xor_b32 s23, exec_lo, -1
; %bb.837:
	s_or_b32 exec_lo, exec_lo, s25
	s_and_b32 s23, s23, exec_lo
	s_or_saveexec_b32 s24, s24
	v_mov_b32_e32 v4, 0x7e00
	s_xor_b32 exec_lo, exec_lo, s24
	s_cbranch_execnz .LBB66_856
.LBB66_838:
	s_or_b32 exec_lo, exec_lo, s24
	s_and_saveexec_b32 s24, s23
	s_cbranch_execz .LBB66_840
.LBB66_839:
	v_and_b32_e32 v4, 0xffff, v3
	v_lshlrev_b32_e32 v3, 24, v3
	v_and_b32_e32 v5, 7, v4
	v_bfe_u32 v8, v4, 3, 4
	v_and_b32_e32 v3, 0x80000000, v3
	v_ffbh_u32_e32 v6, v5
	v_cmp_eq_u32_e32 vcc_lo, 0, v8
	v_min_u32_e32 v6, 32, v6
	v_subrev_nc_u32_e32 v7, 28, v6
	v_sub_nc_u32_e32 v6, 29, v6
	v_lshlrev_b32_e32 v4, v7, v4
	v_cndmask_b32_e32 v6, v8, v6, vcc_lo
	v_and_b32_e32 v4, 7, v4
	v_cndmask_b32_e32 v4, v5, v4, vcc_lo
	v_lshl_add_u32 v5, v6, 23, 0x3b800000
	v_lshlrev_b32_e32 v4, 20, v4
	v_or3_b32 v3, v3, v5, v4
	v_cvt_f16_f32_e32 v4, v3
.LBB66_840:
	s_or_b32 exec_lo, exec_lo, s24
.LBB66_841:
	s_mov_b32 s23, -1
.LBB66_842:
	s_mov_b32 s24, 0
.LBB66_843:
	s_and_b32 vcc_lo, exec_lo, s24
	s_cbranch_vccz .LBB66_876
; %bb.844:
	s_cmp_gt_i32 s15, 22
	s_cbranch_scc0 .LBB66_854
; %bb.845:
	s_cmp_lt_i32 s15, 24
	s_cbranch_scc1 .LBB66_857
; %bb.846:
	s_cmp_gt_i32 s15, 24
	s_cbranch_scc0 .LBB66_858
; %bb.847:
	global_load_ubyte v3, v[0:1], off
	s_mov_b32 s23, exec_lo
	s_waitcnt vmcnt(0)
	v_cmpx_lt_i16_e32 0x7f, v3
	s_xor_b32 s23, exec_lo, s23
	s_cbranch_execz .LBB66_870
; %bb.848:
	s_mov_b32 s22, -1
	s_mov_b32 s24, exec_lo
	v_cmpx_eq_u16_e32 0x80, v3
; %bb.849:
	s_xor_b32 s22, exec_lo, -1
; %bb.850:
	s_or_b32 exec_lo, exec_lo, s24
	s_and_b32 s22, s22, exec_lo
	s_or_saveexec_b32 s23, s23
	v_mov_b32_e32 v4, 0x7e00
	s_xor_b32 exec_lo, exec_lo, s23
	s_cbranch_execnz .LBB66_871
.LBB66_851:
	s_or_b32 exec_lo, exec_lo, s23
	s_and_saveexec_b32 s23, s22
	s_cbranch_execz .LBB66_853
.LBB66_852:
	v_and_b32_e32 v4, 0xffff, v3
	v_lshlrev_b32_e32 v3, 24, v3
	v_and_b32_e32 v5, 3, v4
	v_bfe_u32 v8, v4, 2, 5
	v_and_b32_e32 v3, 0x80000000, v3
	v_ffbh_u32_e32 v6, v5
	v_cmp_eq_u32_e32 vcc_lo, 0, v8
	v_min_u32_e32 v6, 32, v6
	v_subrev_nc_u32_e32 v7, 29, v6
	v_sub_nc_u32_e32 v6, 30, v6
	v_lshlrev_b32_e32 v4, v7, v4
	v_cndmask_b32_e32 v6, v8, v6, vcc_lo
	v_and_b32_e32 v4, 3, v4
	v_cndmask_b32_e32 v4, v5, v4, vcc_lo
	v_lshl_add_u32 v5, v6, 23, 0x37800000
	v_lshlrev_b32_e32 v4, 21, v4
	v_or3_b32 v3, v3, v5, v4
	v_cvt_f16_f32_e32 v4, v3
.LBB66_853:
	s_or_b32 exec_lo, exec_lo, s23
	s_mov_b32 s22, 0
	s_branch .LBB66_859
.LBB66_854:
	s_mov_b32 s22, -1
                                        ; implicit-def: $vgpr4
	s_branch .LBB66_865
.LBB66_855:
	s_or_saveexec_b32 s24, s24
	v_mov_b32_e32 v4, 0x7e00
	s_xor_b32 exec_lo, exec_lo, s24
	s_cbranch_execz .LBB66_838
.LBB66_856:
	v_cmp_ne_u16_e32 vcc_lo, 0, v3
	v_mov_b32_e32 v4, v3
	s_andn2_b32 s23, s23, exec_lo
	s_and_b32 s25, vcc_lo, exec_lo
	s_or_b32 s23, s23, s25
	s_or_b32 exec_lo, exec_lo, s24
	s_and_saveexec_b32 s24, s23
	s_cbranch_execnz .LBB66_839
	s_branch .LBB66_840
.LBB66_857:
	s_mov_b32 s22, -1
                                        ; implicit-def: $vgpr4
	s_branch .LBB66_862
.LBB66_858:
	s_mov_b32 s22, -1
                                        ; implicit-def: $vgpr4
.LBB66_859:
	s_and_b32 vcc_lo, exec_lo, s22
	s_cbranch_vccz .LBB66_861
; %bb.860:
	global_load_ubyte v3, v[0:1], off
	s_waitcnt vmcnt(0)
	v_lshlrev_b32_e32 v3, 24, v3
	v_and_b32_e32 v4, 0x7f000000, v3
	v_ffbh_u32_e32 v5, v4
	v_add_nc_u32_e32 v7, 0x1000000, v4
	v_cmp_ne_u32_e32 vcc_lo, 0, v4
	v_min_u32_e32 v5, 32, v5
	v_sub_nc_u32_e64 v5, v5, 4 clamp
	v_lshlrev_b32_e32 v6, v5, v4
	v_lshlrev_b32_e32 v5, 23, v5
	v_lshrrev_b32_e32 v6, 4, v6
	v_sub_nc_u32_e32 v5, v6, v5
	v_ashrrev_i32_e32 v6, 8, v7
	v_add_nc_u32_e32 v5, 0x3c000000, v5
	v_and_or_b32 v5, 0x7f800000, v6, v5
	v_cndmask_b32_e32 v4, 0, v5, vcc_lo
	v_and_or_b32 v3, 0x80000000, v3, v4
	v_cvt_f16_f32_e32 v4, v3
.LBB66_861:
	s_mov_b32 s22, 0
.LBB66_862:
	s_andn2_b32 vcc_lo, exec_lo, s22
	s_cbranch_vccnz .LBB66_864
; %bb.863:
	global_load_ubyte v3, v[0:1], off
	s_waitcnt vmcnt(0)
	v_lshlrev_b32_e32 v4, 25, v3
	v_lshlrev_b16 v3, 8, v3
	v_lshrrev_b32_e32 v5, 4, v4
	v_and_or_b32 v6, 0x7f00, v3, 0.5
	v_cmp_gt_u32_e32 vcc_lo, 0x8000000, v4
	v_bfe_i32 v3, v3, 0, 16
	v_or_b32_e32 v5, 0x70000000, v5
	v_add_f32_e32 v6, -0.5, v6
	v_mul_f32_e32 v5, 0x7800000, v5
	v_cndmask_b32_e32 v4, v5, v6, vcc_lo
	v_and_or_b32 v3, 0x80000000, v3, v4
	v_cvt_f16_f32_e32 v4, v3
.LBB66_864:
	s_mov_b32 s22, 0
	s_mov_b32 s23, -1
.LBB66_865:
	s_andn2_b32 vcc_lo, exec_lo, s22
	s_mov_b32 s22, 0
	s_cbranch_vccnz .LBB66_876
; %bb.866:
	s_cmp_gt_i32 s15, 14
	s_cbranch_scc0 .LBB66_869
; %bb.867:
	s_cmp_eq_u32 s15, 15
	s_cbranch_scc0 .LBB66_872
; %bb.868:
	global_load_ushort v3, v[0:1], off
	s_mov_b32 s21, 0
	s_mov_b32 s23, -1
	s_waitcnt vmcnt(0)
	v_lshlrev_b32_e32 v3, 16, v3
	v_cvt_f16_f32_e32 v4, v3
	s_branch .LBB66_874
.LBB66_869:
	s_mov_b32 s22, -1
	s_branch .LBB66_873
.LBB66_870:
	s_or_saveexec_b32 s23, s23
	v_mov_b32_e32 v4, 0x7e00
	s_xor_b32 exec_lo, exec_lo, s23
	s_cbranch_execz .LBB66_851
.LBB66_871:
	v_cmp_ne_u16_e32 vcc_lo, 0, v3
	v_mov_b32_e32 v4, v3
	s_andn2_b32 s22, s22, exec_lo
	s_and_b32 s24, vcc_lo, exec_lo
	s_or_b32 s22, s22, s24
	s_or_b32 exec_lo, exec_lo, s23
	s_and_saveexec_b32 s23, s22
	s_cbranch_execnz .LBB66_852
	s_branch .LBB66_853
.LBB66_872:
	s_mov_b32 s21, -1
.LBB66_873:
                                        ; implicit-def: $vgpr4
.LBB66_874:
	s_and_b32 vcc_lo, exec_lo, s22
	s_mov_b32 s22, 0
	s_cbranch_vccz .LBB66_876
; %bb.875:
	s_cmp_lg_u32 s15, 11
	s_mov_b32 s22, -1
	s_cselect_b32 s15, -1, 0
	s_andn2_b32 s21, s21, exec_lo
	s_and_b32 s15, s15, exec_lo
	s_or_b32 s21, s21, s15
.LBB66_876:
	s_mov_b32 s15, 0
.LBB66_877:
	s_andn2_b32 s25, s0, exec_lo
	s_and_b32 s21, s21, exec_lo
	s_and_b32 s24, s23, exec_lo
	;; [unrolled: 1-line block ×4, first 2 shown]
	s_or_b32 s21, s25, s21
.LBB66_878:
	s_or_b32 exec_lo, exec_lo, s3
	s_and_b32 s22, s23, exec_lo
	s_andn2_b32 s0, s0, exec_lo
	s_and_b32 s23, s21, exec_lo
	s_and_b32 s3, s24, exec_lo
	;; [unrolled: 1-line block ×3, first 2 shown]
	s_or_b32 s0, s0, s23
.LBB66_879:
	s_or_b32 exec_lo, exec_lo, s2
	s_andn2_b32 s2, s19, exec_lo
	s_and_b32 s1, s1, exec_lo
	s_andn2_b32 s15, s18, exec_lo
	s_and_b32 s0, s0, exec_lo
	s_or_b32 s19, s2, s1
	s_and_b32 s3, s3, exec_lo
	s_and_b32 s2, s22, exec_lo
	;; [unrolled: 1-line block ×3, first 2 shown]
	s_or_b32 s18, s15, s0
.LBB66_880:
	s_or_b32 exec_lo, exec_lo, s20
	s_andn2_b32 s0, s14, exec_lo
	s_and_b32 s14, s19, exec_lo
	s_and_b32 s15, s18, exec_lo
	s_or_b32 s14, s0, s14
	s_and_b32 s0, s3, exec_lo
	s_andn2_b32 s3, s16, exec_lo
	s_and_b32 s2, s2, exec_lo
	s_and_b32 s18, s1, exec_lo
	s_or_b32 s16, s3, s15
	s_or_b32 exec_lo, exec_lo, s17
	s_mov_b32 s15, 0
	s_and_saveexec_b32 s1, s16
	s_cbranch_execz .LBB66_268
.LBB66_881:
	s_mov_b32 s15, exec_lo
	s_andn2_b32 s18, s18, exec_lo
	s_trap 2
	s_or_b32 exec_lo, exec_lo, s1
	s_and_saveexec_b32 s1, s18
	s_xor_b32 s1, exec_lo, s1
	s_cbranch_execnz .LBB66_269
.LBB66_882:
	s_or_b32 exec_lo, exec_lo, s1
	s_and_saveexec_b32 s1, s2
	s_cbranch_execz .LBB66_928
.LBB66_883:
	s_sext_i32_i16 s2, s6
	s_cmp_lt_i32 s2, 5
	s_cbranch_scc1 .LBB66_888
; %bb.884:
	s_cmp_lt_i32 s2, 8
	s_cbranch_scc1 .LBB66_889
; %bb.885:
	;; [unrolled: 3-line block ×3, first 2 shown]
	s_cmp_gt_i32 s2, 9
	s_cbranch_scc0 .LBB66_891
; %bb.887:
	global_load_dwordx2 v[3:4], v[0:1], off
	s_mov_b32 s2, 0
	s_waitcnt vmcnt(0)
	v_and_or_b32 v3, 0x1ff, v4, v3
	v_lshrrev_b32_e32 v5, 8, v4
	v_bfe_u32 v6, v4, 20, 11
	v_lshrrev_b32_e32 v4, 16, v4
	v_cmp_ne_u32_e32 vcc_lo, 0, v3
	v_sub_nc_u32_e32 v7, 0x3f1, v6
	v_add_nc_u32_e32 v6, 0xfffffc10, v6
	v_cndmask_b32_e64 v3, 0, 1, vcc_lo
	v_and_or_b32 v3, 0xffe, v5, v3
	v_med3_i32 v5, v7, 0, 13
	v_or_b32_e32 v7, 0x1000, v3
	v_lshrrev_b32_e32 v8, v5, v7
	v_lshlrev_b32_e32 v5, v5, v8
	v_cmp_ne_u32_e32 vcc_lo, v5, v7
	v_lshl_or_b32 v7, v6, 12, v3
	v_cndmask_b32_e64 v5, 0, 1, vcc_lo
	v_cmp_gt_i32_e32 vcc_lo, 1, v6
	v_or_b32_e32 v5, v8, v5
	v_cndmask_b32_e32 v5, v7, v5, vcc_lo
	v_and_b32_e32 v7, 7, v5
	v_lshrrev_b32_e32 v5, 2, v5
	v_cmp_lt_i32_e32 vcc_lo, 5, v7
	v_cndmask_b32_e64 v8, 0, 1, vcc_lo
	v_cmp_eq_u32_e32 vcc_lo, 3, v7
	v_cndmask_b32_e64 v7, 0, 1, vcc_lo
	v_cmp_ne_u32_e32 vcc_lo, 0, v3
	v_or_b32_e32 v7, v7, v8
	v_mov_b32_e32 v8, 0x7e00
	v_add_nc_u32_e32 v5, v5, v7
	v_cndmask_b32_e32 v3, 0x7c00, v8, vcc_lo
	v_cmp_gt_i32_e32 vcc_lo, 31, v6
	v_cndmask_b32_e32 v5, 0x7c00, v5, vcc_lo
	v_cmp_eq_u32_e32 vcc_lo, 0x40f, v6
	v_cndmask_b32_e32 v3, v5, v3, vcc_lo
	v_and_or_b32 v4, 0x8000, v4, v3
	s_branch .LBB66_892
.LBB66_888:
                                        ; implicit-def: $vgpr4
	s_branch .LBB66_909
.LBB66_889:
                                        ; implicit-def: $vgpr4
	s_branch .LBB66_898
.LBB66_890:
	s_mov_b32 s2, -1
                                        ; implicit-def: $vgpr4
	s_branch .LBB66_895
.LBB66_891:
	s_mov_b32 s2, -1
                                        ; implicit-def: $vgpr4
.LBB66_892:
	s_andn2_b32 vcc_lo, exec_lo, s2
	s_cbranch_vccnz .LBB66_894
; %bb.893:
	global_load_dword v3, v[0:1], off
	s_waitcnt vmcnt(0)
	v_cvt_f16_f32_e32 v4, v3
.LBB66_894:
	s_mov_b32 s2, 0
.LBB66_895:
	s_andn2_b32 vcc_lo, exec_lo, s2
	s_cbranch_vccnz .LBB66_897
; %bb.896:
	global_load_dword v4, v[0:1], off
.LBB66_897:
	s_cbranch_execnz .LBB66_908
.LBB66_898:
	s_sext_i32_i16 s2, s6
	s_cmp_lt_i32 s2, 6
	s_cbranch_scc1 .LBB66_901
; %bb.899:
	s_cmp_gt_i32 s2, 6
	s_cbranch_scc0 .LBB66_902
; %bb.900:
	global_load_dwordx2 v[3:4], v[0:1], off
	s_mov_b32 s2, 0
	s_waitcnt vmcnt(0)
	v_and_or_b32 v3, 0x1ff, v4, v3
	v_lshrrev_b32_e32 v5, 8, v4
	v_bfe_u32 v6, v4, 20, 11
	v_lshrrev_b32_e32 v4, 16, v4
	v_cmp_ne_u32_e32 vcc_lo, 0, v3
	v_sub_nc_u32_e32 v7, 0x3f1, v6
	v_add_nc_u32_e32 v6, 0xfffffc10, v6
	v_cndmask_b32_e64 v3, 0, 1, vcc_lo
	v_and_or_b32 v3, 0xffe, v5, v3
	v_med3_i32 v5, v7, 0, 13
	v_or_b32_e32 v7, 0x1000, v3
	v_lshrrev_b32_e32 v8, v5, v7
	v_lshlrev_b32_e32 v5, v5, v8
	v_cmp_ne_u32_e32 vcc_lo, v5, v7
	v_lshl_or_b32 v7, v6, 12, v3
	v_cndmask_b32_e64 v5, 0, 1, vcc_lo
	v_cmp_gt_i32_e32 vcc_lo, 1, v6
	v_or_b32_e32 v5, v8, v5
	v_cndmask_b32_e32 v5, v7, v5, vcc_lo
	v_and_b32_e32 v7, 7, v5
	v_lshrrev_b32_e32 v5, 2, v5
	v_cmp_lt_i32_e32 vcc_lo, 5, v7
	v_cndmask_b32_e64 v8, 0, 1, vcc_lo
	v_cmp_eq_u32_e32 vcc_lo, 3, v7
	v_cndmask_b32_e64 v7, 0, 1, vcc_lo
	v_cmp_ne_u32_e32 vcc_lo, 0, v3
	v_or_b32_e32 v7, v7, v8
	v_mov_b32_e32 v8, 0x7e00
	v_add_nc_u32_e32 v5, v5, v7
	v_cndmask_b32_e32 v3, 0x7c00, v8, vcc_lo
	v_cmp_gt_i32_e32 vcc_lo, 31, v6
	v_cndmask_b32_e32 v5, 0x7c00, v5, vcc_lo
	v_cmp_eq_u32_e32 vcc_lo, 0x40f, v6
	v_cndmask_b32_e32 v3, v5, v3, vcc_lo
	v_and_or_b32 v4, 0x8000, v4, v3
	s_branch .LBB66_903
.LBB66_901:
	s_mov_b32 s2, -1
                                        ; implicit-def: $vgpr4
	s_branch .LBB66_906
.LBB66_902:
	s_mov_b32 s2, -1
                                        ; implicit-def: $vgpr4
.LBB66_903:
	s_andn2_b32 vcc_lo, exec_lo, s2
	s_cbranch_vccnz .LBB66_905
; %bb.904:
	global_load_dword v3, v[0:1], off
	s_waitcnt vmcnt(0)
	v_cvt_f16_f32_e32 v4, v3
.LBB66_905:
	s_mov_b32 s2, 0
.LBB66_906:
	s_andn2_b32 vcc_lo, exec_lo, s2
	s_cbranch_vccnz .LBB66_908
; %bb.907:
	global_load_ushort v4, v[0:1], off
.LBB66_908:
	s_cbranch_execnz .LBB66_927
.LBB66_909:
	s_sext_i32_i16 s2, s6
	s_cmp_lt_i32 s2, 2
	s_cbranch_scc1 .LBB66_913
; %bb.910:
	s_cmp_lt_i32 s2, 3
	s_cbranch_scc1 .LBB66_914
; %bb.911:
	s_cmp_gt_i32 s2, 3
	s_cbranch_scc0 .LBB66_915
; %bb.912:
	global_load_dwordx2 v[3:4], v[0:1], off
	s_mov_b32 s2, 0
	s_waitcnt vmcnt(0)
	v_xor_b32_e32 v5, v3, v4
	v_ffbh_i32_e32 v6, v4
	v_ashrrev_i32_e32 v5, 31, v5
	v_add_nc_u32_e32 v6, -1, v6
	v_add_nc_u32_e32 v5, 32, v5
	v_min_u32_e32 v5, v6, v5
	v_lshlrev_b64 v[3:4], v5, v[3:4]
	v_min_u32_e32 v3, 1, v3
	v_or_b32_e32 v3, v4, v3
	v_sub_nc_u32_e32 v4, 32, v5
	v_cvt_f32_i32_e32 v3, v3
	v_ldexp_f32 v3, v3, v4
	v_cvt_f16_f32_e32 v4, v3
	s_branch .LBB66_916
.LBB66_913:
                                        ; implicit-def: $vgpr4
	s_branch .LBB66_922
.LBB66_914:
	s_mov_b32 s2, -1
                                        ; implicit-def: $vgpr4
	s_branch .LBB66_919
.LBB66_915:
	s_mov_b32 s2, -1
                                        ; implicit-def: $vgpr4
.LBB66_916:
	s_andn2_b32 vcc_lo, exec_lo, s2
	s_cbranch_vccnz .LBB66_918
; %bb.917:
	global_load_dword v3, v[0:1], off
	s_waitcnt vmcnt(0)
	v_cvt_f32_i32_e32 v3, v3
	v_cvt_f16_f32_e32 v4, v3
.LBB66_918:
	s_mov_b32 s2, 0
.LBB66_919:
	s_andn2_b32 vcc_lo, exec_lo, s2
	s_cbranch_vccnz .LBB66_921
; %bb.920:
	global_load_ushort v3, v[0:1], off
	s_waitcnt vmcnt(0)
	v_cvt_f16_i16_e32 v4, v3
.LBB66_921:
	s_cbranch_execnz .LBB66_927
.LBB66_922:
	s_sext_i32_i16 s2, s6
	s_cmp_gt_i32 s2, 0
	s_mov_b32 s2, 0
	s_cbranch_scc0 .LBB66_924
; %bb.923:
	global_load_sbyte v3, v[0:1], off
	s_waitcnt vmcnt(0)
	v_cvt_f16_i16_e32 v4, v3
	s_branch .LBB66_925
.LBB66_924:
	s_mov_b32 s2, -1
                                        ; implicit-def: $vgpr4
.LBB66_925:
	s_andn2_b32 vcc_lo, exec_lo, s2
	s_cbranch_vccnz .LBB66_927
; %bb.926:
	global_load_ubyte v0, v[0:1], off
	s_waitcnt vmcnt(0)
	v_cvt_f16_u16_e32 v4, v0
.LBB66_927:
	s_or_b32 s0, s0, exec_lo
.LBB66_928:
	s_or_b32 exec_lo, exec_lo, s1
	s_mov_b32 s3, 0
	s_mov_b32 s2, 0
                                        ; implicit-def: $sgpr1
                                        ; implicit-def: $vgpr0_vgpr1
                                        ; implicit-def: $vgpr3
	s_and_saveexec_b32 s16, s0
	s_cbranch_execz .LBB66_942
; %bb.929:
	s_waitcnt vmcnt(0)
	v_cvt_f32_f16_e32 v0, v4
	v_mov_b32_e32 v1, 0
	v_mov_b32_e32 v3, 1.0
	s_mov_b32 s2, exec_lo
	v_cmpx_gt_f16_e32 0.5, v4
	s_cbranch_execz .LBB66_935
; %bb.930:
	v_mul_f32_e32 v1, 0x40490fdb, v0
                                        ; implicit-def: $vgpr5
                                        ; implicit-def: $vgpr4
	s_mov_b32 s1, exec_lo
	v_and_b32_e32 v3, 0x7fffffff, v1
	v_cmpx_ngt_f32_e64 0x48000000, |v1|
	s_xor_b32 s3, exec_lo, s1
	s_cbranch_execz .LBB66_932
; %bb.931:
	s_mov_b32 s0, 0x7fffff
	v_mov_b32_e32 v6, 0
	v_and_or_b32 v13, v3, s0, 0x800000
	v_lshrrev_b32_e32 v11, 23, v3
	v_mad_u64_u32 v[4:5], null, 0xfe5163ab, v13, 0
	v_add_nc_u32_e32 v12, 0xffffff88, v11
	v_cmp_lt_u32_e32 vcc_lo, 63, v12
	v_mad_u64_u32 v[7:8], null, 0x3c439041, v13, v[5:6]
	v_cndmask_b32_e64 v14, 0, 0xffffffc0, vcc_lo
	v_mov_b32_e32 v5, v8
	v_add_nc_u32_e32 v14, v14, v12
	v_mad_u64_u32 v[8:9], null, 0xdb629599, v13, v[5:6]
	v_cmp_lt_u32_e64 s0, 31, v14
	v_cndmask_b32_e64 v15, 0, 0xffffffe0, s0
	v_mov_b32_e32 v5, v9
	v_cndmask_b32_e32 v4, v8, v4, vcc_lo
	v_mad_u64_u32 v[9:10], null, 0xf534ddc0, v13, v[5:6]
	v_mov_b32_e32 v5, v10
	v_cndmask_b32_e32 v7, v9, v7, vcc_lo
	v_mad_u64_u32 v[10:11], null, 0xfc2757d1, v13, v[5:6]
	v_cndmask_b32_e64 v4, v7, v4, s0
	v_mov_b32_e32 v5, v11
	v_mad_u64_u32 v[11:12], null, 0x4e441529, v13, v[5:6]
	v_mov_b32_e32 v5, v12
	v_add_nc_u32_e32 v12, v15, v14
	v_cndmask_b32_e32 v14, v11, v9, vcc_lo
	v_mad_u64_u32 v[5:6], null, 0xa2f9836e, v13, v[5:6]
	v_cmp_lt_u32_e64 s1, 31, v12
	v_cndmask_b32_e64 v13, 0, 0xffffffe0, s1
	v_cndmask_b32_e32 v5, v5, v10, vcc_lo
	v_cndmask_b32_e32 v6, v6, v11, vcc_lo
	;; [unrolled: 1-line block ×3, first 2 shown]
	v_add_nc_u32_e32 v11, v13, v12
	v_cndmask_b32_e64 v9, v5, v14, s0
	v_cndmask_b32_e64 v5, v6, v5, s0
	;; [unrolled: 1-line block ×4, first 2 shown]
	v_sub_nc_u32_e32 v12, 32, v11
	v_cmp_eq_u32_e32 vcc_lo, 0, v11
	v_cndmask_b32_e64 v5, v5, v9, s1
	v_cndmask_b32_e64 v9, v9, v6, s1
	;; [unrolled: 1-line block ×4, first 2 shown]
	v_alignbit_b32 v13, v5, v9, v12
	v_alignbit_b32 v8, v9, v6, v12
	;; [unrolled: 1-line block ×3, first 2 shown]
	v_cndmask_b32_e32 v5, v13, v5, vcc_lo
	v_cndmask_b32_e32 v7, v8, v9, vcc_lo
	;; [unrolled: 1-line block ×3, first 2 shown]
	v_bfe_u32 v8, v5, 29, 1
	v_alignbit_b32 v9, v5, v7, 30
	v_alignbit_b32 v7, v7, v6, 30
	;; [unrolled: 1-line block ×3, first 2 shown]
	v_sub_nc_u32_e32 v10, 0, v8
	v_xor_b32_e32 v9, v9, v10
	v_xor_b32_e32 v6, v7, v10
	;; [unrolled: 1-line block ×3, first 2 shown]
	v_lshrrev_b32_e32 v10, 29, v5
	v_lshrrev_b32_e32 v5, 30, v5
	v_ffbh_u32_e32 v11, v9
	v_add_nc_u32_e32 v5, v8, v5
	v_min_u32_e32 v11, 32, v11
	v_sub_nc_u32_e32 v7, 31, v11
	v_lshlrev_b32_e32 v12, 23, v11
	v_alignbit_b32 v9, v9, v6, v7
	v_alignbit_b32 v4, v6, v4, v7
	v_lshlrev_b32_e32 v6, 31, v10
	v_alignbit_b32 v7, v9, v4, 9
	v_or_b32_e32 v10, 0.5, v6
	v_lshrrev_b32_e32 v9, 9, v9
	v_or_b32_e32 v6, 0x33000000, v6
	v_ffbh_u32_e32 v13, v7
	v_sub_nc_u32_e32 v10, v10, v12
	v_min_u32_e32 v12, 32, v13
	v_or_b32_e32 v9, v9, v10
	v_not_b32_e32 v10, v12
	v_mul_f32_e32 v13, 0x3fc90fda, v9
	v_add_lshl_u32 v11, v12, v11, 23
	v_alignbit_b32 v4, v7, v4, v10
	v_fma_f32 v7, 0x3fc90fda, v9, -v13
	v_sub_nc_u32_e32 v6, v6, v11
	v_lshrrev_b32_e32 v4, 9, v4
	v_fmamk_f32 v7, v9, 0x33a22168, v7
	v_or_b32_e32 v4, v6, v4
	v_fmac_f32_e32 v7, 0x3fc90fda, v4
	v_add_f32_e32 v4, v13, v7
.LBB66_932:
	s_andn2_saveexec_b32 s0, s3
; %bb.933:
	v_mul_f32_e64 v4, 0x3f22f983, |v1|
	v_rndne_f32_e32 v5, v4
	v_fma_f32 v4, 0xbfc90fda, v5, |v1|
	v_fmamk_f32 v4, v5, 0xb3a22168, v4
	v_fmamk_f32 v4, v5, 0xa7c234c4, v4
	v_cvt_i32_f32_e32 v5, v5
; %bb.934:
	s_or_b32 exec_lo, exec_lo, s0
	v_mul_f32_e32 v6, v4, v4
	s_mov_b32 s0, 0xb94c1982
	s_mov_b32 s1, 0x37d75334
	v_and_b32_e32 v9, 1, v5
	v_lshlrev_b32_e32 v5, 30, v5
	v_fmaak_f32 v7, s0, v6, 0x3c0881c4
	v_fmaak_f32 v8, s1, v6, 0xbab64f3b
	v_xor_b32_e32 v3, v3, v1
	v_cmp_eq_u32_e32 vcc_lo, 0, v9
	v_and_b32_e32 v5, 0x80000000, v5
	v_fmaak_f32 v7, v6, v7, 0xbe2aaa9d
	v_fmaak_f32 v8, v6, v8, 0x3d2aabf7
	v_sub_f32_e32 v0, 1.0, v0
	v_mul_f32_e32 v7, v6, v7
	v_fmaak_f32 v8, v6, v8, 0xbf000004
	v_fmac_f32_e32 v4, v4, v7
	v_fma_f32 v6, v6, v8, 1.0
	v_cndmask_b32_e32 v4, v6, v4, vcc_lo
	v_cmp_class_f32_e64 vcc_lo, v1, 0x1f8
	v_xor3_b32 v3, v3, v5, v4
	v_cndmask_b32_e32 v1, 0x7fc00000, v3, vcc_lo
	v_mul_f32_e32 v1, v1, v1
	v_div_scale_f32 v3, null, v1, v1, 0xc11de9e7
	v_div_scale_f32 v6, vcc_lo, 0xc11de9e7, v1, 0xc11de9e7
	v_rcp_f32_e32 v4, v3
	v_fma_f32 v5, -v3, v4, 1.0
	v_fmac_f32_e32 v4, v5, v4
	v_mul_f32_e32 v5, v6, v4
	v_fma_f32 v7, -v3, v5, v6
	v_fmac_f32_e32 v5, v7, v4
	v_fma_f32 v3, -v3, v5, v6
	v_div_fmas_f32 v3, v3, v4, v5
	v_div_fixup_f32 v1, v3, v1, 0xc11de9e7
	v_mov_b32_e32 v3, -1.0
	v_add_f32_e32 v1, 0, v1
.LBB66_935:
	s_or_b32 exec_lo, exec_lo, s2
	v_add_f32_e32 v4, 1.0, v0
	v_mul_f32_e32 v0, v0, v0
	v_mul_lo_u32 v2, v2, s12
	v_mul_f32_e32 v5, v4, v4
	v_add_f32_e32 v4, 1.0, v4
	v_div_scale_f32 v6, null, v0, v0, 1.0
	v_div_scale_f32 v8, vcc_lo, 1.0, v0, 1.0
	v_mul_f32_e32 v9, v4, v4
	v_div_scale_f32 v7, null, v5, v5, 1.0
	v_rcp_f32_e32 v10, v6
	v_div_scale_f32 v13, s0, 1.0, v5, 1.0
	v_div_scale_f32 v12, null, v9, v9, 1.0
	v_rcp_f32_e32 v11, v7
	v_add_f32_e32 v4, 1.0, v4
	v_div_scale_f32 v14, s1, 1.0, v9, 1.0
	v_rcp_f32_e32 v15, v12
	v_fma_f32 v17, -v6, v10, 1.0
	v_mul_f32_e32 v16, v4, v4
	v_add_f32_e32 v4, 1.0, v4
	v_fma_f32 v18, -v7, v11, 1.0
	v_fmac_f32_e32 v10, v17, v10
	v_mul_f32_e32 v20, v4, v4
	v_add_f32_e32 v4, 1.0, v4
	v_fma_f32 v17, -v12, v15, 1.0
	v_fmac_f32_e32 v11, v18, v11
	v_mul_f32_e32 v21, v8, v10
	v_div_scale_f32 v19, null, v16, v16, 1.0
	v_fmac_f32_e32 v15, v17, v15
	v_mul_f32_e32 v22, v13, v11
	v_fma_f32 v23, -v6, v21, v8
	v_add_f32_e32 v26, 1.0, v4
	v_rcp_f32_e32 v18, v19
	v_mul_f32_e32 v25, v14, v15
	v_fma_f32 v24, -v7, v22, v13
	v_fmac_f32_e32 v21, v23, v10
	v_mul_f32_e32 v4, v4, v4
	v_div_scale_f32 v17, null, v20, v20, 1.0
	v_fma_f32 v23, -v12, v25, v14
	v_fmac_f32_e32 v22, v24, v11
	v_fma_f32 v6, -v6, v21, v8
	v_mul_f32_e32 v8, v26, v26
	v_rcp_f32_e32 v24, v17
	v_fmac_f32_e32 v25, v23, v15
	v_fma_f32 v7, -v7, v22, v13
	v_div_fmas_f32 v6, v6, v10, v21
	s_mov_b32 vcc_lo, s0
	v_fma_f32 v27, -v19, v18, 1.0
	v_fma_f32 v10, -v12, v25, v14
	v_div_fmas_f32 v7, v7, v11, v22
	s_mov_b32 vcc_lo, s1
	v_div_scale_f32 v11, null, v4, v4, 1.0
	v_div_fmas_f32 v10, v10, v15, v25
	v_div_scale_f32 v12, null, v8, v8, 1.0
	v_add_f32_e32 v15, v26, v26
	v_rcp_f32_e32 v14, v11
	v_fmac_f32_e32 v18, v27, v18
	v_rcp_f32_e32 v22, v12
	v_div_scale_f32 v13, vcc_lo, 1.0, v16, 1.0
	v_div_scale_f32 v25, null, v15, v15, 1.0
	v_fma_f32 v21, -v17, v24, 1.0
	v_mul_f32_e32 v23, v13, v18
	v_div_fixup_f32 v0, v6, v0, 1.0
	v_rcp_f32_e32 v28, v25
	v_fma_f32 v27, -v11, v14, 1.0
	v_fmac_f32_e32 v24, v21, v24
	v_div_scale_f32 v21, s0, 1.0, v20, 1.0
	v_fma_f32 v30, -v12, v22, 1.0
	v_fma_f32 v29, -v19, v23, v13
	v_fmac_f32_e32 v14, v27, v14
	v_div_scale_f32 v27, s1, 1.0, v4, 1.0
	v_mul_f32_e32 v31, v21, v24
	v_fmac_f32_e32 v22, v30, v22
	v_div_scale_f32 v30, s2, 1.0, v8, 1.0
	v_fma_f32 v32, -v25, v28, 1.0
	v_fmac_f32_e32 v23, v29, v18
	v_mul_f32_e32 v33, v27, v14
	v_fma_f32 v29, -v17, v31, v21
	v_mul_f32_e32 v34, v30, v22
	v_fmac_f32_e32 v28, v32, v28
	v_div_scale_f32 v32, s3, 1.0, v15, 1.0
	v_fma_f32 v13, -v19, v23, v13
	v_fma_f32 v19, -v11, v33, v27
	v_fmac_f32_e32 v31, v29, v24
	v_fma_f32 v29, -v12, v34, v30
	v_mul_f32_e32 v35, v32, v28
	v_div_fmas_f32 v13, v13, v18, v23
	v_fmac_f32_e32 v33, v19, v14
	v_fma_f32 v17, -v17, v31, v21
	v_fmac_f32_e32 v34, v29, v22
	v_fma_f32 v18, -v25, v35, v32
	s_mov_b32 vcc_lo, s0
	v_fma_f32 v11, -v11, v33, v27
	v_div_fmas_f32 v17, v17, v24, v31
	v_fma_f32 v12, -v12, v34, v30
	v_fmac_f32_e32 v35, v18, v28
	s_mov_b32 vcc_lo, s1
	s_mov_b32 s0, 0xbcc30c31
	v_div_fmas_f32 v11, v11, v14, v33
	s_mov_b32 vcc_lo, s2
	v_fma_f32 v14, -v25, v35, v32
	v_div_fmas_f32 v12, v12, v22, v34
	s_mov_b32 vcc_lo, s3
	v_add_f32_e32 v0, v1, v0
	v_div_fixup_f32 v1, v7, v5, 1.0
	v_div_fmas_f32 v14, v14, v28, v35
	v_div_fixup_f32 v8, v12, v8, 1.0
	s_and_b32 s1, s4, 0xff
	v_add_f32_e32 v0, v0, v1
	v_div_fixup_f32 v12, v14, v15, 1.0
	v_fmaak_f32 v14, s0, v8, 0x3d088889
	v_div_fixup_f32 v1, v10, v9, 1.0
	s_cmp_lt_i32 s1, 11
	v_add_f32_e32 v12, 1.0, v12
	v_fma_f32 v14, -v8, v14, 0x3e2aaaab
	v_add_f32_e32 v0, v0, v1
	v_div_fixup_f32 v1, v13, v16, 1.0
	v_fmac_f32_e32 v12, v8, v14
	v_add_f32_e32 v0, v0, v1
	v_div_fixup_f32 v1, v17, v20, 1.0
	v_div_scale_f32 v8, null, v26, v26, v12
	v_div_scale_f32 v5, vcc_lo, v12, v26, v12
	v_add_f32_e32 v0, v0, v1
	v_rcp_f32_e32 v14, v8
	v_div_fixup_f32 v1, v11, v4, 1.0
	v_add_f32_e32 v0, v0, v1
	v_fma_f32 v6, -v8, v14, 1.0
	v_fmac_f32_e32 v14, v6, v14
	v_mul_f32_e32 v6, v5, v14
	v_fma_f32 v7, -v8, v6, v5
	v_fmac_f32_e32 v6, v7, v14
	v_fma_f32 v5, -v8, v6, v5
	v_div_fmas_f32 v4, v5, v14, v6
	v_div_fixup_f32 v1, v4, v26, v12
	v_ashrrev_i32_e32 v4, 31, v2
	v_add_f32_e32 v5, v0, v1
	v_add_co_u32 v0, vcc_lo, s8, v2
	v_add_co_ci_u32_e64 v1, null, s9, v4, vcc_lo
	v_fma_mixlo_f16 v3, v3, v5, 0
	s_cbranch_scc1 .LBB66_945
; %bb.936:
	s_and_b32 s2, 0xffff, s1
	s_mov_b32 s3, -1
	s_cmp_gt_i32 s2, 25
	s_mov_b32 s0, s14
	s_cbranch_scc0 .LBB66_973
; %bb.937:
	s_cmp_gt_i32 s2, 28
	s_mov_b32 s0, s14
	s_cbranch_scc0 .LBB66_957
; %bb.938:
	;; [unrolled: 4-line block ×4, first 2 shown]
	s_cmp_eq_u32 s2, 46
	s_mov_b32 s0, -1
	s_cbranch_scc0 .LBB66_946
; %bb.941:
	v_cvt_f32_f16_e32 v2, v3
	v_cmp_o_f16_e32 vcc_lo, v3, v3
	s_mov_b32 s0, 0
	s_mov_b32 s3, 0
	v_bfe_u32 v4, v2, 16, 1
	v_add3_u32 v2, v2, v4, 0x7fff
	v_mov_b32_e32 v4, 0x7fc0
	v_cndmask_b32_sdwa v2, v4, v2, vcc_lo dst_sel:DWORD dst_unused:UNUSED_PAD src0_sel:DWORD src1_sel:WORD_1
	global_store_dword v[0:1], v2, off
	s_branch .LBB66_947
.LBB66_942:
	s_or_b32 exec_lo, exec_lo, s16
	s_and_saveexec_b32 s0, s14
	s_cbranch_execnz .LBB66_1015
.LBB66_943:
	s_or_b32 exec_lo, exec_lo, s0
	s_and_saveexec_b32 s0, s3
	s_xor_b32 s0, exec_lo, s0
	s_cbranch_execz .LBB66_1016
.LBB66_944:
	s_waitcnt vmcnt(0)
	v_cmp_neq_f16_e32 vcc_lo, 0, v3
	v_cndmask_b32_e64 v2, 0, 1, vcc_lo
	global_store_byte v[0:1], v2, off
	s_or_b32 exec_lo, exec_lo, s0
	s_and_saveexec_b32 s0, s2
	s_xor_b32 s0, exec_lo, s0
	s_cbranch_execz .LBB66_1054
	s_branch .LBB66_1017
.LBB66_945:
	s_mov_b32 s17, 0
	s_mov_b32 s3, -1
	s_mov_b32 s0, s14
	s_branch .LBB66_1014
.LBB66_946:
	s_mov_b32 s3, 0
.LBB66_947:
	s_and_b32 vcc_lo, exec_lo, s3
	s_cbranch_vccz .LBB66_952
; %bb.948:
	s_cmp_eq_u32 s2, 44
	s_mov_b32 s0, -1
	s_cbranch_scc0 .LBB66_952
; %bb.949:
	v_cvt_f32_f16_e32 v2, v3
	v_mov_b32_e32 v4, 0xff
	s_mov_b32 s3, exec_lo
	v_bfe_u32 v5, v2, 23, 8
	v_cmpx_ne_u32_e32 0xff, v5
	s_cbranch_execz .LBB66_951
; %bb.950:
	v_and_b32_e32 v4, 0x400000, v2
	v_and_or_b32 v5, 0x3fffff, v2, v5
	v_lshrrev_b32_e32 v2, 23, v2
	v_cmp_ne_u32_e32 vcc_lo, 0, v4
	v_cmp_ne_u32_e64 s0, 0, v5
	s_and_b32 s0, vcc_lo, s0
	v_cndmask_b32_e64 v4, 0, 1, s0
	v_add_nc_u32_e32 v4, v2, v4
.LBB66_951:
	s_or_b32 exec_lo, exec_lo, s3
	s_mov_b32 s0, 0
	global_store_byte v[0:1], v4, off
.LBB66_952:
	s_mov_b32 s3, 0
.LBB66_953:
	s_and_b32 vcc_lo, exec_lo, s3
	s_cbranch_vccz .LBB66_956
; %bb.954:
	s_cmp_eq_u32 s2, 29
	s_mov_b32 s0, -1
	s_cbranch_scc0 .LBB66_956
; %bb.955:
	v_cvt_f32_f16_e32 v2, v3
	v_mov_b32_e32 v5, 0
	s_mov_b32 s0, 0
	s_mov_b32 s3, 0
	v_cvt_u32_f32_e32 v4, v2
	global_store_dwordx2 v[0:1], v[4:5], off
	s_branch .LBB66_957
.LBB66_956:
	s_mov_b32 s3, 0
.LBB66_957:
	s_and_b32 vcc_lo, exec_lo, s3
	s_cbranch_vccz .LBB66_972
; %bb.958:
	s_cmp_lt_i32 s2, 27
	s_mov_b32 s3, -1
	s_cbranch_scc1 .LBB66_964
; %bb.959:
	s_cmp_gt_i32 s2, 27
	s_cbranch_scc0 .LBB66_961
; %bb.960:
	v_cvt_f32_f16_e32 v2, v3
	s_mov_b32 s3, 0
	v_cvt_u32_f32_e32 v2, v2
	global_store_dword v[0:1], v2, off
.LBB66_961:
	s_andn2_b32 vcc_lo, exec_lo, s3
	s_cbranch_vccnz .LBB66_963
; %bb.962:
	v_cvt_u16_f16_e32 v2, v3
	global_store_short v[0:1], v2, off
.LBB66_963:
	s_mov_b32 s3, 0
.LBB66_964:
	s_andn2_b32 vcc_lo, exec_lo, s3
	s_cbranch_vccnz .LBB66_972
; %bb.965:
	v_cvt_f32_f16_e32 v2, v3
	v_mov_b32_e32 v5, 0x80
	s_mov_b32 s3, exec_lo
	v_and_b32_e32 v4, 0x7fffffff, v2
	v_cmpx_gt_u32_e32 0x43800000, v4
	s_cbranch_execz .LBB66_971
; %bb.966:
	v_cmp_lt_u32_e32 vcc_lo, 0x3bffffff, v4
	s_mov_b32 s17, 0
                                        ; implicit-def: $vgpr4
	s_and_saveexec_b32 s18, vcc_lo
	s_xor_b32 s18, exec_lo, s18
	s_cbranch_execz .LBB66_1069
; %bb.967:
	v_bfe_u32 v4, v2, 20, 1
	s_mov_b32 s17, exec_lo
	v_add3_u32 v4, v2, v4, 0x487ffff
	v_lshrrev_b32_e32 v4, 20, v4
	s_andn2_saveexec_b32 s18, s18
	s_cbranch_execnz .LBB66_1070
.LBB66_968:
	s_or_b32 exec_lo, exec_lo, s18
	v_mov_b32_e32 v5, 0
	s_and_saveexec_b32 s18, s17
.LBB66_969:
	v_lshrrev_b32_e32 v2, 24, v2
	v_and_or_b32 v5, 0x80, v2, v4
.LBB66_970:
	s_or_b32 exec_lo, exec_lo, s18
.LBB66_971:
	s_or_b32 exec_lo, exec_lo, s3
	global_store_byte v[0:1], v5, off
.LBB66_972:
	s_mov_b32 s3, 0
.LBB66_973:
	s_and_b32 vcc_lo, exec_lo, s3
	s_mov_b32 s3, 0
	s_cbranch_vccz .LBB66_1013
; %bb.974:
	s_cmp_gt_i32 s2, 22
	s_mov_b32 s17, -1
	s_cbranch_scc0 .LBB66_1006
; %bb.975:
	s_cmp_lt_i32 s2, 24
	s_cbranch_scc1 .LBB66_995
; %bb.976:
	s_cmp_gt_i32 s2, 24
	s_cbranch_scc0 .LBB66_984
; %bb.977:
	v_cvt_f32_f16_e32 v2, v3
	v_mov_b32_e32 v5, 0x80
	s_mov_b32 s17, exec_lo
	v_and_b32_e32 v4, 0x7fffffff, v2
	v_cmpx_gt_u32_e32 0x47800000, v4
	s_cbranch_execz .LBB66_983
; %bb.978:
	v_cmp_lt_u32_e32 vcc_lo, 0x37ffffff, v4
	s_mov_b32 s18, 0
                                        ; implicit-def: $vgpr4
	s_and_saveexec_b32 s19, vcc_lo
	s_xor_b32 s19, exec_lo, s19
	s_cbranch_execz .LBB66_1201
; %bb.979:
	v_bfe_u32 v4, v2, 21, 1
	s_mov_b32 s18, exec_lo
	v_add3_u32 v4, v2, v4, 0x88fffff
	v_lshrrev_b32_e32 v4, 21, v4
	s_andn2_saveexec_b32 s19, s19
	s_cbranch_execnz .LBB66_1202
.LBB66_980:
	s_or_b32 exec_lo, exec_lo, s19
	v_mov_b32_e32 v5, 0
	s_and_saveexec_b32 s19, s18
.LBB66_981:
	v_lshrrev_b32_e32 v2, 24, v2
	v_and_or_b32 v5, 0x80, v2, v4
.LBB66_982:
	s_or_b32 exec_lo, exec_lo, s19
.LBB66_983:
	s_or_b32 exec_lo, exec_lo, s17
	s_mov_b32 s17, 0
	global_store_byte v[0:1], v5, off
.LBB66_984:
	s_and_b32 vcc_lo, exec_lo, s17
	s_cbranch_vccz .LBB66_994
; %bb.985:
	v_cvt_f32_f16_e32 v2, v3
	s_mov_b32 s17, exec_lo
                                        ; implicit-def: $vgpr4
	v_and_b32_e32 v5, 0x7fffffff, v2
	v_cmpx_gt_u32_e32 0x43f00000, v5
	s_xor_b32 s17, exec_lo, s17
	s_cbranch_execz .LBB66_991
; %bb.986:
	s_mov_b32 s18, exec_lo
                                        ; implicit-def: $vgpr4
	v_cmpx_lt_u32_e32 0x3c7fffff, v5
	s_xor_b32 s18, exec_lo, s18
; %bb.987:
	v_bfe_u32 v4, v2, 20, 1
	v_add3_u32 v4, v2, v4, 0x407ffff
	v_and_b32_e32 v5, 0xff00000, v4
	v_lshrrev_b32_e32 v4, 20, v4
	v_cmp_ne_u32_e32 vcc_lo, 0x7f00000, v5
	v_cndmask_b32_e32 v4, 0x7e, v4, vcc_lo
; %bb.988:
	s_andn2_saveexec_b32 s18, s18
; %bb.989:
	v_add_f32_e64 v4, 0x46800000, |v2|
; %bb.990:
	s_or_b32 exec_lo, exec_lo, s18
                                        ; implicit-def: $vgpr5
.LBB66_991:
	s_andn2_saveexec_b32 s17, s17
; %bb.992:
	v_mov_b32_e32 v4, 0x7f
	v_cmp_lt_u32_e32 vcc_lo, 0x7f800000, v5
	v_cndmask_b32_e32 v4, 0x7e, v4, vcc_lo
; %bb.993:
	s_or_b32 exec_lo, exec_lo, s17
	v_lshrrev_b32_e32 v2, 24, v2
	v_and_or_b32 v2, 0x80, v2, v4
	global_store_byte v[0:1], v2, off
.LBB66_994:
	s_mov_b32 s17, 0
.LBB66_995:
	s_andn2_b32 vcc_lo, exec_lo, s17
	s_cbranch_vccnz .LBB66_1005
; %bb.996:
	v_cvt_f32_f16_e32 v2, v3
	s_mov_b32 s17, exec_lo
                                        ; implicit-def: $vgpr4
	v_and_b32_e32 v5, 0x7fffffff, v2
	v_cmpx_gt_u32_e32 0x47800000, v5
	s_xor_b32 s17, exec_lo, s17
	s_cbranch_execz .LBB66_1002
; %bb.997:
	s_mov_b32 s18, exec_lo
                                        ; implicit-def: $vgpr4
	v_cmpx_lt_u32_e32 0x387fffff, v5
	s_xor_b32 s18, exec_lo, s18
; %bb.998:
	v_bfe_u32 v4, v2, 21, 1
	v_add3_u32 v4, v2, v4, 0x80fffff
	v_lshrrev_b32_e32 v4, 21, v4
; %bb.999:
	s_andn2_saveexec_b32 s18, s18
; %bb.1000:
	v_add_f32_e64 v4, 0x43000000, |v2|
; %bb.1001:
	s_or_b32 exec_lo, exec_lo, s18
                                        ; implicit-def: $vgpr5
.LBB66_1002:
	s_andn2_saveexec_b32 s17, s17
; %bb.1003:
	v_mov_b32_e32 v4, 0x7f
	v_cmp_lt_u32_e32 vcc_lo, 0x7f800000, v5
	v_cndmask_b32_e32 v4, 0x7c, v4, vcc_lo
; %bb.1004:
	s_or_b32 exec_lo, exec_lo, s17
	v_lshrrev_b32_e32 v2, 24, v2
	v_and_or_b32 v2, 0x80, v2, v4
	global_store_byte v[0:1], v2, off
.LBB66_1005:
	s_mov_b32 s17, 0
.LBB66_1006:
	s_andn2_b32 vcc_lo, exec_lo, s17
	s_mov_b32 s17, 0
	s_cbranch_vccnz .LBB66_1014
; %bb.1007:
	s_cmp_gt_i32 s2, 14
	s_mov_b32 s17, -1
	s_cbranch_scc0 .LBB66_1011
; %bb.1008:
	s_cmp_eq_u32 s2, 15
	s_mov_b32 s0, -1
	s_cbranch_scc0 .LBB66_1010
; %bb.1009:
	v_cvt_f32_f16_e32 v2, v3
	v_cmp_o_f16_e32 vcc_lo, v3, v3
	s_mov_b32 s0, 0
	v_bfe_u32 v4, v2, 16, 1
	v_add3_u32 v2, v2, v4, 0x7fff
	v_mov_b32_e32 v4, 0x7fc0
	v_cndmask_b32_sdwa v2, v4, v2, vcc_lo dst_sel:DWORD dst_unused:UNUSED_PAD src0_sel:DWORD src1_sel:WORD_1
	global_store_short v[0:1], v2, off
.LBB66_1010:
	s_mov_b32 s17, 0
.LBB66_1011:
	s_and_b32 vcc_lo, exec_lo, s17
	s_mov_b32 s17, 0
	s_cbranch_vccz .LBB66_1014
; %bb.1012:
	s_cmp_lg_u32 s2, 11
	s_mov_b32 s17, -1
	s_cselect_b32 s2, -1, 0
	s_andn2_b32 s0, s0, exec_lo
	s_and_b32 s2, s2, exec_lo
	s_or_b32 s0, s0, s2
	s_branch .LBB66_1014
.LBB66_1013:
	s_mov_b32 s17, 0
.LBB66_1014:
	s_andn2_b32 s14, s14, exec_lo
	s_and_b32 s0, s0, exec_lo
	s_and_b32 s2, s3, exec_lo
	;; [unrolled: 1-line block ×3, first 2 shown]
	s_or_b32 s14, s14, s0
	s_or_b32 exec_lo, exec_lo, s16
	s_and_saveexec_b32 s0, s14
	s_cbranch_execz .LBB66_943
.LBB66_1015:
	s_or_b32 s15, s15, exec_lo
	s_andn2_b32 s3, s3, exec_lo
	s_trap 2
	s_or_b32 exec_lo, exec_lo, s0
	s_and_saveexec_b32 s0, s3
	s_xor_b32 s0, exec_lo, s0
	s_cbranch_execnz .LBB66_944
.LBB66_1016:
	s_or_b32 exec_lo, exec_lo, s0
	s_and_saveexec_b32 s0, s2
	s_xor_b32 s0, exec_lo, s0
	s_cbranch_execz .LBB66_1054
.LBB66_1017:
	s_sext_i32_i16 s3, s1
	s_mov_b32 s2, -1
	s_cmp_lt_i32 s3, 5
	s_cbranch_scc1 .LBB66_1038
; %bb.1018:
	s_cmp_lt_i32 s3, 8
	s_cbranch_scc1 .LBB66_1028
; %bb.1019:
	;; [unrolled: 3-line block ×3, first 2 shown]
	s_cmp_gt_i32 s3, 9
	s_cbranch_scc0 .LBB66_1022
; %bb.1021:
	s_waitcnt vmcnt(0)
	v_cvt_f32_f16_e32 v2, v3
	v_mov_b32_e32 v6, 0
	s_mov_b32 s2, 0
	v_cvt_f64_f32_e32 v[4:5], v2
	v_mov_b32_e32 v7, v6
	global_store_dwordx4 v[0:1], v[4:7], off
.LBB66_1022:
	s_andn2_b32 vcc_lo, exec_lo, s2
	s_cbranch_vccnz .LBB66_1024
; %bb.1023:
	s_waitcnt vmcnt(0)
	v_cvt_f32_f16_e32 v4, v3
	v_mov_b32_e32 v5, 0
	global_store_dwordx2 v[0:1], v[4:5], off
.LBB66_1024:
	s_mov_b32 s2, 0
.LBB66_1025:
	s_andn2_b32 vcc_lo, exec_lo, s2
	s_cbranch_vccnz .LBB66_1027
; %bb.1026:
	s_waitcnt vmcnt(0)
	v_and_b32_e32 v2, 0xffff, v3
	global_store_dword v[0:1], v2, off
.LBB66_1027:
	s_mov_b32 s2, 0
.LBB66_1028:
	s_andn2_b32 vcc_lo, exec_lo, s2
	s_cbranch_vccnz .LBB66_1037
; %bb.1029:
	s_sext_i32_i16 s3, s1
	s_mov_b32 s2, -1
	s_cmp_lt_i32 s3, 6
	s_cbranch_scc1 .LBB66_1035
; %bb.1030:
	s_cmp_gt_i32 s3, 6
	s_cbranch_scc0 .LBB66_1032
; %bb.1031:
	s_waitcnt vmcnt(0)
	v_cvt_f32_f16_e32 v2, v3
	s_mov_b32 s2, 0
	v_cvt_f64_f32_e32 v[4:5], v2
	global_store_dwordx2 v[0:1], v[4:5], off
.LBB66_1032:
	s_andn2_b32 vcc_lo, exec_lo, s2
	s_cbranch_vccnz .LBB66_1034
; %bb.1033:
	s_waitcnt vmcnt(0)
	v_cvt_f32_f16_e32 v2, v3
	global_store_dword v[0:1], v2, off
.LBB66_1034:
	s_mov_b32 s2, 0
.LBB66_1035:
	s_andn2_b32 vcc_lo, exec_lo, s2
	s_cbranch_vccnz .LBB66_1037
; %bb.1036:
	s_waitcnt vmcnt(0)
	global_store_short v[0:1], v3, off
.LBB66_1037:
	s_mov_b32 s2, 0
.LBB66_1038:
	s_andn2_b32 vcc_lo, exec_lo, s2
	s_cbranch_vccnz .LBB66_1054
; %bb.1039:
	s_sext_i32_i16 s3, s1
	s_mov_b32 s2, -1
	s_cmp_lt_i32 s3, 2
	s_cbranch_scc1 .LBB66_1049
; %bb.1040:
	s_cmp_lt_i32 s3, 3
	s_cbranch_scc1 .LBB66_1046
; %bb.1041:
	s_cmp_gt_i32 s3, 3
	s_cbranch_scc0 .LBB66_1043
; %bb.1042:
	s_waitcnt vmcnt(0)
	v_cvt_f32_f16_e32 v2, v3
	s_mov_b32 s2, 0
	v_cvt_i32_f32_e32 v4, v2
	v_ashrrev_i32_e32 v5, 31, v4
	global_store_dwordx2 v[0:1], v[4:5], off
.LBB66_1043:
	s_andn2_b32 vcc_lo, exec_lo, s2
	s_cbranch_vccnz .LBB66_1045
; %bb.1044:
	s_waitcnt vmcnt(0)
	v_cvt_f32_f16_e32 v2, v3
	v_cvt_i32_f32_e32 v2, v2
	global_store_dword v[0:1], v2, off
.LBB66_1045:
	s_mov_b32 s2, 0
.LBB66_1046:
	s_andn2_b32 vcc_lo, exec_lo, s2
	s_cbranch_vccnz .LBB66_1048
; %bb.1047:
	s_waitcnt vmcnt(0)
	v_cvt_i16_f16_e32 v2, v3
	global_store_short v[0:1], v2, off
.LBB66_1048:
	s_mov_b32 s2, 0
.LBB66_1049:
	s_andn2_b32 vcc_lo, exec_lo, s2
	s_cbranch_vccnz .LBB66_1054
; %bb.1050:
	s_sext_i32_i16 s1, s1
	s_cmp_gt_i32 s1, 0
	s_mov_b32 s1, -1
	s_cbranch_scc0 .LBB66_1052
; %bb.1051:
	s_waitcnt vmcnt(0)
	v_cvt_i16_f16_e32 v2, v3
	s_mov_b32 s1, 0
	global_store_byte v[0:1], v2, off
.LBB66_1052:
	s_andn2_b32 vcc_lo, exec_lo, s1
	s_cbranch_vccnz .LBB66_1054
; %bb.1053:
	s_waitcnt vmcnt(0)
	v_cvt_f32_f16_e32 v2, v3
	v_cvt_i32_f32_e32 v2, v2
	global_store_byte v[0:1], v2, off
.LBB66_1054:
	s_or_b32 exec_lo, exec_lo, s0
	s_and_b32 s14, s15, exec_lo
                                        ; implicit-def: $vgpr2
.LBB66_1055:
	s_or_saveexec_b32 s7, s7
	s_mov_b32 s0, 0
                                        ; implicit-def: $sgpr15
                                        ; implicit-def: $vgpr0_vgpr1
                                        ; implicit-def: $vgpr3
	s_xor_b32 exec_lo, exec_lo, s7
	s_cbranch_execz .LBB66_2031
; %bb.1056:
	v_mul_lo_u32 v6, s13, v2
	s_and_b32 s2, 0xffff, s6
	s_cmp_lt_i32 s2, 11
	v_ashrrev_i32_e32 v1, 31, v6
	v_add_co_u32 v0, vcc_lo, s10, v6
	v_add_co_ci_u32_e64 v1, null, s11, v1, vcc_lo
	s_cbranch_scc1 .LBB66_1063
; %bb.1057:
	s_cmp_gt_i32 s2, 25
	s_mov_b32 s1, 0
	s_cbranch_scc0 .LBB66_1065
; %bb.1058:
	s_cmp_gt_i32 s2, 28
	s_cbranch_scc0 .LBB66_1066
; %bb.1059:
	s_cmp_gt_i32 s2, 43
	s_cbranch_scc0 .LBB66_1067
; %bb.1060:
	s_cmp_gt_i32 s2, 45
	s_cbranch_scc0 .LBB66_1068
; %bb.1061:
	s_cmp_eq_u32 s2, 46
	s_cbranch_scc0 .LBB66_1071
; %bb.1062:
	global_load_dword v3, v[0:1], off
	s_mov_b32 s3, -1
	s_waitcnt vmcnt(0)
	v_lshlrev_b32_e32 v3, 16, v3
	v_cvt_f16_f32_e32 v4, v3
	s_branch .LBB66_1073
.LBB66_1063:
	s_mov_b32 s3, 0
	s_mov_b32 s5, s14
                                        ; implicit-def: $vgpr4
	s_cbranch_execnz .LBB66_1136
.LBB66_1064:
	s_andn2_b32 vcc_lo, exec_lo, s3
	s_cbranch_vccz .LBB66_1181
	s_branch .LBB66_2029
.LBB66_1065:
	s_mov_b32 s3, 0
                                        ; implicit-def: $vgpr4
	s_cbranch_execnz .LBB66_1101
	s_branch .LBB66_1132
.LBB66_1066:
	s_mov_b32 s5, -1
	s_mov_b32 s3, 0
                                        ; implicit-def: $vgpr4
	s_branch .LBB66_1082
.LBB66_1067:
	s_mov_b32 s3, 0
                                        ; implicit-def: $vgpr4
	s_cbranch_execnz .LBB66_1078
	s_branch .LBB66_1081
.LBB66_1068:
	s_mov_b32 s5, -1
	s_branch .LBB66_1072
.LBB66_1069:
	s_andn2_saveexec_b32 s18, s18
	s_cbranch_execz .LBB66_968
.LBB66_1070:
	v_add_f32_e64 v4, 0x46000000, |v2|
	s_andn2_b32 s17, s17, exec_lo
	v_and_b32_e32 v4, 0xff, v4
	v_cmp_ne_u32_e32 vcc_lo, 0, v4
	s_and_b32 s19, vcc_lo, exec_lo
	s_or_b32 s17, s17, s19
	s_or_b32 exec_lo, exec_lo, s18
	v_mov_b32_e32 v5, 0
	s_and_saveexec_b32 s18, s17
	s_cbranch_execnz .LBB66_969
	s_branch .LBB66_970
.LBB66_1071:
	s_mov_b32 s0, -1
.LBB66_1072:
	s_mov_b32 s3, 0
                                        ; implicit-def: $vgpr4
.LBB66_1073:
	s_and_b32 vcc_lo, exec_lo, s5
	s_cbranch_vccz .LBB66_1076
; %bb.1074:
	s_cmp_eq_u32 s2, 44
	s_cbranch_scc0 .LBB66_1077
; %bb.1075:
	global_load_ubyte v3, v[0:1], off
	s_mov_b32 s0, 0
	s_mov_b32 s3, -1
	s_waitcnt vmcnt(0)
	v_lshlrev_b32_e32 v4, 23, v3
	v_cmp_ne_u32_e32 vcc_lo, 0xff, v3
	v_cvt_f16_f32_e32 v4, v4
	v_cndmask_b32_e32 v4, 0x7e00, v4, vcc_lo
	v_cmp_ne_u32_e32 vcc_lo, 0, v3
	v_cndmask_b32_e32 v4, 0, v4, vcc_lo
.LBB66_1076:
	s_branch .LBB66_1081
.LBB66_1077:
	s_mov_b32 s0, -1
                                        ; implicit-def: $vgpr4
	s_branch .LBB66_1081
.LBB66_1078:
	s_cmp_eq_u32 s2, 29
	s_cbranch_scc0 .LBB66_1080
; %bb.1079:
	global_load_dwordx2 v[3:4], v[0:1], off
	s_mov_b32 s0, 0
	s_mov_b32 s3, -1
	s_mov_b32 s5, 0
	s_waitcnt vmcnt(0)
	v_ffbh_u32_e32 v5, v4
	v_min_u32_e32 v5, 32, v5
	v_lshlrev_b64 v[3:4], v5, v[3:4]
	v_min_u32_e32 v3, 1, v3
	v_or_b32_e32 v3, v4, v3
	v_sub_nc_u32_e32 v4, 32, v5
	v_cvt_f32_u32_e32 v3, v3
	v_ldexp_f32 v3, v3, v4
	v_cvt_f16_f32_e32 v4, v3
	s_branch .LBB66_1082
.LBB66_1080:
	s_mov_b32 s0, -1
                                        ; implicit-def: $vgpr4
.LBB66_1081:
	s_mov_b32 s5, 0
.LBB66_1082:
	s_and_b32 vcc_lo, exec_lo, s5
	s_cbranch_vccz .LBB66_1100
; %bb.1083:
	s_cmp_lt_i32 s2, 27
	s_cbranch_scc1 .LBB66_1086
; %bb.1084:
	s_cmp_gt_i32 s2, 27
	s_cbranch_scc0 .LBB66_1087
; %bb.1085:
	global_load_dword v3, v[0:1], off
	s_mov_b32 s3, 0
	s_waitcnt vmcnt(0)
	v_cvt_f32_u32_e32 v3, v3
	v_cvt_f16_f32_e32 v4, v3
	s_branch .LBB66_1088
.LBB66_1086:
	s_mov_b32 s3, -1
                                        ; implicit-def: $vgpr4
	s_branch .LBB66_1091
.LBB66_1087:
	s_mov_b32 s3, -1
                                        ; implicit-def: $vgpr4
.LBB66_1088:
	s_andn2_b32 vcc_lo, exec_lo, s3
	s_cbranch_vccnz .LBB66_1090
; %bb.1089:
	global_load_ushort v3, v[0:1], off
	s_waitcnt vmcnt(0)
	v_cvt_f16_u16_e32 v4, v3
.LBB66_1090:
	s_mov_b32 s3, 0
.LBB66_1091:
	s_andn2_b32 vcc_lo, exec_lo, s3
	s_cbranch_vccnz .LBB66_1099
; %bb.1092:
	global_load_ubyte v3, v[0:1], off
	s_mov_b32 s3, 0
	s_mov_b32 s5, exec_lo
	s_waitcnt vmcnt(0)
	v_cmpx_lt_i16_e32 0x7f, v3
	s_xor_b32 s5, exec_lo, s5
	s_cbranch_execz .LBB66_1112
; %bb.1093:
	s_mov_b32 s3, -1
	s_mov_b32 s6, exec_lo
	v_cmpx_eq_u16_e32 0x80, v3
; %bb.1094:
	s_xor_b32 s3, exec_lo, -1
; %bb.1095:
	s_or_b32 exec_lo, exec_lo, s6
	s_and_b32 s3, s3, exec_lo
	s_or_saveexec_b32 s5, s5
	v_mov_b32_e32 v4, 0x7e00
	s_xor_b32 exec_lo, exec_lo, s5
	s_cbranch_execnz .LBB66_1113
.LBB66_1096:
	s_or_b32 exec_lo, exec_lo, s5
	s_and_saveexec_b32 s5, s3
	s_cbranch_execz .LBB66_1098
.LBB66_1097:
	v_and_b32_e32 v4, 0xffff, v3
	v_lshlrev_b32_e32 v3, 24, v3
	v_and_b32_e32 v5, 7, v4
	v_bfe_u32 v9, v4, 3, 4
	v_and_b32_e32 v3, 0x80000000, v3
	v_ffbh_u32_e32 v7, v5
	v_cmp_eq_u32_e32 vcc_lo, 0, v9
	v_min_u32_e32 v7, 32, v7
	v_subrev_nc_u32_e32 v8, 28, v7
	v_sub_nc_u32_e32 v7, 29, v7
	v_lshlrev_b32_e32 v4, v8, v4
	v_cndmask_b32_e32 v7, v9, v7, vcc_lo
	v_and_b32_e32 v4, 7, v4
	v_cndmask_b32_e32 v4, v5, v4, vcc_lo
	v_lshl_add_u32 v5, v7, 23, 0x3b800000
	v_lshlrev_b32_e32 v4, 20, v4
	v_or3_b32 v3, v3, v5, v4
	v_cvt_f16_f32_e32 v4, v3
.LBB66_1098:
	s_or_b32 exec_lo, exec_lo, s5
.LBB66_1099:
	s_mov_b32 s3, -1
.LBB66_1100:
	s_branch .LBB66_1132
.LBB66_1101:
	s_cmp_gt_i32 s2, 22
	s_cbranch_scc0 .LBB66_1111
; %bb.1102:
	s_cmp_lt_i32 s2, 24
	s_cbranch_scc1 .LBB66_1114
; %bb.1103:
	s_cmp_gt_i32 s2, 24
	s_cbranch_scc0 .LBB66_1115
; %bb.1104:
	global_load_ubyte v3, v[0:1], off
	s_mov_b32 s3, exec_lo
	s_waitcnt vmcnt(0)
	v_cmpx_lt_i16_e32 0x7f, v3
	s_xor_b32 s3, exec_lo, s3
	s_cbranch_execz .LBB66_1126
; %bb.1105:
	s_mov_b32 s1, -1
	s_mov_b32 s5, exec_lo
	v_cmpx_eq_u16_e32 0x80, v3
; %bb.1106:
	s_xor_b32 s1, exec_lo, -1
; %bb.1107:
	s_or_b32 exec_lo, exec_lo, s5
	s_and_b32 s1, s1, exec_lo
	s_or_saveexec_b32 s3, s3
	v_mov_b32_e32 v4, 0x7e00
	s_xor_b32 exec_lo, exec_lo, s3
	s_cbranch_execnz .LBB66_1127
.LBB66_1108:
	s_or_b32 exec_lo, exec_lo, s3
	s_and_saveexec_b32 s3, s1
	s_cbranch_execz .LBB66_1110
.LBB66_1109:
	v_and_b32_e32 v4, 0xffff, v3
	v_lshlrev_b32_e32 v3, 24, v3
	v_and_b32_e32 v5, 3, v4
	v_bfe_u32 v9, v4, 2, 5
	v_and_b32_e32 v3, 0x80000000, v3
	v_ffbh_u32_e32 v7, v5
	v_cmp_eq_u32_e32 vcc_lo, 0, v9
	v_min_u32_e32 v7, 32, v7
	v_subrev_nc_u32_e32 v8, 29, v7
	v_sub_nc_u32_e32 v7, 30, v7
	v_lshlrev_b32_e32 v4, v8, v4
	v_cndmask_b32_e32 v7, v9, v7, vcc_lo
	v_and_b32_e32 v4, 3, v4
	v_cndmask_b32_e32 v4, v5, v4, vcc_lo
	v_lshl_add_u32 v5, v7, 23, 0x37800000
	v_lshlrev_b32_e32 v4, 21, v4
	v_or3_b32 v3, v3, v5, v4
	v_cvt_f16_f32_e32 v4, v3
.LBB66_1110:
	s_or_b32 exec_lo, exec_lo, s3
	s_mov_b32 s1, 0
	s_branch .LBB66_1116
.LBB66_1111:
                                        ; implicit-def: $vgpr4
	s_mov_b32 s1, 0
	s_branch .LBB66_1122
.LBB66_1112:
	s_or_saveexec_b32 s5, s5
	v_mov_b32_e32 v4, 0x7e00
	s_xor_b32 exec_lo, exec_lo, s5
	s_cbranch_execz .LBB66_1096
.LBB66_1113:
	v_cmp_ne_u16_e32 vcc_lo, 0, v3
	v_mov_b32_e32 v4, v3
	s_andn2_b32 s3, s3, exec_lo
	s_and_b32 s6, vcc_lo, exec_lo
	s_or_b32 s3, s3, s6
	s_or_b32 exec_lo, exec_lo, s5
	s_and_saveexec_b32 s5, s3
	s_cbranch_execnz .LBB66_1097
	s_branch .LBB66_1098
.LBB66_1114:
	s_mov_b32 s1, -1
                                        ; implicit-def: $vgpr4
	s_branch .LBB66_1119
.LBB66_1115:
	s_mov_b32 s1, -1
                                        ; implicit-def: $vgpr4
.LBB66_1116:
	s_and_b32 vcc_lo, exec_lo, s1
	s_cbranch_vccz .LBB66_1118
; %bb.1117:
	global_load_ubyte v3, v[0:1], off
	s_waitcnt vmcnt(0)
	v_lshlrev_b32_e32 v3, 24, v3
	v_and_b32_e32 v4, 0x7f000000, v3
	v_ffbh_u32_e32 v5, v4
	v_add_nc_u32_e32 v8, 0x1000000, v4
	v_cmp_ne_u32_e32 vcc_lo, 0, v4
	v_min_u32_e32 v5, 32, v5
	v_sub_nc_u32_e64 v5, v5, 4 clamp
	v_lshlrev_b32_e32 v7, v5, v4
	v_lshlrev_b32_e32 v5, 23, v5
	v_lshrrev_b32_e32 v7, 4, v7
	v_sub_nc_u32_e32 v5, v7, v5
	v_ashrrev_i32_e32 v7, 8, v8
	v_add_nc_u32_e32 v5, 0x3c000000, v5
	v_and_or_b32 v5, 0x7f800000, v7, v5
	v_cndmask_b32_e32 v4, 0, v5, vcc_lo
	v_and_or_b32 v3, 0x80000000, v3, v4
	v_cvt_f16_f32_e32 v4, v3
.LBB66_1118:
	s_mov_b32 s1, 0
.LBB66_1119:
	s_andn2_b32 vcc_lo, exec_lo, s1
	s_cbranch_vccnz .LBB66_1121
; %bb.1120:
	global_load_ubyte v3, v[0:1], off
	s_waitcnt vmcnt(0)
	v_lshlrev_b32_e32 v4, 25, v3
	v_lshlrev_b16 v3, 8, v3
	v_lshrrev_b32_e32 v5, 4, v4
	v_and_or_b32 v7, 0x7f00, v3, 0.5
	v_cmp_gt_u32_e32 vcc_lo, 0x8000000, v4
	v_bfe_i32 v3, v3, 0, 16
	v_or_b32_e32 v5, 0x70000000, v5
	v_add_f32_e32 v7, -0.5, v7
	v_mul_f32_e32 v5, 0x7800000, v5
	v_cndmask_b32_e32 v4, v5, v7, vcc_lo
	v_and_or_b32 v3, 0x80000000, v3, v4
	v_cvt_f16_f32_e32 v4, v3
.LBB66_1121:
	s_mov_b32 s3, -1
	s_mov_b32 s1, 0
	s_cbranch_execnz .LBB66_1132
.LBB66_1122:
	s_cmp_gt_i32 s2, 14
	s_cbranch_scc0 .LBB66_1125
; %bb.1123:
	s_cmp_eq_u32 s2, 15
	s_cbranch_scc0 .LBB66_1128
; %bb.1124:
	global_load_ushort v3, v[0:1], off
	s_mov_b32 s0, 0
	s_mov_b32 s3, -1
	s_waitcnt vmcnt(0)
	v_lshlrev_b32_e32 v3, 16, v3
	v_cvt_f16_f32_e32 v4, v3
	s_branch .LBB66_1130
.LBB66_1125:
	s_mov_b32 s1, -1
	s_branch .LBB66_1129
.LBB66_1126:
	s_or_saveexec_b32 s3, s3
	v_mov_b32_e32 v4, 0x7e00
	s_xor_b32 exec_lo, exec_lo, s3
	s_cbranch_execz .LBB66_1108
.LBB66_1127:
	v_cmp_ne_u16_e32 vcc_lo, 0, v3
	v_mov_b32_e32 v4, v3
	s_andn2_b32 s1, s1, exec_lo
	s_and_b32 s5, vcc_lo, exec_lo
	s_or_b32 s1, s1, s5
	s_or_b32 exec_lo, exec_lo, s3
	s_and_saveexec_b32 s3, s1
	s_cbranch_execnz .LBB66_1109
	s_branch .LBB66_1110
.LBB66_1128:
	s_mov_b32 s0, -1
.LBB66_1129:
                                        ; implicit-def: $vgpr4
.LBB66_1130:
	s_and_b32 vcc_lo, exec_lo, s1
	s_mov_b32 s1, 0
	s_cbranch_vccz .LBB66_1132
; %bb.1131:
	s_cmp_lg_u32 s2, 11
	s_mov_b32 s1, -1
	s_cselect_b32 s0, -1, 0
.LBB66_1132:
	s_and_b32 vcc_lo, exec_lo, s0
	s_mov_b32 s5, s14
	s_cbranch_vccnz .LBB66_1199
; %bb.1133:
	s_andn2_b32 vcc_lo, exec_lo, s1
	s_cbranch_vccnz .LBB66_1135
.LBB66_1134:
	global_load_ubyte v3, v[0:1], off
	s_mov_b32 s3, -1
	s_waitcnt vmcnt(0)
	v_cmp_ne_u16_e32 vcc_lo, 0, v3
	v_cndmask_b32_e64 v4, 0, 0x3c00, vcc_lo
.LBB66_1135:
	s_branch .LBB66_1064
.LBB66_1136:
	s_cmp_lt_i32 s2, 5
	s_cbranch_scc1 .LBB66_1141
; %bb.1137:
	s_cmp_lt_i32 s2, 8
	s_cbranch_scc1 .LBB66_1142
; %bb.1138:
	;; [unrolled: 3-line block ×3, first 2 shown]
	s_cmp_gt_i32 s2, 9
	s_cbranch_scc0 .LBB66_1144
; %bb.1140:
	global_load_dwordx2 v[3:4], v[0:1], off
	s_mov_b32 s0, 0
	s_waitcnt vmcnt(0)
	v_and_or_b32 v3, 0x1ff, v4, v3
	v_lshrrev_b32_e32 v5, 8, v4
	v_bfe_u32 v7, v4, 20, 11
	v_lshrrev_b32_e32 v4, 16, v4
	v_cmp_ne_u32_e32 vcc_lo, 0, v3
	v_sub_nc_u32_e32 v8, 0x3f1, v7
	v_add_nc_u32_e32 v7, 0xfffffc10, v7
	v_cndmask_b32_e64 v3, 0, 1, vcc_lo
	v_and_or_b32 v3, 0xffe, v5, v3
	v_med3_i32 v5, v8, 0, 13
	v_or_b32_e32 v8, 0x1000, v3
	v_lshrrev_b32_e32 v9, v5, v8
	v_lshlrev_b32_e32 v5, v5, v9
	v_cmp_ne_u32_e32 vcc_lo, v5, v8
	v_lshl_or_b32 v8, v7, 12, v3
	v_cndmask_b32_e64 v5, 0, 1, vcc_lo
	v_cmp_gt_i32_e32 vcc_lo, 1, v7
	v_or_b32_e32 v5, v9, v5
	v_cndmask_b32_e32 v5, v8, v5, vcc_lo
	v_and_b32_e32 v8, 7, v5
	v_lshrrev_b32_e32 v5, 2, v5
	v_cmp_lt_i32_e32 vcc_lo, 5, v8
	v_cndmask_b32_e64 v9, 0, 1, vcc_lo
	v_cmp_eq_u32_e32 vcc_lo, 3, v8
	v_cndmask_b32_e64 v8, 0, 1, vcc_lo
	v_cmp_ne_u32_e32 vcc_lo, 0, v3
	v_or_b32_e32 v8, v8, v9
	v_mov_b32_e32 v9, 0x7e00
	v_add_nc_u32_e32 v5, v5, v8
	v_cndmask_b32_e32 v3, 0x7c00, v9, vcc_lo
	v_cmp_gt_i32_e32 vcc_lo, 31, v7
	v_cndmask_b32_e32 v5, 0x7c00, v5, vcc_lo
	v_cmp_eq_u32_e32 vcc_lo, 0x40f, v7
	v_cndmask_b32_e32 v3, v5, v3, vcc_lo
	v_and_or_b32 v4, 0x8000, v4, v3
	s_branch .LBB66_1145
.LBB66_1141:
                                        ; implicit-def: $vgpr4
	s_branch .LBB66_1162
.LBB66_1142:
                                        ; implicit-def: $vgpr4
	s_branch .LBB66_1151
.LBB66_1143:
	s_mov_b32 s0, -1
                                        ; implicit-def: $vgpr4
	s_branch .LBB66_1148
.LBB66_1144:
	s_mov_b32 s0, -1
                                        ; implicit-def: $vgpr4
.LBB66_1145:
	s_andn2_b32 vcc_lo, exec_lo, s0
	s_cbranch_vccnz .LBB66_1147
; %bb.1146:
	global_load_dword v3, v[0:1], off
	s_waitcnt vmcnt(0)
	v_cvt_f16_f32_e32 v4, v3
.LBB66_1147:
	s_mov_b32 s0, 0
.LBB66_1148:
	s_andn2_b32 vcc_lo, exec_lo, s0
	s_cbranch_vccnz .LBB66_1150
; %bb.1149:
	global_load_dword v4, v[0:1], off
.LBB66_1150:
	s_cbranch_execnz .LBB66_1161
.LBB66_1151:
	s_cmp_lt_i32 s2, 6
	s_cbranch_scc1 .LBB66_1154
; %bb.1152:
	s_cmp_gt_i32 s2, 6
	s_cbranch_scc0 .LBB66_1155
; %bb.1153:
	global_load_dwordx2 v[3:4], v[0:1], off
	s_mov_b32 s0, 0
	s_waitcnt vmcnt(0)
	v_and_or_b32 v3, 0x1ff, v4, v3
	v_lshrrev_b32_e32 v5, 8, v4
	v_bfe_u32 v7, v4, 20, 11
	v_lshrrev_b32_e32 v4, 16, v4
	v_cmp_ne_u32_e32 vcc_lo, 0, v3
	v_sub_nc_u32_e32 v8, 0x3f1, v7
	v_add_nc_u32_e32 v7, 0xfffffc10, v7
	v_cndmask_b32_e64 v3, 0, 1, vcc_lo
	v_and_or_b32 v3, 0xffe, v5, v3
	v_med3_i32 v5, v8, 0, 13
	v_or_b32_e32 v8, 0x1000, v3
	v_lshrrev_b32_e32 v9, v5, v8
	v_lshlrev_b32_e32 v5, v5, v9
	v_cmp_ne_u32_e32 vcc_lo, v5, v8
	v_lshl_or_b32 v8, v7, 12, v3
	v_cndmask_b32_e64 v5, 0, 1, vcc_lo
	v_cmp_gt_i32_e32 vcc_lo, 1, v7
	v_or_b32_e32 v5, v9, v5
	v_cndmask_b32_e32 v5, v8, v5, vcc_lo
	v_and_b32_e32 v8, 7, v5
	v_lshrrev_b32_e32 v5, 2, v5
	v_cmp_lt_i32_e32 vcc_lo, 5, v8
	v_cndmask_b32_e64 v9, 0, 1, vcc_lo
	v_cmp_eq_u32_e32 vcc_lo, 3, v8
	v_cndmask_b32_e64 v8, 0, 1, vcc_lo
	v_cmp_ne_u32_e32 vcc_lo, 0, v3
	v_or_b32_e32 v8, v8, v9
	v_mov_b32_e32 v9, 0x7e00
	v_add_nc_u32_e32 v5, v5, v8
	v_cndmask_b32_e32 v3, 0x7c00, v9, vcc_lo
	v_cmp_gt_i32_e32 vcc_lo, 31, v7
	v_cndmask_b32_e32 v5, 0x7c00, v5, vcc_lo
	v_cmp_eq_u32_e32 vcc_lo, 0x40f, v7
	v_cndmask_b32_e32 v3, v5, v3, vcc_lo
	v_and_or_b32 v4, 0x8000, v4, v3
	s_branch .LBB66_1156
.LBB66_1154:
	s_mov_b32 s0, -1
                                        ; implicit-def: $vgpr4
	s_branch .LBB66_1159
.LBB66_1155:
	s_mov_b32 s0, -1
                                        ; implicit-def: $vgpr4
.LBB66_1156:
	s_andn2_b32 vcc_lo, exec_lo, s0
	s_cbranch_vccnz .LBB66_1158
; %bb.1157:
	global_load_dword v3, v[0:1], off
	s_waitcnt vmcnt(0)
	v_cvt_f16_f32_e32 v4, v3
.LBB66_1158:
	s_mov_b32 s0, 0
.LBB66_1159:
	s_andn2_b32 vcc_lo, exec_lo, s0
	s_cbranch_vccnz .LBB66_1161
; %bb.1160:
	global_load_ushort v4, v[0:1], off
.LBB66_1161:
	s_cbranch_execnz .LBB66_1180
.LBB66_1162:
	s_cmp_lt_i32 s2, 2
	s_cbranch_scc1 .LBB66_1166
; %bb.1163:
	s_cmp_lt_i32 s2, 3
	s_cbranch_scc1 .LBB66_1167
; %bb.1164:
	s_cmp_gt_i32 s2, 3
	s_cbranch_scc0 .LBB66_1168
; %bb.1165:
	global_load_dwordx2 v[3:4], v[0:1], off
	s_mov_b32 s0, 0
	s_waitcnt vmcnt(0)
	v_xor_b32_e32 v5, v3, v4
	v_ffbh_i32_e32 v7, v4
	v_ashrrev_i32_e32 v5, 31, v5
	v_add_nc_u32_e32 v7, -1, v7
	v_add_nc_u32_e32 v5, 32, v5
	v_min_u32_e32 v5, v7, v5
	v_lshlrev_b64 v[3:4], v5, v[3:4]
	v_min_u32_e32 v3, 1, v3
	v_or_b32_e32 v3, v4, v3
	v_sub_nc_u32_e32 v4, 32, v5
	v_cvt_f32_i32_e32 v3, v3
	v_ldexp_f32 v3, v3, v4
	v_cvt_f16_f32_e32 v4, v3
	s_branch .LBB66_1169
.LBB66_1166:
                                        ; implicit-def: $vgpr4
	s_branch .LBB66_1175
.LBB66_1167:
	s_mov_b32 s0, -1
                                        ; implicit-def: $vgpr4
	s_branch .LBB66_1172
.LBB66_1168:
	s_mov_b32 s0, -1
                                        ; implicit-def: $vgpr4
.LBB66_1169:
	s_andn2_b32 vcc_lo, exec_lo, s0
	s_cbranch_vccnz .LBB66_1171
; %bb.1170:
	global_load_dword v3, v[0:1], off
	s_waitcnt vmcnt(0)
	v_cvt_f32_i32_e32 v3, v3
	v_cvt_f16_f32_e32 v4, v3
.LBB66_1171:
	s_mov_b32 s0, 0
.LBB66_1172:
	s_andn2_b32 vcc_lo, exec_lo, s0
	s_cbranch_vccnz .LBB66_1174
; %bb.1173:
	global_load_ushort v3, v[0:1], off
	s_waitcnt vmcnt(0)
	v_cvt_f16_i16_e32 v4, v3
.LBB66_1174:
	s_cbranch_execnz .LBB66_1180
.LBB66_1175:
	s_cmp_gt_i32 s2, 0
	s_mov_b32 s0, 0
	s_cbranch_scc0 .LBB66_1177
; %bb.1176:
	global_load_sbyte v3, v[0:1], off
	s_waitcnt vmcnt(0)
	v_cvt_f16_i16_e32 v4, v3
	s_branch .LBB66_1178
.LBB66_1177:
	s_mov_b32 s0, -1
                                        ; implicit-def: $vgpr4
.LBB66_1178:
	s_andn2_b32 vcc_lo, exec_lo, s0
	s_cbranch_vccnz .LBB66_1180
; %bb.1179:
	global_load_ubyte v0, v[0:1], off
	s_waitcnt vmcnt(0)
	v_cvt_f16_u16_e32 v4, v0
.LBB66_1180:
.LBB66_1181:
	s_waitcnt vmcnt(0)
	v_cvt_f32_f16_e32 v3, v4
	v_cmp_gt_f16_e32 vcc_lo, 0.5, v4
	v_mov_b32_e32 v5, 0
	v_mov_b32_e32 v4, 1.0
	s_and_saveexec_b32 s3, vcc_lo
	s_cbranch_execz .LBB66_1187
; %bb.1182:
	v_mul_f32_e32 v0, 0x40490fdb, v3
                                        ; implicit-def: $vgpr5
                                        ; implicit-def: $vgpr4
	s_mov_b32 s1, exec_lo
	v_and_b32_e32 v1, 0x7fffffff, v0
	v_cmpx_ngt_f32_e64 0x48000000, |v0|
	s_xor_b32 s6, exec_lo, s1
	s_cbranch_execz .LBB66_1184
; %bb.1183:
	s_mov_b32 s0, 0x7fffff
	v_mov_b32_e32 v8, 0
	v_and_or_b32 v15, v1, s0, 0x800000
	v_mad_u64_u32 v[4:5], null, 0xfe5163ab, v15, 0
	v_mov_b32_e32 v7, v5
	v_lshrrev_b32_e32 v5, 23, v1
	v_mad_u64_u32 v[9:10], null, 0x3c439041, v15, v[7:8]
	v_add_nc_u32_e32 v5, 0xffffff88, v5
	v_cmp_lt_u32_e32 vcc_lo, 63, v5
	v_mov_b32_e32 v7, v10
	v_cndmask_b32_e64 v14, 0, 0xffffffc0, vcc_lo
	v_mad_u64_u32 v[10:11], null, 0xdb629599, v15, v[7:8]
	v_add_nc_u32_e32 v5, v14, v5
	v_mov_b32_e32 v7, v11
	v_cmp_lt_u32_e64 s0, 31, v5
	v_cndmask_b32_e32 v4, v10, v4, vcc_lo
	v_mad_u64_u32 v[11:12], null, 0xf534ddc0, v15, v[7:8]
	v_cndmask_b32_e64 v16, 0, 0xffffffe0, s0
	v_add_nc_u32_e32 v5, v16, v5
	v_mov_b32_e32 v7, v12
	v_cndmask_b32_e32 v9, v11, v9, vcc_lo
	v_cmp_lt_u32_e64 s1, 31, v5
	v_mad_u64_u32 v[12:13], null, 0xfc2757d1, v15, v[7:8]
	v_cndmask_b32_e64 v4, v9, v4, s0
	v_mov_b32_e32 v7, v13
	v_mad_u64_u32 v[13:14], null, 0x4e441529, v15, v[7:8]
	v_mov_b32_e32 v7, v14
	v_cndmask_b32_e64 v14, 0, 0xffffffe0, s1
	v_mad_u64_u32 v[7:8], null, 0xa2f9836e, v15, v[7:8]
	v_cndmask_b32_e32 v15, v13, v11, vcc_lo
	v_add_nc_u32_e32 v5, v14, v5
	v_cndmask_b32_e32 v7, v7, v12, vcc_lo
	v_cndmask_b32_e32 v8, v8, v13, vcc_lo
	;; [unrolled: 1-line block ×3, first 2 shown]
	v_sub_nc_u32_e32 v13, 32, v5
	v_cmp_eq_u32_e32 vcc_lo, 0, v5
	v_cndmask_b32_e64 v11, v7, v15, s0
	v_cndmask_b32_e64 v7, v8, v7, s0
	;; [unrolled: 1-line block ×8, first 2 shown]
	v_alignbit_b32 v14, v7, v11, v13
	v_alignbit_b32 v10, v11, v8, v13
	;; [unrolled: 1-line block ×3, first 2 shown]
	v_cndmask_b32_e32 v5, v14, v7, vcc_lo
	v_cndmask_b32_e32 v7, v10, v11, vcc_lo
	v_cndmask_b32_e32 v8, v12, v8, vcc_lo
	v_bfe_u32 v9, v5, 29, 1
	v_alignbit_b32 v10, v5, v7, 30
	v_alignbit_b32 v7, v7, v8, 30
	;; [unrolled: 1-line block ×3, first 2 shown]
	v_sub_nc_u32_e32 v11, 0, v9
	v_xor_b32_e32 v10, v10, v11
	v_xor_b32_e32 v7, v7, v11
	;; [unrolled: 1-line block ×3, first 2 shown]
	v_lshrrev_b32_e32 v11, 29, v5
	v_lshrrev_b32_e32 v5, 30, v5
	v_ffbh_u32_e32 v12, v10
	v_add_nc_u32_e32 v5, v9, v5
	v_min_u32_e32 v12, 32, v12
	v_sub_nc_u32_e32 v8, 31, v12
	v_lshlrev_b32_e32 v13, 23, v12
	v_alignbit_b32 v10, v10, v7, v8
	v_alignbit_b32 v4, v7, v4, v8
	v_lshlrev_b32_e32 v7, 31, v11
	v_alignbit_b32 v8, v10, v4, 9
	v_or_b32_e32 v11, 0.5, v7
	v_lshrrev_b32_e32 v10, 9, v10
	v_or_b32_e32 v7, 0x33000000, v7
	v_ffbh_u32_e32 v14, v8
	v_sub_nc_u32_e32 v11, v11, v13
	v_min_u32_e32 v13, 32, v14
	v_or_b32_e32 v10, v10, v11
	v_not_b32_e32 v11, v13
	v_mul_f32_e32 v14, 0x3fc90fda, v10
	v_add_lshl_u32 v12, v13, v12, 23
	v_alignbit_b32 v4, v8, v4, v11
	v_fma_f32 v8, 0x3fc90fda, v10, -v14
	v_sub_nc_u32_e32 v7, v7, v12
	v_lshrrev_b32_e32 v4, 9, v4
	v_fmamk_f32 v8, v10, 0x33a22168, v8
	v_or_b32_e32 v4, v7, v4
	v_fmac_f32_e32 v8, 0x3fc90fda, v4
	v_add_f32_e32 v4, v14, v8
.LBB66_1184:
	s_andn2_saveexec_b32 s0, s6
; %bb.1185:
	v_mul_f32_e64 v4, 0x3f22f983, |v0|
	v_rndne_f32_e32 v5, v4
	v_fma_f32 v4, 0xbfc90fda, v5, |v0|
	v_fmamk_f32 v4, v5, 0xb3a22168, v4
	v_fmamk_f32 v4, v5, 0xa7c234c4, v4
	v_cvt_i32_f32_e32 v5, v5
; %bb.1186:
	s_or_b32 exec_lo, exec_lo, s0
	v_mul_f32_e32 v7, v4, v4
	s_mov_b32 s0, 0xb94c1982
	s_mov_b32 s1, 0x37d75334
	v_and_b32_e32 v10, 1, v5
	v_lshlrev_b32_e32 v5, 30, v5
	v_fmaak_f32 v8, s0, v7, 0x3c0881c4
	v_fmaak_f32 v9, s1, v7, 0xbab64f3b
	v_xor_b32_e32 v1, v1, v0
	v_cmp_eq_u32_e32 vcc_lo, 0, v10
	v_and_b32_e32 v5, 0x80000000, v5
	v_fmaak_f32 v8, v7, v8, 0xbe2aaa9d
	v_fmaak_f32 v9, v7, v9, 0x3d2aabf7
	v_sub_f32_e32 v3, 1.0, v3
	v_mul_f32_e32 v8, v7, v8
	v_fmaak_f32 v9, v7, v9, 0xbf000004
	v_fmac_f32_e32 v4, v4, v8
	v_fma_f32 v7, v7, v9, 1.0
	v_cndmask_b32_e32 v4, v7, v4, vcc_lo
	v_cmp_class_f32_e64 vcc_lo, v0, 0x1f8
	v_xor3_b32 v1, v1, v5, v4
	v_cndmask_b32_e32 v0, 0x7fc00000, v1, vcc_lo
	v_mul_f32_e32 v0, v0, v0
	v_div_scale_f32 v1, null, v0, v0, 0xc11de9e7
	v_div_scale_f32 v7, vcc_lo, 0xc11de9e7, v0, 0xc11de9e7
	v_rcp_f32_e32 v4, v1
	v_fma_f32 v5, -v1, v4, 1.0
	v_fmac_f32_e32 v4, v5, v4
	v_mul_f32_e32 v5, v7, v4
	v_fma_f32 v8, -v1, v5, v7
	v_fmac_f32_e32 v5, v8, v4
	v_fma_f32 v1, -v1, v5, v7
	v_div_fmas_f32 v1, v1, v4, v5
	v_mov_b32_e32 v4, -1.0
	v_div_fixup_f32 v0, v1, v0, 0xc11de9e7
	v_add_f32_e32 v5, 0, v0
.LBB66_1187:
	s_or_b32 exec_lo, exec_lo, s3
	s_lshl_b32 s3, s13, 7
	s_cmp_lt_i32 s2, 11
	v_add_nc_u32_e32 v9, s3, v6
	v_ashrrev_i32_e32 v1, 31, v9
	v_add_co_u32 v0, vcc_lo, s10, v9
	v_add_co_ci_u32_e64 v1, null, s11, v1, vcc_lo
	s_cbranch_scc1 .LBB66_1194
; %bb.1188:
	s_cmp_gt_i32 s2, 25
	s_mov_b32 s1, 0
	s_cbranch_scc0 .LBB66_1196
; %bb.1189:
	s_cmp_gt_i32 s2, 28
	s_cbranch_scc0 .LBB66_1197
; %bb.1190:
	s_cmp_gt_i32 s2, 43
	;; [unrolled: 3-line block ×3, first 2 shown]
	s_cbranch_scc0 .LBB66_1200
; %bb.1192:
	s_cmp_eq_u32 s2, 46
	s_mov_b32 s13, 0
	s_cbranch_scc0 .LBB66_1203
; %bb.1193:
	global_load_dword v6, v[0:1], off
	s_mov_b32 s0, 0
	s_mov_b32 s6, -1
	s_waitcnt vmcnt(0)
	v_lshlrev_b32_e32 v6, 16, v6
	v_cvt_f16_f32_e32 v7, v6
	s_branch .LBB66_1205
.LBB66_1194:
	s_mov_b32 s6, 0
                                        ; implicit-def: $vgpr7
	s_cbranch_execnz .LBB66_1270
.LBB66_1195:
	s_andn2_b32 vcc_lo, exec_lo, s6
	s_cbranch_vccnz .LBB66_2029
	s_branch .LBB66_1317
.LBB66_1196:
	s_mov_b32 s6, 0
	s_mov_b32 s0, 0
                                        ; implicit-def: $vgpr7
	s_cbranch_execnz .LBB66_1234
	s_branch .LBB66_1266
.LBB66_1197:
	s_mov_b32 s13, -1
	s_mov_b32 s6, 0
	s_mov_b32 s0, 0
                                        ; implicit-def: $vgpr7
	s_branch .LBB66_1215
.LBB66_1198:
	s_mov_b32 s13, -1
	s_mov_b32 s6, 0
	s_mov_b32 s0, 0
                                        ; implicit-def: $vgpr7
	s_branch .LBB66_1210
.LBB66_1199:
	s_or_b32 s5, s14, exec_lo
	s_trap 2
	s_cbranch_execz .LBB66_1134
	s_branch .LBB66_1135
.LBB66_1200:
	s_mov_b32 s13, -1
	s_mov_b32 s6, 0
	s_mov_b32 s0, 0
	s_branch .LBB66_1204
.LBB66_1201:
	s_andn2_saveexec_b32 s19, s19
	s_cbranch_execz .LBB66_980
.LBB66_1202:
	v_add_f32_e64 v4, 0x42800000, |v2|
	s_andn2_b32 s18, s18, exec_lo
	v_and_b32_e32 v4, 0xff, v4
	v_cmp_ne_u32_e32 vcc_lo, 0, v4
	s_and_b32 s20, vcc_lo, exec_lo
	s_or_b32 s18, s18, s20
	s_or_b32 exec_lo, exec_lo, s19
	v_mov_b32_e32 v5, 0
	s_and_saveexec_b32 s19, s18
	s_cbranch_execnz .LBB66_981
	s_branch .LBB66_982
.LBB66_1203:
	s_mov_b32 s0, -1
	s_mov_b32 s6, 0
.LBB66_1204:
                                        ; implicit-def: $vgpr7
.LBB66_1205:
	s_and_b32 vcc_lo, exec_lo, s13
	s_cbranch_vccz .LBB66_1209
; %bb.1206:
	s_cmp_eq_u32 s2, 44
	s_cbranch_scc0 .LBB66_1208
; %bb.1207:
	global_load_ubyte v6, v[0:1], off
	s_mov_b32 s0, 0
	s_mov_b32 s6, -1
	s_waitcnt vmcnt(0)
	v_lshlrev_b32_e32 v7, 23, v6
	v_cmp_ne_u32_e32 vcc_lo, 0xff, v6
	v_cvt_f16_f32_e32 v7, v7
	v_cndmask_b32_e32 v7, 0x7e00, v7, vcc_lo
	v_cmp_ne_u32_e32 vcc_lo, 0, v6
	v_cndmask_b32_e32 v7, 0, v7, vcc_lo
	s_branch .LBB66_1209
.LBB66_1208:
	s_mov_b32 s0, -1
                                        ; implicit-def: $vgpr7
.LBB66_1209:
	s_mov_b32 s13, 0
.LBB66_1210:
	s_and_b32 vcc_lo, exec_lo, s13
	s_cbranch_vccz .LBB66_1214
; %bb.1211:
	s_cmp_eq_u32 s2, 29
	s_cbranch_scc0 .LBB66_1213
; %bb.1212:
	global_load_dwordx2 v[6:7], v[0:1], off
	s_mov_b32 s0, 0
	s_mov_b32 s6, -1
	s_mov_b32 s13, 0
	s_waitcnt vmcnt(0)
	v_ffbh_u32_e32 v8, v7
	v_min_u32_e32 v8, 32, v8
	v_lshlrev_b64 v[6:7], v8, v[6:7]
	v_min_u32_e32 v6, 1, v6
	v_or_b32_e32 v6, v7, v6
	v_sub_nc_u32_e32 v7, 32, v8
	v_cvt_f32_u32_e32 v6, v6
	v_ldexp_f32 v6, v6, v7
	v_cvt_f16_f32_e32 v7, v6
	s_branch .LBB66_1215
.LBB66_1213:
	s_mov_b32 s0, -1
                                        ; implicit-def: $vgpr7
.LBB66_1214:
	s_mov_b32 s13, 0
.LBB66_1215:
	s_and_b32 vcc_lo, exec_lo, s13
	s_cbranch_vccz .LBB66_1233
; %bb.1216:
	s_cmp_lt_i32 s2, 27
	s_cbranch_scc1 .LBB66_1219
; %bb.1217:
	s_cmp_gt_i32 s2, 27
	s_cbranch_scc0 .LBB66_1220
; %bb.1218:
	global_load_dword v6, v[0:1], off
	s_mov_b32 s6, 0
	s_waitcnt vmcnt(0)
	v_cvt_f32_u32_e32 v6, v6
	v_cvt_f16_f32_e32 v7, v6
	s_branch .LBB66_1221
.LBB66_1219:
	s_mov_b32 s6, -1
                                        ; implicit-def: $vgpr7
	s_branch .LBB66_1224
.LBB66_1220:
	s_mov_b32 s6, -1
                                        ; implicit-def: $vgpr7
.LBB66_1221:
	s_andn2_b32 vcc_lo, exec_lo, s6
	s_cbranch_vccnz .LBB66_1223
; %bb.1222:
	global_load_ushort v6, v[0:1], off
	s_waitcnt vmcnt(0)
	v_cvt_f16_u16_e32 v7, v6
.LBB66_1223:
	s_mov_b32 s6, 0
.LBB66_1224:
	s_andn2_b32 vcc_lo, exec_lo, s6
	s_cbranch_vccnz .LBB66_1232
; %bb.1225:
	global_load_ubyte v6, v[0:1], off
	s_mov_b32 s6, 0
	s_mov_b32 s13, exec_lo
	s_waitcnt vmcnt(0)
	v_cmpx_lt_i16_e32 0x7f, v6
	s_xor_b32 s13, exec_lo, s13
	s_cbranch_execz .LBB66_1245
; %bb.1226:
	s_mov_b32 s6, -1
	s_mov_b32 s15, exec_lo
	v_cmpx_eq_u16_e32 0x80, v6
; %bb.1227:
	s_xor_b32 s6, exec_lo, -1
; %bb.1228:
	s_or_b32 exec_lo, exec_lo, s15
	s_and_b32 s6, s6, exec_lo
	s_or_saveexec_b32 s13, s13
	v_mov_b32_e32 v7, 0x7e00
	s_xor_b32 exec_lo, exec_lo, s13
	s_cbranch_execnz .LBB66_1246
.LBB66_1229:
	s_or_b32 exec_lo, exec_lo, s13
	s_and_saveexec_b32 s13, s6
	s_cbranch_execz .LBB66_1231
.LBB66_1230:
	v_and_b32_e32 v7, 0xffff, v6
	v_lshlrev_b32_e32 v6, 24, v6
	v_and_b32_e32 v8, 7, v7
	v_bfe_u32 v12, v7, 3, 4
	v_and_b32_e32 v6, 0x80000000, v6
	v_ffbh_u32_e32 v10, v8
	v_cmp_eq_u32_e32 vcc_lo, 0, v12
	v_min_u32_e32 v10, 32, v10
	v_subrev_nc_u32_e32 v11, 28, v10
	v_sub_nc_u32_e32 v10, 29, v10
	v_lshlrev_b32_e32 v7, v11, v7
	v_cndmask_b32_e32 v10, v12, v10, vcc_lo
	v_and_b32_e32 v7, 7, v7
	v_cndmask_b32_e32 v7, v8, v7, vcc_lo
	v_lshl_add_u32 v8, v10, 23, 0x3b800000
	v_lshlrev_b32_e32 v7, 20, v7
	v_or3_b32 v6, v6, v8, v7
	v_cvt_f16_f32_e32 v7, v6
.LBB66_1231:
	s_or_b32 exec_lo, exec_lo, s13
.LBB66_1232:
	s_mov_b32 s6, -1
.LBB66_1233:
	s_branch .LBB66_1266
.LBB66_1234:
	s_cmp_gt_i32 s2, 22
	s_cbranch_scc0 .LBB66_1244
; %bb.1235:
	s_cmp_lt_i32 s2, 24
	s_cbranch_scc1 .LBB66_1247
; %bb.1236:
	s_cmp_gt_i32 s2, 24
	s_cbranch_scc0 .LBB66_1248
; %bb.1237:
	global_load_ubyte v6, v[0:1], off
	s_mov_b32 s6, exec_lo
	s_waitcnt vmcnt(0)
	v_cmpx_lt_i16_e32 0x7f, v6
	s_xor_b32 s6, exec_lo, s6
	s_cbranch_execz .LBB66_1260
; %bb.1238:
	s_mov_b32 s1, -1
	s_mov_b32 s13, exec_lo
	v_cmpx_eq_u16_e32 0x80, v6
; %bb.1239:
	s_xor_b32 s1, exec_lo, -1
; %bb.1240:
	s_or_b32 exec_lo, exec_lo, s13
	s_and_b32 s1, s1, exec_lo
	s_or_saveexec_b32 s6, s6
	v_mov_b32_e32 v7, 0x7e00
	s_xor_b32 exec_lo, exec_lo, s6
	s_cbranch_execnz .LBB66_1261
.LBB66_1241:
	s_or_b32 exec_lo, exec_lo, s6
	s_and_saveexec_b32 s6, s1
	s_cbranch_execz .LBB66_1243
.LBB66_1242:
	v_and_b32_e32 v7, 0xffff, v6
	v_lshlrev_b32_e32 v6, 24, v6
	v_and_b32_e32 v8, 3, v7
	v_bfe_u32 v12, v7, 2, 5
	v_and_b32_e32 v6, 0x80000000, v6
	v_ffbh_u32_e32 v10, v8
	v_cmp_eq_u32_e32 vcc_lo, 0, v12
	v_min_u32_e32 v10, 32, v10
	v_subrev_nc_u32_e32 v11, 29, v10
	v_sub_nc_u32_e32 v10, 30, v10
	v_lshlrev_b32_e32 v7, v11, v7
	v_cndmask_b32_e32 v10, v12, v10, vcc_lo
	v_and_b32_e32 v7, 3, v7
	v_cndmask_b32_e32 v7, v8, v7, vcc_lo
	v_lshl_add_u32 v8, v10, 23, 0x37800000
	v_lshlrev_b32_e32 v7, 21, v7
	v_or3_b32 v6, v6, v8, v7
	v_cvt_f16_f32_e32 v7, v6
.LBB66_1243:
	s_or_b32 exec_lo, exec_lo, s6
	s_mov_b32 s1, 0
	s_branch .LBB66_1249
.LBB66_1244:
	s_mov_b32 s1, -1
                                        ; implicit-def: $vgpr7
	s_branch .LBB66_1255
.LBB66_1245:
	s_or_saveexec_b32 s13, s13
	v_mov_b32_e32 v7, 0x7e00
	s_xor_b32 exec_lo, exec_lo, s13
	s_cbranch_execz .LBB66_1229
.LBB66_1246:
	v_cmp_ne_u16_e32 vcc_lo, 0, v6
	v_mov_b32_e32 v7, v6
	s_andn2_b32 s6, s6, exec_lo
	s_and_b32 s15, vcc_lo, exec_lo
	s_or_b32 s6, s6, s15
	s_or_b32 exec_lo, exec_lo, s13
	s_and_saveexec_b32 s13, s6
	s_cbranch_execnz .LBB66_1230
	s_branch .LBB66_1231
.LBB66_1247:
	s_mov_b32 s1, -1
                                        ; implicit-def: $vgpr7
	s_branch .LBB66_1252
.LBB66_1248:
	s_mov_b32 s1, -1
                                        ; implicit-def: $vgpr7
.LBB66_1249:
	s_and_b32 vcc_lo, exec_lo, s1
	s_cbranch_vccz .LBB66_1251
; %bb.1250:
	global_load_ubyte v6, v[0:1], off
	s_waitcnt vmcnt(0)
	v_lshlrev_b32_e32 v6, 24, v6
	v_and_b32_e32 v7, 0x7f000000, v6
	v_ffbh_u32_e32 v8, v7
	v_add_nc_u32_e32 v11, 0x1000000, v7
	v_cmp_ne_u32_e32 vcc_lo, 0, v7
	v_min_u32_e32 v8, 32, v8
	v_sub_nc_u32_e64 v8, v8, 4 clamp
	v_lshlrev_b32_e32 v10, v8, v7
	v_lshlrev_b32_e32 v8, 23, v8
	v_lshrrev_b32_e32 v10, 4, v10
	v_sub_nc_u32_e32 v8, v10, v8
	v_ashrrev_i32_e32 v10, 8, v11
	v_add_nc_u32_e32 v8, 0x3c000000, v8
	v_and_or_b32 v8, 0x7f800000, v10, v8
	v_cndmask_b32_e32 v7, 0, v8, vcc_lo
	v_and_or_b32 v6, 0x80000000, v6, v7
	v_cvt_f16_f32_e32 v7, v6
.LBB66_1251:
	s_mov_b32 s1, 0
.LBB66_1252:
	s_andn2_b32 vcc_lo, exec_lo, s1
	s_cbranch_vccnz .LBB66_1254
; %bb.1253:
	global_load_ubyte v6, v[0:1], off
	s_waitcnt vmcnt(0)
	v_lshlrev_b32_e32 v7, 25, v6
	v_lshlrev_b16 v6, 8, v6
	v_lshrrev_b32_e32 v8, 4, v7
	v_and_or_b32 v10, 0x7f00, v6, 0.5
	v_cmp_gt_u32_e32 vcc_lo, 0x8000000, v7
	v_bfe_i32 v6, v6, 0, 16
	v_or_b32_e32 v8, 0x70000000, v8
	v_add_f32_e32 v10, -0.5, v10
	v_mul_f32_e32 v8, 0x7800000, v8
	v_cndmask_b32_e32 v7, v8, v10, vcc_lo
	v_and_or_b32 v6, 0x80000000, v6, v7
	v_cvt_f16_f32_e32 v7, v6
.LBB66_1254:
	s_mov_b32 s1, 0
	s_mov_b32 s6, -1
.LBB66_1255:
	s_andn2_b32 vcc_lo, exec_lo, s1
	s_mov_b32 s1, 0
	s_cbranch_vccnz .LBB66_1266
; %bb.1256:
	s_cmp_gt_i32 s2, 14
	s_cbranch_scc0 .LBB66_1259
; %bb.1257:
	s_cmp_eq_u32 s2, 15
	s_cbranch_scc0 .LBB66_1262
; %bb.1258:
	global_load_ushort v6, v[0:1], off
	s_mov_b32 s0, 0
	s_mov_b32 s6, -1
	s_waitcnt vmcnt(0)
	v_lshlrev_b32_e32 v6, 16, v6
	v_cvt_f16_f32_e32 v7, v6
	s_branch .LBB66_1264
.LBB66_1259:
	s_mov_b32 s1, -1
	s_branch .LBB66_1263
.LBB66_1260:
	s_or_saveexec_b32 s6, s6
	v_mov_b32_e32 v7, 0x7e00
	s_xor_b32 exec_lo, exec_lo, s6
	s_cbranch_execz .LBB66_1241
.LBB66_1261:
	v_cmp_ne_u16_e32 vcc_lo, 0, v6
	v_mov_b32_e32 v7, v6
	s_andn2_b32 s1, s1, exec_lo
	s_and_b32 s13, vcc_lo, exec_lo
	s_or_b32 s1, s1, s13
	s_or_b32 exec_lo, exec_lo, s6
	s_and_saveexec_b32 s6, s1
	s_cbranch_execnz .LBB66_1242
	s_branch .LBB66_1243
.LBB66_1262:
	s_mov_b32 s0, -1
.LBB66_1263:
                                        ; implicit-def: $vgpr7
.LBB66_1264:
	s_and_b32 vcc_lo, exec_lo, s1
	s_mov_b32 s1, 0
	s_cbranch_vccz .LBB66_1266
; %bb.1265:
	s_cmp_lg_u32 s2, 11
	s_mov_b32 s1, -1
	s_cselect_b32 s0, -1, 0
.LBB66_1266:
	s_and_b32 vcc_lo, exec_lo, s0
	s_cbranch_vccnz .LBB66_1335
; %bb.1267:
	s_andn2_b32 vcc_lo, exec_lo, s1
	s_cbranch_vccnz .LBB66_1269
.LBB66_1268:
	global_load_ubyte v6, v[0:1], off
	s_mov_b32 s6, -1
	s_waitcnt vmcnt(0)
	v_cmp_ne_u16_e32 vcc_lo, 0, v6
	v_cndmask_b32_e64 v7, 0, 0x3c00, vcc_lo
.LBB66_1269:
	s_branch .LBB66_1195
.LBB66_1270:
	s_cmp_lt_i32 s2, 5
	s_cbranch_scc1 .LBB66_1275
; %bb.1271:
	s_cmp_lt_i32 s2, 8
	s_cbranch_scc1 .LBB66_1276
; %bb.1272:
	;; [unrolled: 3-line block ×3, first 2 shown]
	s_cmp_gt_i32 s2, 9
	s_cbranch_scc0 .LBB66_1278
; %bb.1274:
	global_load_dwordx2 v[6:7], v[0:1], off
	s_mov_b32 s0, 0
	s_waitcnt vmcnt(0)
	v_and_or_b32 v6, 0x1ff, v7, v6
	v_lshrrev_b32_e32 v8, 8, v7
	v_bfe_u32 v10, v7, 20, 11
	v_lshrrev_b32_e32 v7, 16, v7
	v_cmp_ne_u32_e32 vcc_lo, 0, v6
	v_sub_nc_u32_e32 v11, 0x3f1, v10
	v_add_nc_u32_e32 v10, 0xfffffc10, v10
	v_cndmask_b32_e64 v6, 0, 1, vcc_lo
	v_and_or_b32 v6, 0xffe, v8, v6
	v_med3_i32 v8, v11, 0, 13
	v_or_b32_e32 v11, 0x1000, v6
	v_lshrrev_b32_e32 v12, v8, v11
	v_lshlrev_b32_e32 v8, v8, v12
	v_cmp_ne_u32_e32 vcc_lo, v8, v11
	v_lshl_or_b32 v11, v10, 12, v6
	v_cndmask_b32_e64 v8, 0, 1, vcc_lo
	v_cmp_gt_i32_e32 vcc_lo, 1, v10
	v_or_b32_e32 v8, v12, v8
	v_cndmask_b32_e32 v8, v11, v8, vcc_lo
	v_and_b32_e32 v11, 7, v8
	v_lshrrev_b32_e32 v8, 2, v8
	v_cmp_lt_i32_e32 vcc_lo, 5, v11
	v_cndmask_b32_e64 v12, 0, 1, vcc_lo
	v_cmp_eq_u32_e32 vcc_lo, 3, v11
	v_cndmask_b32_e64 v11, 0, 1, vcc_lo
	v_cmp_ne_u32_e32 vcc_lo, 0, v6
	v_or_b32_e32 v11, v11, v12
	v_mov_b32_e32 v12, 0x7e00
	v_add_nc_u32_e32 v8, v8, v11
	v_cndmask_b32_e32 v6, 0x7c00, v12, vcc_lo
	v_cmp_gt_i32_e32 vcc_lo, 31, v10
	v_cndmask_b32_e32 v8, 0x7c00, v8, vcc_lo
	v_cmp_eq_u32_e32 vcc_lo, 0x40f, v10
	v_cndmask_b32_e32 v6, v8, v6, vcc_lo
	v_and_or_b32 v7, 0x8000, v7, v6
	s_branch .LBB66_1279
.LBB66_1275:
                                        ; implicit-def: $vgpr7
	s_branch .LBB66_1297
.LBB66_1276:
	s_mov_b32 s0, -1
                                        ; implicit-def: $vgpr7
	s_branch .LBB66_1285
.LBB66_1277:
	s_mov_b32 s0, -1
                                        ; implicit-def: $vgpr7
	s_branch .LBB66_1282
.LBB66_1278:
	s_mov_b32 s0, -1
                                        ; implicit-def: $vgpr7
.LBB66_1279:
	s_andn2_b32 vcc_lo, exec_lo, s0
	s_cbranch_vccnz .LBB66_1281
; %bb.1280:
	global_load_dword v6, v[0:1], off
	s_waitcnt vmcnt(0)
	v_cvt_f16_f32_e32 v7, v6
.LBB66_1281:
	s_mov_b32 s0, 0
.LBB66_1282:
	s_andn2_b32 vcc_lo, exec_lo, s0
	s_cbranch_vccnz .LBB66_1284
; %bb.1283:
	global_load_dword v7, v[0:1], off
.LBB66_1284:
	s_mov_b32 s0, 0
.LBB66_1285:
	s_andn2_b32 vcc_lo, exec_lo, s0
	s_cbranch_vccnz .LBB66_1296
; %bb.1286:
	s_cmp_lt_i32 s2, 6
	s_cbranch_scc1 .LBB66_1289
; %bb.1287:
	s_cmp_gt_i32 s2, 6
	s_cbranch_scc0 .LBB66_1290
; %bb.1288:
	global_load_dwordx2 v[6:7], v[0:1], off
	s_mov_b32 s0, 0
	s_waitcnt vmcnt(0)
	v_and_or_b32 v6, 0x1ff, v7, v6
	v_lshrrev_b32_e32 v8, 8, v7
	v_bfe_u32 v10, v7, 20, 11
	v_lshrrev_b32_e32 v7, 16, v7
	v_cmp_ne_u32_e32 vcc_lo, 0, v6
	v_sub_nc_u32_e32 v11, 0x3f1, v10
	v_add_nc_u32_e32 v10, 0xfffffc10, v10
	v_cndmask_b32_e64 v6, 0, 1, vcc_lo
	v_and_or_b32 v6, 0xffe, v8, v6
	v_med3_i32 v8, v11, 0, 13
	v_or_b32_e32 v11, 0x1000, v6
	v_lshrrev_b32_e32 v12, v8, v11
	v_lshlrev_b32_e32 v8, v8, v12
	v_cmp_ne_u32_e32 vcc_lo, v8, v11
	v_lshl_or_b32 v11, v10, 12, v6
	v_cndmask_b32_e64 v8, 0, 1, vcc_lo
	v_cmp_gt_i32_e32 vcc_lo, 1, v10
	v_or_b32_e32 v8, v12, v8
	v_cndmask_b32_e32 v8, v11, v8, vcc_lo
	v_and_b32_e32 v11, 7, v8
	v_lshrrev_b32_e32 v8, 2, v8
	v_cmp_lt_i32_e32 vcc_lo, 5, v11
	v_cndmask_b32_e64 v12, 0, 1, vcc_lo
	v_cmp_eq_u32_e32 vcc_lo, 3, v11
	v_cndmask_b32_e64 v11, 0, 1, vcc_lo
	v_cmp_ne_u32_e32 vcc_lo, 0, v6
	v_or_b32_e32 v11, v11, v12
	v_mov_b32_e32 v12, 0x7e00
	v_add_nc_u32_e32 v8, v8, v11
	v_cndmask_b32_e32 v6, 0x7c00, v12, vcc_lo
	v_cmp_gt_i32_e32 vcc_lo, 31, v10
	v_cndmask_b32_e32 v8, 0x7c00, v8, vcc_lo
	v_cmp_eq_u32_e32 vcc_lo, 0x40f, v10
	v_cndmask_b32_e32 v6, v8, v6, vcc_lo
	v_and_or_b32 v7, 0x8000, v7, v6
	s_branch .LBB66_1291
.LBB66_1289:
	s_mov_b32 s0, -1
                                        ; implicit-def: $vgpr7
	s_branch .LBB66_1294
.LBB66_1290:
	s_mov_b32 s0, -1
                                        ; implicit-def: $vgpr7
.LBB66_1291:
	s_andn2_b32 vcc_lo, exec_lo, s0
	s_cbranch_vccnz .LBB66_1293
; %bb.1292:
	global_load_dword v6, v[0:1], off
	s_waitcnt vmcnt(0)
	v_cvt_f16_f32_e32 v7, v6
.LBB66_1293:
	s_mov_b32 s0, 0
.LBB66_1294:
	s_andn2_b32 vcc_lo, exec_lo, s0
	s_cbranch_vccnz .LBB66_1296
; %bb.1295:
	global_load_ushort v7, v[0:1], off
.LBB66_1296:
	s_cbranch_execnz .LBB66_1316
.LBB66_1297:
	s_cmp_lt_i32 s2, 2
	s_cbranch_scc1 .LBB66_1301
; %bb.1298:
	s_cmp_lt_i32 s2, 3
	s_cbranch_scc1 .LBB66_1302
; %bb.1299:
	s_cmp_gt_i32 s2, 3
	s_cbranch_scc0 .LBB66_1303
; %bb.1300:
	global_load_dwordx2 v[6:7], v[0:1], off
	s_mov_b32 s0, 0
	s_waitcnt vmcnt(0)
	v_xor_b32_e32 v8, v6, v7
	v_ffbh_i32_e32 v10, v7
	v_ashrrev_i32_e32 v8, 31, v8
	v_add_nc_u32_e32 v10, -1, v10
	v_add_nc_u32_e32 v8, 32, v8
	v_min_u32_e32 v8, v10, v8
	v_lshlrev_b64 v[6:7], v8, v[6:7]
	v_min_u32_e32 v6, 1, v6
	v_or_b32_e32 v6, v7, v6
	v_sub_nc_u32_e32 v7, 32, v8
	v_cvt_f32_i32_e32 v6, v6
	v_ldexp_f32 v6, v6, v7
	v_cvt_f16_f32_e32 v7, v6
	s_branch .LBB66_1304
.LBB66_1301:
	s_mov_b32 s0, -1
                                        ; implicit-def: $vgpr7
	s_branch .LBB66_1310
.LBB66_1302:
	s_mov_b32 s0, -1
                                        ; implicit-def: $vgpr7
	s_branch .LBB66_1307
.LBB66_1303:
	s_mov_b32 s0, -1
                                        ; implicit-def: $vgpr7
.LBB66_1304:
	s_andn2_b32 vcc_lo, exec_lo, s0
	s_cbranch_vccnz .LBB66_1306
; %bb.1305:
	global_load_dword v6, v[0:1], off
	s_waitcnt vmcnt(0)
	v_cvt_f32_i32_e32 v6, v6
	v_cvt_f16_f32_e32 v7, v6
.LBB66_1306:
	s_mov_b32 s0, 0
.LBB66_1307:
	s_andn2_b32 vcc_lo, exec_lo, s0
	s_cbranch_vccnz .LBB66_1309
; %bb.1308:
	global_load_ushort v6, v[0:1], off
	s_waitcnt vmcnt(0)
	v_cvt_f16_i16_e32 v7, v6
.LBB66_1309:
	s_mov_b32 s0, 0
.LBB66_1310:
	s_andn2_b32 vcc_lo, exec_lo, s0
	s_cbranch_vccnz .LBB66_1316
; %bb.1311:
	s_cmp_gt_i32 s2, 0
	s_mov_b32 s0, 0
	s_cbranch_scc0 .LBB66_1313
; %bb.1312:
	global_load_sbyte v6, v[0:1], off
	s_waitcnt vmcnt(0)
	v_cvt_f16_i16_e32 v7, v6
	s_branch .LBB66_1314
.LBB66_1313:
	s_mov_b32 s0, -1
                                        ; implicit-def: $vgpr7
.LBB66_1314:
	s_andn2_b32 vcc_lo, exec_lo, s0
	s_cbranch_vccnz .LBB66_1316
; %bb.1315:
	global_load_ubyte v0, v[0:1], off
	s_waitcnt vmcnt(0)
	v_cvt_f16_u16_e32 v7, v0
.LBB66_1316:
.LBB66_1317:
	s_waitcnt vmcnt(0)
	v_cvt_f32_f16_e32 v6, v7
	v_cmp_gt_f16_e32 vcc_lo, 0.5, v7
	v_mov_b32_e32 v8, 0
	v_mov_b32_e32 v7, 1.0
	s_and_saveexec_b32 s6, vcc_lo
	s_cbranch_execz .LBB66_1323
; %bb.1318:
	v_mul_f32_e32 v0, 0x40490fdb, v6
                                        ; implicit-def: $vgpr8
                                        ; implicit-def: $vgpr7
	s_mov_b32 s1, exec_lo
	v_and_b32_e32 v1, 0x7fffffff, v0
	v_cmpx_ngt_f32_e64 0x48000000, |v0|
	s_xor_b32 s13, exec_lo, s1
	s_cbranch_execz .LBB66_1320
; %bb.1319:
	s_mov_b32 s0, 0x7fffff
	v_mov_b32_e32 v11, 0
	v_and_or_b32 v18, v1, s0, 0x800000
	v_mad_u64_u32 v[7:8], null, 0xfe5163ab, v18, 0
	v_mov_b32_e32 v10, v8
	v_lshrrev_b32_e32 v8, 23, v1
	v_mad_u64_u32 v[12:13], null, 0x3c439041, v18, v[10:11]
	v_add_nc_u32_e32 v8, 0xffffff88, v8
	v_cmp_lt_u32_e32 vcc_lo, 63, v8
	v_mov_b32_e32 v10, v13
	v_cndmask_b32_e64 v17, 0, 0xffffffc0, vcc_lo
	v_mad_u64_u32 v[13:14], null, 0xdb629599, v18, v[10:11]
	v_add_nc_u32_e32 v8, v17, v8
	v_mov_b32_e32 v10, v14
	v_cmp_lt_u32_e64 s0, 31, v8
	v_cndmask_b32_e32 v7, v13, v7, vcc_lo
	v_mad_u64_u32 v[14:15], null, 0xf534ddc0, v18, v[10:11]
	v_cndmask_b32_e64 v19, 0, 0xffffffe0, s0
	v_add_nc_u32_e32 v8, v19, v8
	v_mov_b32_e32 v10, v15
	v_cndmask_b32_e32 v12, v14, v12, vcc_lo
	v_cmp_lt_u32_e64 s1, 31, v8
	v_mad_u64_u32 v[15:16], null, 0xfc2757d1, v18, v[10:11]
	v_cndmask_b32_e64 v7, v12, v7, s0
	v_mov_b32_e32 v10, v16
	v_mad_u64_u32 v[16:17], null, 0x4e441529, v18, v[10:11]
	v_mov_b32_e32 v10, v17
	v_cndmask_b32_e64 v17, 0, 0xffffffe0, s1
	v_mad_u64_u32 v[10:11], null, 0xa2f9836e, v18, v[10:11]
	v_cndmask_b32_e32 v18, v16, v14, vcc_lo
	v_add_nc_u32_e32 v8, v17, v8
	v_cndmask_b32_e32 v10, v10, v15, vcc_lo
	v_cndmask_b32_e32 v11, v11, v16, vcc_lo
	v_cndmask_b32_e32 v15, v15, v13, vcc_lo
	v_sub_nc_u32_e32 v16, 32, v8
	v_cmp_eq_u32_e32 vcc_lo, 0, v8
	v_cndmask_b32_e64 v14, v10, v18, s0
	v_cndmask_b32_e64 v10, v11, v10, s0
	;; [unrolled: 1-line block ×8, first 2 shown]
	v_alignbit_b32 v17, v10, v14, v16
	v_alignbit_b32 v13, v14, v11, v16
	;; [unrolled: 1-line block ×3, first 2 shown]
	v_cndmask_b32_e32 v8, v17, v10, vcc_lo
	v_cndmask_b32_e32 v10, v13, v14, vcc_lo
	;; [unrolled: 1-line block ×3, first 2 shown]
	v_bfe_u32 v12, v8, 29, 1
	v_alignbit_b32 v13, v8, v10, 30
	v_alignbit_b32 v10, v10, v11, 30
	;; [unrolled: 1-line block ×3, first 2 shown]
	v_sub_nc_u32_e32 v14, 0, v12
	v_xor_b32_e32 v13, v13, v14
	v_xor_b32_e32 v10, v10, v14
	;; [unrolled: 1-line block ×3, first 2 shown]
	v_lshrrev_b32_e32 v14, 29, v8
	v_lshrrev_b32_e32 v8, 30, v8
	v_ffbh_u32_e32 v15, v13
	v_add_nc_u32_e32 v8, v12, v8
	v_min_u32_e32 v15, 32, v15
	v_sub_nc_u32_e32 v11, 31, v15
	v_lshlrev_b32_e32 v16, 23, v15
	v_alignbit_b32 v13, v13, v10, v11
	v_alignbit_b32 v7, v10, v7, v11
	v_lshlrev_b32_e32 v10, 31, v14
	v_alignbit_b32 v11, v13, v7, 9
	v_or_b32_e32 v14, 0.5, v10
	v_lshrrev_b32_e32 v13, 9, v13
	v_or_b32_e32 v10, 0x33000000, v10
	v_ffbh_u32_e32 v17, v11
	v_sub_nc_u32_e32 v14, v14, v16
	v_min_u32_e32 v16, 32, v17
	v_or_b32_e32 v13, v13, v14
	v_not_b32_e32 v14, v16
	v_mul_f32_e32 v17, 0x3fc90fda, v13
	v_add_lshl_u32 v15, v16, v15, 23
	v_alignbit_b32 v7, v11, v7, v14
	v_fma_f32 v11, 0x3fc90fda, v13, -v17
	v_sub_nc_u32_e32 v10, v10, v15
	v_lshrrev_b32_e32 v7, 9, v7
	v_fmamk_f32 v11, v13, 0x33a22168, v11
	v_or_b32_e32 v7, v10, v7
	v_fmac_f32_e32 v11, 0x3fc90fda, v7
	v_add_f32_e32 v7, v17, v11
.LBB66_1320:
	s_andn2_saveexec_b32 s0, s13
; %bb.1321:
	v_mul_f32_e64 v7, 0x3f22f983, |v0|
	v_rndne_f32_e32 v8, v7
	v_fma_f32 v7, 0xbfc90fda, v8, |v0|
	v_fmamk_f32 v7, v8, 0xb3a22168, v7
	v_fmamk_f32 v7, v8, 0xa7c234c4, v7
	v_cvt_i32_f32_e32 v8, v8
; %bb.1322:
	s_or_b32 exec_lo, exec_lo, s0
	v_mul_f32_e32 v10, v7, v7
	s_mov_b32 s0, 0xb94c1982
	s_mov_b32 s1, 0x37d75334
	v_and_b32_e32 v13, 1, v8
	v_lshlrev_b32_e32 v8, 30, v8
	v_fmaak_f32 v11, s0, v10, 0x3c0881c4
	v_fmaak_f32 v12, s1, v10, 0xbab64f3b
	v_xor_b32_e32 v1, v1, v0
	v_cmp_eq_u32_e32 vcc_lo, 0, v13
	v_and_b32_e32 v8, 0x80000000, v8
	v_fmaak_f32 v11, v10, v11, 0xbe2aaa9d
	v_fmaak_f32 v12, v10, v12, 0x3d2aabf7
	v_sub_f32_e32 v6, 1.0, v6
	v_mul_f32_e32 v11, v10, v11
	v_fmaak_f32 v12, v10, v12, 0xbf000004
	v_fmac_f32_e32 v7, v7, v11
	v_fma_f32 v10, v10, v12, 1.0
	v_cndmask_b32_e32 v7, v10, v7, vcc_lo
	v_cmp_class_f32_e64 vcc_lo, v0, 0x1f8
	v_xor3_b32 v1, v1, v8, v7
	v_cndmask_b32_e32 v0, 0x7fc00000, v1, vcc_lo
	v_mul_f32_e32 v0, v0, v0
	v_div_scale_f32 v1, null, v0, v0, 0xc11de9e7
	v_div_scale_f32 v10, vcc_lo, 0xc11de9e7, v0, 0xc11de9e7
	v_rcp_f32_e32 v7, v1
	v_fma_f32 v8, -v1, v7, 1.0
	v_fmac_f32_e32 v7, v8, v7
	v_mul_f32_e32 v8, v10, v7
	v_fma_f32 v11, -v1, v8, v10
	v_fmac_f32_e32 v8, v11, v7
	v_fma_f32 v1, -v1, v8, v10
	v_div_fmas_f32 v1, v1, v7, v8
	v_mov_b32_e32 v7, -1.0
	v_div_fixup_f32 v0, v1, v0, 0xc11de9e7
	v_add_f32_e32 v8, 0, v0
.LBB66_1323:
	s_or_b32 exec_lo, exec_lo, s6
	v_add_nc_u32_e32 v12, s3, v9
	s_cmp_lt_i32 s2, 11
	v_ashrrev_i32_e32 v1, 31, v12
	v_add_co_u32 v0, vcc_lo, s10, v12
	v_add_co_ci_u32_e64 v1, null, s11, v1, vcc_lo
	s_cbranch_scc1 .LBB66_1330
; %bb.1324:
	s_cmp_gt_i32 s2, 25
	s_mov_b32 s1, 0
	s_cbranch_scc0 .LBB66_1332
; %bb.1325:
	s_cmp_gt_i32 s2, 28
	s_cbranch_scc0 .LBB66_1333
; %bb.1326:
	s_cmp_gt_i32 s2, 43
	;; [unrolled: 3-line block ×3, first 2 shown]
	s_cbranch_scc0 .LBB66_1336
; %bb.1328:
	s_cmp_eq_u32 s2, 46
	s_mov_b32 s13, 0
	s_cbranch_scc0 .LBB66_1337
; %bb.1329:
	global_load_dword v9, v[0:1], off
	s_mov_b32 s0, 0
	s_mov_b32 s6, -1
	s_waitcnt vmcnt(0)
	v_lshlrev_b32_e32 v9, 16, v9
	v_cvt_f16_f32_e32 v10, v9
	s_branch .LBB66_1339
.LBB66_1330:
	s_mov_b32 s6, 0
                                        ; implicit-def: $vgpr10
	s_cbranch_execnz .LBB66_1405
.LBB66_1331:
	s_andn2_b32 vcc_lo, exec_lo, s6
	s_cbranch_vccnz .LBB66_2029
	s_branch .LBB66_1453
.LBB66_1332:
	s_mov_b32 s13, -1
	s_mov_b32 s6, 0
	s_mov_b32 s0, 0
                                        ; implicit-def: $vgpr10
	s_branch .LBB66_1368
.LBB66_1333:
	s_mov_b32 s13, -1
	s_mov_b32 s6, 0
	s_mov_b32 s0, 0
                                        ; implicit-def: $vgpr10
	s_branch .LBB66_1349
.LBB66_1334:
	s_mov_b32 s13, -1
	s_mov_b32 s6, 0
	s_mov_b32 s0, 0
                                        ; implicit-def: $vgpr10
	s_branch .LBB66_1344
.LBB66_1335:
	s_or_b32 s5, s5, exec_lo
	s_trap 2
	s_cbranch_execz .LBB66_1268
	s_branch .LBB66_1269
.LBB66_1336:
	s_mov_b32 s13, -1
	s_mov_b32 s6, 0
	s_mov_b32 s0, 0
	s_branch .LBB66_1338
.LBB66_1337:
	s_mov_b32 s0, -1
	s_mov_b32 s6, 0
.LBB66_1338:
                                        ; implicit-def: $vgpr10
.LBB66_1339:
	s_and_b32 vcc_lo, exec_lo, s13
	s_cbranch_vccz .LBB66_1343
; %bb.1340:
	s_cmp_eq_u32 s2, 44
	s_cbranch_scc0 .LBB66_1342
; %bb.1341:
	global_load_ubyte v9, v[0:1], off
	s_mov_b32 s0, 0
	s_mov_b32 s6, -1
	s_waitcnt vmcnt(0)
	v_lshlrev_b32_e32 v10, 23, v9
	v_cmp_ne_u32_e32 vcc_lo, 0xff, v9
	v_cvt_f16_f32_e32 v10, v10
	v_cndmask_b32_e32 v10, 0x7e00, v10, vcc_lo
	v_cmp_ne_u32_e32 vcc_lo, 0, v9
	v_cndmask_b32_e32 v10, 0, v10, vcc_lo
	s_branch .LBB66_1343
.LBB66_1342:
	s_mov_b32 s0, -1
                                        ; implicit-def: $vgpr10
.LBB66_1343:
	s_mov_b32 s13, 0
.LBB66_1344:
	s_and_b32 vcc_lo, exec_lo, s13
	s_cbranch_vccz .LBB66_1348
; %bb.1345:
	s_cmp_eq_u32 s2, 29
	s_cbranch_scc0 .LBB66_1347
; %bb.1346:
	global_load_dwordx2 v[9:10], v[0:1], off
	s_mov_b32 s0, 0
	s_mov_b32 s6, -1
	s_mov_b32 s13, 0
	s_waitcnt vmcnt(0)
	v_ffbh_u32_e32 v11, v10
	v_min_u32_e32 v11, 32, v11
	v_lshlrev_b64 v[9:10], v11, v[9:10]
	v_min_u32_e32 v9, 1, v9
	v_or_b32_e32 v9, v10, v9
	v_sub_nc_u32_e32 v10, 32, v11
	v_cvt_f32_u32_e32 v9, v9
	v_ldexp_f32 v9, v9, v10
	v_cvt_f16_f32_e32 v10, v9
	s_branch .LBB66_1349
.LBB66_1347:
	s_mov_b32 s0, -1
                                        ; implicit-def: $vgpr10
.LBB66_1348:
	s_mov_b32 s13, 0
.LBB66_1349:
	s_and_b32 vcc_lo, exec_lo, s13
	s_cbranch_vccz .LBB66_1367
; %bb.1350:
	s_cmp_lt_i32 s2, 27
	s_cbranch_scc1 .LBB66_1353
; %bb.1351:
	s_cmp_gt_i32 s2, 27
	s_cbranch_scc0 .LBB66_1354
; %bb.1352:
	global_load_dword v9, v[0:1], off
	s_mov_b32 s6, 0
	s_waitcnt vmcnt(0)
	v_cvt_f32_u32_e32 v9, v9
	v_cvt_f16_f32_e32 v10, v9
	s_branch .LBB66_1355
.LBB66_1353:
	s_mov_b32 s6, -1
                                        ; implicit-def: $vgpr10
	s_branch .LBB66_1358
.LBB66_1354:
	s_mov_b32 s6, -1
                                        ; implicit-def: $vgpr10
.LBB66_1355:
	s_andn2_b32 vcc_lo, exec_lo, s6
	s_cbranch_vccnz .LBB66_1357
; %bb.1356:
	global_load_ushort v9, v[0:1], off
	s_waitcnt vmcnt(0)
	v_cvt_f16_u16_e32 v10, v9
.LBB66_1357:
	s_mov_b32 s6, 0
.LBB66_1358:
	s_andn2_b32 vcc_lo, exec_lo, s6
	s_cbranch_vccnz .LBB66_1366
; %bb.1359:
	global_load_ubyte v9, v[0:1], off
	s_mov_b32 s6, 0
	s_mov_b32 s13, exec_lo
	s_waitcnt vmcnt(0)
	v_cmpx_lt_i16_e32 0x7f, v9
	s_xor_b32 s13, exec_lo, s13
	s_cbranch_execz .LBB66_1380
; %bb.1360:
	s_mov_b32 s6, -1
	s_mov_b32 s15, exec_lo
	v_cmpx_eq_u16_e32 0x80, v9
; %bb.1361:
	s_xor_b32 s6, exec_lo, -1
; %bb.1362:
	s_or_b32 exec_lo, exec_lo, s15
	s_and_b32 s6, s6, exec_lo
	s_or_saveexec_b32 s13, s13
	v_mov_b32_e32 v10, 0x7e00
	s_xor_b32 exec_lo, exec_lo, s13
	s_cbranch_execnz .LBB66_1381
.LBB66_1363:
	s_or_b32 exec_lo, exec_lo, s13
	s_and_saveexec_b32 s13, s6
	s_cbranch_execz .LBB66_1365
.LBB66_1364:
	v_and_b32_e32 v10, 0xffff, v9
	v_lshlrev_b32_e32 v9, 24, v9
	v_and_b32_e32 v11, 7, v10
	v_bfe_u32 v15, v10, 3, 4
	v_and_b32_e32 v9, 0x80000000, v9
	v_ffbh_u32_e32 v13, v11
	v_cmp_eq_u32_e32 vcc_lo, 0, v15
	v_min_u32_e32 v13, 32, v13
	v_subrev_nc_u32_e32 v14, 28, v13
	v_sub_nc_u32_e32 v13, 29, v13
	v_lshlrev_b32_e32 v10, v14, v10
	v_cndmask_b32_e32 v13, v15, v13, vcc_lo
	v_and_b32_e32 v10, 7, v10
	v_cndmask_b32_e32 v10, v11, v10, vcc_lo
	v_lshl_add_u32 v11, v13, 23, 0x3b800000
	v_lshlrev_b32_e32 v10, 20, v10
	v_or3_b32 v9, v9, v11, v10
	v_cvt_f16_f32_e32 v10, v9
.LBB66_1365:
	s_or_b32 exec_lo, exec_lo, s13
.LBB66_1366:
	s_mov_b32 s6, -1
.LBB66_1367:
	s_mov_b32 s13, 0
.LBB66_1368:
	s_and_b32 vcc_lo, exec_lo, s13
	s_cbranch_vccz .LBB66_1401
; %bb.1369:
	s_cmp_gt_i32 s2, 22
	s_cbranch_scc0 .LBB66_1379
; %bb.1370:
	s_cmp_lt_i32 s2, 24
	s_cbranch_scc1 .LBB66_1382
; %bb.1371:
	s_cmp_gt_i32 s2, 24
	s_cbranch_scc0 .LBB66_1383
; %bb.1372:
	global_load_ubyte v9, v[0:1], off
	s_mov_b32 s6, exec_lo
	s_waitcnt vmcnt(0)
	v_cmpx_lt_i16_e32 0x7f, v9
	s_xor_b32 s6, exec_lo, s6
	s_cbranch_execz .LBB66_1395
; %bb.1373:
	s_mov_b32 s1, -1
	s_mov_b32 s13, exec_lo
	v_cmpx_eq_u16_e32 0x80, v9
; %bb.1374:
	s_xor_b32 s1, exec_lo, -1
; %bb.1375:
	s_or_b32 exec_lo, exec_lo, s13
	s_and_b32 s1, s1, exec_lo
	s_or_saveexec_b32 s6, s6
	v_mov_b32_e32 v10, 0x7e00
	s_xor_b32 exec_lo, exec_lo, s6
	s_cbranch_execnz .LBB66_1396
.LBB66_1376:
	s_or_b32 exec_lo, exec_lo, s6
	s_and_saveexec_b32 s6, s1
	s_cbranch_execz .LBB66_1378
.LBB66_1377:
	v_and_b32_e32 v10, 0xffff, v9
	v_lshlrev_b32_e32 v9, 24, v9
	v_and_b32_e32 v11, 3, v10
	v_bfe_u32 v15, v10, 2, 5
	v_and_b32_e32 v9, 0x80000000, v9
	v_ffbh_u32_e32 v13, v11
	v_cmp_eq_u32_e32 vcc_lo, 0, v15
	v_min_u32_e32 v13, 32, v13
	v_subrev_nc_u32_e32 v14, 29, v13
	v_sub_nc_u32_e32 v13, 30, v13
	v_lshlrev_b32_e32 v10, v14, v10
	v_cndmask_b32_e32 v13, v15, v13, vcc_lo
	v_and_b32_e32 v10, 3, v10
	v_cndmask_b32_e32 v10, v11, v10, vcc_lo
	v_lshl_add_u32 v11, v13, 23, 0x37800000
	v_lshlrev_b32_e32 v10, 21, v10
	v_or3_b32 v9, v9, v11, v10
	v_cvt_f16_f32_e32 v10, v9
.LBB66_1378:
	s_or_b32 exec_lo, exec_lo, s6
	s_mov_b32 s1, 0
	s_branch .LBB66_1384
.LBB66_1379:
	s_mov_b32 s1, -1
                                        ; implicit-def: $vgpr10
	s_branch .LBB66_1390
.LBB66_1380:
	s_or_saveexec_b32 s13, s13
	v_mov_b32_e32 v10, 0x7e00
	s_xor_b32 exec_lo, exec_lo, s13
	s_cbranch_execz .LBB66_1363
.LBB66_1381:
	v_cmp_ne_u16_e32 vcc_lo, 0, v9
	v_mov_b32_e32 v10, v9
	s_andn2_b32 s6, s6, exec_lo
	s_and_b32 s15, vcc_lo, exec_lo
	s_or_b32 s6, s6, s15
	s_or_b32 exec_lo, exec_lo, s13
	s_and_saveexec_b32 s13, s6
	s_cbranch_execnz .LBB66_1364
	s_branch .LBB66_1365
.LBB66_1382:
	s_mov_b32 s1, -1
                                        ; implicit-def: $vgpr10
	s_branch .LBB66_1387
.LBB66_1383:
	s_mov_b32 s1, -1
                                        ; implicit-def: $vgpr10
.LBB66_1384:
	s_and_b32 vcc_lo, exec_lo, s1
	s_cbranch_vccz .LBB66_1386
; %bb.1385:
	global_load_ubyte v9, v[0:1], off
	s_waitcnt vmcnt(0)
	v_lshlrev_b32_e32 v9, 24, v9
	v_and_b32_e32 v10, 0x7f000000, v9
	v_ffbh_u32_e32 v11, v10
	v_add_nc_u32_e32 v14, 0x1000000, v10
	v_cmp_ne_u32_e32 vcc_lo, 0, v10
	v_min_u32_e32 v11, 32, v11
	v_sub_nc_u32_e64 v11, v11, 4 clamp
	v_lshlrev_b32_e32 v13, v11, v10
	v_lshlrev_b32_e32 v11, 23, v11
	v_lshrrev_b32_e32 v13, 4, v13
	v_sub_nc_u32_e32 v11, v13, v11
	v_ashrrev_i32_e32 v13, 8, v14
	v_add_nc_u32_e32 v11, 0x3c000000, v11
	v_and_or_b32 v11, 0x7f800000, v13, v11
	v_cndmask_b32_e32 v10, 0, v11, vcc_lo
	v_and_or_b32 v9, 0x80000000, v9, v10
	v_cvt_f16_f32_e32 v10, v9
.LBB66_1386:
	s_mov_b32 s1, 0
.LBB66_1387:
	s_andn2_b32 vcc_lo, exec_lo, s1
	s_cbranch_vccnz .LBB66_1389
; %bb.1388:
	global_load_ubyte v9, v[0:1], off
	s_waitcnt vmcnt(0)
	v_lshlrev_b32_e32 v10, 25, v9
	v_lshlrev_b16 v9, 8, v9
	v_lshrrev_b32_e32 v11, 4, v10
	v_and_or_b32 v13, 0x7f00, v9, 0.5
	v_cmp_gt_u32_e32 vcc_lo, 0x8000000, v10
	v_bfe_i32 v9, v9, 0, 16
	v_or_b32_e32 v11, 0x70000000, v11
	v_add_f32_e32 v13, -0.5, v13
	v_mul_f32_e32 v11, 0x7800000, v11
	v_cndmask_b32_e32 v10, v11, v13, vcc_lo
	v_and_or_b32 v9, 0x80000000, v9, v10
	v_cvt_f16_f32_e32 v10, v9
.LBB66_1389:
	s_mov_b32 s1, 0
	s_mov_b32 s6, -1
.LBB66_1390:
	s_andn2_b32 vcc_lo, exec_lo, s1
	s_mov_b32 s1, 0
	s_cbranch_vccnz .LBB66_1401
; %bb.1391:
	s_cmp_gt_i32 s2, 14
	s_cbranch_scc0 .LBB66_1394
; %bb.1392:
	s_cmp_eq_u32 s2, 15
	s_cbranch_scc0 .LBB66_1397
; %bb.1393:
	global_load_ushort v9, v[0:1], off
	s_mov_b32 s0, 0
	s_mov_b32 s6, -1
	s_waitcnt vmcnt(0)
	v_lshlrev_b32_e32 v9, 16, v9
	v_cvt_f16_f32_e32 v10, v9
	s_branch .LBB66_1399
.LBB66_1394:
	s_mov_b32 s1, -1
	s_branch .LBB66_1398
.LBB66_1395:
	s_or_saveexec_b32 s6, s6
	v_mov_b32_e32 v10, 0x7e00
	s_xor_b32 exec_lo, exec_lo, s6
	s_cbranch_execz .LBB66_1376
.LBB66_1396:
	v_cmp_ne_u16_e32 vcc_lo, 0, v9
	v_mov_b32_e32 v10, v9
	s_andn2_b32 s1, s1, exec_lo
	s_and_b32 s13, vcc_lo, exec_lo
	s_or_b32 s1, s1, s13
	s_or_b32 exec_lo, exec_lo, s6
	s_and_saveexec_b32 s6, s1
	s_cbranch_execnz .LBB66_1377
	s_branch .LBB66_1378
.LBB66_1397:
	s_mov_b32 s0, -1
.LBB66_1398:
                                        ; implicit-def: $vgpr10
.LBB66_1399:
	s_and_b32 vcc_lo, exec_lo, s1
	s_mov_b32 s1, 0
	s_cbranch_vccz .LBB66_1401
; %bb.1400:
	s_cmp_lg_u32 s2, 11
	s_mov_b32 s1, -1
	s_cselect_b32 s0, -1, 0
.LBB66_1401:
	s_and_b32 vcc_lo, exec_lo, s0
	s_cbranch_vccnz .LBB66_1470
; %bb.1402:
	s_andn2_b32 vcc_lo, exec_lo, s1
	s_cbranch_vccnz .LBB66_1404
.LBB66_1403:
	global_load_ubyte v9, v[0:1], off
	s_mov_b32 s6, -1
	s_waitcnt vmcnt(0)
	v_cmp_ne_u16_e32 vcc_lo, 0, v9
	v_cndmask_b32_e64 v10, 0, 0x3c00, vcc_lo
.LBB66_1404:
	s_branch .LBB66_1331
.LBB66_1405:
	s_cmp_lt_i32 s2, 5
	s_cbranch_scc1 .LBB66_1410
; %bb.1406:
	s_cmp_lt_i32 s2, 8
	s_cbranch_scc1 .LBB66_1411
; %bb.1407:
	;; [unrolled: 3-line block ×3, first 2 shown]
	s_cmp_gt_i32 s2, 9
	s_cbranch_scc0 .LBB66_1413
; %bb.1409:
	global_load_dwordx2 v[9:10], v[0:1], off
	s_mov_b32 s0, 0
	s_waitcnt vmcnt(0)
	v_and_or_b32 v9, 0x1ff, v10, v9
	v_lshrrev_b32_e32 v11, 8, v10
	v_bfe_u32 v13, v10, 20, 11
	v_lshrrev_b32_e32 v10, 16, v10
	v_cmp_ne_u32_e32 vcc_lo, 0, v9
	v_sub_nc_u32_e32 v14, 0x3f1, v13
	v_add_nc_u32_e32 v13, 0xfffffc10, v13
	v_cndmask_b32_e64 v9, 0, 1, vcc_lo
	v_and_or_b32 v9, 0xffe, v11, v9
	v_med3_i32 v11, v14, 0, 13
	v_or_b32_e32 v14, 0x1000, v9
	v_lshrrev_b32_e32 v15, v11, v14
	v_lshlrev_b32_e32 v11, v11, v15
	v_cmp_ne_u32_e32 vcc_lo, v11, v14
	v_lshl_or_b32 v14, v13, 12, v9
	v_cndmask_b32_e64 v11, 0, 1, vcc_lo
	v_cmp_gt_i32_e32 vcc_lo, 1, v13
	v_or_b32_e32 v11, v15, v11
	v_cndmask_b32_e32 v11, v14, v11, vcc_lo
	v_and_b32_e32 v14, 7, v11
	v_lshrrev_b32_e32 v11, 2, v11
	v_cmp_lt_i32_e32 vcc_lo, 5, v14
	v_cndmask_b32_e64 v15, 0, 1, vcc_lo
	v_cmp_eq_u32_e32 vcc_lo, 3, v14
	v_cndmask_b32_e64 v14, 0, 1, vcc_lo
	v_cmp_ne_u32_e32 vcc_lo, 0, v9
	v_or_b32_e32 v14, v14, v15
	v_mov_b32_e32 v15, 0x7e00
	v_add_nc_u32_e32 v11, v11, v14
	v_cndmask_b32_e32 v9, 0x7c00, v15, vcc_lo
	v_cmp_gt_i32_e32 vcc_lo, 31, v13
	v_cndmask_b32_e32 v11, 0x7c00, v11, vcc_lo
	v_cmp_eq_u32_e32 vcc_lo, 0x40f, v13
	v_cndmask_b32_e32 v9, v11, v9, vcc_lo
	v_and_or_b32 v10, 0x8000, v10, v9
	s_branch .LBB66_1414
.LBB66_1410:
	s_mov_b32 s0, -1
                                        ; implicit-def: $vgpr10
	s_branch .LBB66_1432
.LBB66_1411:
	s_mov_b32 s0, -1
                                        ; implicit-def: $vgpr10
	s_branch .LBB66_1420
.LBB66_1412:
	s_mov_b32 s0, -1
                                        ; implicit-def: $vgpr10
	s_branch .LBB66_1417
.LBB66_1413:
	s_mov_b32 s0, -1
                                        ; implicit-def: $vgpr10
.LBB66_1414:
	s_andn2_b32 vcc_lo, exec_lo, s0
	s_cbranch_vccnz .LBB66_1416
; %bb.1415:
	global_load_dword v9, v[0:1], off
	s_waitcnt vmcnt(0)
	v_cvt_f16_f32_e32 v10, v9
.LBB66_1416:
	s_mov_b32 s0, 0
.LBB66_1417:
	s_andn2_b32 vcc_lo, exec_lo, s0
	s_cbranch_vccnz .LBB66_1419
; %bb.1418:
	global_load_dword v10, v[0:1], off
.LBB66_1419:
	s_mov_b32 s0, 0
.LBB66_1420:
	s_andn2_b32 vcc_lo, exec_lo, s0
	s_cbranch_vccnz .LBB66_1431
; %bb.1421:
	s_cmp_lt_i32 s2, 6
	s_cbranch_scc1 .LBB66_1424
; %bb.1422:
	s_cmp_gt_i32 s2, 6
	s_cbranch_scc0 .LBB66_1425
; %bb.1423:
	global_load_dwordx2 v[9:10], v[0:1], off
	s_mov_b32 s0, 0
	s_waitcnt vmcnt(0)
	v_and_or_b32 v9, 0x1ff, v10, v9
	v_lshrrev_b32_e32 v11, 8, v10
	v_bfe_u32 v13, v10, 20, 11
	v_lshrrev_b32_e32 v10, 16, v10
	v_cmp_ne_u32_e32 vcc_lo, 0, v9
	v_sub_nc_u32_e32 v14, 0x3f1, v13
	v_add_nc_u32_e32 v13, 0xfffffc10, v13
	v_cndmask_b32_e64 v9, 0, 1, vcc_lo
	v_and_or_b32 v9, 0xffe, v11, v9
	v_med3_i32 v11, v14, 0, 13
	v_or_b32_e32 v14, 0x1000, v9
	v_lshrrev_b32_e32 v15, v11, v14
	v_lshlrev_b32_e32 v11, v11, v15
	v_cmp_ne_u32_e32 vcc_lo, v11, v14
	v_lshl_or_b32 v14, v13, 12, v9
	v_cndmask_b32_e64 v11, 0, 1, vcc_lo
	v_cmp_gt_i32_e32 vcc_lo, 1, v13
	v_or_b32_e32 v11, v15, v11
	v_cndmask_b32_e32 v11, v14, v11, vcc_lo
	v_and_b32_e32 v14, 7, v11
	v_lshrrev_b32_e32 v11, 2, v11
	v_cmp_lt_i32_e32 vcc_lo, 5, v14
	v_cndmask_b32_e64 v15, 0, 1, vcc_lo
	v_cmp_eq_u32_e32 vcc_lo, 3, v14
	v_cndmask_b32_e64 v14, 0, 1, vcc_lo
	v_cmp_ne_u32_e32 vcc_lo, 0, v9
	v_or_b32_e32 v14, v14, v15
	v_mov_b32_e32 v15, 0x7e00
	v_add_nc_u32_e32 v11, v11, v14
	v_cndmask_b32_e32 v9, 0x7c00, v15, vcc_lo
	v_cmp_gt_i32_e32 vcc_lo, 31, v13
	v_cndmask_b32_e32 v11, 0x7c00, v11, vcc_lo
	v_cmp_eq_u32_e32 vcc_lo, 0x40f, v13
	v_cndmask_b32_e32 v9, v11, v9, vcc_lo
	v_and_or_b32 v10, 0x8000, v10, v9
	s_branch .LBB66_1426
.LBB66_1424:
	s_mov_b32 s0, -1
                                        ; implicit-def: $vgpr10
	s_branch .LBB66_1429
.LBB66_1425:
	s_mov_b32 s0, -1
                                        ; implicit-def: $vgpr10
.LBB66_1426:
	s_andn2_b32 vcc_lo, exec_lo, s0
	s_cbranch_vccnz .LBB66_1428
; %bb.1427:
	global_load_dword v9, v[0:1], off
	s_waitcnt vmcnt(0)
	v_cvt_f16_f32_e32 v10, v9
.LBB66_1428:
	s_mov_b32 s0, 0
.LBB66_1429:
	s_andn2_b32 vcc_lo, exec_lo, s0
	s_cbranch_vccnz .LBB66_1431
; %bb.1430:
	global_load_ushort v10, v[0:1], off
.LBB66_1431:
	s_mov_b32 s0, 0
.LBB66_1432:
	s_andn2_b32 vcc_lo, exec_lo, s0
	s_cbranch_vccnz .LBB66_1452
; %bb.1433:
	s_cmp_lt_i32 s2, 2
	s_cbranch_scc1 .LBB66_1437
; %bb.1434:
	s_cmp_lt_i32 s2, 3
	s_cbranch_scc1 .LBB66_1438
; %bb.1435:
	s_cmp_gt_i32 s2, 3
	s_cbranch_scc0 .LBB66_1439
; %bb.1436:
	global_load_dwordx2 v[9:10], v[0:1], off
	s_mov_b32 s0, 0
	s_waitcnt vmcnt(0)
	v_xor_b32_e32 v11, v9, v10
	v_ffbh_i32_e32 v13, v10
	v_ashrrev_i32_e32 v11, 31, v11
	v_add_nc_u32_e32 v13, -1, v13
	v_add_nc_u32_e32 v11, 32, v11
	v_min_u32_e32 v11, v13, v11
	v_lshlrev_b64 v[9:10], v11, v[9:10]
	v_min_u32_e32 v9, 1, v9
	v_or_b32_e32 v9, v10, v9
	v_sub_nc_u32_e32 v10, 32, v11
	v_cvt_f32_i32_e32 v9, v9
	v_ldexp_f32 v9, v9, v10
	v_cvt_f16_f32_e32 v10, v9
	s_branch .LBB66_1440
.LBB66_1437:
	s_mov_b32 s0, -1
                                        ; implicit-def: $vgpr10
	s_branch .LBB66_1446
.LBB66_1438:
	s_mov_b32 s0, -1
                                        ; implicit-def: $vgpr10
	s_branch .LBB66_1443
.LBB66_1439:
	s_mov_b32 s0, -1
                                        ; implicit-def: $vgpr10
.LBB66_1440:
	s_andn2_b32 vcc_lo, exec_lo, s0
	s_cbranch_vccnz .LBB66_1442
; %bb.1441:
	global_load_dword v9, v[0:1], off
	s_waitcnt vmcnt(0)
	v_cvt_f32_i32_e32 v9, v9
	v_cvt_f16_f32_e32 v10, v9
.LBB66_1442:
	s_mov_b32 s0, 0
.LBB66_1443:
	s_andn2_b32 vcc_lo, exec_lo, s0
	s_cbranch_vccnz .LBB66_1445
; %bb.1444:
	global_load_ushort v9, v[0:1], off
	s_waitcnt vmcnt(0)
	v_cvt_f16_i16_e32 v10, v9
.LBB66_1445:
	s_mov_b32 s0, 0
.LBB66_1446:
	s_andn2_b32 vcc_lo, exec_lo, s0
	s_cbranch_vccnz .LBB66_1452
; %bb.1447:
	s_cmp_gt_i32 s2, 0
	s_mov_b32 s0, 0
	s_cbranch_scc0 .LBB66_1449
; %bb.1448:
	global_load_sbyte v9, v[0:1], off
	s_waitcnt vmcnt(0)
	v_cvt_f16_i16_e32 v10, v9
	s_branch .LBB66_1450
.LBB66_1449:
	s_mov_b32 s0, -1
                                        ; implicit-def: $vgpr10
.LBB66_1450:
	s_andn2_b32 vcc_lo, exec_lo, s0
	s_cbranch_vccnz .LBB66_1452
; %bb.1451:
	global_load_ubyte v0, v[0:1], off
	s_waitcnt vmcnt(0)
	v_cvt_f16_u16_e32 v10, v0
.LBB66_1452:
.LBB66_1453:
	s_waitcnt vmcnt(0)
	v_cvt_f32_f16_e32 v9, v10
	v_cmp_gt_f16_e32 vcc_lo, 0.5, v10
	v_mov_b32_e32 v11, 0
	v_mov_b32_e32 v10, 1.0
	s_and_saveexec_b32 s6, vcc_lo
	s_cbranch_execz .LBB66_1459
; %bb.1454:
	v_mul_f32_e32 v0, 0x40490fdb, v9
                                        ; implicit-def: $vgpr11
                                        ; implicit-def: $vgpr10
	s_mov_b32 s1, exec_lo
	v_and_b32_e32 v1, 0x7fffffff, v0
	v_cmpx_ngt_f32_e64 0x48000000, |v0|
	s_xor_b32 s13, exec_lo, s1
	s_cbranch_execz .LBB66_1456
; %bb.1455:
	s_mov_b32 s0, 0x7fffff
	v_mov_b32_e32 v14, 0
	v_and_or_b32 v21, v1, s0, 0x800000
	v_mad_u64_u32 v[10:11], null, 0xfe5163ab, v21, 0
	v_mov_b32_e32 v13, v11
	v_lshrrev_b32_e32 v11, 23, v1
	v_mad_u64_u32 v[15:16], null, 0x3c439041, v21, v[13:14]
	v_add_nc_u32_e32 v11, 0xffffff88, v11
	v_cmp_lt_u32_e32 vcc_lo, 63, v11
	v_mov_b32_e32 v13, v16
	v_cndmask_b32_e64 v20, 0, 0xffffffc0, vcc_lo
	v_mad_u64_u32 v[16:17], null, 0xdb629599, v21, v[13:14]
	v_add_nc_u32_e32 v11, v20, v11
	v_mov_b32_e32 v13, v17
	v_cmp_lt_u32_e64 s0, 31, v11
	v_cndmask_b32_e32 v10, v16, v10, vcc_lo
	v_mad_u64_u32 v[17:18], null, 0xf534ddc0, v21, v[13:14]
	v_cndmask_b32_e64 v22, 0, 0xffffffe0, s0
	v_add_nc_u32_e32 v11, v22, v11
	v_mov_b32_e32 v13, v18
	v_cndmask_b32_e32 v15, v17, v15, vcc_lo
	v_cmp_lt_u32_e64 s1, 31, v11
	v_mad_u64_u32 v[18:19], null, 0xfc2757d1, v21, v[13:14]
	v_cndmask_b32_e64 v10, v15, v10, s0
	v_mov_b32_e32 v13, v19
	v_mad_u64_u32 v[19:20], null, 0x4e441529, v21, v[13:14]
	v_mov_b32_e32 v13, v20
	v_cndmask_b32_e64 v20, 0, 0xffffffe0, s1
	v_mad_u64_u32 v[13:14], null, 0xa2f9836e, v21, v[13:14]
	v_cndmask_b32_e32 v21, v19, v17, vcc_lo
	v_add_nc_u32_e32 v11, v20, v11
	v_cndmask_b32_e32 v13, v13, v18, vcc_lo
	v_cndmask_b32_e32 v14, v14, v19, vcc_lo
	;; [unrolled: 1-line block ×3, first 2 shown]
	v_sub_nc_u32_e32 v19, 32, v11
	v_cmp_eq_u32_e32 vcc_lo, 0, v11
	v_cndmask_b32_e64 v17, v13, v21, s0
	v_cndmask_b32_e64 v13, v14, v13, s0
	;; [unrolled: 1-line block ×8, first 2 shown]
	v_alignbit_b32 v20, v13, v17, v19
	v_alignbit_b32 v16, v17, v14, v19
	;; [unrolled: 1-line block ×3, first 2 shown]
	v_cndmask_b32_e32 v11, v20, v13, vcc_lo
	v_cndmask_b32_e32 v13, v16, v17, vcc_lo
	;; [unrolled: 1-line block ×3, first 2 shown]
	v_bfe_u32 v15, v11, 29, 1
	v_alignbit_b32 v16, v11, v13, 30
	v_alignbit_b32 v13, v13, v14, 30
	v_alignbit_b32 v10, v14, v10, 30
	v_sub_nc_u32_e32 v17, 0, v15
	v_xor_b32_e32 v16, v16, v17
	v_xor_b32_e32 v13, v13, v17
	;; [unrolled: 1-line block ×3, first 2 shown]
	v_lshrrev_b32_e32 v17, 29, v11
	v_lshrrev_b32_e32 v11, 30, v11
	v_ffbh_u32_e32 v18, v16
	v_add_nc_u32_e32 v11, v15, v11
	v_min_u32_e32 v18, 32, v18
	v_sub_nc_u32_e32 v14, 31, v18
	v_lshlrev_b32_e32 v19, 23, v18
	v_alignbit_b32 v16, v16, v13, v14
	v_alignbit_b32 v10, v13, v10, v14
	v_lshlrev_b32_e32 v13, 31, v17
	v_alignbit_b32 v14, v16, v10, 9
	v_or_b32_e32 v17, 0.5, v13
	v_lshrrev_b32_e32 v16, 9, v16
	v_or_b32_e32 v13, 0x33000000, v13
	v_ffbh_u32_e32 v20, v14
	v_sub_nc_u32_e32 v17, v17, v19
	v_min_u32_e32 v19, 32, v20
	v_or_b32_e32 v16, v16, v17
	v_not_b32_e32 v17, v19
	v_mul_f32_e32 v20, 0x3fc90fda, v16
	v_add_lshl_u32 v18, v19, v18, 23
	v_alignbit_b32 v10, v14, v10, v17
	v_fma_f32 v14, 0x3fc90fda, v16, -v20
	v_sub_nc_u32_e32 v13, v13, v18
	v_lshrrev_b32_e32 v10, 9, v10
	v_fmamk_f32 v14, v16, 0x33a22168, v14
	v_or_b32_e32 v10, v13, v10
	v_fmac_f32_e32 v14, 0x3fc90fda, v10
	v_add_f32_e32 v10, v20, v14
.LBB66_1456:
	s_andn2_saveexec_b32 s0, s13
; %bb.1457:
	v_mul_f32_e64 v10, 0x3f22f983, |v0|
	v_rndne_f32_e32 v11, v10
	v_fma_f32 v10, 0xbfc90fda, v11, |v0|
	v_fmamk_f32 v10, v11, 0xb3a22168, v10
	v_fmamk_f32 v10, v11, 0xa7c234c4, v10
	v_cvt_i32_f32_e32 v11, v11
; %bb.1458:
	s_or_b32 exec_lo, exec_lo, s0
	v_mul_f32_e32 v13, v10, v10
	s_mov_b32 s0, 0xb94c1982
	s_mov_b32 s1, 0x37d75334
	v_and_b32_e32 v16, 1, v11
	v_lshlrev_b32_e32 v11, 30, v11
	v_fmaak_f32 v14, s0, v13, 0x3c0881c4
	v_fmaak_f32 v15, s1, v13, 0xbab64f3b
	v_xor_b32_e32 v1, v1, v0
	v_cmp_eq_u32_e32 vcc_lo, 0, v16
	v_and_b32_e32 v11, 0x80000000, v11
	v_fmaak_f32 v14, v13, v14, 0xbe2aaa9d
	v_fmaak_f32 v15, v13, v15, 0x3d2aabf7
	v_sub_f32_e32 v9, 1.0, v9
	v_mul_f32_e32 v14, v13, v14
	v_fmaak_f32 v15, v13, v15, 0xbf000004
	v_fmac_f32_e32 v10, v10, v14
	v_fma_f32 v13, v13, v15, 1.0
	v_cndmask_b32_e32 v10, v13, v10, vcc_lo
	v_cmp_class_f32_e64 vcc_lo, v0, 0x1f8
	v_xor3_b32 v1, v1, v11, v10
	v_cndmask_b32_e32 v0, 0x7fc00000, v1, vcc_lo
	v_mul_f32_e32 v0, v0, v0
	v_div_scale_f32 v1, null, v0, v0, 0xc11de9e7
	v_div_scale_f32 v13, vcc_lo, 0xc11de9e7, v0, 0xc11de9e7
	v_rcp_f32_e32 v10, v1
	v_fma_f32 v11, -v1, v10, 1.0
	v_fmac_f32_e32 v10, v11, v10
	v_mul_f32_e32 v11, v13, v10
	v_fma_f32 v14, -v1, v11, v13
	v_fmac_f32_e32 v11, v14, v10
	v_fma_f32 v1, -v1, v11, v13
	v_div_fmas_f32 v1, v1, v10, v11
	v_mov_b32_e32 v10, -1.0
	v_div_fixup_f32 v0, v1, v0, 0xc11de9e7
	v_add_f32_e32 v11, 0, v0
.LBB66_1459:
	s_or_b32 exec_lo, exec_lo, s6
	v_add_nc_u32_e32 v0, s3, v12
	s_cmp_lt_i32 s2, 11
	v_ashrrev_i32_e32 v1, 31, v0
	v_add_co_u32 v0, vcc_lo, s10, v0
	v_add_co_ci_u32_e64 v1, null, s11, v1, vcc_lo
	s_cbranch_scc1 .LBB66_1466
; %bb.1460:
	s_cmp_gt_i32 s2, 25
	s_mov_b32 s1, 0
	s_cbranch_scc0 .LBB66_1467
; %bb.1461:
	s_cmp_gt_i32 s2, 28
	s_cbranch_scc0 .LBB66_1468
; %bb.1462:
	s_cmp_gt_i32 s2, 43
	;; [unrolled: 3-line block ×3, first 2 shown]
	s_cbranch_scc0 .LBB66_1471
; %bb.1464:
	s_cmp_eq_u32 s2, 46
	s_mov_b32 s6, 0
	s_cbranch_scc0 .LBB66_1472
; %bb.1465:
	global_load_dword v12, v[0:1], off
	s_mov_b32 s0, 0
	s_mov_b32 s3, -1
	s_waitcnt vmcnt(0)
	v_lshlrev_b32_e32 v12, 16, v12
	v_cvt_f16_f32_e32 v13, v12
	s_branch .LBB66_1474
.LBB66_1466:
	s_mov_b32 s0, -1
	s_mov_b32 s3, 0
                                        ; implicit-def: $vgpr13
	s_branch .LBB66_1540
.LBB66_1467:
	s_mov_b32 s6, -1
	s_mov_b32 s3, 0
	s_mov_b32 s0, 0
                                        ; implicit-def: $vgpr13
	s_branch .LBB66_1503
.LBB66_1468:
	s_mov_b32 s6, -1
	s_mov_b32 s3, 0
	s_mov_b32 s0, 0
                                        ; implicit-def: $vgpr13
	s_branch .LBB66_1484
.LBB66_1469:
	s_mov_b32 s6, -1
	s_mov_b32 s3, 0
	s_mov_b32 s0, 0
                                        ; implicit-def: $vgpr13
	s_branch .LBB66_1479
.LBB66_1470:
	s_or_b32 s5, s5, exec_lo
	s_trap 2
	s_cbranch_execz .LBB66_1403
	s_branch .LBB66_1404
.LBB66_1471:
	s_mov_b32 s6, -1
	s_mov_b32 s3, 0
	s_mov_b32 s0, 0
	s_branch .LBB66_1473
.LBB66_1472:
	s_mov_b32 s0, -1
	s_mov_b32 s3, 0
.LBB66_1473:
                                        ; implicit-def: $vgpr13
.LBB66_1474:
	s_and_b32 vcc_lo, exec_lo, s6
	s_cbranch_vccz .LBB66_1478
; %bb.1475:
	s_cmp_eq_u32 s2, 44
	s_cbranch_scc0 .LBB66_1477
; %bb.1476:
	global_load_ubyte v12, v[0:1], off
	s_mov_b32 s0, 0
	s_mov_b32 s3, -1
	s_waitcnt vmcnt(0)
	v_lshlrev_b32_e32 v13, 23, v12
	v_cmp_ne_u32_e32 vcc_lo, 0xff, v12
	v_cvt_f16_f32_e32 v13, v13
	v_cndmask_b32_e32 v13, 0x7e00, v13, vcc_lo
	v_cmp_ne_u32_e32 vcc_lo, 0, v12
	v_cndmask_b32_e32 v13, 0, v13, vcc_lo
	s_branch .LBB66_1478
.LBB66_1477:
	s_mov_b32 s0, -1
                                        ; implicit-def: $vgpr13
.LBB66_1478:
	s_mov_b32 s6, 0
.LBB66_1479:
	s_and_b32 vcc_lo, exec_lo, s6
	s_cbranch_vccz .LBB66_1483
; %bb.1480:
	s_cmp_eq_u32 s2, 29
	s_cbranch_scc0 .LBB66_1482
; %bb.1481:
	global_load_dwordx2 v[12:13], v[0:1], off
	s_mov_b32 s0, 0
	s_mov_b32 s3, -1
	s_mov_b32 s6, 0
	s_waitcnt vmcnt(0)
	v_ffbh_u32_e32 v14, v13
	v_min_u32_e32 v14, 32, v14
	v_lshlrev_b64 v[12:13], v14, v[12:13]
	v_min_u32_e32 v12, 1, v12
	v_or_b32_e32 v12, v13, v12
	v_sub_nc_u32_e32 v13, 32, v14
	v_cvt_f32_u32_e32 v12, v12
	v_ldexp_f32 v12, v12, v13
	v_cvt_f16_f32_e32 v13, v12
	s_branch .LBB66_1484
.LBB66_1482:
	s_mov_b32 s0, -1
                                        ; implicit-def: $vgpr13
.LBB66_1483:
	s_mov_b32 s6, 0
.LBB66_1484:
	s_and_b32 vcc_lo, exec_lo, s6
	s_cbranch_vccz .LBB66_1502
; %bb.1485:
	s_cmp_lt_i32 s2, 27
	s_cbranch_scc1 .LBB66_1488
; %bb.1486:
	s_cmp_gt_i32 s2, 27
	s_cbranch_scc0 .LBB66_1489
; %bb.1487:
	global_load_dword v12, v[0:1], off
	s_mov_b32 s3, 0
	s_waitcnt vmcnt(0)
	v_cvt_f32_u32_e32 v12, v12
	v_cvt_f16_f32_e32 v13, v12
	s_branch .LBB66_1490
.LBB66_1488:
	s_mov_b32 s3, -1
                                        ; implicit-def: $vgpr13
	s_branch .LBB66_1493
.LBB66_1489:
	s_mov_b32 s3, -1
                                        ; implicit-def: $vgpr13
.LBB66_1490:
	s_andn2_b32 vcc_lo, exec_lo, s3
	s_cbranch_vccnz .LBB66_1492
; %bb.1491:
	global_load_ushort v12, v[0:1], off
	s_waitcnt vmcnt(0)
	v_cvt_f16_u16_e32 v13, v12
.LBB66_1492:
	s_mov_b32 s3, 0
.LBB66_1493:
	s_andn2_b32 vcc_lo, exec_lo, s3
	s_cbranch_vccnz .LBB66_1501
; %bb.1494:
	global_load_ubyte v12, v[0:1], off
	s_mov_b32 s3, 0
	s_mov_b32 s6, exec_lo
	s_waitcnt vmcnt(0)
	v_cmpx_lt_i16_e32 0x7f, v12
	s_xor_b32 s6, exec_lo, s6
	s_cbranch_execz .LBB66_1515
; %bb.1495:
	s_mov_b32 s3, -1
	s_mov_b32 s10, exec_lo
	v_cmpx_eq_u16_e32 0x80, v12
; %bb.1496:
	s_xor_b32 s3, exec_lo, -1
; %bb.1497:
	s_or_b32 exec_lo, exec_lo, s10
	s_and_b32 s3, s3, exec_lo
	s_or_saveexec_b32 s6, s6
	v_mov_b32_e32 v13, 0x7e00
	s_xor_b32 exec_lo, exec_lo, s6
	s_cbranch_execnz .LBB66_1516
.LBB66_1498:
	s_or_b32 exec_lo, exec_lo, s6
	s_and_saveexec_b32 s6, s3
	s_cbranch_execz .LBB66_1500
.LBB66_1499:
	v_and_b32_e32 v13, 0xffff, v12
	v_lshlrev_b32_e32 v12, 24, v12
	v_and_b32_e32 v14, 7, v13
	v_bfe_u32 v17, v13, 3, 4
	v_and_b32_e32 v12, 0x80000000, v12
	v_ffbh_u32_e32 v15, v14
	v_cmp_eq_u32_e32 vcc_lo, 0, v17
	v_min_u32_e32 v15, 32, v15
	v_subrev_nc_u32_e32 v16, 28, v15
	v_sub_nc_u32_e32 v15, 29, v15
	v_lshlrev_b32_e32 v13, v16, v13
	v_cndmask_b32_e32 v15, v17, v15, vcc_lo
	v_and_b32_e32 v13, 7, v13
	v_cndmask_b32_e32 v13, v14, v13, vcc_lo
	v_lshl_add_u32 v14, v15, 23, 0x3b800000
	v_lshlrev_b32_e32 v13, 20, v13
	v_or3_b32 v12, v12, v14, v13
	v_cvt_f16_f32_e32 v13, v12
.LBB66_1500:
	s_or_b32 exec_lo, exec_lo, s6
.LBB66_1501:
	s_mov_b32 s3, -1
.LBB66_1502:
	s_mov_b32 s6, 0
.LBB66_1503:
	s_and_b32 vcc_lo, exec_lo, s6
	s_cbranch_vccz .LBB66_1536
; %bb.1504:
	s_cmp_gt_i32 s2, 22
	s_cbranch_scc0 .LBB66_1514
; %bb.1505:
	s_cmp_lt_i32 s2, 24
	s_cbranch_scc1 .LBB66_1517
; %bb.1506:
	s_cmp_gt_i32 s2, 24
	s_cbranch_scc0 .LBB66_1518
; %bb.1507:
	global_load_ubyte v12, v[0:1], off
	s_mov_b32 s3, exec_lo
	s_waitcnt vmcnt(0)
	v_cmpx_lt_i16_e32 0x7f, v12
	s_xor_b32 s3, exec_lo, s3
	s_cbranch_execz .LBB66_1530
; %bb.1508:
	s_mov_b32 s1, -1
	s_mov_b32 s6, exec_lo
	v_cmpx_eq_u16_e32 0x80, v12
; %bb.1509:
	s_xor_b32 s1, exec_lo, -1
; %bb.1510:
	s_or_b32 exec_lo, exec_lo, s6
	s_and_b32 s1, s1, exec_lo
	s_or_saveexec_b32 s3, s3
	v_mov_b32_e32 v13, 0x7e00
	s_xor_b32 exec_lo, exec_lo, s3
	s_cbranch_execnz .LBB66_1531
.LBB66_1511:
	s_or_b32 exec_lo, exec_lo, s3
	s_and_saveexec_b32 s3, s1
	s_cbranch_execz .LBB66_1513
.LBB66_1512:
	v_and_b32_e32 v13, 0xffff, v12
	v_lshlrev_b32_e32 v12, 24, v12
	v_and_b32_e32 v14, 3, v13
	v_bfe_u32 v17, v13, 2, 5
	v_and_b32_e32 v12, 0x80000000, v12
	v_ffbh_u32_e32 v15, v14
	v_cmp_eq_u32_e32 vcc_lo, 0, v17
	v_min_u32_e32 v15, 32, v15
	v_subrev_nc_u32_e32 v16, 29, v15
	v_sub_nc_u32_e32 v15, 30, v15
	v_lshlrev_b32_e32 v13, v16, v13
	v_cndmask_b32_e32 v15, v17, v15, vcc_lo
	v_and_b32_e32 v13, 3, v13
	v_cndmask_b32_e32 v13, v14, v13, vcc_lo
	v_lshl_add_u32 v14, v15, 23, 0x37800000
	v_lshlrev_b32_e32 v13, 21, v13
	v_or3_b32 v12, v12, v14, v13
	v_cvt_f16_f32_e32 v13, v12
.LBB66_1513:
	s_or_b32 exec_lo, exec_lo, s3
	s_mov_b32 s1, 0
	s_branch .LBB66_1519
.LBB66_1514:
	s_mov_b32 s1, -1
                                        ; implicit-def: $vgpr13
	s_branch .LBB66_1525
.LBB66_1515:
	s_or_saveexec_b32 s6, s6
	v_mov_b32_e32 v13, 0x7e00
	s_xor_b32 exec_lo, exec_lo, s6
	s_cbranch_execz .LBB66_1498
.LBB66_1516:
	v_cmp_ne_u16_e32 vcc_lo, 0, v12
	v_mov_b32_e32 v13, v12
	s_andn2_b32 s3, s3, exec_lo
	s_and_b32 s10, vcc_lo, exec_lo
	s_or_b32 s3, s3, s10
	s_or_b32 exec_lo, exec_lo, s6
	s_and_saveexec_b32 s6, s3
	s_cbranch_execnz .LBB66_1499
	s_branch .LBB66_1500
.LBB66_1517:
	s_mov_b32 s1, -1
                                        ; implicit-def: $vgpr13
	s_branch .LBB66_1522
.LBB66_1518:
	s_mov_b32 s1, -1
                                        ; implicit-def: $vgpr13
.LBB66_1519:
	s_and_b32 vcc_lo, exec_lo, s1
	s_cbranch_vccz .LBB66_1521
; %bb.1520:
	global_load_ubyte v12, v[0:1], off
	s_waitcnt vmcnt(0)
	v_lshlrev_b32_e32 v12, 24, v12
	v_and_b32_e32 v13, 0x7f000000, v12
	v_ffbh_u32_e32 v14, v13
	v_add_nc_u32_e32 v16, 0x1000000, v13
	v_cmp_ne_u32_e32 vcc_lo, 0, v13
	v_min_u32_e32 v14, 32, v14
	v_sub_nc_u32_e64 v14, v14, 4 clamp
	v_lshlrev_b32_e32 v15, v14, v13
	v_lshlrev_b32_e32 v14, 23, v14
	v_lshrrev_b32_e32 v15, 4, v15
	v_sub_nc_u32_e32 v14, v15, v14
	v_ashrrev_i32_e32 v15, 8, v16
	v_add_nc_u32_e32 v14, 0x3c000000, v14
	v_and_or_b32 v14, 0x7f800000, v15, v14
	v_cndmask_b32_e32 v13, 0, v14, vcc_lo
	v_and_or_b32 v12, 0x80000000, v12, v13
	v_cvt_f16_f32_e32 v13, v12
.LBB66_1521:
	s_mov_b32 s1, 0
.LBB66_1522:
	s_andn2_b32 vcc_lo, exec_lo, s1
	s_cbranch_vccnz .LBB66_1524
; %bb.1523:
	global_load_ubyte v12, v[0:1], off
	s_waitcnt vmcnt(0)
	v_lshlrev_b32_e32 v13, 25, v12
	v_lshlrev_b16 v12, 8, v12
	v_lshrrev_b32_e32 v14, 4, v13
	v_and_or_b32 v15, 0x7f00, v12, 0.5
	v_cmp_gt_u32_e32 vcc_lo, 0x8000000, v13
	v_bfe_i32 v12, v12, 0, 16
	v_or_b32_e32 v14, 0x70000000, v14
	v_add_f32_e32 v15, -0.5, v15
	v_mul_f32_e32 v14, 0x7800000, v14
	v_cndmask_b32_e32 v13, v14, v15, vcc_lo
	v_and_or_b32 v12, 0x80000000, v12, v13
	v_cvt_f16_f32_e32 v13, v12
.LBB66_1524:
	s_mov_b32 s1, 0
	s_mov_b32 s3, -1
.LBB66_1525:
	s_andn2_b32 vcc_lo, exec_lo, s1
	s_mov_b32 s1, 0
	s_cbranch_vccnz .LBB66_1536
; %bb.1526:
	s_cmp_gt_i32 s2, 14
	s_cbranch_scc0 .LBB66_1529
; %bb.1527:
	s_cmp_eq_u32 s2, 15
	s_cbranch_scc0 .LBB66_1532
; %bb.1528:
	global_load_ushort v12, v[0:1], off
	s_mov_b32 s0, 0
	s_mov_b32 s3, -1
	s_waitcnt vmcnt(0)
	v_lshlrev_b32_e32 v12, 16, v12
	v_cvt_f16_f32_e32 v13, v12
	s_branch .LBB66_1534
.LBB66_1529:
	s_mov_b32 s1, -1
	s_branch .LBB66_1533
.LBB66_1530:
	s_or_saveexec_b32 s3, s3
	v_mov_b32_e32 v13, 0x7e00
	s_xor_b32 exec_lo, exec_lo, s3
	s_cbranch_execz .LBB66_1511
.LBB66_1531:
	v_cmp_ne_u16_e32 vcc_lo, 0, v12
	v_mov_b32_e32 v13, v12
	s_andn2_b32 s1, s1, exec_lo
	s_and_b32 s6, vcc_lo, exec_lo
	s_or_b32 s1, s1, s6
	s_or_b32 exec_lo, exec_lo, s3
	s_and_saveexec_b32 s3, s1
	s_cbranch_execnz .LBB66_1512
	s_branch .LBB66_1513
.LBB66_1532:
	s_mov_b32 s0, -1
.LBB66_1533:
                                        ; implicit-def: $vgpr13
.LBB66_1534:
	s_and_b32 vcc_lo, exec_lo, s1
	s_mov_b32 s1, 0
	s_cbranch_vccz .LBB66_1536
; %bb.1535:
	s_cmp_lg_u32 s2, 11
	s_mov_b32 s1, -1
	s_cselect_b32 s0, -1, 0
.LBB66_1536:
	s_and_b32 vcc_lo, exec_lo, s0
	s_cbranch_vccnz .LBB66_2075
; %bb.1537:
	s_andn2_b32 vcc_lo, exec_lo, s1
	s_cbranch_vccnz .LBB66_1539
.LBB66_1538:
	global_load_ubyte v12, v[0:1], off
	s_mov_b32 s3, -1
	s_waitcnt vmcnt(0)
	v_cmp_ne_u16_e32 vcc_lo, 0, v12
	v_cndmask_b32_e64 v13, 0, 0x3c00, vcc_lo
.LBB66_1539:
	s_mov_b32 s0, 0
.LBB66_1540:
	s_and_b32 vcc_lo, exec_lo, s0
	s_cbranch_vccz .LBB66_1589
; %bb.1541:
	s_cmp_lt_i32 s2, 5
	s_cbranch_scc1 .LBB66_1546
; %bb.1542:
	s_cmp_lt_i32 s2, 8
	s_cbranch_scc1 .LBB66_1547
	;; [unrolled: 3-line block ×3, first 2 shown]
; %bb.1544:
	s_cmp_gt_i32 s2, 9
	s_cbranch_scc0 .LBB66_1549
; %bb.1545:
	global_load_dwordx2 v[12:13], v[0:1], off
	s_mov_b32 s0, 0
	s_waitcnt vmcnt(0)
	v_and_or_b32 v12, 0x1ff, v13, v12
	v_lshrrev_b32_e32 v14, 8, v13
	v_bfe_u32 v15, v13, 20, 11
	v_lshrrev_b32_e32 v13, 16, v13
	v_cmp_ne_u32_e32 vcc_lo, 0, v12
	v_sub_nc_u32_e32 v16, 0x3f1, v15
	v_add_nc_u32_e32 v15, 0xfffffc10, v15
	v_cndmask_b32_e64 v12, 0, 1, vcc_lo
	v_and_or_b32 v12, 0xffe, v14, v12
	v_med3_i32 v14, v16, 0, 13
	v_or_b32_e32 v16, 0x1000, v12
	v_lshrrev_b32_e32 v17, v14, v16
	v_lshlrev_b32_e32 v14, v14, v17
	v_cmp_ne_u32_e32 vcc_lo, v14, v16
	v_lshl_or_b32 v16, v15, 12, v12
	v_cndmask_b32_e64 v14, 0, 1, vcc_lo
	v_cmp_gt_i32_e32 vcc_lo, 1, v15
	v_or_b32_e32 v14, v17, v14
	v_cndmask_b32_e32 v14, v16, v14, vcc_lo
	v_and_b32_e32 v16, 7, v14
	v_lshrrev_b32_e32 v14, 2, v14
	v_cmp_lt_i32_e32 vcc_lo, 5, v16
	v_cndmask_b32_e64 v17, 0, 1, vcc_lo
	v_cmp_eq_u32_e32 vcc_lo, 3, v16
	v_cndmask_b32_e64 v16, 0, 1, vcc_lo
	v_cmp_ne_u32_e32 vcc_lo, 0, v12
	v_or_b32_e32 v16, v16, v17
	v_mov_b32_e32 v17, 0x7e00
	v_add_nc_u32_e32 v14, v14, v16
	v_cndmask_b32_e32 v12, 0x7c00, v17, vcc_lo
	v_cmp_gt_i32_e32 vcc_lo, 31, v15
	v_cndmask_b32_e32 v14, 0x7c00, v14, vcc_lo
	v_cmp_eq_u32_e32 vcc_lo, 0x40f, v15
	v_cndmask_b32_e32 v12, v14, v12, vcc_lo
	v_and_or_b32 v13, 0x8000, v13, v12
	s_branch .LBB66_1550
.LBB66_1546:
	s_mov_b32 s0, -1
                                        ; implicit-def: $vgpr13
	s_branch .LBB66_1568
.LBB66_1547:
	s_mov_b32 s0, -1
                                        ; implicit-def: $vgpr13
	s_branch .LBB66_1556
.LBB66_1548:
	s_mov_b32 s0, -1
                                        ; implicit-def: $vgpr13
	s_branch .LBB66_1553
.LBB66_1549:
	s_mov_b32 s0, -1
                                        ; implicit-def: $vgpr13
.LBB66_1550:
	s_andn2_b32 vcc_lo, exec_lo, s0
	s_cbranch_vccnz .LBB66_1552
; %bb.1551:
	global_load_dword v12, v[0:1], off
	s_waitcnt vmcnt(0)
	v_cvt_f16_f32_e32 v13, v12
.LBB66_1552:
	s_mov_b32 s0, 0
.LBB66_1553:
	s_andn2_b32 vcc_lo, exec_lo, s0
	s_cbranch_vccnz .LBB66_1555
; %bb.1554:
	global_load_dword v13, v[0:1], off
.LBB66_1555:
	s_mov_b32 s0, 0
.LBB66_1556:
	s_andn2_b32 vcc_lo, exec_lo, s0
	s_cbranch_vccnz .LBB66_1567
; %bb.1557:
	s_cmp_lt_i32 s2, 6
	s_cbranch_scc1 .LBB66_1560
; %bb.1558:
	s_cmp_gt_i32 s2, 6
	s_cbranch_scc0 .LBB66_1561
; %bb.1559:
	global_load_dwordx2 v[12:13], v[0:1], off
	s_mov_b32 s0, 0
	s_waitcnt vmcnt(0)
	v_and_or_b32 v12, 0x1ff, v13, v12
	v_lshrrev_b32_e32 v14, 8, v13
	v_bfe_u32 v15, v13, 20, 11
	v_lshrrev_b32_e32 v13, 16, v13
	v_cmp_ne_u32_e32 vcc_lo, 0, v12
	v_sub_nc_u32_e32 v16, 0x3f1, v15
	v_add_nc_u32_e32 v15, 0xfffffc10, v15
	v_cndmask_b32_e64 v12, 0, 1, vcc_lo
	v_and_or_b32 v12, 0xffe, v14, v12
	v_med3_i32 v14, v16, 0, 13
	v_or_b32_e32 v16, 0x1000, v12
	v_lshrrev_b32_e32 v17, v14, v16
	v_lshlrev_b32_e32 v14, v14, v17
	v_cmp_ne_u32_e32 vcc_lo, v14, v16
	v_lshl_or_b32 v16, v15, 12, v12
	v_cndmask_b32_e64 v14, 0, 1, vcc_lo
	v_cmp_gt_i32_e32 vcc_lo, 1, v15
	v_or_b32_e32 v14, v17, v14
	v_cndmask_b32_e32 v14, v16, v14, vcc_lo
	v_and_b32_e32 v16, 7, v14
	v_lshrrev_b32_e32 v14, 2, v14
	v_cmp_lt_i32_e32 vcc_lo, 5, v16
	v_cndmask_b32_e64 v17, 0, 1, vcc_lo
	v_cmp_eq_u32_e32 vcc_lo, 3, v16
	v_cndmask_b32_e64 v16, 0, 1, vcc_lo
	v_cmp_ne_u32_e32 vcc_lo, 0, v12
	v_or_b32_e32 v16, v16, v17
	v_mov_b32_e32 v17, 0x7e00
	v_add_nc_u32_e32 v14, v14, v16
	v_cndmask_b32_e32 v12, 0x7c00, v17, vcc_lo
	v_cmp_gt_i32_e32 vcc_lo, 31, v15
	v_cndmask_b32_e32 v14, 0x7c00, v14, vcc_lo
	v_cmp_eq_u32_e32 vcc_lo, 0x40f, v15
	v_cndmask_b32_e32 v12, v14, v12, vcc_lo
	v_and_or_b32 v13, 0x8000, v13, v12
	s_branch .LBB66_1562
.LBB66_1560:
	s_mov_b32 s0, -1
                                        ; implicit-def: $vgpr13
	s_branch .LBB66_1565
.LBB66_1561:
	s_mov_b32 s0, -1
                                        ; implicit-def: $vgpr13
.LBB66_1562:
	s_andn2_b32 vcc_lo, exec_lo, s0
	s_cbranch_vccnz .LBB66_1564
; %bb.1563:
	global_load_dword v12, v[0:1], off
	s_waitcnt vmcnt(0)
	v_cvt_f16_f32_e32 v13, v12
.LBB66_1564:
	s_mov_b32 s0, 0
.LBB66_1565:
	s_andn2_b32 vcc_lo, exec_lo, s0
	s_cbranch_vccnz .LBB66_1567
; %bb.1566:
	global_load_ushort v13, v[0:1], off
.LBB66_1567:
	s_mov_b32 s0, 0
.LBB66_1568:
	s_andn2_b32 vcc_lo, exec_lo, s0
	s_cbranch_vccnz .LBB66_1588
; %bb.1569:
	s_cmp_lt_i32 s2, 2
	s_cbranch_scc1 .LBB66_1573
; %bb.1570:
	s_cmp_lt_i32 s2, 3
	s_cbranch_scc1 .LBB66_1574
; %bb.1571:
	s_cmp_gt_i32 s2, 3
	s_cbranch_scc0 .LBB66_1575
; %bb.1572:
	global_load_dwordx2 v[12:13], v[0:1], off
	s_mov_b32 s0, 0
	s_waitcnt vmcnt(0)
	v_xor_b32_e32 v14, v12, v13
	v_ffbh_i32_e32 v15, v13
	v_ashrrev_i32_e32 v14, 31, v14
	v_add_nc_u32_e32 v15, -1, v15
	v_add_nc_u32_e32 v14, 32, v14
	v_min_u32_e32 v14, v15, v14
	v_lshlrev_b64 v[12:13], v14, v[12:13]
	v_min_u32_e32 v12, 1, v12
	v_or_b32_e32 v12, v13, v12
	v_sub_nc_u32_e32 v13, 32, v14
	v_cvt_f32_i32_e32 v12, v12
	v_ldexp_f32 v12, v12, v13
	v_cvt_f16_f32_e32 v13, v12
	s_branch .LBB66_1576
.LBB66_1573:
	s_mov_b32 s0, -1
                                        ; implicit-def: $vgpr13
	s_branch .LBB66_1582
.LBB66_1574:
	s_mov_b32 s0, -1
                                        ; implicit-def: $vgpr13
	s_branch .LBB66_1579
.LBB66_1575:
	s_mov_b32 s0, -1
                                        ; implicit-def: $vgpr13
.LBB66_1576:
	s_andn2_b32 vcc_lo, exec_lo, s0
	s_cbranch_vccnz .LBB66_1578
; %bb.1577:
	global_load_dword v12, v[0:1], off
	s_waitcnt vmcnt(0)
	v_cvt_f32_i32_e32 v12, v12
	v_cvt_f16_f32_e32 v13, v12
.LBB66_1578:
	s_mov_b32 s0, 0
.LBB66_1579:
	s_andn2_b32 vcc_lo, exec_lo, s0
	s_cbranch_vccnz .LBB66_1581
; %bb.1580:
	global_load_ushort v12, v[0:1], off
	s_waitcnt vmcnt(0)
	v_cvt_f16_i16_e32 v13, v12
.LBB66_1581:
	s_mov_b32 s0, 0
.LBB66_1582:
	s_andn2_b32 vcc_lo, exec_lo, s0
	s_cbranch_vccnz .LBB66_1588
; %bb.1583:
	s_cmp_gt_i32 s2, 0
	s_mov_b32 s0, 0
	s_cbranch_scc0 .LBB66_1585
; %bb.1584:
	global_load_sbyte v12, v[0:1], off
	s_waitcnt vmcnt(0)
	v_cvt_f16_i16_e32 v13, v12
	s_branch .LBB66_1586
.LBB66_1585:
	s_mov_b32 s0, -1
                                        ; implicit-def: $vgpr13
.LBB66_1586:
	s_andn2_b32 vcc_lo, exec_lo, s0
	s_cbranch_vccnz .LBB66_1588
; %bb.1587:
	global_load_ubyte v0, v[0:1], off
	s_waitcnt vmcnt(0)
	v_cvt_f16_u16_e32 v13, v0
.LBB66_1588:
	s_mov_b32 s3, -1
.LBB66_1589:
	s_andn2_b32 vcc_lo, exec_lo, s3
	s_cbranch_vccnz .LBB66_2029
; %bb.1590:
	s_waitcnt vmcnt(0)
	v_cvt_f32_f16_e32 v12, v13
	v_cmp_gt_f16_e32 vcc_lo, 0.5, v13
	v_mov_b32_e32 v14, 0
	v_mov_b32_e32 v13, 1.0
	s_and_saveexec_b32 s2, vcc_lo
	s_cbranch_execz .LBB66_1596
; %bb.1591:
	v_mul_f32_e32 v0, 0x40490fdb, v12
                                        ; implicit-def: $vgpr14
                                        ; implicit-def: $vgpr13
	s_mov_b32 s1, exec_lo
	v_and_b32_e32 v1, 0x7fffffff, v0
	v_cmpx_ngt_f32_e64 0x48000000, |v0|
	s_xor_b32 s3, exec_lo, s1
	s_cbranch_execz .LBB66_1593
; %bb.1592:
	s_mov_b32 s0, 0x7fffff
	v_mov_b32_e32 v15, 0
	v_and_or_b32 v22, v1, s0, 0x800000
	v_lshrrev_b32_e32 v20, 23, v1
	v_mad_u64_u32 v[13:14], null, 0xfe5163ab, v22, 0
	v_add_nc_u32_e32 v21, 0xffffff88, v20
	v_cmp_lt_u32_e32 vcc_lo, 63, v21
	v_mad_u64_u32 v[16:17], null, 0x3c439041, v22, v[14:15]
	v_cndmask_b32_e64 v23, 0, 0xffffffc0, vcc_lo
	v_mov_b32_e32 v14, v17
	v_add_nc_u32_e32 v23, v23, v21
	v_mad_u64_u32 v[17:18], null, 0xdb629599, v22, v[14:15]
	v_cmp_lt_u32_e64 s0, 31, v23
	v_cndmask_b32_e64 v24, 0, 0xffffffe0, s0
	v_mov_b32_e32 v14, v18
	v_cndmask_b32_e32 v13, v17, v13, vcc_lo
	v_mad_u64_u32 v[18:19], null, 0xf534ddc0, v22, v[14:15]
	v_mov_b32_e32 v14, v19
	v_cndmask_b32_e32 v16, v18, v16, vcc_lo
	v_mad_u64_u32 v[19:20], null, 0xfc2757d1, v22, v[14:15]
	v_cndmask_b32_e64 v13, v16, v13, s0
	v_mov_b32_e32 v14, v20
	v_mad_u64_u32 v[20:21], null, 0x4e441529, v22, v[14:15]
	v_mov_b32_e32 v14, v21
	v_add_nc_u32_e32 v21, v24, v23
	v_cndmask_b32_e32 v23, v20, v18, vcc_lo
	v_mad_u64_u32 v[14:15], null, 0xa2f9836e, v22, v[14:15]
	v_cmp_lt_u32_e64 s1, 31, v21
	v_cndmask_b32_e64 v22, 0, 0xffffffe0, s1
	v_cndmask_b32_e32 v14, v14, v19, vcc_lo
	v_cndmask_b32_e32 v15, v15, v20, vcc_lo
	;; [unrolled: 1-line block ×3, first 2 shown]
	v_add_nc_u32_e32 v20, v22, v21
	v_cndmask_b32_e64 v18, v14, v23, s0
	v_cndmask_b32_e64 v14, v15, v14, s0
	;; [unrolled: 1-line block ×4, first 2 shown]
	v_sub_nc_u32_e32 v21, 32, v20
	v_cmp_eq_u32_e32 vcc_lo, 0, v20
	v_cndmask_b32_e64 v14, v14, v18, s1
	v_cndmask_b32_e64 v18, v18, v15, s1
	;; [unrolled: 1-line block ×4, first 2 shown]
	v_alignbit_b32 v22, v14, v18, v21
	v_alignbit_b32 v17, v18, v15, v21
	;; [unrolled: 1-line block ×3, first 2 shown]
	v_cndmask_b32_e32 v14, v22, v14, vcc_lo
	v_cndmask_b32_e32 v16, v17, v18, vcc_lo
	;; [unrolled: 1-line block ×3, first 2 shown]
	v_bfe_u32 v17, v14, 29, 1
	v_alignbit_b32 v18, v14, v16, 30
	v_alignbit_b32 v16, v16, v15, 30
	;; [unrolled: 1-line block ×3, first 2 shown]
	v_sub_nc_u32_e32 v19, 0, v17
	v_xor_b32_e32 v18, v18, v19
	v_xor_b32_e32 v15, v16, v19
	;; [unrolled: 1-line block ×3, first 2 shown]
	v_lshrrev_b32_e32 v19, 29, v14
	v_lshrrev_b32_e32 v14, 30, v14
	v_ffbh_u32_e32 v20, v18
	v_add_nc_u32_e32 v14, v17, v14
	v_min_u32_e32 v20, 32, v20
	v_sub_nc_u32_e32 v16, 31, v20
	v_lshlrev_b32_e32 v21, 23, v20
	v_alignbit_b32 v18, v18, v15, v16
	v_alignbit_b32 v13, v15, v13, v16
	v_lshlrev_b32_e32 v15, 31, v19
	v_alignbit_b32 v16, v18, v13, 9
	v_or_b32_e32 v19, 0.5, v15
	v_lshrrev_b32_e32 v18, 9, v18
	v_or_b32_e32 v15, 0x33000000, v15
	v_ffbh_u32_e32 v22, v16
	v_sub_nc_u32_e32 v19, v19, v21
	v_min_u32_e32 v21, 32, v22
	v_or_b32_e32 v18, v18, v19
	v_not_b32_e32 v19, v21
	v_mul_f32_e32 v22, 0x3fc90fda, v18
	v_add_lshl_u32 v20, v21, v20, 23
	v_alignbit_b32 v13, v16, v13, v19
	v_fma_f32 v16, 0x3fc90fda, v18, -v22
	v_sub_nc_u32_e32 v15, v15, v20
	v_lshrrev_b32_e32 v13, 9, v13
	v_fmamk_f32 v16, v18, 0x33a22168, v16
	v_or_b32_e32 v13, v15, v13
	v_fmac_f32_e32 v16, 0x3fc90fda, v13
	v_add_f32_e32 v13, v22, v16
.LBB66_1593:
	s_andn2_saveexec_b32 s0, s3
; %bb.1594:
	v_mul_f32_e64 v13, 0x3f22f983, |v0|
	v_rndne_f32_e32 v14, v13
	v_fma_f32 v13, 0xbfc90fda, v14, |v0|
	v_fmamk_f32 v13, v14, 0xb3a22168, v13
	v_fmamk_f32 v13, v14, 0xa7c234c4, v13
	v_cvt_i32_f32_e32 v14, v14
; %bb.1595:
	s_or_b32 exec_lo, exec_lo, s0
	v_mul_f32_e32 v15, v13, v13
	s_mov_b32 s0, 0xb94c1982
	s_mov_b32 s1, 0x37d75334
	v_and_b32_e32 v18, 1, v14
	v_lshlrev_b32_e32 v14, 30, v14
	v_fmaak_f32 v16, s0, v15, 0x3c0881c4
	v_fmaak_f32 v17, s1, v15, 0xbab64f3b
	v_xor_b32_e32 v1, v1, v0
	v_cmp_eq_u32_e32 vcc_lo, 0, v18
	v_and_b32_e32 v14, 0x80000000, v14
	v_fmaak_f32 v16, v15, v16, 0xbe2aaa9d
	v_fmaak_f32 v17, v15, v17, 0x3d2aabf7
	v_sub_f32_e32 v12, 1.0, v12
	v_mul_f32_e32 v16, v15, v16
	v_fmaak_f32 v17, v15, v17, 0xbf000004
	v_fmac_f32_e32 v13, v13, v16
	v_fma_f32 v15, v15, v17, 1.0
	v_cndmask_b32_e32 v13, v15, v13, vcc_lo
	v_cmp_class_f32_e64 vcc_lo, v0, 0x1f8
	v_xor3_b32 v1, v1, v14, v13
	v_cndmask_b32_e32 v0, 0x7fc00000, v1, vcc_lo
	v_mul_f32_e32 v0, v0, v0
	v_div_scale_f32 v1, null, v0, v0, 0xc11de9e7
	v_div_scale_f32 v15, vcc_lo, 0xc11de9e7, v0, 0xc11de9e7
	v_rcp_f32_e32 v13, v1
	v_fma_f32 v14, -v1, v13, 1.0
	v_fmac_f32_e32 v13, v14, v13
	v_mul_f32_e32 v14, v15, v13
	v_fma_f32 v16, -v1, v14, v15
	v_fmac_f32_e32 v14, v16, v13
	v_fma_f32 v1, -v1, v14, v15
	v_div_fmas_f32 v1, v1, v13, v14
	v_mov_b32_e32 v13, -1.0
	v_div_fixup_f32 v0, v1, v0, 0xc11de9e7
	v_add_f32_e32 v14, 0, v0
.LBB66_1596:
	s_or_b32 exec_lo, exec_lo, s2
	v_add_f32_e32 v0, 1.0, v3
	v_mul_f32_e32 v1, v3, v3
	v_mul_lo_u32 v2, s12, v2
	s_and_b32 s15, s4, 0xff
	s_cmp_lt_i32 s15, 11
	v_mul_f32_e32 v3, v0, v0
	v_add_f32_e32 v0, 1.0, v0
	v_div_scale_f32 v15, null, v1, v1, 1.0
	v_div_scale_f32 v17, vcc_lo, 1.0, v1, 1.0
	v_mul_f32_e32 v18, v0, v0
	v_div_scale_f32 v16, null, v3, v3, 1.0
	v_rcp_f32_e32 v19, v15
	v_div_scale_f32 v22, s0, 1.0, v3, 1.0
	v_div_scale_f32 v21, null, v18, v18, 1.0
	v_rcp_f32_e32 v20, v16
	v_add_f32_e32 v0, 1.0, v0
	v_div_scale_f32 v23, s1, 1.0, v18, 1.0
	v_rcp_f32_e32 v24, v21
	v_fma_f32 v26, -v15, v19, 1.0
	v_mul_f32_e32 v25, v0, v0
	v_add_f32_e32 v0, 1.0, v0
	v_fma_f32 v27, -v16, v20, 1.0
	v_fmac_f32_e32 v19, v26, v19
	v_mul_f32_e32 v29, v0, v0
	v_add_f32_e32 v0, 1.0, v0
	v_fma_f32 v26, -v21, v24, 1.0
	v_fmac_f32_e32 v20, v27, v20
	v_mul_f32_e32 v30, v17, v19
	v_div_scale_f32 v28, null, v25, v25, 1.0
	v_fmac_f32_e32 v24, v26, v24
	v_mul_f32_e32 v31, v22, v20
	v_fma_f32 v32, -v15, v30, v17
	v_add_f32_e32 v35, 1.0, v0
	v_rcp_f32_e32 v27, v28
	v_mul_f32_e32 v34, v23, v24
	v_fma_f32 v33, -v16, v31, v22
	v_fmac_f32_e32 v30, v32, v19
	v_mul_f32_e32 v0, v0, v0
	v_div_scale_f32 v26, null, v29, v29, 1.0
	v_fma_f32 v32, -v21, v34, v23
	v_fmac_f32_e32 v31, v33, v20
	v_fma_f32 v15, -v15, v30, v17
	v_mul_f32_e32 v17, v35, v35
	v_rcp_f32_e32 v33, v26
	v_fmac_f32_e32 v34, v32, v24
	v_fma_f32 v16, -v16, v31, v22
	v_div_fmas_f32 v15, v15, v19, v30
	s_mov_b32 vcc_lo, s0
	v_fma_f32 v36, -v28, v27, 1.0
	v_fma_f32 v19, -v21, v34, v23
	v_div_fmas_f32 v16, v16, v20, v31
	s_mov_b32 vcc_lo, s1
	v_div_scale_f32 v20, null, v0, v0, 1.0
	v_div_fmas_f32 v19, v19, v24, v34
	v_div_scale_f32 v21, null, v17, v17, 1.0
	v_add_f32_e32 v24, v35, v35
	v_rcp_f32_e32 v23, v20
	v_fmac_f32_e32 v27, v36, v27
	v_rcp_f32_e32 v31, v21
	v_div_scale_f32 v22, vcc_lo, 1.0, v25, 1.0
	v_div_scale_f32 v34, null, v24, v24, 1.0
	v_fma_f32 v30, -v26, v33, 1.0
	v_mul_f32_e32 v32, v22, v27
	v_div_fixup_f32 v1, v15, v1, 1.0
	v_rcp_f32_e32 v37, v34
	v_fma_f32 v36, -v20, v23, 1.0
	v_fmac_f32_e32 v33, v30, v33
	v_div_scale_f32 v30, s0, 1.0, v29, 1.0
	v_fma_f32 v39, -v21, v31, 1.0
	v_fma_f32 v38, -v28, v32, v22
	v_fmac_f32_e32 v23, v36, v23
	v_div_scale_f32 v36, s1, 1.0, v0, 1.0
	v_mul_f32_e32 v40, v30, v33
	v_fmac_f32_e32 v31, v39, v31
	v_div_scale_f32 v39, s2, 1.0, v17, 1.0
	v_fma_f32 v41, -v34, v37, 1.0
	v_fmac_f32_e32 v32, v38, v27
	v_mul_f32_e32 v42, v36, v23
	v_fma_f32 v38, -v26, v40, v30
	v_mul_f32_e32 v43, v39, v31
	v_fmac_f32_e32 v37, v41, v37
	v_div_scale_f32 v41, s3, 1.0, v24, 1.0
	v_fma_f32 v22, -v28, v32, v22
	v_fma_f32 v28, -v20, v42, v36
	v_fmac_f32_e32 v40, v38, v33
	v_fma_f32 v38, -v21, v43, v39
	v_mul_f32_e32 v44, v41, v37
	v_div_fmas_f32 v22, v22, v27, v32
	v_fmac_f32_e32 v42, v28, v23
	v_fma_f32 v26, -v26, v40, v30
	v_fmac_f32_e32 v43, v38, v31
	v_fma_f32 v27, -v34, v44, v41
	s_mov_b32 vcc_lo, s0
	v_fma_f32 v20, -v20, v42, v36
	v_div_fmas_f32 v26, v26, v33, v40
	v_fma_f32 v21, -v21, v43, v39
	v_fmac_f32_e32 v44, v27, v37
	s_mov_b32 vcc_lo, s1
	s_mov_b32 s0, 0xbcc30c31
	v_div_fmas_f32 v20, v20, v23, v42
	s_mov_b32 vcc_lo, s2
	v_fma_f32 v23, -v34, v44, v41
	v_div_fmas_f32 v21, v21, v31, v43
	s_mov_b32 vcc_lo, s3
	v_add_f32_e32 v1, v5, v1
	v_div_fixup_f32 v3, v16, v3, 1.0
	v_div_fmas_f32 v23, v23, v37, v44
	v_div_fixup_f32 v17, v21, v17, 1.0
	v_div_fixup_f32 v0, v20, v0, 1.0
	v_add_f32_e32 v1, v1, v3
	v_div_fixup_f32 v21, v23, v24, 1.0
	v_fmaak_f32 v23, s0, v17, 0x3d088889
	v_div_fixup_f32 v3, v19, v18, 1.0
	v_add_f32_e32 v21, 1.0, v21
	v_fma_f32 v23, -v17, v23, 0x3e2aaaab
	v_add_f32_e32 v1, v1, v3
	v_div_fixup_f32 v3, v22, v25, 1.0
	v_fmac_f32_e32 v21, v17, v23
	v_add_f32_e32 v1, v1, v3
	v_div_fixup_f32 v3, v26, v29, 1.0
	v_div_scale_f32 v17, null, v35, v35, v21
	v_div_scale_f32 v5, vcc_lo, v21, v35, v21
	v_add_f32_e32 v1, v1, v3
	v_rcp_f32_e32 v23, v17
	v_add_f32_e32 v0, v1, v0
	v_fma_f32 v15, -v17, v23, 1.0
	v_fmac_f32_e32 v23, v15, v23
	v_mul_f32_e32 v15, v5, v23
	v_fma_f32 v16, -v17, v15, v5
	v_fmac_f32_e32 v15, v16, v23
	v_fma_f32 v5, -v17, v15, v5
	v_div_fmas_f32 v3, v5, v23, v15
	v_div_fixup_f32 v1, v3, v35, v21
	v_ashrrev_i32_e32 v3, 31, v2
	v_add_f32_e32 v5, v0, v1
	v_add_co_u32 v0, vcc_lo, s8, v2
	v_add_co_ci_u32_e64 v1, null, s9, v3, vcc_lo
	v_fma_mixlo_f16 v3, v4, v5, 0
	s_cbranch_scc1 .LBB66_1674
; %bb.1597:
	s_and_b32 s1, 0xffff, s15
	s_mov_b32 s4, -1
	s_mov_b32 s2, 0
	s_cmp_gt_i32 s1, 25
	s_mov_b32 s3, 0
	s_mov_b32 s0, 0
	s_cbranch_scc0 .LBB66_1630
; %bb.1598:
	s_cmp_gt_i32 s1, 28
	s_cbranch_scc0 .LBB66_1613
; %bb.1599:
	s_cmp_gt_i32 s1, 43
	;; [unrolled: 3-line block ×3, first 2 shown]
	s_cbranch_scc0 .LBB66_1603
; %bb.1601:
	s_mov_b32 s0, -1
	s_mov_b32 s4, 0
	s_cmp_eq_u32 s1, 46
	s_cbranch_scc0 .LBB66_1603
; %bb.1602:
	v_cvt_f32_f16_e32 v4, v3
	v_cmp_o_f16_e32 vcc_lo, v3, v3
	s_mov_b32 s0, 0
	s_mov_b32 s3, -1
	v_bfe_u32 v5, v4, 16, 1
	v_add3_u32 v4, v4, v5, 0x7fff
	v_mov_b32_e32 v5, 0x7fc0
	v_cndmask_b32_sdwa v4, v5, v4, vcc_lo dst_sel:DWORD dst_unused:UNUSED_PAD src0_sel:DWORD src1_sel:WORD_1
	global_store_dword v[0:1], v4, off
.LBB66_1603:
	s_and_b32 vcc_lo, exec_lo, s4
	s_cbranch_vccz .LBB66_1608
; %bb.1604:
	s_cmp_eq_u32 s1, 44
	s_mov_b32 s0, -1
	s_cbranch_scc0 .LBB66_1608
; %bb.1605:
	v_cvt_f32_f16_e32 v4, v3
	v_mov_b32_e32 v5, 0xff
	s_mov_b32 s3, exec_lo
	v_bfe_u32 v15, v4, 23, 8
	v_cmpx_ne_u32_e32 0xff, v15
	s_cbranch_execz .LBB66_1607
; %bb.1606:
	v_and_b32_e32 v5, 0x400000, v4
	v_and_or_b32 v15, 0x3fffff, v4, v15
	v_lshrrev_b32_e32 v4, 23, v4
	v_cmp_ne_u32_e32 vcc_lo, 0, v5
	v_cmp_ne_u32_e64 s0, 0, v15
	s_and_b32 s0, vcc_lo, s0
	v_cndmask_b32_e64 v5, 0, 1, s0
	v_add_nc_u32_e32 v5, v4, v5
.LBB66_1607:
	s_or_b32 exec_lo, exec_lo, s3
	s_mov_b32 s0, 0
	s_mov_b32 s3, -1
	global_store_byte v[0:1], v5, off
.LBB66_1608:
	s_mov_b32 s4, 0
.LBB66_1609:
	s_and_b32 vcc_lo, exec_lo, s4
	s_cbranch_vccz .LBB66_1612
; %bb.1610:
	s_cmp_eq_u32 s1, 29
	s_mov_b32 s0, -1
	s_cbranch_scc0 .LBB66_1612
; %bb.1611:
	v_cvt_f32_f16_e32 v4, v3
	v_mov_b32_e32 v5, 0
	s_mov_b32 s0, 0
	s_mov_b32 s3, -1
	v_cvt_u32_f32_e32 v4, v4
	global_store_dwordx2 v[0:1], v[4:5], off
.LBB66_1612:
	s_mov_b32 s4, 0
.LBB66_1613:
	s_and_b32 vcc_lo, exec_lo, s4
	s_cbranch_vccz .LBB66_1629
; %bb.1614:
	s_cmp_lt_i32 s1, 27
	s_mov_b32 s3, -1
	s_cbranch_scc1 .LBB66_1620
; %bb.1615:
	s_cmp_gt_i32 s1, 27
	s_cbranch_scc0 .LBB66_1617
; %bb.1616:
	v_cvt_f32_f16_e32 v4, v3
	s_mov_b32 s3, 0
	v_cvt_u32_f32_e32 v4, v4
	global_store_dword v[0:1], v4, off
.LBB66_1617:
	s_andn2_b32 vcc_lo, exec_lo, s3
	s_cbranch_vccnz .LBB66_1619
; %bb.1618:
	v_cvt_u16_f16_e32 v4, v3
	global_store_short v[0:1], v4, off
.LBB66_1619:
	s_mov_b32 s3, 0
.LBB66_1620:
	s_andn2_b32 vcc_lo, exec_lo, s3
	s_cbranch_vccnz .LBB66_1628
; %bb.1621:
	v_cvt_f32_f16_e32 v4, v3
	v_mov_b32_e32 v15, 0x80
	s_mov_b32 s3, exec_lo
	v_and_b32_e32 v5, 0x7fffffff, v4
	v_cmpx_gt_u32_e32 0x43800000, v5
	s_cbranch_execz .LBB66_1627
; %bb.1622:
	v_cmp_lt_u32_e32 vcc_lo, 0x3bffffff, v5
	s_mov_b32 s4, 0
                                        ; implicit-def: $vgpr5
	s_and_saveexec_b32 s6, vcc_lo
	s_xor_b32 s6, exec_lo, s6
	s_cbranch_execz .LBB66_2076
; %bb.1623:
	v_bfe_u32 v5, v4, 20, 1
	s_mov_b32 s4, exec_lo
	v_add3_u32 v5, v4, v5, 0x487ffff
	v_lshrrev_b32_e32 v5, 20, v5
	s_andn2_saveexec_b32 s6, s6
	s_cbranch_execnz .LBB66_2077
.LBB66_1624:
	s_or_b32 exec_lo, exec_lo, s6
	v_mov_b32_e32 v15, 0
	s_and_saveexec_b32 s6, s4
.LBB66_1625:
	v_lshrrev_b32_e32 v4, 24, v4
	v_and_or_b32 v15, 0x80, v4, v5
.LBB66_1626:
	s_or_b32 exec_lo, exec_lo, s6
.LBB66_1627:
	s_or_b32 exec_lo, exec_lo, s3
	global_store_byte v[0:1], v15, off
.LBB66_1628:
	s_mov_b32 s3, -1
.LBB66_1629:
	s_mov_b32 s4, 0
.LBB66_1630:
	s_and_b32 vcc_lo, exec_lo, s4
	s_cbranch_vccz .LBB66_1670
; %bb.1631:
	s_cmp_gt_i32 s1, 22
	s_mov_b32 s2, -1
	s_cbranch_scc0 .LBB66_1663
; %bb.1632:
	s_cmp_lt_i32 s1, 24
	s_cbranch_scc1 .LBB66_1652
; %bb.1633:
	s_cmp_gt_i32 s1, 24
	s_cbranch_scc0 .LBB66_1641
; %bb.1634:
	v_cvt_f32_f16_e32 v4, v3
	v_mov_b32_e32 v15, 0x80
	s_mov_b32 s2, exec_lo
	v_and_b32_e32 v5, 0x7fffffff, v4
	v_cmpx_gt_u32_e32 0x47800000, v5
	s_cbranch_execz .LBB66_1640
; %bb.1635:
	v_cmp_lt_u32_e32 vcc_lo, 0x37ffffff, v5
	s_mov_b32 s3, 0
                                        ; implicit-def: $vgpr5
	s_and_saveexec_b32 s4, vcc_lo
	s_xor_b32 s4, exec_lo, s4
	s_cbranch_execz .LBB66_2079
; %bb.1636:
	v_bfe_u32 v5, v4, 21, 1
	s_mov_b32 s3, exec_lo
	v_add3_u32 v5, v4, v5, 0x88fffff
	v_lshrrev_b32_e32 v5, 21, v5
	s_andn2_saveexec_b32 s4, s4
	s_cbranch_execnz .LBB66_2080
.LBB66_1637:
	s_or_b32 exec_lo, exec_lo, s4
	v_mov_b32_e32 v15, 0
	s_and_saveexec_b32 s4, s3
.LBB66_1638:
	v_lshrrev_b32_e32 v4, 24, v4
	v_and_or_b32 v15, 0x80, v4, v5
.LBB66_1639:
	s_or_b32 exec_lo, exec_lo, s4
.LBB66_1640:
	s_or_b32 exec_lo, exec_lo, s2
	s_mov_b32 s2, 0
	global_store_byte v[0:1], v15, off
.LBB66_1641:
	s_and_b32 vcc_lo, exec_lo, s2
	s_cbranch_vccz .LBB66_1651
; %bb.1642:
	v_cvt_f32_f16_e32 v4, v3
	s_mov_b32 s2, exec_lo
                                        ; implicit-def: $vgpr5
	v_and_b32_e32 v15, 0x7fffffff, v4
	v_cmpx_gt_u32_e32 0x43f00000, v15
	s_xor_b32 s2, exec_lo, s2
	s_cbranch_execz .LBB66_1648
; %bb.1643:
	s_mov_b32 s3, exec_lo
                                        ; implicit-def: $vgpr5
	v_cmpx_lt_u32_e32 0x3c7fffff, v15
	s_xor_b32 s3, exec_lo, s3
; %bb.1644:
	v_bfe_u32 v5, v4, 20, 1
	v_add3_u32 v5, v4, v5, 0x407ffff
	v_and_b32_e32 v15, 0xff00000, v5
	v_lshrrev_b32_e32 v5, 20, v5
	v_cmp_ne_u32_e32 vcc_lo, 0x7f00000, v15
	v_cndmask_b32_e32 v5, 0x7e, v5, vcc_lo
; %bb.1645:
	s_andn2_saveexec_b32 s3, s3
; %bb.1646:
	v_add_f32_e64 v5, 0x46800000, |v4|
; %bb.1647:
	s_or_b32 exec_lo, exec_lo, s3
                                        ; implicit-def: $vgpr15
.LBB66_1648:
	s_andn2_saveexec_b32 s2, s2
; %bb.1649:
	v_mov_b32_e32 v5, 0x7f
	v_cmp_lt_u32_e32 vcc_lo, 0x7f800000, v15
	v_cndmask_b32_e32 v5, 0x7e, v5, vcc_lo
; %bb.1650:
	s_or_b32 exec_lo, exec_lo, s2
	v_lshrrev_b32_e32 v4, 24, v4
	v_and_or_b32 v4, 0x80, v4, v5
	global_store_byte v[0:1], v4, off
.LBB66_1651:
	s_mov_b32 s2, 0
.LBB66_1652:
	s_andn2_b32 vcc_lo, exec_lo, s2
	s_cbranch_vccnz .LBB66_1662
; %bb.1653:
	v_cvt_f32_f16_e32 v4, v3
	s_mov_b32 s2, exec_lo
                                        ; implicit-def: $vgpr5
	v_and_b32_e32 v15, 0x7fffffff, v4
	v_cmpx_gt_u32_e32 0x47800000, v15
	s_xor_b32 s2, exec_lo, s2
	s_cbranch_execz .LBB66_1659
; %bb.1654:
	s_mov_b32 s3, exec_lo
                                        ; implicit-def: $vgpr5
	v_cmpx_lt_u32_e32 0x387fffff, v15
	s_xor_b32 s3, exec_lo, s3
; %bb.1655:
	v_bfe_u32 v5, v4, 21, 1
	v_add3_u32 v5, v4, v5, 0x80fffff
	v_lshrrev_b32_e32 v5, 21, v5
; %bb.1656:
	s_andn2_saveexec_b32 s3, s3
; %bb.1657:
	v_add_f32_e64 v5, 0x43000000, |v4|
; %bb.1658:
	s_or_b32 exec_lo, exec_lo, s3
                                        ; implicit-def: $vgpr15
.LBB66_1659:
	s_andn2_saveexec_b32 s2, s2
; %bb.1660:
	v_mov_b32_e32 v5, 0x7f
	v_cmp_lt_u32_e32 vcc_lo, 0x7f800000, v15
	v_cndmask_b32_e32 v5, 0x7c, v5, vcc_lo
; %bb.1661:
	s_or_b32 exec_lo, exec_lo, s2
	v_lshrrev_b32_e32 v4, 24, v4
	v_and_or_b32 v4, 0x80, v4, v5
	global_store_byte v[0:1], v4, off
.LBB66_1662:
	s_mov_b32 s2, 0
	s_mov_b32 s3, -1
.LBB66_1663:
	s_andn2_b32 vcc_lo, exec_lo, s2
	s_mov_b32 s2, 0
	s_cbranch_vccnz .LBB66_1670
; %bb.1664:
	s_cmp_gt_i32 s1, 14
	s_mov_b32 s2, -1
	s_cbranch_scc0 .LBB66_1668
; %bb.1665:
	s_cmp_eq_u32 s1, 15
	s_mov_b32 s0, -1
	s_cbranch_scc0 .LBB66_1667
; %bb.1666:
	v_cvt_f32_f16_e32 v4, v3
	v_cmp_o_f16_e32 vcc_lo, v3, v3
	s_mov_b32 s0, 0
	s_mov_b32 s3, -1
	v_bfe_u32 v5, v4, 16, 1
	v_add3_u32 v4, v4, v5, 0x7fff
	v_mov_b32_e32 v5, 0x7fc0
	v_cndmask_b32_sdwa v4, v5, v4, vcc_lo dst_sel:DWORD dst_unused:UNUSED_PAD src0_sel:DWORD src1_sel:WORD_1
	global_store_short v[0:1], v4, off
.LBB66_1667:
	s_mov_b32 s2, 0
.LBB66_1668:
	s_and_b32 vcc_lo, exec_lo, s2
	s_mov_b32 s2, 0
	s_cbranch_vccz .LBB66_1670
; %bb.1669:
	s_cmp_lg_u32 s1, 11
	s_mov_b32 s2, -1
	s_cselect_b32 s0, -1, 0
.LBB66_1670:
	s_and_b32 vcc_lo, exec_lo, s0
	s_cbranch_vccnz .LBB66_2078
; %bb.1671:
	s_andn2_b32 vcc_lo, exec_lo, s2
	s_cbranch_vccnz .LBB66_1673
.LBB66_1672:
	v_cmp_neq_f16_e32 vcc_lo, 0, v3
	s_mov_b32 s3, -1
	v_cndmask_b32_e64 v4, 0, 1, vcc_lo
	global_store_byte v[0:1], v4, off
.LBB66_1673:
	s_mov_b32 s0, 0
	s_branch .LBB66_1675
.LBB66_1674:
	s_mov_b32 s0, -1
	s_mov_b32 s3, 0
.LBB66_1675:
	s_and_b32 vcc_lo, exec_lo, s0
	s_cbranch_vccz .LBB66_1714
; %bb.1676:
	s_and_b32 s0, 0xffff, s15
	s_mov_b32 s1, -1
	s_cmp_lt_i32 s0, 5
	s_cbranch_scc1 .LBB66_1697
; %bb.1677:
	s_cmp_lt_i32 s0, 8
	s_cbranch_scc1 .LBB66_1687
; %bb.1678:
	;; [unrolled: 3-line block ×3, first 2 shown]
	s_cmp_gt_i32 s0, 9
	s_cbranch_scc0 .LBB66_1681
; %bb.1680:
	v_cvt_f32_f16_e32 v4, v3
	v_mov_b32_e32 v17, 0
	s_mov_b32 s1, 0
	v_cvt_f64_f32_e32 v[15:16], v4
	v_mov_b32_e32 v18, v17
	global_store_dwordx4 v[0:1], v[15:18], off
.LBB66_1681:
	s_andn2_b32 vcc_lo, exec_lo, s1
	s_cbranch_vccnz .LBB66_1683
; %bb.1682:
	v_cvt_f32_f16_e32 v4, v3
	v_mov_b32_e32 v5, 0
	global_store_dwordx2 v[0:1], v[4:5], off
.LBB66_1683:
	s_mov_b32 s1, 0
.LBB66_1684:
	s_andn2_b32 vcc_lo, exec_lo, s1
	s_cbranch_vccnz .LBB66_1686
; %bb.1685:
	v_and_b32_e32 v4, 0xffff, v3
	global_store_dword v[0:1], v4, off
.LBB66_1686:
	s_mov_b32 s1, 0
.LBB66_1687:
	s_andn2_b32 vcc_lo, exec_lo, s1
	s_cbranch_vccnz .LBB66_1696
; %bb.1688:
	s_cmp_lt_i32 s0, 6
	s_mov_b32 s1, -1
	s_cbranch_scc1 .LBB66_1694
; %bb.1689:
	s_cmp_gt_i32 s0, 6
	s_cbranch_scc0 .LBB66_1691
; %bb.1690:
	v_cvt_f32_f16_e32 v4, v3
	s_mov_b32 s1, 0
	v_cvt_f64_f32_e32 v[4:5], v4
	global_store_dwordx2 v[0:1], v[4:5], off
.LBB66_1691:
	s_andn2_b32 vcc_lo, exec_lo, s1
	s_cbranch_vccnz .LBB66_1693
; %bb.1692:
	v_cvt_f32_f16_e32 v4, v3
	global_store_dword v[0:1], v4, off
.LBB66_1693:
	s_mov_b32 s1, 0
.LBB66_1694:
	s_andn2_b32 vcc_lo, exec_lo, s1
	s_cbranch_vccnz .LBB66_1696
; %bb.1695:
	global_store_short v[0:1], v3, off
.LBB66_1696:
	s_mov_b32 s1, 0
.LBB66_1697:
	s_andn2_b32 vcc_lo, exec_lo, s1
	s_cbranch_vccnz .LBB66_1713
; %bb.1698:
	s_cmp_lt_i32 s0, 2
	s_mov_b32 s1, -1
	s_cbranch_scc1 .LBB66_1708
; %bb.1699:
	s_cmp_lt_i32 s0, 3
	s_cbranch_scc1 .LBB66_1705
; %bb.1700:
	s_cmp_gt_i32 s0, 3
	s_cbranch_scc0 .LBB66_1702
; %bb.1701:
	v_cvt_f32_f16_e32 v4, v3
	s_mov_b32 s1, 0
	v_cvt_i32_f32_e32 v4, v4
	v_ashrrev_i32_e32 v5, 31, v4
	global_store_dwordx2 v[0:1], v[4:5], off
.LBB66_1702:
	s_andn2_b32 vcc_lo, exec_lo, s1
	s_cbranch_vccnz .LBB66_1704
; %bb.1703:
	v_cvt_f32_f16_e32 v4, v3
	v_cvt_i32_f32_e32 v4, v4
	global_store_dword v[0:1], v4, off
.LBB66_1704:
	s_mov_b32 s1, 0
.LBB66_1705:
	s_andn2_b32 vcc_lo, exec_lo, s1
	s_cbranch_vccnz .LBB66_1707
; %bb.1706:
	v_cvt_i16_f16_e32 v4, v3
	global_store_short v[0:1], v4, off
.LBB66_1707:
	s_mov_b32 s1, 0
.LBB66_1708:
	s_andn2_b32 vcc_lo, exec_lo, s1
	s_cbranch_vccnz .LBB66_1713
; %bb.1709:
	s_cmp_gt_i32 s0, 0
	s_mov_b32 s0, -1
	s_cbranch_scc0 .LBB66_1711
; %bb.1710:
	v_cvt_i16_f16_e32 v4, v3
	s_mov_b32 s0, 0
	global_store_byte v[0:1], v4, off
.LBB66_1711:
	s_andn2_b32 vcc_lo, exec_lo, s0
	s_cbranch_vccnz .LBB66_1713
; %bb.1712:
	v_cvt_f32_f16_e32 v3, v3
	v_cvt_i32_f32_e32 v3, v3
	global_store_byte v[0:1], v3, off
.LBB66_1713:
	s_mov_b32 s3, -1
.LBB66_1714:
	s_andn2_b32 vcc_lo, exec_lo, s3
	s_cbranch_vccnz .LBB66_2029
; %bb.1715:
	v_add_f32_e32 v0, 1.0, v6
	v_mul_f32_e32 v1, v6, v6
	s_lshl_b32 s4, s12, 7
	s_cmp_lt_i32 s15, 11
	v_add_nc_u32_e32 v2, s4, v2
	v_mul_f32_e32 v3, v0, v0
	v_add_f32_e32 v0, 1.0, v0
	v_div_scale_f32 v4, null, v1, v1, 1.0
	v_div_scale_f32 v6, vcc_lo, 1.0, v1, 1.0
	v_mul_f32_e32 v15, v0, v0
	v_div_scale_f32 v5, null, v3, v3, 1.0
	v_rcp_f32_e32 v16, v4
	v_div_scale_f32 v19, s0, 1.0, v3, 1.0
	v_div_scale_f32 v18, null, v15, v15, 1.0
	v_rcp_f32_e32 v17, v5
	v_add_f32_e32 v0, 1.0, v0
	v_div_scale_f32 v20, s1, 1.0, v15, 1.0
	v_rcp_f32_e32 v21, v18
	v_fma_f32 v23, -v4, v16, 1.0
	v_mul_f32_e32 v22, v0, v0
	v_add_f32_e32 v0, 1.0, v0
	v_fma_f32 v24, -v5, v17, 1.0
	v_fmac_f32_e32 v16, v23, v16
	v_mul_f32_e32 v26, v0, v0
	v_add_f32_e32 v0, 1.0, v0
	v_fma_f32 v23, -v18, v21, 1.0
	v_fmac_f32_e32 v17, v24, v17
	v_mul_f32_e32 v27, v6, v16
	v_div_scale_f32 v25, null, v22, v22, 1.0
	v_fmac_f32_e32 v21, v23, v21
	v_mul_f32_e32 v28, v19, v17
	v_fma_f32 v29, -v4, v27, v6
	v_add_f32_e32 v32, 1.0, v0
	v_rcp_f32_e32 v24, v25
	v_mul_f32_e32 v31, v20, v21
	v_fma_f32 v30, -v5, v28, v19
	v_fmac_f32_e32 v27, v29, v16
	v_mul_f32_e32 v0, v0, v0
	v_div_scale_f32 v23, null, v26, v26, 1.0
	v_fma_f32 v29, -v18, v31, v20
	v_fmac_f32_e32 v28, v30, v17
	v_fma_f32 v4, -v4, v27, v6
	v_mul_f32_e32 v6, v32, v32
	v_rcp_f32_e32 v30, v23
	v_fmac_f32_e32 v31, v29, v21
	v_fma_f32 v5, -v5, v28, v19
	v_div_fmas_f32 v4, v4, v16, v27
	s_mov_b32 vcc_lo, s0
	v_fma_f32 v33, -v25, v24, 1.0
	v_fma_f32 v16, -v18, v31, v20
	v_div_fmas_f32 v5, v5, v17, v28
	s_mov_b32 vcc_lo, s1
	v_div_scale_f32 v17, null, v0, v0, 1.0
	v_div_fmas_f32 v16, v16, v21, v31
	v_div_scale_f32 v18, null, v6, v6, 1.0
	v_add_f32_e32 v21, v32, v32
	v_rcp_f32_e32 v20, v17
	v_fmac_f32_e32 v24, v33, v24
	v_rcp_f32_e32 v28, v18
	v_div_scale_f32 v19, vcc_lo, 1.0, v22, 1.0
	v_div_scale_f32 v31, null, v21, v21, 1.0
	v_fma_f32 v27, -v23, v30, 1.0
	v_mul_f32_e32 v29, v19, v24
	v_div_fixup_f32 v1, v4, v1, 1.0
	v_rcp_f32_e32 v34, v31
	v_fma_f32 v33, -v17, v20, 1.0
	v_fmac_f32_e32 v30, v27, v30
	v_div_scale_f32 v27, s0, 1.0, v26, 1.0
	v_fma_f32 v36, -v18, v28, 1.0
	v_fma_f32 v35, -v25, v29, v19
	v_fmac_f32_e32 v20, v33, v20
	v_div_scale_f32 v33, s1, 1.0, v0, 1.0
	v_mul_f32_e32 v37, v27, v30
	v_fmac_f32_e32 v28, v36, v28
	v_div_scale_f32 v36, s2, 1.0, v6, 1.0
	v_fma_f32 v38, -v31, v34, 1.0
	v_fmac_f32_e32 v29, v35, v24
	v_mul_f32_e32 v39, v33, v20
	v_fma_f32 v35, -v23, v37, v27
	v_mul_f32_e32 v40, v36, v28
	v_fmac_f32_e32 v34, v38, v34
	v_div_scale_f32 v38, s3, 1.0, v21, 1.0
	v_fma_f32 v19, -v25, v29, v19
	v_fma_f32 v25, -v17, v39, v33
	v_fmac_f32_e32 v37, v35, v30
	v_fma_f32 v35, -v18, v40, v36
	v_mul_f32_e32 v41, v38, v34
	v_div_fmas_f32 v19, v19, v24, v29
	v_fmac_f32_e32 v39, v25, v20
	v_fma_f32 v23, -v23, v37, v27
	v_fmac_f32_e32 v40, v35, v28
	v_fma_f32 v24, -v31, v41, v38
	s_mov_b32 vcc_lo, s0
	v_fma_f32 v17, -v17, v39, v33
	v_div_fmas_f32 v23, v23, v30, v37
	v_fma_f32 v18, -v18, v40, v36
	v_fmac_f32_e32 v41, v24, v34
	s_mov_b32 vcc_lo, s1
	s_mov_b32 s0, 0xbcc30c31
	v_div_fmas_f32 v17, v17, v20, v39
	s_mov_b32 vcc_lo, s2
	v_fma_f32 v20, -v31, v41, v38
	v_div_fmas_f32 v18, v18, v28, v40
	s_mov_b32 vcc_lo, s3
	v_add_f32_e32 v1, v8, v1
	v_div_fixup_f32 v3, v5, v3, 1.0
	v_div_fmas_f32 v20, v20, v34, v41
	v_div_fixup_f32 v6, v18, v6, 1.0
	v_div_fixup_f32 v0, v17, v0, 1.0
	v_add_f32_e32 v1, v1, v3
	v_div_fixup_f32 v18, v20, v21, 1.0
	v_fmaak_f32 v20, s0, v6, 0x3d088889
	v_div_fixup_f32 v3, v16, v15, 1.0
	v_add_f32_e32 v18, 1.0, v18
	v_fma_f32 v20, -v6, v20, 0x3e2aaaab
	v_add_f32_e32 v1, v1, v3
	v_div_fixup_f32 v3, v19, v22, 1.0
	v_fmac_f32_e32 v18, v6, v20
	v_add_f32_e32 v1, v1, v3
	v_div_fixup_f32 v3, v23, v26, 1.0
	v_div_scale_f32 v6, null, v32, v32, v18
	v_add_f32_e32 v1, v1, v3
	v_rcp_f32_e32 v20, v6
	v_add_f32_e32 v0, v1, v0
	v_fma_f32 v4, -v6, v20, 1.0
	v_fmac_f32_e32 v20, v4, v20
	v_div_scale_f32 v4, vcc_lo, v18, v32, v18
	v_mul_f32_e32 v5, v4, v20
	v_fma_f32 v8, -v6, v5, v4
	v_fmac_f32_e32 v5, v8, v20
	v_fma_f32 v4, -v6, v5, v4
	v_div_fmas_f32 v3, v4, v20, v5
	v_div_fixup_f32 v1, v3, v32, v18
	v_add_f32_e32 v0, v0, v1
	v_ashrrev_i32_e32 v1, 31, v2
	v_fma_mixlo_f16 v3, v7, v0, 0
	v_add_co_u32 v0, vcc_lo, s8, v2
	v_add_co_ci_u32_e64 v1, null, s9, v1, vcc_lo
	s_cbranch_scc1 .LBB66_1793
; %bb.1716:
	s_and_b32 s1, 0xffff, s15
	s_mov_b32 s6, -1
	s_mov_b32 s2, 0
	s_cmp_gt_i32 s1, 25
	s_mov_b32 s3, 0
	s_mov_b32 s0, 0
	s_cbranch_scc0 .LBB66_1749
; %bb.1717:
	s_cmp_gt_i32 s1, 28
	s_cbranch_scc0 .LBB66_1732
; %bb.1718:
	s_cmp_gt_i32 s1, 43
	s_cbranch_scc0 .LBB66_1728
; %bb.1719:
	s_cmp_gt_i32 s1, 45
	s_cbranch_scc0 .LBB66_1722
; %bb.1720:
	s_mov_b32 s0, -1
	s_mov_b32 s6, 0
	s_cmp_eq_u32 s1, 46
	s_cbranch_scc0 .LBB66_1722
; %bb.1721:
	v_cvt_f32_f16_e32 v4, v3
	v_cmp_o_f16_e32 vcc_lo, v3, v3
	s_mov_b32 s0, 0
	s_mov_b32 s3, -1
	v_bfe_u32 v5, v4, 16, 1
	v_add3_u32 v4, v4, v5, 0x7fff
	v_mov_b32_e32 v5, 0x7fc0
	v_cndmask_b32_sdwa v4, v5, v4, vcc_lo dst_sel:DWORD dst_unused:UNUSED_PAD src0_sel:DWORD src1_sel:WORD_1
	global_store_dword v[0:1], v4, off
.LBB66_1722:
	s_and_b32 vcc_lo, exec_lo, s6
	s_cbranch_vccz .LBB66_1727
; %bb.1723:
	s_cmp_eq_u32 s1, 44
	s_mov_b32 s0, -1
	s_cbranch_scc0 .LBB66_1727
; %bb.1724:
	v_cvt_f32_f16_e32 v4, v3
	v_mov_b32_e32 v5, 0xff
	s_mov_b32 s3, exec_lo
	v_bfe_u32 v6, v4, 23, 8
	v_cmpx_ne_u32_e32 0xff, v6
	s_cbranch_execz .LBB66_1726
; %bb.1725:
	v_and_b32_e32 v5, 0x400000, v4
	v_and_or_b32 v6, 0x3fffff, v4, v6
	v_lshrrev_b32_e32 v4, 23, v4
	v_cmp_ne_u32_e32 vcc_lo, 0, v5
	v_cmp_ne_u32_e64 s0, 0, v6
	s_and_b32 s0, vcc_lo, s0
	v_cndmask_b32_e64 v5, 0, 1, s0
	v_add_nc_u32_e32 v5, v4, v5
.LBB66_1726:
	s_or_b32 exec_lo, exec_lo, s3
	s_mov_b32 s0, 0
	s_mov_b32 s3, -1
	global_store_byte v[0:1], v5, off
.LBB66_1727:
	s_mov_b32 s6, 0
.LBB66_1728:
	s_and_b32 vcc_lo, exec_lo, s6
	s_cbranch_vccz .LBB66_1731
; %bb.1729:
	s_cmp_eq_u32 s1, 29
	s_mov_b32 s0, -1
	s_cbranch_scc0 .LBB66_1731
; %bb.1730:
	v_cvt_f32_f16_e32 v4, v3
	v_mov_b32_e32 v5, 0
	s_mov_b32 s0, 0
	s_mov_b32 s3, -1
	v_cvt_u32_f32_e32 v4, v4
	global_store_dwordx2 v[0:1], v[4:5], off
.LBB66_1731:
	s_mov_b32 s6, 0
.LBB66_1732:
	s_and_b32 vcc_lo, exec_lo, s6
	s_cbranch_vccz .LBB66_1748
; %bb.1733:
	s_cmp_lt_i32 s1, 27
	s_mov_b32 s3, -1
	s_cbranch_scc1 .LBB66_1739
; %bb.1734:
	s_cmp_gt_i32 s1, 27
	s_cbranch_scc0 .LBB66_1736
; %bb.1735:
	v_cvt_f32_f16_e32 v4, v3
	s_mov_b32 s3, 0
	v_cvt_u32_f32_e32 v4, v4
	global_store_dword v[0:1], v4, off
.LBB66_1736:
	s_andn2_b32 vcc_lo, exec_lo, s3
	s_cbranch_vccnz .LBB66_1738
; %bb.1737:
	v_cvt_u16_f16_e32 v4, v3
	global_store_short v[0:1], v4, off
.LBB66_1738:
	s_mov_b32 s3, 0
.LBB66_1739:
	s_andn2_b32 vcc_lo, exec_lo, s3
	s_cbranch_vccnz .LBB66_1747
; %bb.1740:
	v_cvt_f32_f16_e32 v4, v3
	v_mov_b32_e32 v6, 0x80
	s_mov_b32 s3, exec_lo
	v_and_b32_e32 v5, 0x7fffffff, v4
	v_cmpx_gt_u32_e32 0x43800000, v5
	s_cbranch_execz .LBB66_1746
; %bb.1741:
	v_cmp_lt_u32_e32 vcc_lo, 0x3bffffff, v5
	s_mov_b32 s6, 0
                                        ; implicit-def: $vgpr5
	s_and_saveexec_b32 s10, vcc_lo
	s_xor_b32 s10, exec_lo, s10
	s_cbranch_execz .LBB66_2081
; %bb.1742:
	v_bfe_u32 v5, v4, 20, 1
	s_mov_b32 s6, exec_lo
	v_add3_u32 v5, v4, v5, 0x487ffff
	v_lshrrev_b32_e32 v5, 20, v5
	s_andn2_saveexec_b32 s10, s10
	s_cbranch_execnz .LBB66_2082
.LBB66_1743:
	s_or_b32 exec_lo, exec_lo, s10
	v_mov_b32_e32 v6, 0
	s_and_saveexec_b32 s10, s6
.LBB66_1744:
	v_lshrrev_b32_e32 v4, 24, v4
	v_and_or_b32 v6, 0x80, v4, v5
.LBB66_1745:
	s_or_b32 exec_lo, exec_lo, s10
.LBB66_1746:
	s_or_b32 exec_lo, exec_lo, s3
	global_store_byte v[0:1], v6, off
.LBB66_1747:
	s_mov_b32 s3, -1
.LBB66_1748:
	s_mov_b32 s6, 0
.LBB66_1749:
	s_and_b32 vcc_lo, exec_lo, s6
	s_cbranch_vccz .LBB66_1789
; %bb.1750:
	s_cmp_gt_i32 s1, 22
	s_mov_b32 s2, -1
	s_cbranch_scc0 .LBB66_1782
; %bb.1751:
	s_cmp_lt_i32 s1, 24
	s_cbranch_scc1 .LBB66_1771
; %bb.1752:
	s_cmp_gt_i32 s1, 24
	s_cbranch_scc0 .LBB66_1760
; %bb.1753:
	v_cvt_f32_f16_e32 v4, v3
	v_mov_b32_e32 v6, 0x80
	s_mov_b32 s2, exec_lo
	v_and_b32_e32 v5, 0x7fffffff, v4
	v_cmpx_gt_u32_e32 0x47800000, v5
	s_cbranch_execz .LBB66_1759
; %bb.1754:
	v_cmp_lt_u32_e32 vcc_lo, 0x37ffffff, v5
	s_mov_b32 s3, 0
                                        ; implicit-def: $vgpr5
	s_and_saveexec_b32 s6, vcc_lo
	s_xor_b32 s6, exec_lo, s6
	s_cbranch_execz .LBB66_2084
; %bb.1755:
	v_bfe_u32 v5, v4, 21, 1
	s_mov_b32 s3, exec_lo
	v_add3_u32 v5, v4, v5, 0x88fffff
	v_lshrrev_b32_e32 v5, 21, v5
	s_andn2_saveexec_b32 s6, s6
	s_cbranch_execnz .LBB66_2085
.LBB66_1756:
	s_or_b32 exec_lo, exec_lo, s6
	v_mov_b32_e32 v6, 0
	s_and_saveexec_b32 s6, s3
.LBB66_1757:
	v_lshrrev_b32_e32 v4, 24, v4
	v_and_or_b32 v6, 0x80, v4, v5
.LBB66_1758:
	s_or_b32 exec_lo, exec_lo, s6
.LBB66_1759:
	s_or_b32 exec_lo, exec_lo, s2
	s_mov_b32 s2, 0
	global_store_byte v[0:1], v6, off
.LBB66_1760:
	s_and_b32 vcc_lo, exec_lo, s2
	s_cbranch_vccz .LBB66_1770
; %bb.1761:
	v_cvt_f32_f16_e32 v4, v3
	s_mov_b32 s2, exec_lo
                                        ; implicit-def: $vgpr5
	v_and_b32_e32 v6, 0x7fffffff, v4
	v_cmpx_gt_u32_e32 0x43f00000, v6
	s_xor_b32 s2, exec_lo, s2
	s_cbranch_execz .LBB66_1767
; %bb.1762:
	s_mov_b32 s3, exec_lo
                                        ; implicit-def: $vgpr5
	v_cmpx_lt_u32_e32 0x3c7fffff, v6
	s_xor_b32 s3, exec_lo, s3
; %bb.1763:
	v_bfe_u32 v5, v4, 20, 1
	v_add3_u32 v5, v4, v5, 0x407ffff
	v_and_b32_e32 v6, 0xff00000, v5
	v_lshrrev_b32_e32 v5, 20, v5
	v_cmp_ne_u32_e32 vcc_lo, 0x7f00000, v6
	v_cndmask_b32_e32 v5, 0x7e, v5, vcc_lo
; %bb.1764:
	s_andn2_saveexec_b32 s3, s3
; %bb.1765:
	v_add_f32_e64 v5, 0x46800000, |v4|
; %bb.1766:
	s_or_b32 exec_lo, exec_lo, s3
                                        ; implicit-def: $vgpr6
.LBB66_1767:
	s_andn2_saveexec_b32 s2, s2
; %bb.1768:
	v_mov_b32_e32 v5, 0x7f
	v_cmp_lt_u32_e32 vcc_lo, 0x7f800000, v6
	v_cndmask_b32_e32 v5, 0x7e, v5, vcc_lo
; %bb.1769:
	s_or_b32 exec_lo, exec_lo, s2
	v_lshrrev_b32_e32 v4, 24, v4
	v_and_or_b32 v4, 0x80, v4, v5
	global_store_byte v[0:1], v4, off
.LBB66_1770:
	s_mov_b32 s2, 0
.LBB66_1771:
	s_andn2_b32 vcc_lo, exec_lo, s2
	s_cbranch_vccnz .LBB66_1781
; %bb.1772:
	v_cvt_f32_f16_e32 v4, v3
	s_mov_b32 s2, exec_lo
                                        ; implicit-def: $vgpr5
	v_and_b32_e32 v6, 0x7fffffff, v4
	v_cmpx_gt_u32_e32 0x47800000, v6
	s_xor_b32 s2, exec_lo, s2
	s_cbranch_execz .LBB66_1778
; %bb.1773:
	s_mov_b32 s3, exec_lo
                                        ; implicit-def: $vgpr5
	v_cmpx_lt_u32_e32 0x387fffff, v6
	s_xor_b32 s3, exec_lo, s3
; %bb.1774:
	v_bfe_u32 v5, v4, 21, 1
	v_add3_u32 v5, v4, v5, 0x80fffff
	v_lshrrev_b32_e32 v5, 21, v5
; %bb.1775:
	s_andn2_saveexec_b32 s3, s3
; %bb.1776:
	v_add_f32_e64 v5, 0x43000000, |v4|
; %bb.1777:
	s_or_b32 exec_lo, exec_lo, s3
                                        ; implicit-def: $vgpr6
.LBB66_1778:
	s_andn2_saveexec_b32 s2, s2
; %bb.1779:
	v_mov_b32_e32 v5, 0x7f
	v_cmp_lt_u32_e32 vcc_lo, 0x7f800000, v6
	v_cndmask_b32_e32 v5, 0x7c, v5, vcc_lo
; %bb.1780:
	s_or_b32 exec_lo, exec_lo, s2
	v_lshrrev_b32_e32 v4, 24, v4
	v_and_or_b32 v4, 0x80, v4, v5
	global_store_byte v[0:1], v4, off
.LBB66_1781:
	s_mov_b32 s2, 0
	s_mov_b32 s3, -1
.LBB66_1782:
	s_andn2_b32 vcc_lo, exec_lo, s2
	s_mov_b32 s2, 0
	s_cbranch_vccnz .LBB66_1789
; %bb.1783:
	s_cmp_gt_i32 s1, 14
	s_mov_b32 s2, -1
	s_cbranch_scc0 .LBB66_1787
; %bb.1784:
	s_cmp_eq_u32 s1, 15
	s_mov_b32 s0, -1
	s_cbranch_scc0 .LBB66_1786
; %bb.1785:
	v_cvt_f32_f16_e32 v4, v3
	v_cmp_o_f16_e32 vcc_lo, v3, v3
	s_mov_b32 s0, 0
	s_mov_b32 s3, -1
	v_bfe_u32 v5, v4, 16, 1
	v_add3_u32 v4, v4, v5, 0x7fff
	v_mov_b32_e32 v5, 0x7fc0
	v_cndmask_b32_sdwa v4, v5, v4, vcc_lo dst_sel:DWORD dst_unused:UNUSED_PAD src0_sel:DWORD src1_sel:WORD_1
	global_store_short v[0:1], v4, off
.LBB66_1786:
	s_mov_b32 s2, 0
.LBB66_1787:
	s_and_b32 vcc_lo, exec_lo, s2
	s_mov_b32 s2, 0
	s_cbranch_vccz .LBB66_1789
; %bb.1788:
	s_cmp_lg_u32 s1, 11
	s_mov_b32 s2, -1
	s_cselect_b32 s0, -1, 0
.LBB66_1789:
	s_and_b32 vcc_lo, exec_lo, s0
	s_cbranch_vccnz .LBB66_2083
; %bb.1790:
	s_andn2_b32 vcc_lo, exec_lo, s2
	s_cbranch_vccnz .LBB66_1792
.LBB66_1791:
	v_cmp_neq_f16_e32 vcc_lo, 0, v3
	s_mov_b32 s3, -1
	v_cndmask_b32_e64 v4, 0, 1, vcc_lo
	global_store_byte v[0:1], v4, off
.LBB66_1792:
	s_mov_b32 s0, 0
	s_branch .LBB66_1794
.LBB66_1793:
	s_mov_b32 s0, -1
	s_mov_b32 s3, 0
.LBB66_1794:
	s_and_b32 vcc_lo, exec_lo, s0
	s_cbranch_vccz .LBB66_1833
; %bb.1795:
	s_and_b32 s0, 0xffff, s15
	s_mov_b32 s1, -1
	s_cmp_lt_i32 s0, 5
	s_cbranch_scc1 .LBB66_1816
; %bb.1796:
	s_cmp_lt_i32 s0, 8
	s_cbranch_scc1 .LBB66_1806
; %bb.1797:
	;; [unrolled: 3-line block ×3, first 2 shown]
	s_cmp_gt_i32 s0, 9
	s_cbranch_scc0 .LBB66_1800
; %bb.1799:
	v_cvt_f32_f16_e32 v4, v3
	v_mov_b32_e32 v6, 0
	s_mov_b32 s1, 0
	v_cvt_f64_f32_e32 v[4:5], v4
	v_mov_b32_e32 v7, v6
	global_store_dwordx4 v[0:1], v[4:7], off
.LBB66_1800:
	s_andn2_b32 vcc_lo, exec_lo, s1
	s_cbranch_vccnz .LBB66_1802
; %bb.1801:
	v_cvt_f32_f16_e32 v4, v3
	v_mov_b32_e32 v5, 0
	global_store_dwordx2 v[0:1], v[4:5], off
.LBB66_1802:
	s_mov_b32 s1, 0
.LBB66_1803:
	s_andn2_b32 vcc_lo, exec_lo, s1
	s_cbranch_vccnz .LBB66_1805
; %bb.1804:
	v_and_b32_e32 v4, 0xffff, v3
	global_store_dword v[0:1], v4, off
.LBB66_1805:
	s_mov_b32 s1, 0
.LBB66_1806:
	s_andn2_b32 vcc_lo, exec_lo, s1
	s_cbranch_vccnz .LBB66_1815
; %bb.1807:
	s_cmp_lt_i32 s0, 6
	s_mov_b32 s1, -1
	s_cbranch_scc1 .LBB66_1813
; %bb.1808:
	s_cmp_gt_i32 s0, 6
	s_cbranch_scc0 .LBB66_1810
; %bb.1809:
	v_cvt_f32_f16_e32 v4, v3
	s_mov_b32 s1, 0
	v_cvt_f64_f32_e32 v[4:5], v4
	global_store_dwordx2 v[0:1], v[4:5], off
.LBB66_1810:
	s_andn2_b32 vcc_lo, exec_lo, s1
	s_cbranch_vccnz .LBB66_1812
; %bb.1811:
	v_cvt_f32_f16_e32 v4, v3
	global_store_dword v[0:1], v4, off
.LBB66_1812:
	s_mov_b32 s1, 0
.LBB66_1813:
	s_andn2_b32 vcc_lo, exec_lo, s1
	s_cbranch_vccnz .LBB66_1815
; %bb.1814:
	global_store_short v[0:1], v3, off
.LBB66_1815:
	s_mov_b32 s1, 0
.LBB66_1816:
	s_andn2_b32 vcc_lo, exec_lo, s1
	s_cbranch_vccnz .LBB66_1832
; %bb.1817:
	s_cmp_lt_i32 s0, 2
	s_mov_b32 s1, -1
	s_cbranch_scc1 .LBB66_1827
; %bb.1818:
	s_cmp_lt_i32 s0, 3
	s_cbranch_scc1 .LBB66_1824
; %bb.1819:
	s_cmp_gt_i32 s0, 3
	s_cbranch_scc0 .LBB66_1821
; %bb.1820:
	v_cvt_f32_f16_e32 v4, v3
	s_mov_b32 s1, 0
	v_cvt_i32_f32_e32 v4, v4
	v_ashrrev_i32_e32 v5, 31, v4
	global_store_dwordx2 v[0:1], v[4:5], off
.LBB66_1821:
	s_andn2_b32 vcc_lo, exec_lo, s1
	s_cbranch_vccnz .LBB66_1823
; %bb.1822:
	v_cvt_f32_f16_e32 v4, v3
	v_cvt_i32_f32_e32 v4, v4
	global_store_dword v[0:1], v4, off
.LBB66_1823:
	s_mov_b32 s1, 0
.LBB66_1824:
	s_andn2_b32 vcc_lo, exec_lo, s1
	s_cbranch_vccnz .LBB66_1826
; %bb.1825:
	v_cvt_i16_f16_e32 v4, v3
	global_store_short v[0:1], v4, off
.LBB66_1826:
	s_mov_b32 s1, 0
.LBB66_1827:
	s_andn2_b32 vcc_lo, exec_lo, s1
	s_cbranch_vccnz .LBB66_1832
; %bb.1828:
	s_cmp_gt_i32 s0, 0
	s_mov_b32 s0, -1
	s_cbranch_scc0 .LBB66_1830
; %bb.1829:
	v_cvt_i16_f16_e32 v4, v3
	s_mov_b32 s0, 0
	global_store_byte v[0:1], v4, off
.LBB66_1830:
	s_andn2_b32 vcc_lo, exec_lo, s0
	s_cbranch_vccnz .LBB66_1832
; %bb.1831:
	v_cvt_f32_f16_e32 v3, v3
	v_cvt_i32_f32_e32 v3, v3
	global_store_byte v[0:1], v3, off
.LBB66_1832:
	s_mov_b32 s3, -1
.LBB66_1833:
	s_andn2_b32 vcc_lo, exec_lo, s3
	s_cbranch_vccnz .LBB66_2029
; %bb.1834:
	v_add_f32_e32 v0, 1.0, v9
	v_mul_f32_e32 v1, v9, v9
	v_add_nc_u32_e32 v2, s4, v2
	s_cmp_lt_i32 s15, 11
	v_mul_f32_e32 v3, v0, v0
	v_add_f32_e32 v0, 1.0, v0
	v_div_scale_f32 v4, null, v1, v1, 1.0
	v_div_scale_f32 v6, vcc_lo, 1.0, v1, 1.0
	v_mul_f32_e32 v7, v0, v0
	v_div_scale_f32 v5, null, v3, v3, 1.0
	v_rcp_f32_e32 v8, v4
	v_div_scale_f32 v16, s0, 1.0, v3, 1.0
	v_div_scale_f32 v15, null, v7, v7, 1.0
	v_rcp_f32_e32 v9, v5
	v_add_f32_e32 v0, 1.0, v0
	v_div_scale_f32 v17, s1, 1.0, v7, 1.0
	v_rcp_f32_e32 v18, v15
	v_fma_f32 v20, -v4, v8, 1.0
	v_mul_f32_e32 v19, v0, v0
	v_add_f32_e32 v0, 1.0, v0
	v_fma_f32 v21, -v5, v9, 1.0
	v_fmac_f32_e32 v8, v20, v8
	v_mul_f32_e32 v23, v0, v0
	v_add_f32_e32 v0, 1.0, v0
	v_fma_f32 v20, -v15, v18, 1.0
	v_fmac_f32_e32 v9, v21, v9
	v_mul_f32_e32 v24, v6, v8
	v_div_scale_f32 v22, null, v19, v19, 1.0
	v_fmac_f32_e32 v18, v20, v18
	v_mul_f32_e32 v25, v16, v9
	v_fma_f32 v26, -v4, v24, v6
	v_add_f32_e32 v29, 1.0, v0
	v_rcp_f32_e32 v21, v22
	v_mul_f32_e32 v28, v17, v18
	v_fma_f32 v27, -v5, v25, v16
	v_fmac_f32_e32 v24, v26, v8
	v_mul_f32_e32 v0, v0, v0
	v_div_scale_f32 v20, null, v23, v23, 1.0
	v_fma_f32 v26, -v15, v28, v17
	v_fmac_f32_e32 v25, v27, v9
	v_fma_f32 v4, -v4, v24, v6
	v_mul_f32_e32 v6, v29, v29
	v_rcp_f32_e32 v27, v20
	v_fmac_f32_e32 v28, v26, v18
	v_fma_f32 v5, -v5, v25, v16
	v_div_fmas_f32 v4, v4, v8, v24
	s_mov_b32 vcc_lo, s0
	v_fma_f32 v30, -v22, v21, 1.0
	v_fma_f32 v8, -v15, v28, v17
	v_div_fmas_f32 v5, v5, v9, v25
	s_mov_b32 vcc_lo, s1
	v_div_scale_f32 v9, null, v0, v0, 1.0
	v_div_fmas_f32 v8, v8, v18, v28
	v_div_scale_f32 v15, null, v6, v6, 1.0
	v_add_f32_e32 v18, v29, v29
	v_rcp_f32_e32 v17, v9
	v_fmac_f32_e32 v21, v30, v21
	v_rcp_f32_e32 v25, v15
	v_div_scale_f32 v16, vcc_lo, 1.0, v19, 1.0
	v_div_scale_f32 v28, null, v18, v18, 1.0
	v_fma_f32 v24, -v20, v27, 1.0
	v_mul_f32_e32 v26, v16, v21
	v_div_fixup_f32 v1, v4, v1, 1.0
	v_rcp_f32_e32 v31, v28
	v_fma_f32 v30, -v9, v17, 1.0
	v_fmac_f32_e32 v27, v24, v27
	v_div_scale_f32 v24, s0, 1.0, v23, 1.0
	v_fma_f32 v33, -v15, v25, 1.0
	v_fma_f32 v32, -v22, v26, v16
	v_fmac_f32_e32 v17, v30, v17
	v_div_scale_f32 v30, s1, 1.0, v0, 1.0
	v_mul_f32_e32 v34, v24, v27
	v_fmac_f32_e32 v25, v33, v25
	v_div_scale_f32 v33, s2, 1.0, v6, 1.0
	v_fma_f32 v35, -v28, v31, 1.0
	v_fmac_f32_e32 v26, v32, v21
	v_mul_f32_e32 v36, v30, v17
	v_fma_f32 v32, -v20, v34, v24
	v_mul_f32_e32 v37, v33, v25
	v_fmac_f32_e32 v31, v35, v31
	v_div_scale_f32 v35, s3, 1.0, v18, 1.0
	v_fma_f32 v16, -v22, v26, v16
	v_fma_f32 v22, -v9, v36, v30
	v_fmac_f32_e32 v34, v32, v27
	v_fma_f32 v32, -v15, v37, v33
	v_mul_f32_e32 v38, v35, v31
	v_div_fmas_f32 v16, v16, v21, v26
	v_fmac_f32_e32 v36, v22, v17
	v_fma_f32 v20, -v20, v34, v24
	v_fmac_f32_e32 v37, v32, v25
	v_fma_f32 v21, -v28, v38, v35
	s_mov_b32 vcc_lo, s0
	v_fma_f32 v9, -v9, v36, v30
	v_div_fmas_f32 v20, v20, v27, v34
	v_fma_f32 v15, -v15, v37, v33
	v_fmac_f32_e32 v38, v21, v31
	s_mov_b32 vcc_lo, s1
	s_mov_b32 s0, 0xbcc30c31
	v_div_fmas_f32 v9, v9, v17, v36
	s_mov_b32 vcc_lo, s2
	v_fma_f32 v17, -v28, v38, v35
	v_div_fmas_f32 v15, v15, v25, v37
	s_mov_b32 vcc_lo, s3
	v_add_f32_e32 v1, v11, v1
	v_div_fixup_f32 v3, v5, v3, 1.0
	v_div_fmas_f32 v17, v17, v31, v38
	v_div_fixup_f32 v6, v15, v6, 1.0
	v_div_fixup_f32 v0, v9, v0, 1.0
	v_add_f32_e32 v1, v1, v3
	v_div_fixup_f32 v15, v17, v18, 1.0
	v_fmaak_f32 v17, s0, v6, 0x3d088889
	v_div_fixup_f32 v3, v8, v7, 1.0
	v_add_f32_e32 v15, 1.0, v15
	v_fma_f32 v17, -v6, v17, 0x3e2aaaab
	v_add_f32_e32 v1, v1, v3
	v_div_fixup_f32 v3, v16, v19, 1.0
	v_fmac_f32_e32 v15, v6, v17
	v_add_f32_e32 v1, v1, v3
	v_div_fixup_f32 v3, v20, v23, 1.0
	v_div_scale_f32 v6, null, v29, v29, v15
	v_add_f32_e32 v1, v1, v3
	v_rcp_f32_e32 v17, v6
	v_add_f32_e32 v0, v1, v0
	v_fma_f32 v4, -v6, v17, 1.0
	v_fmac_f32_e32 v17, v4, v17
	v_div_scale_f32 v4, vcc_lo, v15, v29, v15
	v_mul_f32_e32 v5, v4, v17
	v_fma_f32 v7, -v6, v5, v4
	v_fmac_f32_e32 v5, v7, v17
	v_fma_f32 v4, -v6, v5, v4
	v_div_fmas_f32 v3, v4, v17, v5
	v_div_fixup_f32 v1, v3, v29, v15
	v_add_f32_e32 v0, v0, v1
	v_ashrrev_i32_e32 v1, 31, v2
	v_fma_mixlo_f16 v3, v10, v0, 0
	v_add_co_u32 v0, vcc_lo, s8, v2
	v_add_co_ci_u32_e64 v1, null, s9, v1, vcc_lo
	s_cbranch_scc1 .LBB66_1912
; %bb.1835:
	s_and_b32 s1, 0xffff, s15
	s_mov_b32 s6, -1
	s_mov_b32 s2, 0
	s_cmp_gt_i32 s1, 25
	s_mov_b32 s3, 0
	s_mov_b32 s0, 0
	s_cbranch_scc0 .LBB66_1868
; %bb.1836:
	s_cmp_gt_i32 s1, 28
	s_cbranch_scc0 .LBB66_1851
; %bb.1837:
	s_cmp_gt_i32 s1, 43
	s_cbranch_scc0 .LBB66_1847
; %bb.1838:
	s_cmp_gt_i32 s1, 45
	s_cbranch_scc0 .LBB66_1841
; %bb.1839:
	s_mov_b32 s0, -1
	s_mov_b32 s6, 0
	s_cmp_eq_u32 s1, 46
	s_cbranch_scc0 .LBB66_1841
; %bb.1840:
	v_cvt_f32_f16_e32 v4, v3
	v_cmp_o_f16_e32 vcc_lo, v3, v3
	s_mov_b32 s0, 0
	s_mov_b32 s3, -1
	v_bfe_u32 v5, v4, 16, 1
	v_add3_u32 v4, v4, v5, 0x7fff
	v_mov_b32_e32 v5, 0x7fc0
	v_cndmask_b32_sdwa v4, v5, v4, vcc_lo dst_sel:DWORD dst_unused:UNUSED_PAD src0_sel:DWORD src1_sel:WORD_1
	global_store_dword v[0:1], v4, off
.LBB66_1841:
	s_and_b32 vcc_lo, exec_lo, s6
	s_cbranch_vccz .LBB66_1846
; %bb.1842:
	s_cmp_eq_u32 s1, 44
	s_mov_b32 s0, -1
	s_cbranch_scc0 .LBB66_1846
; %bb.1843:
	v_cvt_f32_f16_e32 v4, v3
	v_mov_b32_e32 v5, 0xff
	s_mov_b32 s3, exec_lo
	v_bfe_u32 v6, v4, 23, 8
	v_cmpx_ne_u32_e32 0xff, v6
	s_cbranch_execz .LBB66_1845
; %bb.1844:
	v_and_b32_e32 v5, 0x400000, v4
	v_and_or_b32 v6, 0x3fffff, v4, v6
	v_lshrrev_b32_e32 v4, 23, v4
	v_cmp_ne_u32_e32 vcc_lo, 0, v5
	v_cmp_ne_u32_e64 s0, 0, v6
	s_and_b32 s0, vcc_lo, s0
	v_cndmask_b32_e64 v5, 0, 1, s0
	v_add_nc_u32_e32 v5, v4, v5
.LBB66_1845:
	s_or_b32 exec_lo, exec_lo, s3
	s_mov_b32 s0, 0
	s_mov_b32 s3, -1
	global_store_byte v[0:1], v5, off
.LBB66_1846:
	s_mov_b32 s6, 0
.LBB66_1847:
	s_and_b32 vcc_lo, exec_lo, s6
	s_cbranch_vccz .LBB66_1850
; %bb.1848:
	s_cmp_eq_u32 s1, 29
	s_mov_b32 s0, -1
	s_cbranch_scc0 .LBB66_1850
; %bb.1849:
	v_cvt_f32_f16_e32 v4, v3
	v_mov_b32_e32 v5, 0
	s_mov_b32 s0, 0
	s_mov_b32 s3, -1
	v_cvt_u32_f32_e32 v4, v4
	global_store_dwordx2 v[0:1], v[4:5], off
.LBB66_1850:
	s_mov_b32 s6, 0
.LBB66_1851:
	s_and_b32 vcc_lo, exec_lo, s6
	s_cbranch_vccz .LBB66_1867
; %bb.1852:
	s_cmp_lt_i32 s1, 27
	s_mov_b32 s3, -1
	s_cbranch_scc1 .LBB66_1858
; %bb.1853:
	s_cmp_gt_i32 s1, 27
	s_cbranch_scc0 .LBB66_1855
; %bb.1854:
	v_cvt_f32_f16_e32 v4, v3
	s_mov_b32 s3, 0
	v_cvt_u32_f32_e32 v4, v4
	global_store_dword v[0:1], v4, off
.LBB66_1855:
	s_andn2_b32 vcc_lo, exec_lo, s3
	s_cbranch_vccnz .LBB66_1857
; %bb.1856:
	v_cvt_u16_f16_e32 v4, v3
	global_store_short v[0:1], v4, off
.LBB66_1857:
	s_mov_b32 s3, 0
.LBB66_1858:
	s_andn2_b32 vcc_lo, exec_lo, s3
	s_cbranch_vccnz .LBB66_1866
; %bb.1859:
	v_cvt_f32_f16_e32 v4, v3
	v_mov_b32_e32 v6, 0x80
	s_mov_b32 s3, exec_lo
	v_and_b32_e32 v5, 0x7fffffff, v4
	v_cmpx_gt_u32_e32 0x43800000, v5
	s_cbranch_execz .LBB66_1865
; %bb.1860:
	v_cmp_lt_u32_e32 vcc_lo, 0x3bffffff, v5
	s_mov_b32 s6, 0
                                        ; implicit-def: $vgpr5
	s_and_saveexec_b32 s10, vcc_lo
	s_xor_b32 s10, exec_lo, s10
	s_cbranch_execz .LBB66_2086
; %bb.1861:
	v_bfe_u32 v5, v4, 20, 1
	s_mov_b32 s6, exec_lo
	v_add3_u32 v5, v4, v5, 0x487ffff
	v_lshrrev_b32_e32 v5, 20, v5
	s_andn2_saveexec_b32 s10, s10
	s_cbranch_execnz .LBB66_2087
.LBB66_1862:
	s_or_b32 exec_lo, exec_lo, s10
	v_mov_b32_e32 v6, 0
	s_and_saveexec_b32 s10, s6
.LBB66_1863:
	v_lshrrev_b32_e32 v4, 24, v4
	v_and_or_b32 v6, 0x80, v4, v5
.LBB66_1864:
	s_or_b32 exec_lo, exec_lo, s10
.LBB66_1865:
	s_or_b32 exec_lo, exec_lo, s3
	global_store_byte v[0:1], v6, off
.LBB66_1866:
	s_mov_b32 s3, -1
.LBB66_1867:
	s_mov_b32 s6, 0
.LBB66_1868:
	s_and_b32 vcc_lo, exec_lo, s6
	s_cbranch_vccz .LBB66_1908
; %bb.1869:
	s_cmp_gt_i32 s1, 22
	s_mov_b32 s2, -1
	s_cbranch_scc0 .LBB66_1901
; %bb.1870:
	s_cmp_lt_i32 s1, 24
	s_cbranch_scc1 .LBB66_1890
; %bb.1871:
	s_cmp_gt_i32 s1, 24
	s_cbranch_scc0 .LBB66_1879
; %bb.1872:
	v_cvt_f32_f16_e32 v4, v3
	v_mov_b32_e32 v6, 0x80
	s_mov_b32 s2, exec_lo
	v_and_b32_e32 v5, 0x7fffffff, v4
	v_cmpx_gt_u32_e32 0x47800000, v5
	s_cbranch_execz .LBB66_1878
; %bb.1873:
	v_cmp_lt_u32_e32 vcc_lo, 0x37ffffff, v5
	s_mov_b32 s3, 0
                                        ; implicit-def: $vgpr5
	s_and_saveexec_b32 s6, vcc_lo
	s_xor_b32 s6, exec_lo, s6
	s_cbranch_execz .LBB66_2089
; %bb.1874:
	v_bfe_u32 v5, v4, 21, 1
	s_mov_b32 s3, exec_lo
	v_add3_u32 v5, v4, v5, 0x88fffff
	v_lshrrev_b32_e32 v5, 21, v5
	s_andn2_saveexec_b32 s6, s6
	s_cbranch_execnz .LBB66_2090
.LBB66_1875:
	s_or_b32 exec_lo, exec_lo, s6
	v_mov_b32_e32 v6, 0
	s_and_saveexec_b32 s6, s3
.LBB66_1876:
	v_lshrrev_b32_e32 v4, 24, v4
	v_and_or_b32 v6, 0x80, v4, v5
.LBB66_1877:
	s_or_b32 exec_lo, exec_lo, s6
.LBB66_1878:
	s_or_b32 exec_lo, exec_lo, s2
	s_mov_b32 s2, 0
	global_store_byte v[0:1], v6, off
.LBB66_1879:
	s_and_b32 vcc_lo, exec_lo, s2
	s_cbranch_vccz .LBB66_1889
; %bb.1880:
	v_cvt_f32_f16_e32 v4, v3
	s_mov_b32 s2, exec_lo
                                        ; implicit-def: $vgpr5
	v_and_b32_e32 v6, 0x7fffffff, v4
	v_cmpx_gt_u32_e32 0x43f00000, v6
	s_xor_b32 s2, exec_lo, s2
	s_cbranch_execz .LBB66_1886
; %bb.1881:
	s_mov_b32 s3, exec_lo
                                        ; implicit-def: $vgpr5
	v_cmpx_lt_u32_e32 0x3c7fffff, v6
	s_xor_b32 s3, exec_lo, s3
; %bb.1882:
	v_bfe_u32 v5, v4, 20, 1
	v_add3_u32 v5, v4, v5, 0x407ffff
	v_and_b32_e32 v6, 0xff00000, v5
	v_lshrrev_b32_e32 v5, 20, v5
	v_cmp_ne_u32_e32 vcc_lo, 0x7f00000, v6
	v_cndmask_b32_e32 v5, 0x7e, v5, vcc_lo
; %bb.1883:
	s_andn2_saveexec_b32 s3, s3
; %bb.1884:
	v_add_f32_e64 v5, 0x46800000, |v4|
; %bb.1885:
	s_or_b32 exec_lo, exec_lo, s3
                                        ; implicit-def: $vgpr6
.LBB66_1886:
	s_andn2_saveexec_b32 s2, s2
; %bb.1887:
	v_mov_b32_e32 v5, 0x7f
	v_cmp_lt_u32_e32 vcc_lo, 0x7f800000, v6
	v_cndmask_b32_e32 v5, 0x7e, v5, vcc_lo
; %bb.1888:
	s_or_b32 exec_lo, exec_lo, s2
	v_lshrrev_b32_e32 v4, 24, v4
	v_and_or_b32 v4, 0x80, v4, v5
	global_store_byte v[0:1], v4, off
.LBB66_1889:
	s_mov_b32 s2, 0
.LBB66_1890:
	s_andn2_b32 vcc_lo, exec_lo, s2
	s_cbranch_vccnz .LBB66_1900
; %bb.1891:
	v_cvt_f32_f16_e32 v4, v3
	s_mov_b32 s2, exec_lo
                                        ; implicit-def: $vgpr5
	v_and_b32_e32 v6, 0x7fffffff, v4
	v_cmpx_gt_u32_e32 0x47800000, v6
	s_xor_b32 s2, exec_lo, s2
	s_cbranch_execz .LBB66_1897
; %bb.1892:
	s_mov_b32 s3, exec_lo
                                        ; implicit-def: $vgpr5
	v_cmpx_lt_u32_e32 0x387fffff, v6
	s_xor_b32 s3, exec_lo, s3
; %bb.1893:
	v_bfe_u32 v5, v4, 21, 1
	v_add3_u32 v5, v4, v5, 0x80fffff
	v_lshrrev_b32_e32 v5, 21, v5
; %bb.1894:
	s_andn2_saveexec_b32 s3, s3
; %bb.1895:
	v_add_f32_e64 v5, 0x43000000, |v4|
; %bb.1896:
	s_or_b32 exec_lo, exec_lo, s3
                                        ; implicit-def: $vgpr6
.LBB66_1897:
	s_andn2_saveexec_b32 s2, s2
; %bb.1898:
	v_mov_b32_e32 v5, 0x7f
	v_cmp_lt_u32_e32 vcc_lo, 0x7f800000, v6
	v_cndmask_b32_e32 v5, 0x7c, v5, vcc_lo
; %bb.1899:
	s_or_b32 exec_lo, exec_lo, s2
	v_lshrrev_b32_e32 v4, 24, v4
	v_and_or_b32 v4, 0x80, v4, v5
	global_store_byte v[0:1], v4, off
.LBB66_1900:
	s_mov_b32 s2, 0
	s_mov_b32 s3, -1
.LBB66_1901:
	s_andn2_b32 vcc_lo, exec_lo, s2
	s_mov_b32 s2, 0
	s_cbranch_vccnz .LBB66_1908
; %bb.1902:
	s_cmp_gt_i32 s1, 14
	s_mov_b32 s2, -1
	s_cbranch_scc0 .LBB66_1906
; %bb.1903:
	s_cmp_eq_u32 s1, 15
	s_mov_b32 s0, -1
	s_cbranch_scc0 .LBB66_1905
; %bb.1904:
	v_cvt_f32_f16_e32 v4, v3
	v_cmp_o_f16_e32 vcc_lo, v3, v3
	s_mov_b32 s0, 0
	s_mov_b32 s3, -1
	v_bfe_u32 v5, v4, 16, 1
	v_add3_u32 v4, v4, v5, 0x7fff
	v_mov_b32_e32 v5, 0x7fc0
	v_cndmask_b32_sdwa v4, v5, v4, vcc_lo dst_sel:DWORD dst_unused:UNUSED_PAD src0_sel:DWORD src1_sel:WORD_1
	global_store_short v[0:1], v4, off
.LBB66_1905:
	s_mov_b32 s2, 0
.LBB66_1906:
	s_and_b32 vcc_lo, exec_lo, s2
	s_mov_b32 s2, 0
	s_cbranch_vccz .LBB66_1908
; %bb.1907:
	s_cmp_lg_u32 s1, 11
	s_mov_b32 s2, -1
	s_cselect_b32 s0, -1, 0
.LBB66_1908:
	s_and_b32 vcc_lo, exec_lo, s0
	s_cbranch_vccnz .LBB66_2088
; %bb.1909:
	s_andn2_b32 vcc_lo, exec_lo, s2
	s_cbranch_vccnz .LBB66_1911
.LBB66_1910:
	v_cmp_neq_f16_e32 vcc_lo, 0, v3
	s_mov_b32 s3, -1
	v_cndmask_b32_e64 v4, 0, 1, vcc_lo
	global_store_byte v[0:1], v4, off
.LBB66_1911:
	s_mov_b32 s0, 0
	s_branch .LBB66_1913
.LBB66_1912:
	s_mov_b32 s0, -1
	s_mov_b32 s3, 0
.LBB66_1913:
	s_and_b32 vcc_lo, exec_lo, s0
	s_cbranch_vccz .LBB66_1952
; %bb.1914:
	s_and_b32 s0, 0xffff, s15
	s_mov_b32 s1, -1
	s_cmp_lt_i32 s0, 5
	s_cbranch_scc1 .LBB66_1935
; %bb.1915:
	s_cmp_lt_i32 s0, 8
	s_cbranch_scc1 .LBB66_1925
; %bb.1916:
	;; [unrolled: 3-line block ×3, first 2 shown]
	s_cmp_gt_i32 s0, 9
	s_cbranch_scc0 .LBB66_1919
; %bb.1918:
	v_cvt_f32_f16_e32 v4, v3
	v_mov_b32_e32 v6, 0
	s_mov_b32 s1, 0
	v_cvt_f64_f32_e32 v[4:5], v4
	v_mov_b32_e32 v7, v6
	global_store_dwordx4 v[0:1], v[4:7], off
.LBB66_1919:
	s_andn2_b32 vcc_lo, exec_lo, s1
	s_cbranch_vccnz .LBB66_1921
; %bb.1920:
	v_cvt_f32_f16_e32 v4, v3
	v_mov_b32_e32 v5, 0
	global_store_dwordx2 v[0:1], v[4:5], off
.LBB66_1921:
	s_mov_b32 s1, 0
.LBB66_1922:
	s_andn2_b32 vcc_lo, exec_lo, s1
	s_cbranch_vccnz .LBB66_1924
; %bb.1923:
	v_and_b32_e32 v4, 0xffff, v3
	global_store_dword v[0:1], v4, off
.LBB66_1924:
	s_mov_b32 s1, 0
.LBB66_1925:
	s_andn2_b32 vcc_lo, exec_lo, s1
	s_cbranch_vccnz .LBB66_1934
; %bb.1926:
	s_cmp_lt_i32 s0, 6
	s_mov_b32 s1, -1
	s_cbranch_scc1 .LBB66_1932
; %bb.1927:
	s_cmp_gt_i32 s0, 6
	s_cbranch_scc0 .LBB66_1929
; %bb.1928:
	v_cvt_f32_f16_e32 v4, v3
	s_mov_b32 s1, 0
	v_cvt_f64_f32_e32 v[4:5], v4
	global_store_dwordx2 v[0:1], v[4:5], off
.LBB66_1929:
	s_andn2_b32 vcc_lo, exec_lo, s1
	s_cbranch_vccnz .LBB66_1931
; %bb.1930:
	v_cvt_f32_f16_e32 v4, v3
	global_store_dword v[0:1], v4, off
.LBB66_1931:
	s_mov_b32 s1, 0
.LBB66_1932:
	s_andn2_b32 vcc_lo, exec_lo, s1
	s_cbranch_vccnz .LBB66_1934
; %bb.1933:
	global_store_short v[0:1], v3, off
.LBB66_1934:
	s_mov_b32 s1, 0
.LBB66_1935:
	s_andn2_b32 vcc_lo, exec_lo, s1
	s_cbranch_vccnz .LBB66_1951
; %bb.1936:
	s_cmp_lt_i32 s0, 2
	s_mov_b32 s1, -1
	s_cbranch_scc1 .LBB66_1946
; %bb.1937:
	s_cmp_lt_i32 s0, 3
	s_cbranch_scc1 .LBB66_1943
; %bb.1938:
	s_cmp_gt_i32 s0, 3
	s_cbranch_scc0 .LBB66_1940
; %bb.1939:
	v_cvt_f32_f16_e32 v4, v3
	s_mov_b32 s1, 0
	v_cvt_i32_f32_e32 v4, v4
	v_ashrrev_i32_e32 v5, 31, v4
	global_store_dwordx2 v[0:1], v[4:5], off
.LBB66_1940:
	s_andn2_b32 vcc_lo, exec_lo, s1
	s_cbranch_vccnz .LBB66_1942
; %bb.1941:
	v_cvt_f32_f16_e32 v4, v3
	v_cvt_i32_f32_e32 v4, v4
	global_store_dword v[0:1], v4, off
.LBB66_1942:
	s_mov_b32 s1, 0
.LBB66_1943:
	s_andn2_b32 vcc_lo, exec_lo, s1
	s_cbranch_vccnz .LBB66_1945
; %bb.1944:
	v_cvt_i16_f16_e32 v4, v3
	global_store_short v[0:1], v4, off
.LBB66_1945:
	s_mov_b32 s1, 0
.LBB66_1946:
	s_andn2_b32 vcc_lo, exec_lo, s1
	s_cbranch_vccnz .LBB66_1951
; %bb.1947:
	s_cmp_gt_i32 s0, 0
	s_mov_b32 s0, -1
	s_cbranch_scc0 .LBB66_1949
; %bb.1948:
	v_cvt_i16_f16_e32 v4, v3
	s_mov_b32 s0, 0
	global_store_byte v[0:1], v4, off
.LBB66_1949:
	s_andn2_b32 vcc_lo, exec_lo, s0
	s_cbranch_vccnz .LBB66_1951
; %bb.1950:
	v_cvt_f32_f16_e32 v3, v3
	v_cvt_i32_f32_e32 v3, v3
	global_store_byte v[0:1], v3, off
.LBB66_1951:
	s_mov_b32 s3, -1
.LBB66_1952:
	s_andn2_b32 vcc_lo, exec_lo, s3
	s_cbranch_vccnz .LBB66_2029
; %bb.1953:
	v_add_f32_e32 v0, 1.0, v12
	v_mul_f32_e32 v1, v12, v12
	v_add_nc_u32_e32 v2, s4, v2
	s_cmp_lt_i32 s15, 11
	v_mul_f32_e32 v3, v0, v0
	v_add_f32_e32 v0, 1.0, v0
	v_div_scale_f32 v4, null, v1, v1, 1.0
	v_div_scale_f32 v6, vcc_lo, 1.0, v1, 1.0
	v_mul_f32_e32 v7, v0, v0
	v_div_scale_f32 v5, null, v3, v3, 1.0
	v_rcp_f32_e32 v8, v4
	v_div_scale_f32 v11, s0, 1.0, v3, 1.0
	v_div_scale_f32 v10, null, v7, v7, 1.0
	v_rcp_f32_e32 v9, v5
	v_add_f32_e32 v0, 1.0, v0
	v_div_scale_f32 v12, s1, 1.0, v7, 1.0
	v_rcp_f32_e32 v15, v10
	v_fma_f32 v17, -v4, v8, 1.0
	v_mul_f32_e32 v16, v0, v0
	v_add_f32_e32 v0, 1.0, v0
	v_fma_f32 v18, -v5, v9, 1.0
	v_fmac_f32_e32 v8, v17, v8
	v_mul_f32_e32 v20, v0, v0
	v_add_f32_e32 v0, 1.0, v0
	v_fma_f32 v17, -v10, v15, 1.0
	v_fmac_f32_e32 v9, v18, v9
	v_mul_f32_e32 v21, v6, v8
	v_div_scale_f32 v19, null, v16, v16, 1.0
	v_fmac_f32_e32 v15, v17, v15
	v_mul_f32_e32 v22, v11, v9
	v_fma_f32 v23, -v4, v21, v6
	v_add_f32_e32 v26, 1.0, v0
	v_rcp_f32_e32 v18, v19
	v_mul_f32_e32 v25, v12, v15
	v_fma_f32 v24, -v5, v22, v11
	v_fmac_f32_e32 v21, v23, v8
	v_mul_f32_e32 v0, v0, v0
	v_div_scale_f32 v17, null, v20, v20, 1.0
	v_fma_f32 v23, -v10, v25, v12
	v_fmac_f32_e32 v22, v24, v9
	v_fma_f32 v4, -v4, v21, v6
	v_mul_f32_e32 v6, v26, v26
	v_rcp_f32_e32 v24, v17
	v_fmac_f32_e32 v25, v23, v15
	v_fma_f32 v5, -v5, v22, v11
	v_div_fmas_f32 v4, v4, v8, v21
	s_mov_b32 vcc_lo, s0
	v_fma_f32 v27, -v19, v18, 1.0
	v_fma_f32 v8, -v10, v25, v12
	v_div_fmas_f32 v5, v5, v9, v22
	s_mov_b32 vcc_lo, s1
	v_div_scale_f32 v9, null, v0, v0, 1.0
	v_div_fmas_f32 v8, v8, v15, v25
	v_div_scale_f32 v10, null, v6, v6, 1.0
	v_add_f32_e32 v15, v26, v26
	v_rcp_f32_e32 v12, v9
	v_fmac_f32_e32 v18, v27, v18
	v_rcp_f32_e32 v22, v10
	v_div_scale_f32 v11, vcc_lo, 1.0, v16, 1.0
	v_div_scale_f32 v25, null, v15, v15, 1.0
	v_fma_f32 v21, -v17, v24, 1.0
	v_mul_f32_e32 v23, v11, v18
	v_div_fixup_f32 v1, v4, v1, 1.0
	v_rcp_f32_e32 v28, v25
	v_fma_f32 v27, -v9, v12, 1.0
	v_fmac_f32_e32 v24, v21, v24
	v_div_scale_f32 v21, s0, 1.0, v20, 1.0
	v_fma_f32 v30, -v10, v22, 1.0
	v_fma_f32 v29, -v19, v23, v11
	v_fmac_f32_e32 v12, v27, v12
	v_div_scale_f32 v27, s1, 1.0, v0, 1.0
	v_mul_f32_e32 v31, v21, v24
	v_fmac_f32_e32 v22, v30, v22
	v_div_scale_f32 v30, s2, 1.0, v6, 1.0
	v_fma_f32 v32, -v25, v28, 1.0
	v_fmac_f32_e32 v23, v29, v18
	v_mul_f32_e32 v33, v27, v12
	v_fma_f32 v29, -v17, v31, v21
	v_mul_f32_e32 v34, v30, v22
	v_fmac_f32_e32 v28, v32, v28
	v_div_scale_f32 v32, s3, 1.0, v15, 1.0
	v_fma_f32 v11, -v19, v23, v11
	v_fma_f32 v19, -v9, v33, v27
	v_fmac_f32_e32 v31, v29, v24
	v_fma_f32 v29, -v10, v34, v30
	v_mul_f32_e32 v35, v32, v28
	v_div_fmas_f32 v11, v11, v18, v23
	v_fmac_f32_e32 v33, v19, v12
	v_fma_f32 v17, -v17, v31, v21
	v_fmac_f32_e32 v34, v29, v22
	v_fma_f32 v18, -v25, v35, v32
	s_mov_b32 vcc_lo, s0
	v_fma_f32 v9, -v9, v33, v27
	v_div_fmas_f32 v17, v17, v24, v31
	v_fma_f32 v10, -v10, v34, v30
	v_fmac_f32_e32 v35, v18, v28
	s_mov_b32 vcc_lo, s1
	s_mov_b32 s0, 0xbcc30c31
	v_div_fmas_f32 v9, v9, v12, v33
	s_mov_b32 vcc_lo, s2
	v_fma_f32 v12, -v25, v35, v32
	v_div_fmas_f32 v10, v10, v22, v34
	s_mov_b32 vcc_lo, s3
	v_add_f32_e32 v1, v14, v1
	v_div_fixup_f32 v3, v5, v3, 1.0
	v_div_fmas_f32 v12, v12, v28, v35
	v_div_fixup_f32 v6, v10, v6, 1.0
	v_div_fixup_f32 v0, v9, v0, 1.0
	v_add_f32_e32 v1, v1, v3
	v_div_fixup_f32 v10, v12, v15, 1.0
	v_fmaak_f32 v12, s0, v6, 0x3d088889
	v_div_fixup_f32 v3, v8, v7, 1.0
	v_add_f32_e32 v10, 1.0, v10
	v_fma_f32 v12, -v6, v12, 0x3e2aaaab
	v_add_f32_e32 v1, v1, v3
	v_div_fixup_f32 v3, v11, v16, 1.0
	v_fmac_f32_e32 v10, v6, v12
	v_add_f32_e32 v1, v1, v3
	v_div_fixup_f32 v3, v17, v20, 1.0
	v_div_scale_f32 v6, null, v26, v26, v10
	v_add_f32_e32 v1, v1, v3
	v_rcp_f32_e32 v12, v6
	v_add_f32_e32 v0, v1, v0
	v_fma_f32 v4, -v6, v12, 1.0
	v_fmac_f32_e32 v12, v4, v12
	v_div_scale_f32 v4, vcc_lo, v10, v26, v10
	v_mul_f32_e32 v5, v4, v12
	v_fma_f32 v7, -v6, v5, v4
	v_fmac_f32_e32 v5, v7, v12
	v_fma_f32 v4, -v6, v5, v4
	v_div_fmas_f32 v3, v4, v12, v5
	v_div_fixup_f32 v1, v3, v26, v10
	v_add_f32_e32 v0, v0, v1
	v_ashrrev_i32_e32 v1, 31, v2
	v_fma_mixlo_f16 v3, v13, v0, 0
	v_add_co_u32 v0, vcc_lo, s8, v2
	v_add_co_ci_u32_e64 v1, null, s9, v1, vcc_lo
	s_cbranch_scc1 .LBB66_2074
; %bb.1954:
	s_and_b32 s1, 0xffff, s15
	s_mov_b32 s3, -1
	s_mov_b32 s2, 0
	s_cmp_gt_i32 s1, 25
	s_mov_b32 s0, 0
	s_cbranch_scc0 .LBB66_1987
; %bb.1955:
	s_cmp_gt_i32 s1, 28
	s_cbranch_scc0 .LBB66_1971
; %bb.1956:
	s_cmp_gt_i32 s1, 43
	;; [unrolled: 3-line block ×3, first 2 shown]
	s_cbranch_scc0 .LBB66_1961
; %bb.1958:
	s_cmp_eq_u32 s1, 46
	s_mov_b32 s0, -1
	s_cbranch_scc0 .LBB66_1960
; %bb.1959:
	v_cvt_f32_f16_e32 v2, v3
	v_cmp_o_f16_e32 vcc_lo, v3, v3
	s_mov_b32 s0, 0
	v_bfe_u32 v4, v2, 16, 1
	v_add3_u32 v2, v2, v4, 0x7fff
	v_mov_b32_e32 v4, 0x7fc0
	v_cndmask_b32_sdwa v2, v4, v2, vcc_lo dst_sel:DWORD dst_unused:UNUSED_PAD src0_sel:DWORD src1_sel:WORD_1
	global_store_dword v[0:1], v2, off
.LBB66_1960:
	s_mov_b32 s3, 0
.LBB66_1961:
	s_and_b32 vcc_lo, exec_lo, s3
	s_cbranch_vccz .LBB66_1966
; %bb.1962:
	s_cmp_eq_u32 s1, 44
	s_mov_b32 s0, -1
	s_cbranch_scc0 .LBB66_1966
; %bb.1963:
	v_cvt_f32_f16_e32 v2, v3
	v_mov_b32_e32 v4, 0xff
	s_mov_b32 s3, exec_lo
	v_bfe_u32 v5, v2, 23, 8
	v_cmpx_ne_u32_e32 0xff, v5
	s_cbranch_execz .LBB66_1965
; %bb.1964:
	v_and_b32_e32 v4, 0x400000, v2
	v_and_or_b32 v5, 0x3fffff, v2, v5
	v_lshrrev_b32_e32 v2, 23, v2
	v_cmp_ne_u32_e32 vcc_lo, 0, v4
	v_cmp_ne_u32_e64 s0, 0, v5
	s_and_b32 s0, vcc_lo, s0
	v_cndmask_b32_e64 v4, 0, 1, s0
	v_add_nc_u32_e32 v4, v2, v4
.LBB66_1965:
	s_or_b32 exec_lo, exec_lo, s3
	s_mov_b32 s0, 0
	global_store_byte v[0:1], v4, off
.LBB66_1966:
	s_mov_b32 s3, 0
.LBB66_1967:
	s_and_b32 vcc_lo, exec_lo, s3
	s_cbranch_vccz .LBB66_1970
; %bb.1968:
	s_cmp_eq_u32 s1, 29
	s_mov_b32 s0, -1
	s_cbranch_scc0 .LBB66_1970
; %bb.1969:
	v_cvt_f32_f16_e32 v2, v3
	v_mov_b32_e32 v5, 0
	s_mov_b32 s0, 0
	v_cvt_u32_f32_e32 v4, v2
	global_store_dwordx2 v[0:1], v[4:5], off
.LBB66_1970:
	s_mov_b32 s3, 0
.LBB66_1971:
	s_and_b32 vcc_lo, exec_lo, s3
	s_cbranch_vccz .LBB66_1986
; %bb.1972:
	s_cmp_lt_i32 s1, 27
	s_mov_b32 s3, -1
	s_cbranch_scc1 .LBB66_1978
; %bb.1973:
	s_cmp_gt_i32 s1, 27
	s_cbranch_scc0 .LBB66_1975
; %bb.1974:
	v_cvt_f32_f16_e32 v2, v3
	s_mov_b32 s3, 0
	v_cvt_u32_f32_e32 v2, v2
	global_store_dword v[0:1], v2, off
.LBB66_1975:
	s_andn2_b32 vcc_lo, exec_lo, s3
	s_cbranch_vccnz .LBB66_1977
; %bb.1976:
	v_cvt_u16_f16_e32 v2, v3
	global_store_short v[0:1], v2, off
.LBB66_1977:
	s_mov_b32 s3, 0
.LBB66_1978:
	s_andn2_b32 vcc_lo, exec_lo, s3
	s_cbranch_vccnz .LBB66_1986
; %bb.1979:
	v_cvt_f32_f16_e32 v2, v3
	v_mov_b32_e32 v5, 0x80
	s_mov_b32 s3, exec_lo
	v_and_b32_e32 v4, 0x7fffffff, v2
	v_cmpx_gt_u32_e32 0x43800000, v4
	s_cbranch_execz .LBB66_1985
; %bb.1980:
	v_cmp_lt_u32_e32 vcc_lo, 0x3bffffff, v4
	s_mov_b32 s4, 0
                                        ; implicit-def: $vgpr4
	s_and_saveexec_b32 s6, vcc_lo
	s_xor_b32 s6, exec_lo, s6
	s_cbranch_execz .LBB66_2091
; %bb.1981:
	v_bfe_u32 v4, v2, 20, 1
	s_mov_b32 s4, exec_lo
	v_add3_u32 v4, v2, v4, 0x487ffff
	v_lshrrev_b32_e32 v4, 20, v4
	s_andn2_saveexec_b32 s6, s6
	s_cbranch_execnz .LBB66_2092
.LBB66_1982:
	s_or_b32 exec_lo, exec_lo, s6
	v_mov_b32_e32 v5, 0
	s_and_saveexec_b32 s6, s4
.LBB66_1983:
	v_lshrrev_b32_e32 v2, 24, v2
	v_and_or_b32 v5, 0x80, v2, v4
.LBB66_1984:
	s_or_b32 exec_lo, exec_lo, s6
.LBB66_1985:
	s_or_b32 exec_lo, exec_lo, s3
	global_store_byte v[0:1], v5, off
.LBB66_1986:
	s_mov_b32 s3, 0
.LBB66_1987:
	s_and_b32 vcc_lo, exec_lo, s3
	s_cbranch_vccz .LBB66_2027
; %bb.1988:
	s_cmp_gt_i32 s1, 22
	s_mov_b32 s2, -1
	s_cbranch_scc0 .LBB66_2020
; %bb.1989:
	s_cmp_lt_i32 s1, 24
	s_cbranch_scc1 .LBB66_2009
; %bb.1990:
	s_cmp_gt_i32 s1, 24
	s_cbranch_scc0 .LBB66_1998
; %bb.1991:
	v_cvt_f32_f16_e32 v2, v3
	v_mov_b32_e32 v5, 0x80
	s_mov_b32 s2, exec_lo
	v_and_b32_e32 v4, 0x7fffffff, v2
	v_cmpx_gt_u32_e32 0x47800000, v4
	s_cbranch_execz .LBB66_1997
; %bb.1992:
	v_cmp_lt_u32_e32 vcc_lo, 0x37ffffff, v4
	s_mov_b32 s3, 0
                                        ; implicit-def: $vgpr4
	s_and_saveexec_b32 s4, vcc_lo
	s_xor_b32 s4, exec_lo, s4
	s_cbranch_execz .LBB66_2094
; %bb.1993:
	v_bfe_u32 v4, v2, 21, 1
	s_mov_b32 s3, exec_lo
	v_add3_u32 v4, v2, v4, 0x88fffff
	v_lshrrev_b32_e32 v4, 21, v4
	s_andn2_saveexec_b32 s4, s4
	s_cbranch_execnz .LBB66_2095
.LBB66_1994:
	s_or_b32 exec_lo, exec_lo, s4
	v_mov_b32_e32 v5, 0
	s_and_saveexec_b32 s4, s3
.LBB66_1995:
	v_lshrrev_b32_e32 v2, 24, v2
	v_and_or_b32 v5, 0x80, v2, v4
.LBB66_1996:
	s_or_b32 exec_lo, exec_lo, s4
.LBB66_1997:
	s_or_b32 exec_lo, exec_lo, s2
	s_mov_b32 s2, 0
	global_store_byte v[0:1], v5, off
.LBB66_1998:
	s_and_b32 vcc_lo, exec_lo, s2
	s_cbranch_vccz .LBB66_2008
; %bb.1999:
	v_cvt_f32_f16_e32 v2, v3
	s_mov_b32 s2, exec_lo
                                        ; implicit-def: $vgpr4
	v_and_b32_e32 v5, 0x7fffffff, v2
	v_cmpx_gt_u32_e32 0x43f00000, v5
	s_xor_b32 s2, exec_lo, s2
	s_cbranch_execz .LBB66_2005
; %bb.2000:
	s_mov_b32 s3, exec_lo
                                        ; implicit-def: $vgpr4
	v_cmpx_lt_u32_e32 0x3c7fffff, v5
	s_xor_b32 s3, exec_lo, s3
; %bb.2001:
	v_bfe_u32 v4, v2, 20, 1
	v_add3_u32 v4, v2, v4, 0x407ffff
	v_and_b32_e32 v5, 0xff00000, v4
	v_lshrrev_b32_e32 v4, 20, v4
	v_cmp_ne_u32_e32 vcc_lo, 0x7f00000, v5
	v_cndmask_b32_e32 v4, 0x7e, v4, vcc_lo
; %bb.2002:
	s_andn2_saveexec_b32 s3, s3
; %bb.2003:
	v_add_f32_e64 v4, 0x46800000, |v2|
; %bb.2004:
	s_or_b32 exec_lo, exec_lo, s3
                                        ; implicit-def: $vgpr5
.LBB66_2005:
	s_andn2_saveexec_b32 s2, s2
; %bb.2006:
	v_mov_b32_e32 v4, 0x7f
	v_cmp_lt_u32_e32 vcc_lo, 0x7f800000, v5
	v_cndmask_b32_e32 v4, 0x7e, v4, vcc_lo
; %bb.2007:
	s_or_b32 exec_lo, exec_lo, s2
	v_lshrrev_b32_e32 v2, 24, v2
	v_and_or_b32 v2, 0x80, v2, v4
	global_store_byte v[0:1], v2, off
.LBB66_2008:
	s_mov_b32 s2, 0
.LBB66_2009:
	s_andn2_b32 vcc_lo, exec_lo, s2
	s_cbranch_vccnz .LBB66_2019
; %bb.2010:
	v_cvt_f32_f16_e32 v2, v3
	s_mov_b32 s2, exec_lo
                                        ; implicit-def: $vgpr4
	v_and_b32_e32 v5, 0x7fffffff, v2
	v_cmpx_gt_u32_e32 0x47800000, v5
	s_xor_b32 s2, exec_lo, s2
	s_cbranch_execz .LBB66_2016
; %bb.2011:
	s_mov_b32 s3, exec_lo
                                        ; implicit-def: $vgpr4
	v_cmpx_lt_u32_e32 0x387fffff, v5
	s_xor_b32 s3, exec_lo, s3
; %bb.2012:
	v_bfe_u32 v4, v2, 21, 1
	v_add3_u32 v4, v2, v4, 0x80fffff
	v_lshrrev_b32_e32 v4, 21, v4
; %bb.2013:
	s_andn2_saveexec_b32 s3, s3
; %bb.2014:
	v_add_f32_e64 v4, 0x43000000, |v2|
; %bb.2015:
	s_or_b32 exec_lo, exec_lo, s3
                                        ; implicit-def: $vgpr5
.LBB66_2016:
	s_andn2_saveexec_b32 s2, s2
; %bb.2017:
	v_mov_b32_e32 v4, 0x7f
	v_cmp_lt_u32_e32 vcc_lo, 0x7f800000, v5
	v_cndmask_b32_e32 v4, 0x7c, v4, vcc_lo
; %bb.2018:
	s_or_b32 exec_lo, exec_lo, s2
	v_lshrrev_b32_e32 v2, 24, v2
	v_and_or_b32 v2, 0x80, v2, v4
	global_store_byte v[0:1], v2, off
.LBB66_2019:
	s_mov_b32 s2, 0
.LBB66_2020:
	s_andn2_b32 vcc_lo, exec_lo, s2
	s_mov_b32 s2, 0
	s_cbranch_vccnz .LBB66_2027
; %bb.2021:
	s_cmp_gt_i32 s1, 14
	s_mov_b32 s2, -1
	s_cbranch_scc0 .LBB66_2025
; %bb.2022:
	s_cmp_eq_u32 s1, 15
	s_mov_b32 s0, -1
	s_cbranch_scc0 .LBB66_2024
; %bb.2023:
	v_cvt_f32_f16_e32 v2, v3
	v_cmp_o_f16_e32 vcc_lo, v3, v3
	s_mov_b32 s0, 0
	v_bfe_u32 v4, v2, 16, 1
	v_add3_u32 v2, v2, v4, 0x7fff
	v_mov_b32_e32 v4, 0x7fc0
	v_cndmask_b32_sdwa v2, v4, v2, vcc_lo dst_sel:DWORD dst_unused:UNUSED_PAD src0_sel:DWORD src1_sel:WORD_1
	global_store_short v[0:1], v2, off
.LBB66_2024:
	s_mov_b32 s2, 0
.LBB66_2025:
	s_and_b32 vcc_lo, exec_lo, s2
	s_mov_b32 s2, 0
	s_cbranch_vccz .LBB66_2027
; %bb.2026:
	s_cmp_lg_u32 s1, 11
	s_mov_b32 s2, -1
	s_cselect_b32 s0, -1, 0
.LBB66_2027:
	s_and_b32 vcc_lo, exec_lo, s0
	s_cbranch_vccnz .LBB66_2093
.LBB66_2028:
	s_mov_b32 s0, 0
	s_branch .LBB66_2030
.LBB66_2029:
	s_mov_b32 s0, 0
	s_mov_b32 s2, 0
                                        ; implicit-def: $sgpr15
                                        ; implicit-def: $vgpr0_vgpr1
                                        ; implicit-def: $vgpr3
.LBB66_2030:
	s_andn2_b32 s1, s14, exec_lo
	s_and_b32 s3, s5, exec_lo
	s_and_b32 s0, s0, exec_lo
	;; [unrolled: 1-line block ×3, first 2 shown]
	s_or_b32 s14, s1, s3
.LBB66_2031:
	s_or_b32 exec_lo, exec_lo, s7
	s_and_saveexec_b32 s1, s14
	s_cbranch_execz .LBB66_2034
; %bb.2032:
	; divergent unreachable
	s_or_b32 exec_lo, exec_lo, s1
	s_and_saveexec_b32 s1, s5
	s_xor_b32 s1, exec_lo, s1
	s_cbranch_execnz .LBB66_2035
.LBB66_2033:
	s_or_b32 exec_lo, exec_lo, s1
	s_and_saveexec_b32 s1, s0
	s_cbranch_execnz .LBB66_2036
	s_branch .LBB66_2073
.LBB66_2034:
	s_or_b32 exec_lo, exec_lo, s1
	s_and_saveexec_b32 s1, s5
	s_xor_b32 s1, exec_lo, s1
	s_cbranch_execz .LBB66_2033
.LBB66_2035:
	s_waitcnt vmcnt(0)
	v_cmp_neq_f16_e32 vcc_lo, 0, v3
	v_cndmask_b32_e64 v2, 0, 1, vcc_lo
	global_store_byte v[0:1], v2, off
	s_or_b32 exec_lo, exec_lo, s1
	s_and_saveexec_b32 s1, s0
	s_cbranch_execz .LBB66_2073
.LBB66_2036:
	s_sext_i32_i16 s1, s15
	s_mov_b32 s0, -1
	s_cmp_lt_i32 s1, 5
	s_cbranch_scc1 .LBB66_2057
; %bb.2037:
	s_cmp_lt_i32 s1, 8
	s_cbranch_scc1 .LBB66_2047
; %bb.2038:
	;; [unrolled: 3-line block ×3, first 2 shown]
	s_cmp_gt_i32 s1, 9
	s_cbranch_scc0 .LBB66_2041
; %bb.2040:
	s_waitcnt vmcnt(0)
	v_cvt_f32_f16_e32 v2, v3
	v_mov_b32_e32 v6, 0
	s_mov_b32 s0, 0
	v_cvt_f64_f32_e32 v[4:5], v2
	v_mov_b32_e32 v7, v6
	global_store_dwordx4 v[0:1], v[4:7], off
.LBB66_2041:
	s_andn2_b32 vcc_lo, exec_lo, s0
	s_cbranch_vccnz .LBB66_2043
; %bb.2042:
	s_waitcnt vmcnt(0)
	v_cvt_f32_f16_e32 v4, v3
	v_mov_b32_e32 v5, 0
	global_store_dwordx2 v[0:1], v[4:5], off
.LBB66_2043:
	s_mov_b32 s0, 0
.LBB66_2044:
	s_andn2_b32 vcc_lo, exec_lo, s0
	s_cbranch_vccnz .LBB66_2046
; %bb.2045:
	s_waitcnt vmcnt(0)
	v_and_b32_e32 v2, 0xffff, v3
	global_store_dword v[0:1], v2, off
.LBB66_2046:
	s_mov_b32 s0, 0
.LBB66_2047:
	s_andn2_b32 vcc_lo, exec_lo, s0
	s_cbranch_vccnz .LBB66_2056
; %bb.2048:
	s_sext_i32_i16 s1, s15
	s_mov_b32 s0, -1
	s_cmp_lt_i32 s1, 6
	s_cbranch_scc1 .LBB66_2054
; %bb.2049:
	s_cmp_gt_i32 s1, 6
	s_cbranch_scc0 .LBB66_2051
; %bb.2050:
	s_waitcnt vmcnt(0)
	v_cvt_f32_f16_e32 v2, v3
	s_mov_b32 s0, 0
	v_cvt_f64_f32_e32 v[4:5], v2
	global_store_dwordx2 v[0:1], v[4:5], off
.LBB66_2051:
	s_andn2_b32 vcc_lo, exec_lo, s0
	s_cbranch_vccnz .LBB66_2053
; %bb.2052:
	s_waitcnt vmcnt(0)
	v_cvt_f32_f16_e32 v2, v3
	global_store_dword v[0:1], v2, off
.LBB66_2053:
	s_mov_b32 s0, 0
.LBB66_2054:
	s_andn2_b32 vcc_lo, exec_lo, s0
	s_cbranch_vccnz .LBB66_2056
; %bb.2055:
	s_waitcnt vmcnt(0)
	global_store_short v[0:1], v3, off
.LBB66_2056:
	s_mov_b32 s0, 0
.LBB66_2057:
	s_andn2_b32 vcc_lo, exec_lo, s0
	s_cbranch_vccnz .LBB66_2073
; %bb.2058:
	s_sext_i32_i16 s1, s15
	s_mov_b32 s0, -1
	s_cmp_lt_i32 s1, 2
	s_cbranch_scc1 .LBB66_2068
; %bb.2059:
	s_cmp_lt_i32 s1, 3
	s_cbranch_scc1 .LBB66_2065
; %bb.2060:
	s_cmp_gt_i32 s1, 3
	s_cbranch_scc0 .LBB66_2062
; %bb.2061:
	s_waitcnt vmcnt(0)
	v_cvt_f32_f16_e32 v2, v3
	s_mov_b32 s0, 0
	v_cvt_i32_f32_e32 v4, v2
	v_ashrrev_i32_e32 v5, 31, v4
	global_store_dwordx2 v[0:1], v[4:5], off
.LBB66_2062:
	s_andn2_b32 vcc_lo, exec_lo, s0
	s_cbranch_vccnz .LBB66_2064
; %bb.2063:
	s_waitcnt vmcnt(0)
	v_cvt_f32_f16_e32 v2, v3
	v_cvt_i32_f32_e32 v2, v2
	global_store_dword v[0:1], v2, off
.LBB66_2064:
	s_mov_b32 s0, 0
.LBB66_2065:
	s_andn2_b32 vcc_lo, exec_lo, s0
	s_cbranch_vccnz .LBB66_2067
; %bb.2066:
	s_waitcnt vmcnt(0)
	v_cvt_i16_f16_e32 v2, v3
	global_store_short v[0:1], v2, off
.LBB66_2067:
	s_mov_b32 s0, 0
.LBB66_2068:
	s_andn2_b32 vcc_lo, exec_lo, s0
	s_cbranch_vccnz .LBB66_2073
; %bb.2069:
	s_sext_i32_i16 s0, s15
	s_cmp_gt_i32 s0, 0
	s_mov_b32 s0, -1
	s_cbranch_scc0 .LBB66_2071
; %bb.2070:
	s_waitcnt vmcnt(0)
	v_cvt_i16_f16_e32 v2, v3
	s_mov_b32 s0, 0
	global_store_byte v[0:1], v2, off
.LBB66_2071:
	s_andn2_b32 vcc_lo, exec_lo, s0
	s_cbranch_vccnz .LBB66_2073
; %bb.2072:
	s_waitcnt vmcnt(0)
	v_cvt_f32_f16_e32 v2, v3
	v_cvt_i32_f32_e32 v2, v2
	global_store_byte v[0:1], v2, off
	s_endpgm
.LBB66_2073:
	s_endpgm
.LBB66_2074:
	s_mov_b32 s2, 0
	s_mov_b32 s0, -1
	s_branch .LBB66_2030
.LBB66_2075:
	s_or_b32 s5, s5, exec_lo
	s_trap 2
	s_cbranch_execz .LBB66_1538
	s_branch .LBB66_1539
.LBB66_2076:
	s_andn2_saveexec_b32 s6, s6
	s_cbranch_execz .LBB66_1624
.LBB66_2077:
	v_add_f32_e64 v5, 0x46000000, |v4|
	s_andn2_b32 s4, s4, exec_lo
	v_and_b32_e32 v5, 0xff, v5
	v_cmp_ne_u32_e32 vcc_lo, 0, v5
	s_and_b32 s10, vcc_lo, exec_lo
	s_or_b32 s4, s4, s10
	s_or_b32 exec_lo, exec_lo, s6
	v_mov_b32_e32 v15, 0
	s_and_saveexec_b32 s6, s4
	s_cbranch_execnz .LBB66_1625
	s_branch .LBB66_1626
.LBB66_2078:
	s_or_b32 s5, s5, exec_lo
	s_trap 2
	s_cbranch_execz .LBB66_1672
	s_branch .LBB66_1673
.LBB66_2079:
	s_andn2_saveexec_b32 s4, s4
	s_cbranch_execz .LBB66_1637
.LBB66_2080:
	v_add_f32_e64 v5, 0x42800000, |v4|
	s_andn2_b32 s3, s3, exec_lo
	v_and_b32_e32 v5, 0xff, v5
	v_cmp_ne_u32_e32 vcc_lo, 0, v5
	s_and_b32 s6, vcc_lo, exec_lo
	s_or_b32 s3, s3, s6
	s_or_b32 exec_lo, exec_lo, s4
	v_mov_b32_e32 v15, 0
	s_and_saveexec_b32 s4, s3
	s_cbranch_execnz .LBB66_1638
	s_branch .LBB66_1639
.LBB66_2081:
	s_andn2_saveexec_b32 s10, s10
	s_cbranch_execz .LBB66_1743
.LBB66_2082:
	v_add_f32_e64 v5, 0x46000000, |v4|
	s_andn2_b32 s6, s6, exec_lo
	v_and_b32_e32 v5, 0xff, v5
	v_cmp_ne_u32_e32 vcc_lo, 0, v5
	s_and_b32 s11, vcc_lo, exec_lo
	s_or_b32 s6, s6, s11
	s_or_b32 exec_lo, exec_lo, s10
	v_mov_b32_e32 v6, 0
	s_and_saveexec_b32 s10, s6
	s_cbranch_execnz .LBB66_1744
	s_branch .LBB66_1745
.LBB66_2083:
	s_or_b32 s5, s5, exec_lo
	s_trap 2
	s_cbranch_execz .LBB66_1791
	s_branch .LBB66_1792
.LBB66_2084:
	s_andn2_saveexec_b32 s6, s6
	s_cbranch_execz .LBB66_1756
.LBB66_2085:
	v_add_f32_e64 v5, 0x42800000, |v4|
	s_andn2_b32 s3, s3, exec_lo
	v_and_b32_e32 v5, 0xff, v5
	v_cmp_ne_u32_e32 vcc_lo, 0, v5
	s_and_b32 s10, vcc_lo, exec_lo
	s_or_b32 s3, s3, s10
	s_or_b32 exec_lo, exec_lo, s6
	v_mov_b32_e32 v6, 0
	s_and_saveexec_b32 s6, s3
	s_cbranch_execnz .LBB66_1757
	s_branch .LBB66_1758
.LBB66_2086:
	s_andn2_saveexec_b32 s10, s10
	s_cbranch_execz .LBB66_1862
.LBB66_2087:
	v_add_f32_e64 v5, 0x46000000, |v4|
	s_andn2_b32 s6, s6, exec_lo
	v_and_b32_e32 v5, 0xff, v5
	v_cmp_ne_u32_e32 vcc_lo, 0, v5
	s_and_b32 s11, vcc_lo, exec_lo
	s_or_b32 s6, s6, s11
	s_or_b32 exec_lo, exec_lo, s10
	v_mov_b32_e32 v6, 0
	s_and_saveexec_b32 s10, s6
	s_cbranch_execnz .LBB66_1863
	s_branch .LBB66_1864
.LBB66_2088:
	s_or_b32 s5, s5, exec_lo
	s_trap 2
	s_cbranch_execz .LBB66_1910
	s_branch .LBB66_1911
.LBB66_2089:
	s_andn2_saveexec_b32 s6, s6
	s_cbranch_execz .LBB66_1875
.LBB66_2090:
	v_add_f32_e64 v5, 0x42800000, |v4|
	s_andn2_b32 s3, s3, exec_lo
	v_and_b32_e32 v5, 0xff, v5
	v_cmp_ne_u32_e32 vcc_lo, 0, v5
	s_and_b32 s10, vcc_lo, exec_lo
	s_or_b32 s3, s3, s10
	s_or_b32 exec_lo, exec_lo, s6
	v_mov_b32_e32 v6, 0
	s_and_saveexec_b32 s6, s3
	s_cbranch_execnz .LBB66_1876
	s_branch .LBB66_1877
.LBB66_2091:
	s_andn2_saveexec_b32 s6, s6
	s_cbranch_execz .LBB66_1982
.LBB66_2092:
	v_add_f32_e64 v4, 0x46000000, |v2|
	s_andn2_b32 s4, s4, exec_lo
	v_and_b32_e32 v4, 0xff, v4
	v_cmp_ne_u32_e32 vcc_lo, 0, v4
	s_and_b32 s8, vcc_lo, exec_lo
	s_or_b32 s4, s4, s8
	s_or_b32 exec_lo, exec_lo, s6
	v_mov_b32_e32 v5, 0
	s_and_saveexec_b32 s6, s4
	s_cbranch_execnz .LBB66_1983
	s_branch .LBB66_1984
.LBB66_2093:
	s_mov_b32 s2, 0
	s_or_b32 s5, s5, exec_lo
	s_trap 2
	s_branch .LBB66_2028
.LBB66_2094:
	s_andn2_saveexec_b32 s4, s4
	s_cbranch_execz .LBB66_1994
.LBB66_2095:
	v_add_f32_e64 v4, 0x42800000, |v2|
	s_andn2_b32 s3, s3, exec_lo
	v_and_b32_e32 v4, 0xff, v4
	v_cmp_ne_u32_e32 vcc_lo, 0, v4
	s_and_b32 s6, vcc_lo, exec_lo
	s_or_b32 s3, s3, s6
	s_or_b32 exec_lo, exec_lo, s4
	v_mov_b32_e32 v5, 0
	s_and_saveexec_b32 s4, s3
	s_cbranch_execnz .LBB66_1995
	s_branch .LBB66_1996
	.section	.rodata,"a",@progbits
	.p2align	6, 0x0
	.amdhsa_kernel _ZN2at6native32elementwise_kernel_manual_unrollILi128ELi4EZNS0_15gpu_kernel_implIZZZNS0_20trigamma_kernel_cudaERNS_18TensorIteratorBaseEENKUlvE_clEvENKUlvE1_clEvEUlN3c104HalfEE_EEvS4_RKT_EUlibE_EEviT1_
		.amdhsa_group_segment_fixed_size 0
		.amdhsa_private_segment_fixed_size 0
		.amdhsa_kernarg_size 40
		.amdhsa_user_sgpr_count 6
		.amdhsa_user_sgpr_private_segment_buffer 1
		.amdhsa_user_sgpr_dispatch_ptr 0
		.amdhsa_user_sgpr_queue_ptr 0
		.amdhsa_user_sgpr_kernarg_segment_ptr 1
		.amdhsa_user_sgpr_dispatch_id 0
		.amdhsa_user_sgpr_flat_scratch_init 0
		.amdhsa_user_sgpr_private_segment_size 0
		.amdhsa_wavefront_size32 1
		.amdhsa_uses_dynamic_stack 0
		.amdhsa_system_sgpr_private_segment_wavefront_offset 0
		.amdhsa_system_sgpr_workgroup_id_x 1
		.amdhsa_system_sgpr_workgroup_id_y 0
		.amdhsa_system_sgpr_workgroup_id_z 0
		.amdhsa_system_sgpr_workgroup_info 0
		.amdhsa_system_vgpr_workitem_id 0
		.amdhsa_next_free_vgpr 45
		.amdhsa_next_free_sgpr 26
		.amdhsa_reserve_vcc 1
		.amdhsa_reserve_flat_scratch 0
		.amdhsa_float_round_mode_32 0
		.amdhsa_float_round_mode_16_64 0
		.amdhsa_float_denorm_mode_32 3
		.amdhsa_float_denorm_mode_16_64 3
		.amdhsa_dx10_clamp 1
		.amdhsa_ieee_mode 1
		.amdhsa_fp16_overflow 0
		.amdhsa_workgroup_processor_mode 1
		.amdhsa_memory_ordered 1
		.amdhsa_forward_progress 1
		.amdhsa_shared_vgpr_count 0
		.amdhsa_exception_fp_ieee_invalid_op 0
		.amdhsa_exception_fp_denorm_src 0
		.amdhsa_exception_fp_ieee_div_zero 0
		.amdhsa_exception_fp_ieee_overflow 0
		.amdhsa_exception_fp_ieee_underflow 0
		.amdhsa_exception_fp_ieee_inexact 0
		.amdhsa_exception_int_div_zero 0
	.end_amdhsa_kernel
	.section	.text._ZN2at6native32elementwise_kernel_manual_unrollILi128ELi4EZNS0_15gpu_kernel_implIZZZNS0_20trigamma_kernel_cudaERNS_18TensorIteratorBaseEENKUlvE_clEvENKUlvE1_clEvEUlN3c104HalfEE_EEvS4_RKT_EUlibE_EEviT1_,"axG",@progbits,_ZN2at6native32elementwise_kernel_manual_unrollILi128ELi4EZNS0_15gpu_kernel_implIZZZNS0_20trigamma_kernel_cudaERNS_18TensorIteratorBaseEENKUlvE_clEvENKUlvE1_clEvEUlN3c104HalfEE_EEvS4_RKT_EUlibE_EEviT1_,comdat
.Lfunc_end66:
	.size	_ZN2at6native32elementwise_kernel_manual_unrollILi128ELi4EZNS0_15gpu_kernel_implIZZZNS0_20trigamma_kernel_cudaERNS_18TensorIteratorBaseEENKUlvE_clEvENKUlvE1_clEvEUlN3c104HalfEE_EEvS4_RKT_EUlibE_EEviT1_, .Lfunc_end66-_ZN2at6native32elementwise_kernel_manual_unrollILi128ELi4EZNS0_15gpu_kernel_implIZZZNS0_20trigamma_kernel_cudaERNS_18TensorIteratorBaseEENKUlvE_clEvENKUlvE1_clEvEUlN3c104HalfEE_EEvS4_RKT_EUlibE_EEviT1_
                                        ; -- End function
	.set _ZN2at6native32elementwise_kernel_manual_unrollILi128ELi4EZNS0_15gpu_kernel_implIZZZNS0_20trigamma_kernel_cudaERNS_18TensorIteratorBaseEENKUlvE_clEvENKUlvE1_clEvEUlN3c104HalfEE_EEvS4_RKT_EUlibE_EEviT1_.num_vgpr, 45
	.set _ZN2at6native32elementwise_kernel_manual_unrollILi128ELi4EZNS0_15gpu_kernel_implIZZZNS0_20trigamma_kernel_cudaERNS_18TensorIteratorBaseEENKUlvE_clEvENKUlvE1_clEvEUlN3c104HalfEE_EEvS4_RKT_EUlibE_EEviT1_.num_agpr, 0
	.set _ZN2at6native32elementwise_kernel_manual_unrollILi128ELi4EZNS0_15gpu_kernel_implIZZZNS0_20trigamma_kernel_cudaERNS_18TensorIteratorBaseEENKUlvE_clEvENKUlvE1_clEvEUlN3c104HalfEE_EEvS4_RKT_EUlibE_EEviT1_.numbered_sgpr, 26
	.set _ZN2at6native32elementwise_kernel_manual_unrollILi128ELi4EZNS0_15gpu_kernel_implIZZZNS0_20trigamma_kernel_cudaERNS_18TensorIteratorBaseEENKUlvE_clEvENKUlvE1_clEvEUlN3c104HalfEE_EEvS4_RKT_EUlibE_EEviT1_.num_named_barrier, 0
	.set _ZN2at6native32elementwise_kernel_manual_unrollILi128ELi4EZNS0_15gpu_kernel_implIZZZNS0_20trigamma_kernel_cudaERNS_18TensorIteratorBaseEENKUlvE_clEvENKUlvE1_clEvEUlN3c104HalfEE_EEvS4_RKT_EUlibE_EEviT1_.private_seg_size, 0
	.set _ZN2at6native32elementwise_kernel_manual_unrollILi128ELi4EZNS0_15gpu_kernel_implIZZZNS0_20trigamma_kernel_cudaERNS_18TensorIteratorBaseEENKUlvE_clEvENKUlvE1_clEvEUlN3c104HalfEE_EEvS4_RKT_EUlibE_EEviT1_.uses_vcc, 1
	.set _ZN2at6native32elementwise_kernel_manual_unrollILi128ELi4EZNS0_15gpu_kernel_implIZZZNS0_20trigamma_kernel_cudaERNS_18TensorIteratorBaseEENKUlvE_clEvENKUlvE1_clEvEUlN3c104HalfEE_EEvS4_RKT_EUlibE_EEviT1_.uses_flat_scratch, 0
	.set _ZN2at6native32elementwise_kernel_manual_unrollILi128ELi4EZNS0_15gpu_kernel_implIZZZNS0_20trigamma_kernel_cudaERNS_18TensorIteratorBaseEENKUlvE_clEvENKUlvE1_clEvEUlN3c104HalfEE_EEvS4_RKT_EUlibE_EEviT1_.has_dyn_sized_stack, 0
	.set _ZN2at6native32elementwise_kernel_manual_unrollILi128ELi4EZNS0_15gpu_kernel_implIZZZNS0_20trigamma_kernel_cudaERNS_18TensorIteratorBaseEENKUlvE_clEvENKUlvE1_clEvEUlN3c104HalfEE_EEvS4_RKT_EUlibE_EEviT1_.has_recursion, 0
	.set _ZN2at6native32elementwise_kernel_manual_unrollILi128ELi4EZNS0_15gpu_kernel_implIZZZNS0_20trigamma_kernel_cudaERNS_18TensorIteratorBaseEENKUlvE_clEvENKUlvE1_clEvEUlN3c104HalfEE_EEvS4_RKT_EUlibE_EEviT1_.has_indirect_call, 0
	.section	.AMDGPU.csdata,"",@progbits
; Kernel info:
; codeLenInByte = 48388
; TotalNumSgprs: 28
; NumVgprs: 45
; ScratchSize: 0
; MemoryBound: 0
; FloatMode: 240
; IeeeMode: 1
; LDSByteSize: 0 bytes/workgroup (compile time only)
; SGPRBlocks: 0
; VGPRBlocks: 5
; NumSGPRsForWavesPerEU: 28
; NumVGPRsForWavesPerEU: 45
; Occupancy: 16
; WaveLimiterHint : 0
; COMPUTE_PGM_RSRC2:SCRATCH_EN: 0
; COMPUTE_PGM_RSRC2:USER_SGPR: 6
; COMPUTE_PGM_RSRC2:TRAP_HANDLER: 0
; COMPUTE_PGM_RSRC2:TGID_X_EN: 1
; COMPUTE_PGM_RSRC2:TGID_Y_EN: 0
; COMPUTE_PGM_RSRC2:TGID_Z_EN: 0
; COMPUTE_PGM_RSRC2:TIDIG_COMP_CNT: 0
	.section	.text._ZN2at6native32elementwise_kernel_manual_unrollILi128ELi4EZNS0_15gpu_kernel_implIZZZNS0_20trigamma_kernel_cudaERNS_18TensorIteratorBaseEENKUlvE_clEvENKUlvE1_clEvEUlN3c104HalfEE_EEvS4_RKT_EUlibE0_EEviT1_,"axG",@progbits,_ZN2at6native32elementwise_kernel_manual_unrollILi128ELi4EZNS0_15gpu_kernel_implIZZZNS0_20trigamma_kernel_cudaERNS_18TensorIteratorBaseEENKUlvE_clEvENKUlvE1_clEvEUlN3c104HalfEE_EEvS4_RKT_EUlibE0_EEviT1_,comdat
	.globl	_ZN2at6native32elementwise_kernel_manual_unrollILi128ELi4EZNS0_15gpu_kernel_implIZZZNS0_20trigamma_kernel_cudaERNS_18TensorIteratorBaseEENKUlvE_clEvENKUlvE1_clEvEUlN3c104HalfEE_EEvS4_RKT_EUlibE0_EEviT1_ ; -- Begin function _ZN2at6native32elementwise_kernel_manual_unrollILi128ELi4EZNS0_15gpu_kernel_implIZZZNS0_20trigamma_kernel_cudaERNS_18TensorIteratorBaseEENKUlvE_clEvENKUlvE1_clEvEUlN3c104HalfEE_EEvS4_RKT_EUlibE0_EEviT1_
	.p2align	8
	.type	_ZN2at6native32elementwise_kernel_manual_unrollILi128ELi4EZNS0_15gpu_kernel_implIZZZNS0_20trigamma_kernel_cudaERNS_18TensorIteratorBaseEENKUlvE_clEvENKUlvE1_clEvEUlN3c104HalfEE_EEvS4_RKT_EUlibE0_EEviT1_,@function
_ZN2at6native32elementwise_kernel_manual_unrollILi128ELi4EZNS0_15gpu_kernel_implIZZZNS0_20trigamma_kernel_cudaERNS_18TensorIteratorBaseEENKUlvE_clEvENKUlvE1_clEvEUlN3c104HalfEE_EEvS4_RKT_EUlibE0_EEviT1_: ; @_ZN2at6native32elementwise_kernel_manual_unrollILi128ELi4EZNS0_15gpu_kernel_implIZZZNS0_20trigamma_kernel_cudaERNS_18TensorIteratorBaseEENKUlvE_clEvENKUlvE1_clEvEUlN3c104HalfEE_EEvS4_RKT_EUlibE0_EEviT1_
; %bb.0:
	s_clause 0x1
	s_load_dword s24, s[4:5], 0x8
	s_load_dword s33, s[4:5], 0x0
	v_lshl_or_b32 v8, s6, 9, v0
	s_add_u32 s6, s4, 8
	s_addc_u32 s7, s5, 0
	s_mov_b32 s1, -1
	s_mov_b32 s26, 0
	v_or_b32_e32 v15, 0x180, v8
	s_mov_b32 s12, 0
	s_mov_b32 s0, exec_lo
	s_waitcnt lgkmcnt(0)
	s_add_i32 s25, s24, -1
	s_cmp_gt_u32 s25, 1
	s_cselect_b32 s27, -1, 0
	v_cmpx_le_i32_e64 s33, v15
	s_xor_b32 s28, exec_lo, s0
	s_cbranch_execz .LBB67_1113
; %bb.1:
	v_mov_b32_e32 v0, 0
	s_clause 0x3
	s_load_dwordx4 s[16:19], s[6:7], 0x4
	s_load_dwordx2 s[20:21], s[6:7], 0x14
	s_load_dwordx4 s[12:15], s[6:7], 0xc4
	s_load_dwordx4 s[8:11], s[6:7], 0x148
	s_cmp_lg_u32 s24, 0
	s_mov_b32 s39, 0
	s_cselect_b32 s34, -1, 0
	global_load_ushort v0, v0, s[6:7] offset:345
	s_add_u32 s22, s6, 0xc4
	s_addc_u32 s23, s7, 0
	s_min_u32 s35, s25, 15
	s_cmp_gt_u32 s24, 1
	s_mov_b32 s37, 0
	s_cselect_b32 s31, -1, 0
	s_mov_b32 s36, 0
	s_mov_b32 s38, exec_lo
	s_waitcnt vmcnt(0)
	v_readfirstlane_b32 s29, v0
	s_and_b32 s0, 0xffff, s29
	s_lshr_b32 s30, s0, 8
	v_cmpx_gt_i32_e64 s33, v8
	s_cbranch_execz .LBB67_272
; %bb.2:
	s_andn2_b32 vcc_lo, exec_lo, s27
	s_cbranch_vccnz .LBB67_7
; %bb.3:
	s_andn2_b32 vcc_lo, exec_lo, s34
	s_cbranch_vccnz .LBB67_8
; %bb.4:
	s_add_i32 s37, s35, 1
	s_cmp_eq_u32 s25, 2
	s_cbranch_scc1 .LBB67_9
; %bb.5:
	v_mov_b32_e32 v2, 0
	v_mov_b32_e32 v0, 0
	;; [unrolled: 1-line block ×3, first 2 shown]
	s_and_b32 s36, s37, 28
	s_mov_b32 s40, 0
	s_mov_b64 s[0:1], s[6:7]
	s_mov_b64 s[2:3], s[22:23]
.LBB67_6:                               ; =>This Inner Loop Header: Depth=1
	s_clause 0x1
	s_load_dwordx8 s[44:51], s[0:1], 0x4
	s_load_dwordx4 s[60:63], s[0:1], 0x24
	s_load_dwordx8 s[52:59], s[2:3], 0x0
	s_add_u32 s0, s0, 48
	s_addc_u32 s1, s1, 0
	s_add_i32 s40, s40, 4
	s_add_u32 s2, s2, 32
	s_addc_u32 s3, s3, 0
	s_cmp_lg_u32 s36, s40
	s_waitcnt lgkmcnt(0)
	v_mul_hi_u32 v3, s45, v1
	v_add_nc_u32_e32 v3, v1, v3
	v_lshrrev_b32_e32 v3, s46, v3
	v_mul_hi_u32 v4, s48, v3
	v_mul_lo_u32 v6, v3, s44
	v_add_nc_u32_e32 v4, v3, v4
	v_sub_nc_u32_e32 v1, v1, v6
	v_lshrrev_b32_e32 v4, s49, v4
	v_mul_lo_u32 v6, v1, s52
	v_mul_lo_u32 v9, v1, s53
	v_mul_hi_u32 v5, s51, v4
	v_add_nc_u32_e32 v5, v4, v5
	v_lshrrev_b32_e32 v5, s60, v5
	v_mul_hi_u32 v7, s62, v5
	v_mul_lo_u32 v10, v5, s50
	v_add_nc_u32_e32 v1, v5, v7
	v_mul_lo_u32 v7, v4, s47
	v_sub_nc_u32_e32 v4, v4, v10
	v_lshrrev_b32_e32 v1, s63, v1
	v_mul_lo_u32 v10, v4, s56
	v_mul_lo_u32 v4, v4, s57
	v_sub_nc_u32_e32 v3, v3, v7
	v_mul_lo_u32 v11, v1, s61
	v_mul_lo_u32 v7, v3, s54
	;; [unrolled: 1-line block ×3, first 2 shown]
	v_sub_nc_u32_e32 v5, v5, v11
	v_add3_u32 v0, v6, v0, v7
	v_mul_lo_u32 v11, v5, s58
	v_mul_lo_u32 v5, v5, s59
	v_add3_u32 v2, v9, v2, v3
	v_add3_u32 v0, v10, v0, v11
	;; [unrolled: 1-line block ×3, first 2 shown]
	s_cbranch_scc1 .LBB67_6
	s_branch .LBB67_10
.LBB67_7:
                                        ; implicit-def: $vgpr0
                                        ; implicit-def: $vgpr2
	s_branch .LBB67_14
.LBB67_8:
	v_mov_b32_e32 v0, 0
	v_mov_b32_e32 v2, 0
	s_branch .LBB67_13
.LBB67_9:
	v_mov_b32_e32 v0, 0
	v_mov_b32_e32 v2, 0
	;; [unrolled: 1-line block ×3, first 2 shown]
.LBB67_10:
	s_and_b32 s37, s37, 3
	s_cmp_eq_u32 s37, 0
	s_cbranch_scc1 .LBB67_13
; %bb.11:
	s_lshl_b32 s0, s36, 3
	s_mul_i32 s2, s36, 12
	s_add_u32 s0, s6, s0
	s_addc_u32 s1, s7, 0
	s_add_u32 s0, s0, 0xc4
	s_addc_u32 s1, s1, 0
	;; [unrolled: 2-line block ×3, first 2 shown]
	.p2align	6
.LBB67_12:                              ; =>This Inner Loop Header: Depth=1
	s_clause 0x1
	s_load_dwordx2 s[40:41], s[2:3], 0x4
	s_load_dword s36, s[2:3], 0xc
	s_load_dwordx2 s[42:43], s[0:1], 0x0
	s_add_u32 s2, s2, 12
	s_addc_u32 s3, s3, 0
	s_add_u32 s0, s0, 8
	s_addc_u32 s1, s1, 0
	s_add_i32 s37, s37, -1
	s_cmp_lg_u32 s37, 0
	s_waitcnt lgkmcnt(0)
	v_mul_hi_u32 v3, s41, v1
	v_add_nc_u32_e32 v3, v1, v3
	v_lshrrev_b32_e32 v4, s36, v3
	v_mul_lo_u32 v3, v4, s40
	v_sub_nc_u32_e32 v3, v1, v3
	v_mad_u64_u32 v[0:1], null, v3, s42, v[0:1]
	v_mad_u64_u32 v[2:3], null, v3, s43, v[2:3]
	v_mov_b32_e32 v1, v4
	s_cbranch_scc1 .LBB67_12
.LBB67_13:
	s_cbranch_execnz .LBB67_16
.LBB67_14:
	s_waitcnt lgkmcnt(0)
	v_mul_hi_u32 v0, s17, v8
	s_andn2_b32 vcc_lo, exec_lo, s31
	v_add_nc_u32_e32 v0, v8, v0
	v_lshrrev_b32_e32 v1, s18, v0
	v_mul_lo_u32 v0, v1, s16
	v_sub_nc_u32_e32 v2, v8, v0
	v_mul_lo_u32 v0, v2, s12
	v_mul_lo_u32 v2, v2, s13
	s_cbranch_vccnz .LBB67_16
; %bb.15:
	v_mul_hi_u32 v3, s20, v1
	v_add_nc_u32_e32 v3, v1, v3
	v_lshrrev_b32_e32 v3, s21, v3
	v_mul_lo_u32 v3, v3, s19
	v_sub_nc_u32_e32 v3, v1, v3
	v_mad_u64_u32 v[0:1], null, v3, s14, v[0:1]
	v_mad_u64_u32 v[2:3], null, v3, s15, v[2:3]
.LBB67_16:
	s_waitcnt lgkmcnt(0)
	v_add_co_u32 v1, s0, s10, v2
	v_add_co_ci_u32_e64 v2, null, s11, 0, s0
	s_and_b32 s0, 0xffff, s30
	s_cmp_lt_i32 s0, 11
	s_cbranch_scc1 .LBB67_23
; %bb.17:
	s_cmp_gt_i32 s0, 25
	s_cbranch_scc0 .LBB67_38
; %bb.18:
	s_cmp_gt_i32 s0, 28
	s_cbranch_scc0 .LBB67_41
; %bb.19:
	s_cmp_gt_i32 s0, 43
	s_cbranch_scc0 .LBB67_43
; %bb.20:
	s_cmp_gt_i32 s0, 45
	s_cbranch_scc0 .LBB67_45
; %bb.21:
	s_cmp_eq_u32 s0, 46
	s_mov_b32 s2, 0
	s_cbranch_scc0 .LBB67_47
; %bb.22:
	global_load_dword v3, v[1:2], off
	s_mov_b32 s1, -1
	s_mov_b32 s37, 0
	s_waitcnt vmcnt(0)
	v_lshlrev_b32_e32 v3, 16, v3
	v_cvt_f16_f32_e32 v3, v3
	s_branch .LBB67_49
.LBB67_23:
	s_mov_b32 s37, 0
	s_mov_b32 s1, 0
                                        ; implicit-def: $vgpr3
	s_cbranch_execnz .LBB67_222
.LBB67_24:
	s_andn2_b32 vcc_lo, exec_lo, s1
	s_cbranch_vccnz .LBB67_269
.LBB67_25:
	s_waitcnt vmcnt(0)
	v_cvt_f32_f16_e32 v1, v3
	v_cmp_gt_f16_e32 vcc_lo, 0.5, v3
	v_mov_b32_e32 v3, 0
	v_mov_b32_e32 v2, 1.0
	s_and_saveexec_b32 s2, vcc_lo
	s_cbranch_execz .LBB67_31
; %bb.26:
	v_mul_f32_e32 v2, 0x40490fdb, v1
                                        ; implicit-def: $vgpr5
                                        ; implicit-def: $vgpr4
	s_mov_b32 s1, exec_lo
	v_and_b32_e32 v3, 0x7fffffff, v2
	v_cmpx_ngt_f32_e64 0x48000000, |v2|
	s_xor_b32 s3, exec_lo, s1
	s_cbranch_execz .LBB67_28
; %bb.27:
	s_mov_b32 s0, 0x7fffff
	v_mov_b32_e32 v6, 0
	v_and_or_b32 v7, v3, s0, 0x800000
	v_lshrrev_b32_e32 v13, 23, v3
	v_mad_u64_u32 v[4:5], null, 0xfe5163ab, v7, 0
	v_add_nc_u32_e32 v14, 0xffffff88, v13
	v_cmp_lt_u32_e32 vcc_lo, 63, v14
	v_mad_u64_u32 v[9:10], null, 0x3c439041, v7, v[5:6]
	v_cndmask_b32_e64 v15, 0, 0xffffffc0, vcc_lo
	v_mov_b32_e32 v5, v10
	v_add_nc_u32_e32 v15, v15, v14
	v_mad_u64_u32 v[10:11], null, 0xdb629599, v7, v[5:6]
	v_cmp_lt_u32_e64 s0, 31, v15
	v_cndmask_b32_e64 v16, 0, 0xffffffe0, s0
	v_mov_b32_e32 v5, v11
	v_cndmask_b32_e32 v4, v10, v4, vcc_lo
	v_mad_u64_u32 v[11:12], null, 0xf534ddc0, v7, v[5:6]
	v_mov_b32_e32 v5, v12
	v_cndmask_b32_e32 v9, v11, v9, vcc_lo
	v_mad_u64_u32 v[12:13], null, 0xfc2757d1, v7, v[5:6]
	v_cndmask_b32_e64 v4, v9, v4, s0
	v_mov_b32_e32 v5, v13
	v_mad_u64_u32 v[13:14], null, 0x4e441529, v7, v[5:6]
	v_mov_b32_e32 v5, v14
	v_add_nc_u32_e32 v14, v16, v15
	v_cndmask_b32_e32 v15, v13, v11, vcc_lo
	v_mad_u64_u32 v[5:6], null, 0xa2f9836e, v7, v[5:6]
	v_cmp_lt_u32_e64 s1, 31, v14
	v_cndmask_b32_e64 v7, 0, 0xffffffe0, s1
	v_cndmask_b32_e32 v5, v5, v12, vcc_lo
	v_cndmask_b32_e32 v6, v6, v13, vcc_lo
	;; [unrolled: 1-line block ×3, first 2 shown]
	v_add_nc_u32_e32 v7, v7, v14
	v_cndmask_b32_e64 v11, v5, v15, s0
	v_cndmask_b32_e64 v5, v6, v5, s0
	;; [unrolled: 1-line block ×4, first 2 shown]
	v_sub_nc_u32_e32 v13, 32, v7
	v_cmp_eq_u32_e32 vcc_lo, 0, v7
	v_cndmask_b32_e64 v5, v5, v11, s1
	v_cndmask_b32_e64 v11, v11, v6, s1
	;; [unrolled: 1-line block ×4, first 2 shown]
	v_alignbit_b32 v14, v5, v11, v13
	v_alignbit_b32 v10, v11, v6, v13
	v_alignbit_b32 v12, v6, v4, v13
	v_cndmask_b32_e32 v5, v14, v5, vcc_lo
	v_cndmask_b32_e32 v7, v10, v11, vcc_lo
	;; [unrolled: 1-line block ×3, first 2 shown]
	v_bfe_u32 v9, v5, 29, 1
	v_alignbit_b32 v10, v5, v7, 30
	v_alignbit_b32 v7, v7, v6, 30
	;; [unrolled: 1-line block ×3, first 2 shown]
	v_sub_nc_u32_e32 v11, 0, v9
	v_xor_b32_e32 v10, v10, v11
	v_xor_b32_e32 v6, v7, v11
	v_xor_b32_e32 v4, v4, v11
	v_lshrrev_b32_e32 v11, 29, v5
	v_lshrrev_b32_e32 v5, 30, v5
	v_ffbh_u32_e32 v12, v10
	v_add_nc_u32_e32 v5, v9, v5
	v_min_u32_e32 v12, 32, v12
	v_sub_nc_u32_e32 v7, 31, v12
	v_lshlrev_b32_e32 v13, 23, v12
	v_alignbit_b32 v10, v10, v6, v7
	v_alignbit_b32 v4, v6, v4, v7
	v_lshlrev_b32_e32 v6, 31, v11
	v_alignbit_b32 v7, v10, v4, 9
	v_or_b32_e32 v11, 0.5, v6
	v_lshrrev_b32_e32 v10, 9, v10
	v_or_b32_e32 v6, 0x33000000, v6
	v_ffbh_u32_e32 v14, v7
	v_sub_nc_u32_e32 v11, v11, v13
	v_min_u32_e32 v13, 32, v14
	v_or_b32_e32 v10, v10, v11
	v_not_b32_e32 v11, v13
	v_mul_f32_e32 v14, 0x3fc90fda, v10
	v_add_lshl_u32 v12, v13, v12, 23
	v_alignbit_b32 v4, v7, v4, v11
	v_fma_f32 v7, 0x3fc90fda, v10, -v14
	v_sub_nc_u32_e32 v6, v6, v12
	v_lshrrev_b32_e32 v4, 9, v4
	v_fmamk_f32 v7, v10, 0x33a22168, v7
	v_or_b32_e32 v4, v6, v4
	v_fmac_f32_e32 v7, 0x3fc90fda, v4
	v_add_f32_e32 v4, v14, v7
.LBB67_28:
	s_andn2_saveexec_b32 s0, s3
; %bb.29:
	v_mul_f32_e64 v4, 0x3f22f983, |v2|
	v_rndne_f32_e32 v5, v4
	v_fma_f32 v4, 0xbfc90fda, v5, |v2|
	v_fmamk_f32 v4, v5, 0xb3a22168, v4
	v_fmamk_f32 v4, v5, 0xa7c234c4, v4
	v_cvt_i32_f32_e32 v5, v5
; %bb.30:
	s_or_b32 exec_lo, exec_lo, s0
	v_mul_f32_e32 v6, v4, v4
	s_mov_b32 s0, 0xb94c1982
	s_mov_b32 s1, 0x37d75334
	v_and_b32_e32 v10, 1, v5
	v_lshlrev_b32_e32 v5, 30, v5
	v_fmaak_f32 v7, s0, v6, 0x3c0881c4
	v_fmaak_f32 v9, s1, v6, 0xbab64f3b
	v_xor_b32_e32 v3, v3, v2
	v_cmp_eq_u32_e32 vcc_lo, 0, v10
	v_and_b32_e32 v5, 0x80000000, v5
	v_fmaak_f32 v7, v6, v7, 0xbe2aaa9d
	v_fmaak_f32 v9, v6, v9, 0x3d2aabf7
	v_sub_f32_e32 v1, 1.0, v1
	v_mul_f32_e32 v7, v6, v7
	v_fmaak_f32 v9, v6, v9, 0xbf000004
	v_fmac_f32_e32 v4, v4, v7
	v_fma_f32 v6, v6, v9, 1.0
	v_cndmask_b32_e32 v4, v6, v4, vcc_lo
	v_cmp_class_f32_e64 vcc_lo, v2, 0x1f8
	v_xor3_b32 v3, v3, v5, v4
	v_cndmask_b32_e32 v2, 0x7fc00000, v3, vcc_lo
	v_mul_f32_e32 v2, v2, v2
	v_div_scale_f32 v3, null, v2, v2, 0xc11de9e7
	v_div_scale_f32 v6, vcc_lo, 0xc11de9e7, v2, 0xc11de9e7
	v_rcp_f32_e32 v4, v3
	v_fma_f32 v5, -v3, v4, 1.0
	v_fmac_f32_e32 v4, v5, v4
	v_mul_f32_e32 v5, v6, v4
	v_fma_f32 v7, -v3, v5, v6
	v_fmac_f32_e32 v5, v7, v4
	v_fma_f32 v3, -v3, v5, v6
	v_div_fmas_f32 v3, v3, v4, v5
	v_div_fixup_f32 v2, v3, v2, 0xc11de9e7
	v_add_f32_e32 v3, 0, v2
	v_mov_b32_e32 v2, -1.0
.LBB67_31:
	s_or_b32 exec_lo, exec_lo, s2
	v_add_f32_e32 v4, 1.0, v1
	v_mul_f32_e32 v1, v1, v1
	v_mul_f32_e32 v5, v4, v4
	v_add_f32_e32 v4, 1.0, v4
	v_div_scale_f32 v6, null, v1, v1, 1.0
	v_div_scale_f32 v9, vcc_lo, 1.0, v1, 1.0
	v_mul_f32_e32 v10, v4, v4
	v_div_scale_f32 v7, null, v5, v5, 1.0
	v_rcp_f32_e32 v11, v6
	v_div_scale_f32 v14, s0, 1.0, v5, 1.0
	v_div_scale_f32 v13, null, v10, v10, 1.0
	v_rcp_f32_e32 v12, v7
	v_add_f32_e32 v4, 1.0, v4
	v_div_scale_f32 v15, s1, 1.0, v10, 1.0
	v_rcp_f32_e32 v16, v13
	v_fma_f32 v18, -v6, v11, 1.0
	v_mul_f32_e32 v17, v4, v4
	v_add_f32_e32 v4, 1.0, v4
	v_fma_f32 v19, -v7, v12, 1.0
	v_fmac_f32_e32 v11, v18, v11
	v_mul_f32_e32 v21, v4, v4
	v_add_f32_e32 v4, 1.0, v4
	v_fma_f32 v18, -v13, v16, 1.0
	v_fmac_f32_e32 v12, v19, v12
	v_mul_f32_e32 v22, v9, v11
	v_div_scale_f32 v20, null, v17, v17, 1.0
	v_fmac_f32_e32 v16, v18, v16
	v_mul_f32_e32 v23, v14, v12
	v_fma_f32 v24, -v6, v22, v9
	v_add_f32_e32 v27, 1.0, v4
	v_rcp_f32_e32 v19, v20
	v_mul_f32_e32 v26, v15, v16
	v_fma_f32 v25, -v7, v23, v14
	v_fmac_f32_e32 v22, v24, v11
	v_mul_f32_e32 v4, v4, v4
	v_div_scale_f32 v18, null, v21, v21, 1.0
	v_fma_f32 v24, -v13, v26, v15
	v_fmac_f32_e32 v23, v25, v12
	v_fma_f32 v6, -v6, v22, v9
	v_mul_f32_e32 v9, v27, v27
	v_rcp_f32_e32 v25, v18
	v_fmac_f32_e32 v26, v24, v16
	v_fma_f32 v7, -v7, v23, v14
	v_div_fmas_f32 v6, v6, v11, v22
	s_mov_b32 vcc_lo, s0
	v_fma_f32 v28, -v20, v19, 1.0
	v_fma_f32 v11, -v13, v26, v15
	v_div_fmas_f32 v7, v7, v12, v23
	s_mov_b32 vcc_lo, s1
	v_div_scale_f32 v12, null, v4, v4, 1.0
	v_div_fmas_f32 v11, v11, v16, v26
	v_div_scale_f32 v13, null, v9, v9, 1.0
	v_add_f32_e32 v16, v27, v27
	v_rcp_f32_e32 v15, v12
	v_fmac_f32_e32 v19, v28, v19
	v_rcp_f32_e32 v23, v13
	v_div_scale_f32 v14, vcc_lo, 1.0, v17, 1.0
	v_div_scale_f32 v26, null, v16, v16, 1.0
	v_fma_f32 v22, -v18, v25, 1.0
	v_mul_f32_e32 v24, v14, v19
	v_div_fixup_f32 v1, v6, v1, 1.0
	v_rcp_f32_e32 v29, v26
	v_fma_f32 v28, -v12, v15, 1.0
	v_fmac_f32_e32 v25, v22, v25
	v_div_scale_f32 v22, s0, 1.0, v21, 1.0
	v_fma_f32 v31, -v13, v23, 1.0
	v_fma_f32 v30, -v20, v24, v14
	v_fmac_f32_e32 v15, v28, v15
	v_div_scale_f32 v28, s1, 1.0, v4, 1.0
	v_mul_f32_e32 v32, v22, v25
	v_fmac_f32_e32 v23, v31, v23
	v_div_scale_f32 v31, s2, 1.0, v9, 1.0
	v_fma_f32 v33, -v26, v29, 1.0
	v_fmac_f32_e32 v24, v30, v19
	v_mul_f32_e32 v34, v28, v15
	v_fma_f32 v30, -v18, v32, v22
	v_mul_f32_e32 v35, v31, v23
	v_fmac_f32_e32 v29, v33, v29
	v_div_scale_f32 v33, s3, 1.0, v16, 1.0
	v_fma_f32 v14, -v20, v24, v14
	v_fma_f32 v20, -v12, v34, v28
	v_fmac_f32_e32 v32, v30, v25
	v_fma_f32 v30, -v13, v35, v31
	v_mul_f32_e32 v36, v33, v29
	v_div_fmas_f32 v14, v14, v19, v24
	v_fmac_f32_e32 v34, v20, v15
	v_fma_f32 v18, -v18, v32, v22
	v_fmac_f32_e32 v35, v30, v23
	v_fma_f32 v19, -v26, v36, v33
	s_mov_b32 vcc_lo, s0
	v_fma_f32 v12, -v12, v34, v28
	v_div_fmas_f32 v18, v18, v25, v32
	v_fma_f32 v13, -v13, v35, v31
	v_fmac_f32_e32 v36, v19, v29
	s_mov_b32 vcc_lo, s1
	s_mov_b32 s0, 0xbcc30c31
	v_div_fmas_f32 v12, v12, v15, v34
	s_mov_b32 vcc_lo, s2
	v_fma_f32 v15, -v26, v36, v33
	v_div_fmas_f32 v13, v13, v23, v35
	s_mov_b32 vcc_lo, s3
	v_add_f32_e32 v1, v3, v1
	v_div_fixup_f32 v3, v7, v5, 1.0
	v_div_fmas_f32 v15, v15, v29, v36
	v_div_fixup_f32 v9, v13, v9, 1.0
	s_and_b32 s1, s29, 0xff
	v_add_f32_e32 v1, v1, v3
	v_div_fixup_f32 v13, v15, v16, 1.0
	v_fmaak_f32 v15, s0, v9, 0x3d088889
	v_div_fixup_f32 v3, v11, v10, 1.0
	v_add_co_u32 v0, s0, s8, v0
	v_add_f32_e32 v13, 1.0, v13
	v_fma_f32 v15, -v9, v15, 0x3e2aaaab
	v_add_f32_e32 v1, v1, v3
	v_div_fixup_f32 v3, v14, v17, 1.0
	s_cmp_lt_i32 s1, 11
	v_fmac_f32_e32 v13, v9, v15
	v_add_f32_e32 v1, v1, v3
	v_div_fixup_f32 v3, v18, v21, 1.0
	v_div_scale_f32 v9, null, v27, v27, v13
	v_div_scale_f32 v5, vcc_lo, v13, v27, v13
	v_add_f32_e32 v1, v1, v3
	v_rcp_f32_e32 v15, v9
	v_div_fixup_f32 v3, v12, v4, 1.0
	v_add_f32_e32 v1, v1, v3
	v_fma_f32 v6, -v9, v15, 1.0
	v_fmac_f32_e32 v15, v6, v15
	v_mul_f32_e32 v6, v5, v15
	v_fma_f32 v7, -v9, v6, v5
	v_fmac_f32_e32 v6, v7, v15
	v_fma_f32 v5, -v9, v6, v5
	v_div_fmas_f32 v4, v5, v15, v6
	v_div_fixup_f32 v3, v4, v27, v13
	v_add_f32_e32 v3, v1, v3
	v_add_co_ci_u32_e64 v1, null, s9, 0, s0
	v_fma_mixlo_f16 v2, v2, v3, 0
	s_cbranch_scc1 .LBB67_39
; %bb.32:
	s_and_b32 s2, 0xffff, s1
	s_cmp_gt_i32 s2, 25
	s_cbranch_scc0 .LBB67_42
; %bb.33:
	s_cmp_gt_i32 s2, 28
	s_cbranch_scc0 .LBB67_44
; %bb.34:
	;; [unrolled: 3-line block ×4, first 2 shown]
	s_mov_b32 s36, 0
	s_mov_b32 s0, -1
	s_cmp_eq_u32 s2, 46
	s_mov_b32 s3, 0
	s_cbranch_scc0 .LBB67_53
; %bb.37:
	v_cvt_f32_f16_e32 v3, v2
	v_cmp_o_f16_e32 vcc_lo, v2, v2
	s_mov_b32 s3, -1
	s_mov_b32 s0, 0
	v_bfe_u32 v4, v3, 16, 1
	v_add3_u32 v3, v3, v4, 0x7fff
	v_mov_b32_e32 v4, 0x7fc0
	v_cndmask_b32_sdwa v3, v4, v3, vcc_lo dst_sel:DWORD dst_unused:UNUSED_PAD src0_sel:DWORD src1_sel:WORD_1
	global_store_dword v[0:1], v3, off
	s_branch .LBB67_53
.LBB67_38:
	s_mov_b32 s37, 0
	s_mov_b32 s1, 0
                                        ; implicit-def: $vgpr3
	s_cbranch_execnz .LBB67_187
	s_branch .LBB67_221
.LBB67_39:
	s_mov_b32 s0, 0
	s_mov_b32 s3, 0
	s_cbranch_execnz .LBB67_122
.LBB67_40:
	s_andn2_b32 vcc_lo, exec_lo, s3
	s_cbranch_vccz .LBB67_160
	s_branch .LBB67_270
.LBB67_41:
	s_mov_b32 s2, -1
	s_mov_b32 s37, 0
	s_mov_b32 s1, 0
                                        ; implicit-def: $vgpr3
	s_branch .LBB67_168
.LBB67_42:
	s_mov_b32 s36, -1
	s_mov_b32 s0, 0
	s_mov_b32 s3, 0
	s_branch .LBB67_80
.LBB67_43:
	s_mov_b32 s2, -1
	s_mov_b32 s37, 0
	s_mov_b32 s1, 0
                                        ; implicit-def: $vgpr3
	s_branch .LBB67_163
.LBB67_44:
	s_mov_b32 s36, -1
	s_mov_b32 s0, 0
	s_mov_b32 s3, 0
	s_branch .LBB67_63
.LBB67_45:
	s_mov_b32 s2, -1
	s_mov_b32 s37, 0
	s_branch .LBB67_48
.LBB67_46:
	s_mov_b32 s36, -1
	s_mov_b32 s0, 0
	s_mov_b32 s3, 0
	s_branch .LBB67_59
.LBB67_47:
	s_mov_b32 s37, -1
.LBB67_48:
	s_mov_b32 s1, 0
                                        ; implicit-def: $vgpr3
.LBB67_49:
	s_and_b32 vcc_lo, exec_lo, s2
	s_cbranch_vccz .LBB67_162
; %bb.50:
	s_cmp_eq_u32 s0, 44
	s_cbranch_scc0 .LBB67_161
; %bb.51:
	global_load_ubyte v3, v[1:2], off
	s_mov_b32 s37, 0
	s_mov_b32 s1, -1
	s_waitcnt vmcnt(0)
	v_lshlrev_b32_e32 v4, 23, v3
	v_cmp_ne_u32_e32 vcc_lo, 0xff, v3
	v_cvt_f16_f32_e32 v4, v4
	v_cndmask_b32_e32 v4, 0x7e00, v4, vcc_lo
	v_cmp_ne_u32_e32 vcc_lo, 0, v3
	v_cndmask_b32_e32 v3, 0, v4, vcc_lo
	s_branch .LBB67_162
.LBB67_52:
	s_mov_b32 s36, -1
	s_mov_b32 s0, 0
	s_mov_b32 s3, 0
.LBB67_53:
	s_and_b32 vcc_lo, exec_lo, s36
	s_cbranch_vccz .LBB67_58
; %bb.54:
	s_cmp_eq_u32 s2, 44
	s_mov_b32 s0, -1
	s_cbranch_scc0 .LBB67_58
; %bb.55:
	v_cvt_f32_f16_e32 v3, v2
	v_mov_b32_e32 v4, 0xff
	s_mov_b32 s3, exec_lo
	v_bfe_u32 v5, v3, 23, 8
	v_cmpx_ne_u32_e32 0xff, v5
	s_cbranch_execz .LBB67_57
; %bb.56:
	v_and_b32_e32 v4, 0x400000, v3
	v_and_or_b32 v5, 0x3fffff, v3, v5
	v_lshrrev_b32_e32 v3, 23, v3
	v_cmp_ne_u32_e32 vcc_lo, 0, v4
	v_cmp_ne_u32_e64 s0, 0, v5
	s_and_b32 s0, vcc_lo, s0
	v_cndmask_b32_e64 v4, 0, 1, s0
	v_add_nc_u32_e32 v4, v3, v4
.LBB67_57:
	s_or_b32 exec_lo, exec_lo, s3
	s_mov_b32 s3, -1
	s_mov_b32 s0, 0
	global_store_byte v[0:1], v4, off
.LBB67_58:
	s_mov_b32 s36, 0
.LBB67_59:
	s_and_b32 vcc_lo, exec_lo, s36
	s_cbranch_vccz .LBB67_62
; %bb.60:
	s_cmp_eq_u32 s2, 29
	s_mov_b32 s0, -1
	s_cbranch_scc0 .LBB67_62
; %bb.61:
	v_cvt_f32_f16_e32 v3, v2
	v_mov_b32_e32 v4, 0
	s_mov_b32 s3, -1
	s_mov_b32 s0, 0
	s_mov_b32 s36, 0
	v_cvt_u32_f32_e32 v3, v3
	global_store_dwordx2 v[0:1], v[3:4], off
	s_branch .LBB67_63
.LBB67_62:
	s_mov_b32 s36, 0
.LBB67_63:
	s_and_b32 vcc_lo, exec_lo, s36
	s_cbranch_vccz .LBB67_79
; %bb.64:
	s_cmp_lt_i32 s2, 27
	s_mov_b32 s3, -1
	s_cbranch_scc1 .LBB67_70
; %bb.65:
	s_cmp_gt_i32 s2, 27
	s_cbranch_scc0 .LBB67_67
; %bb.66:
	v_cvt_f32_f16_e32 v3, v2
	s_mov_b32 s3, 0
	v_cvt_u32_f32_e32 v3, v3
	global_store_dword v[0:1], v3, off
.LBB67_67:
	s_andn2_b32 vcc_lo, exec_lo, s3
	s_cbranch_vccnz .LBB67_69
; %bb.68:
	v_cvt_u16_f16_e32 v3, v2
	global_store_short v[0:1], v3, off
.LBB67_69:
	s_mov_b32 s3, 0
.LBB67_70:
	s_andn2_b32 vcc_lo, exec_lo, s3
	s_cbranch_vccnz .LBB67_78
; %bb.71:
	v_cvt_f32_f16_e32 v3, v2
	v_mov_b32_e32 v5, 0x80
	s_mov_b32 s3, exec_lo
	v_and_b32_e32 v4, 0x7fffffff, v3
	v_cmpx_gt_u32_e32 0x43800000, v4
	s_cbranch_execz .LBB67_77
; %bb.72:
	v_cmp_lt_u32_e32 vcc_lo, 0x3bffffff, v4
	s_mov_b32 s36, 0
                                        ; implicit-def: $vgpr4
	s_and_saveexec_b32 s40, vcc_lo
	s_xor_b32 s40, exec_lo, s40
	s_cbranch_execz .LBB67_319
; %bb.73:
	v_bfe_u32 v4, v3, 20, 1
	s_mov_b32 s36, exec_lo
	v_add3_u32 v4, v3, v4, 0x487ffff
	v_lshrrev_b32_e32 v4, 20, v4
	s_andn2_saveexec_b32 s40, s40
	s_cbranch_execnz .LBB67_320
.LBB67_74:
	s_or_b32 exec_lo, exec_lo, s40
	v_mov_b32_e32 v5, 0
	s_and_saveexec_b32 s40, s36
.LBB67_75:
	v_lshrrev_b32_e32 v3, 24, v3
	v_and_or_b32 v5, 0x80, v3, v4
.LBB67_76:
	s_or_b32 exec_lo, exec_lo, s40
.LBB67_77:
	s_or_b32 exec_lo, exec_lo, s3
	global_store_byte v[0:1], v5, off
.LBB67_78:
	s_mov_b32 s3, -1
.LBB67_79:
	s_mov_b32 s36, 0
.LBB67_80:
	s_and_b32 vcc_lo, exec_lo, s36
	s_cbranch_vccz .LBB67_121
; %bb.81:
	s_cmp_gt_i32 s2, 22
	s_mov_b32 s36, -1
	s_cbranch_scc0 .LBB67_113
; %bb.82:
	s_cmp_lt_i32 s2, 24
	s_mov_b32 s3, -1
	s_cbranch_scc1 .LBB67_102
; %bb.83:
	s_cmp_gt_i32 s2, 24
	s_cbranch_scc0 .LBB67_91
; %bb.84:
	v_cvt_f32_f16_e32 v3, v2
	v_mov_b32_e32 v5, 0x80
	s_mov_b32 s3, exec_lo
	v_and_b32_e32 v4, 0x7fffffff, v3
	v_cmpx_gt_u32_e32 0x47800000, v4
	s_cbranch_execz .LBB67_90
; %bb.85:
	v_cmp_lt_u32_e32 vcc_lo, 0x37ffffff, v4
	s_mov_b32 s36, 0
                                        ; implicit-def: $vgpr4
	s_and_saveexec_b32 s40, vcc_lo
	s_xor_b32 s40, exec_lo, s40
	s_cbranch_execz .LBB67_323
; %bb.86:
	v_bfe_u32 v4, v3, 21, 1
	s_mov_b32 s36, exec_lo
	v_add3_u32 v4, v3, v4, 0x88fffff
	v_lshrrev_b32_e32 v4, 21, v4
	s_andn2_saveexec_b32 s40, s40
	s_cbranch_execnz .LBB67_324
.LBB67_87:
	s_or_b32 exec_lo, exec_lo, s40
	v_mov_b32_e32 v5, 0
	s_and_saveexec_b32 s40, s36
.LBB67_88:
	v_lshrrev_b32_e32 v3, 24, v3
	v_and_or_b32 v5, 0x80, v3, v4
.LBB67_89:
	s_or_b32 exec_lo, exec_lo, s40
.LBB67_90:
	s_or_b32 exec_lo, exec_lo, s3
	s_mov_b32 s3, 0
	global_store_byte v[0:1], v5, off
.LBB67_91:
	s_and_b32 vcc_lo, exec_lo, s3
	s_cbranch_vccz .LBB67_101
; %bb.92:
	v_cvt_f32_f16_e32 v3, v2
	s_mov_b32 s3, exec_lo
                                        ; implicit-def: $vgpr4
	v_and_b32_e32 v5, 0x7fffffff, v3
	v_cmpx_gt_u32_e32 0x43f00000, v5
	s_xor_b32 s3, exec_lo, s3
	s_cbranch_execz .LBB67_98
; %bb.93:
	s_mov_b32 s36, exec_lo
                                        ; implicit-def: $vgpr4
	v_cmpx_lt_u32_e32 0x3c7fffff, v5
	s_xor_b32 s36, exec_lo, s36
; %bb.94:
	v_bfe_u32 v4, v3, 20, 1
	v_add3_u32 v4, v3, v4, 0x407ffff
	v_and_b32_e32 v5, 0xff00000, v4
	v_lshrrev_b32_e32 v4, 20, v4
	v_cmp_ne_u32_e32 vcc_lo, 0x7f00000, v5
	v_cndmask_b32_e32 v4, 0x7e, v4, vcc_lo
; %bb.95:
	s_andn2_saveexec_b32 s36, s36
; %bb.96:
	v_add_f32_e64 v4, 0x46800000, |v3|
; %bb.97:
	s_or_b32 exec_lo, exec_lo, s36
                                        ; implicit-def: $vgpr5
.LBB67_98:
	s_andn2_saveexec_b32 s3, s3
; %bb.99:
	v_mov_b32_e32 v4, 0x7f
	v_cmp_lt_u32_e32 vcc_lo, 0x7f800000, v5
	v_cndmask_b32_e32 v4, 0x7e, v4, vcc_lo
; %bb.100:
	s_or_b32 exec_lo, exec_lo, s3
	v_lshrrev_b32_e32 v3, 24, v3
	v_and_or_b32 v3, 0x80, v3, v4
	global_store_byte v[0:1], v3, off
.LBB67_101:
	s_mov_b32 s3, 0
.LBB67_102:
	s_andn2_b32 vcc_lo, exec_lo, s3
	s_cbranch_vccnz .LBB67_112
; %bb.103:
	v_cvt_f32_f16_e32 v3, v2
	s_mov_b32 s3, exec_lo
                                        ; implicit-def: $vgpr4
	v_and_b32_e32 v5, 0x7fffffff, v3
	v_cmpx_gt_u32_e32 0x47800000, v5
	s_xor_b32 s3, exec_lo, s3
	s_cbranch_execz .LBB67_109
; %bb.104:
	s_mov_b32 s36, exec_lo
                                        ; implicit-def: $vgpr4
	v_cmpx_lt_u32_e32 0x387fffff, v5
	s_xor_b32 s36, exec_lo, s36
; %bb.105:
	v_bfe_u32 v4, v3, 21, 1
	v_add3_u32 v4, v3, v4, 0x80fffff
	v_lshrrev_b32_e32 v4, 21, v4
; %bb.106:
	s_andn2_saveexec_b32 s36, s36
; %bb.107:
	v_add_f32_e64 v4, 0x43000000, |v3|
; %bb.108:
	s_or_b32 exec_lo, exec_lo, s36
                                        ; implicit-def: $vgpr5
.LBB67_109:
	s_andn2_saveexec_b32 s3, s3
; %bb.110:
	v_mov_b32_e32 v4, 0x7f
	v_cmp_lt_u32_e32 vcc_lo, 0x7f800000, v5
	v_cndmask_b32_e32 v4, 0x7c, v4, vcc_lo
; %bb.111:
	s_or_b32 exec_lo, exec_lo, s3
	v_lshrrev_b32_e32 v3, 24, v3
	v_and_or_b32 v3, 0x80, v3, v4
	global_store_byte v[0:1], v3, off
.LBB67_112:
	s_mov_b32 s36, 0
	s_mov_b32 s3, -1
.LBB67_113:
	s_andn2_b32 vcc_lo, exec_lo, s36
	s_cbranch_vccnz .LBB67_121
; %bb.114:
	s_cmp_gt_i32 s2, 14
	s_mov_b32 s36, -1
	s_cbranch_scc0 .LBB67_118
; %bb.115:
	s_cmp_eq_u32 s2, 15
	s_mov_b32 s0, -1
	s_cbranch_scc0 .LBB67_117
; %bb.116:
	v_cvt_f32_f16_e32 v3, v2
	v_cmp_o_f16_e32 vcc_lo, v2, v2
	s_mov_b32 s3, -1
	s_mov_b32 s0, 0
	v_bfe_u32 v4, v3, 16, 1
	v_add3_u32 v3, v3, v4, 0x7fff
	v_mov_b32_e32 v4, 0x7fc0
	v_cndmask_b32_sdwa v3, v4, v3, vcc_lo dst_sel:DWORD dst_unused:UNUSED_PAD src0_sel:DWORD src1_sel:WORD_1
	global_store_short v[0:1], v3, off
.LBB67_117:
	s_mov_b32 s36, 0
.LBB67_118:
	s_and_b32 vcc_lo, exec_lo, s36
	s_cbranch_vccz .LBB67_121
; %bb.119:
	s_cmp_eq_u32 s2, 11
	s_mov_b32 s0, -1
	s_cbranch_scc0 .LBB67_121
; %bb.120:
	v_cmp_neq_f16_e32 vcc_lo, 0, v2
	s_mov_b32 s0, 0
	s_mov_b32 s3, -1
	v_cndmask_b32_e64 v3, 0, 1, vcc_lo
	global_store_byte v[0:1], v3, off
.LBB67_121:
	s_branch .LBB67_40
.LBB67_122:
	s_and_b32 s1, 0xffff, s1
	s_mov_b32 s2, -1
	s_cmp_lt_i32 s1, 5
	s_cbranch_scc1 .LBB67_143
; %bb.123:
	s_cmp_lt_i32 s1, 8
	s_cbranch_scc1 .LBB67_133
; %bb.124:
	;; [unrolled: 3-line block ×3, first 2 shown]
	s_cmp_gt_i32 s1, 9
	s_cbranch_scc0 .LBB67_127
; %bb.126:
	v_cvt_f32_f16_e32 v3, v2
	v_mov_b32_e32 v5, 0
	s_mov_b32 s2, 0
	v_cvt_f64_f32_e32 v[3:4], v3
	v_mov_b32_e32 v6, v5
	global_store_dwordx4 v[0:1], v[3:6], off
.LBB67_127:
	s_andn2_b32 vcc_lo, exec_lo, s2
	s_cbranch_vccnz .LBB67_129
; %bb.128:
	v_cvt_f32_f16_e32 v3, v2
	v_mov_b32_e32 v4, 0
	global_store_dwordx2 v[0:1], v[3:4], off
.LBB67_129:
	s_mov_b32 s2, 0
.LBB67_130:
	s_andn2_b32 vcc_lo, exec_lo, s2
	s_cbranch_vccnz .LBB67_132
; %bb.131:
	v_and_b32_e32 v3, 0xffff, v2
	global_store_dword v[0:1], v3, off
.LBB67_132:
	s_mov_b32 s2, 0
.LBB67_133:
	s_andn2_b32 vcc_lo, exec_lo, s2
	s_cbranch_vccnz .LBB67_142
; %bb.134:
	s_cmp_lt_i32 s1, 6
	s_mov_b32 s2, -1
	s_cbranch_scc1 .LBB67_140
; %bb.135:
	s_cmp_gt_i32 s1, 6
	s_cbranch_scc0 .LBB67_137
; %bb.136:
	v_cvt_f32_f16_e32 v3, v2
	s_mov_b32 s2, 0
	v_cvt_f64_f32_e32 v[3:4], v3
	global_store_dwordx2 v[0:1], v[3:4], off
.LBB67_137:
	s_andn2_b32 vcc_lo, exec_lo, s2
	s_cbranch_vccnz .LBB67_139
; %bb.138:
	v_cvt_f32_f16_e32 v3, v2
	global_store_dword v[0:1], v3, off
.LBB67_139:
	s_mov_b32 s2, 0
.LBB67_140:
	s_andn2_b32 vcc_lo, exec_lo, s2
	s_cbranch_vccnz .LBB67_142
; %bb.141:
	global_store_short v[0:1], v2, off
.LBB67_142:
	s_mov_b32 s2, 0
.LBB67_143:
	s_andn2_b32 vcc_lo, exec_lo, s2
	s_cbranch_vccnz .LBB67_159
; %bb.144:
	s_cmp_lt_i32 s1, 2
	s_mov_b32 s2, -1
	s_cbranch_scc1 .LBB67_154
; %bb.145:
	s_cmp_lt_i32 s1, 3
	s_cbranch_scc1 .LBB67_151
; %bb.146:
	s_cmp_gt_i32 s1, 3
	s_cbranch_scc0 .LBB67_148
; %bb.147:
	v_cvt_f32_f16_e32 v3, v2
	s_mov_b32 s2, 0
	v_cvt_i32_f32_e32 v3, v3
	v_ashrrev_i32_e32 v4, 31, v3
	global_store_dwordx2 v[0:1], v[3:4], off
.LBB67_148:
	s_andn2_b32 vcc_lo, exec_lo, s2
	s_cbranch_vccnz .LBB67_150
; %bb.149:
	v_cvt_f32_f16_e32 v3, v2
	v_cvt_i32_f32_e32 v3, v3
	global_store_dword v[0:1], v3, off
.LBB67_150:
	s_mov_b32 s2, 0
.LBB67_151:
	s_andn2_b32 vcc_lo, exec_lo, s2
	s_cbranch_vccnz .LBB67_153
; %bb.152:
	v_cvt_i16_f16_e32 v3, v2
	global_store_short v[0:1], v3, off
.LBB67_153:
	s_mov_b32 s2, 0
.LBB67_154:
	s_andn2_b32 vcc_lo, exec_lo, s2
	s_cbranch_vccnz .LBB67_159
; %bb.155:
	s_cmp_gt_i32 s1, 0
	s_mov_b32 s1, -1
	s_cbranch_scc0 .LBB67_157
; %bb.156:
	v_cvt_i16_f16_e32 v3, v2
	s_mov_b32 s1, 0
	global_store_byte v[0:1], v3, off
.LBB67_157:
	s_andn2_b32 vcc_lo, exec_lo, s1
	s_cbranch_vccnz .LBB67_159
; %bb.158:
	v_cvt_f32_f16_e32 v2, v2
	v_cvt_i32_f32_e32 v2, v2
	global_store_byte v[0:1], v2, off
.LBB67_159:
.LBB67_160:
	v_add_nc_u32_e32 v8, 0x80, v8
	s_mov_b32 s1, -1
	s_branch .LBB67_271
.LBB67_161:
	s_mov_b32 s37, -1
                                        ; implicit-def: $vgpr3
.LBB67_162:
	s_mov_b32 s2, 0
.LBB67_163:
	s_and_b32 vcc_lo, exec_lo, s2
	s_cbranch_vccz .LBB67_167
; %bb.164:
	s_cmp_eq_u32 s0, 29
	s_cbranch_scc0 .LBB67_166
; %bb.165:
	global_load_dwordx2 v[3:4], v[1:2], off
	s_mov_b32 s1, -1
	s_mov_b32 s37, 0
	s_mov_b32 s2, 0
	s_waitcnt vmcnt(0)
	v_ffbh_u32_e32 v5, v4
	v_min_u32_e32 v5, 32, v5
	v_lshlrev_b64 v[3:4], v5, v[3:4]
	v_min_u32_e32 v3, 1, v3
	v_or_b32_e32 v3, v4, v3
	v_sub_nc_u32_e32 v4, 32, v5
	v_cvt_f32_u32_e32 v3, v3
	v_ldexp_f32 v3, v3, v4
	v_cvt_f16_f32_e32 v3, v3
	s_branch .LBB67_168
.LBB67_166:
	s_mov_b32 s37, -1
                                        ; implicit-def: $vgpr3
.LBB67_167:
	s_mov_b32 s2, 0
.LBB67_168:
	s_and_b32 vcc_lo, exec_lo, s2
	s_cbranch_vccz .LBB67_186
; %bb.169:
	s_cmp_lt_i32 s0, 27
	s_cbranch_scc1 .LBB67_172
; %bb.170:
	s_cmp_gt_i32 s0, 27
	s_cbranch_scc0 .LBB67_173
; %bb.171:
	global_load_dword v3, v[1:2], off
	s_mov_b32 s1, 0
	s_waitcnt vmcnt(0)
	v_cvt_f32_u32_e32 v3, v3
	v_cvt_f16_f32_e32 v3, v3
	s_branch .LBB67_174
.LBB67_172:
	s_mov_b32 s1, -1
                                        ; implicit-def: $vgpr3
	s_branch .LBB67_177
.LBB67_173:
	s_mov_b32 s1, -1
                                        ; implicit-def: $vgpr3
.LBB67_174:
	s_andn2_b32 vcc_lo, exec_lo, s1
	s_cbranch_vccnz .LBB67_176
; %bb.175:
	global_load_ushort v3, v[1:2], off
	s_waitcnt vmcnt(0)
	v_cvt_f16_u16_e32 v3, v3
.LBB67_176:
	s_mov_b32 s1, 0
.LBB67_177:
	s_andn2_b32 vcc_lo, exec_lo, s1
	s_cbranch_vccnz .LBB67_185
; %bb.178:
	global_load_ubyte v4, v[1:2], off
	s_mov_b32 s1, 0
	s_mov_b32 s2, exec_lo
	s_waitcnt vmcnt(0)
	v_cmpx_lt_i16_e32 0x7f, v4
	s_xor_b32 s2, exec_lo, s2
	s_cbranch_execz .LBB67_198
; %bb.179:
	s_mov_b32 s1, -1
	s_mov_b32 s3, exec_lo
	v_cmpx_eq_u16_e32 0x80, v4
; %bb.180:
	s_xor_b32 s1, exec_lo, -1
; %bb.181:
	s_or_b32 exec_lo, exec_lo, s3
	s_and_b32 s1, s1, exec_lo
	s_or_saveexec_b32 s2, s2
	v_mov_b32_e32 v3, 0x7e00
	s_xor_b32 exec_lo, exec_lo, s2
	s_cbranch_execnz .LBB67_199
.LBB67_182:
	s_or_b32 exec_lo, exec_lo, s2
	s_and_saveexec_b32 s2, s1
	s_cbranch_execz .LBB67_184
.LBB67_183:
	v_and_b32_e32 v3, 0xffff, v4
	v_lshlrev_b32_e32 v4, 24, v4
	v_and_b32_e32 v5, 7, v3
	v_bfe_u32 v9, v3, 3, 4
	v_and_b32_e32 v4, 0x80000000, v4
	v_ffbh_u32_e32 v6, v5
	v_cmp_eq_u32_e32 vcc_lo, 0, v9
	v_min_u32_e32 v6, 32, v6
	v_subrev_nc_u32_e32 v7, 28, v6
	v_sub_nc_u32_e32 v6, 29, v6
	v_lshlrev_b32_e32 v3, v7, v3
	v_cndmask_b32_e32 v6, v9, v6, vcc_lo
	v_and_b32_e32 v3, 7, v3
	v_cndmask_b32_e32 v3, v5, v3, vcc_lo
	v_lshl_add_u32 v5, v6, 23, 0x3b800000
	v_lshlrev_b32_e32 v3, 20, v3
	v_or3_b32 v3, v4, v5, v3
	v_cvt_f16_f32_e32 v3, v3
.LBB67_184:
	s_or_b32 exec_lo, exec_lo, s2
.LBB67_185:
	s_mov_b32 s1, -1
.LBB67_186:
	s_branch .LBB67_221
.LBB67_187:
	s_cmp_gt_i32 s0, 22
	s_cbranch_scc0 .LBB67_197
; %bb.188:
	s_cmp_lt_i32 s0, 24
	s_cbranch_scc1 .LBB67_200
; %bb.189:
	s_cmp_gt_i32 s0, 24
	s_cbranch_scc0 .LBB67_201
; %bb.190:
	global_load_ubyte v4, v[1:2], off
	s_mov_b32 s1, 0
	s_mov_b32 s2, exec_lo
	s_waitcnt vmcnt(0)
	v_cmpx_lt_i16_e32 0x7f, v4
	s_xor_b32 s2, exec_lo, s2
	s_cbranch_execz .LBB67_213
; %bb.191:
	s_mov_b32 s1, -1
	s_mov_b32 s3, exec_lo
	v_cmpx_eq_u16_e32 0x80, v4
; %bb.192:
	s_xor_b32 s1, exec_lo, -1
; %bb.193:
	s_or_b32 exec_lo, exec_lo, s3
	s_and_b32 s1, s1, exec_lo
	s_or_saveexec_b32 s2, s2
	v_mov_b32_e32 v3, 0x7e00
	s_xor_b32 exec_lo, exec_lo, s2
	s_cbranch_execnz .LBB67_214
.LBB67_194:
	s_or_b32 exec_lo, exec_lo, s2
	s_and_saveexec_b32 s2, s1
	s_cbranch_execz .LBB67_196
.LBB67_195:
	v_and_b32_e32 v3, 0xffff, v4
	v_lshlrev_b32_e32 v4, 24, v4
	v_and_b32_e32 v5, 3, v3
	v_bfe_u32 v9, v3, 2, 5
	v_and_b32_e32 v4, 0x80000000, v4
	v_ffbh_u32_e32 v6, v5
	v_cmp_eq_u32_e32 vcc_lo, 0, v9
	v_min_u32_e32 v6, 32, v6
	v_subrev_nc_u32_e32 v7, 29, v6
	v_sub_nc_u32_e32 v6, 30, v6
	v_lshlrev_b32_e32 v3, v7, v3
	v_cndmask_b32_e32 v6, v9, v6, vcc_lo
	v_and_b32_e32 v3, 3, v3
	v_cndmask_b32_e32 v3, v5, v3, vcc_lo
	v_lshl_add_u32 v5, v6, 23, 0x37800000
	v_lshlrev_b32_e32 v3, 21, v3
	v_or3_b32 v3, v4, v5, v3
	v_cvt_f16_f32_e32 v3, v3
.LBB67_196:
	s_or_b32 exec_lo, exec_lo, s2
	s_mov_b32 s1, 0
	s_branch .LBB67_202
.LBB67_197:
	s_mov_b32 s2, -1
                                        ; implicit-def: $vgpr3
	s_branch .LBB67_208
.LBB67_198:
	s_or_saveexec_b32 s2, s2
	v_mov_b32_e32 v3, 0x7e00
	s_xor_b32 exec_lo, exec_lo, s2
	s_cbranch_execz .LBB67_182
.LBB67_199:
	v_cmp_ne_u16_e32 vcc_lo, 0, v4
	v_mov_b32_e32 v3, v4
	s_andn2_b32 s1, s1, exec_lo
	s_and_b32 s3, vcc_lo, exec_lo
	s_or_b32 s1, s1, s3
	s_or_b32 exec_lo, exec_lo, s2
	s_and_saveexec_b32 s2, s1
	s_cbranch_execnz .LBB67_183
	s_branch .LBB67_184
.LBB67_200:
	s_mov_b32 s1, -1
                                        ; implicit-def: $vgpr3
	s_branch .LBB67_205
.LBB67_201:
	s_mov_b32 s1, -1
                                        ; implicit-def: $vgpr3
.LBB67_202:
	s_and_b32 vcc_lo, exec_lo, s1
	s_cbranch_vccz .LBB67_204
; %bb.203:
	global_load_ubyte v3, v[1:2], off
	s_waitcnt vmcnt(0)
	v_lshlrev_b32_e32 v3, 24, v3
	v_and_b32_e32 v4, 0x7f000000, v3
	v_ffbh_u32_e32 v5, v4
	v_add_nc_u32_e32 v7, 0x1000000, v4
	v_cmp_ne_u32_e32 vcc_lo, 0, v4
	v_min_u32_e32 v5, 32, v5
	v_sub_nc_u32_e64 v5, v5, 4 clamp
	v_lshlrev_b32_e32 v6, v5, v4
	v_lshlrev_b32_e32 v5, 23, v5
	v_lshrrev_b32_e32 v6, 4, v6
	v_sub_nc_u32_e32 v5, v6, v5
	v_ashrrev_i32_e32 v6, 8, v7
	v_add_nc_u32_e32 v5, 0x3c000000, v5
	v_and_or_b32 v5, 0x7f800000, v6, v5
	v_cndmask_b32_e32 v4, 0, v5, vcc_lo
	v_and_or_b32 v3, 0x80000000, v3, v4
	v_cvt_f16_f32_e32 v3, v3
.LBB67_204:
	s_mov_b32 s1, 0
.LBB67_205:
	s_andn2_b32 vcc_lo, exec_lo, s1
	s_cbranch_vccnz .LBB67_207
; %bb.206:
	global_load_ubyte v3, v[1:2], off
	s_waitcnt vmcnt(0)
	v_lshlrev_b32_e32 v4, 25, v3
	v_lshlrev_b16 v3, 8, v3
	v_lshrrev_b32_e32 v5, 4, v4
	v_and_or_b32 v6, 0x7f00, v3, 0.5
	v_cmp_gt_u32_e32 vcc_lo, 0x8000000, v4
	v_bfe_i32 v3, v3, 0, 16
	v_or_b32_e32 v5, 0x70000000, v5
	v_add_f32_e32 v6, -0.5, v6
	v_mul_f32_e32 v5, 0x7800000, v5
	v_cndmask_b32_e32 v4, v5, v6, vcc_lo
	v_and_or_b32 v3, 0x80000000, v3, v4
	v_cvt_f16_f32_e32 v3, v3
.LBB67_207:
	s_mov_b32 s2, 0
	s_mov_b32 s1, -1
.LBB67_208:
	s_andn2_b32 vcc_lo, exec_lo, s2
	s_cbranch_vccnz .LBB67_221
; %bb.209:
	s_cmp_gt_i32 s0, 14
	s_cbranch_scc0 .LBB67_212
; %bb.210:
	s_cmp_eq_u32 s0, 15
	s_cbranch_scc0 .LBB67_215
; %bb.211:
	global_load_ushort v3, v[1:2], off
	s_mov_b32 s1, -1
	s_mov_b32 s37, 0
	s_waitcnt vmcnt(0)
	v_lshlrev_b32_e32 v3, 16, v3
	v_cvt_f16_f32_e32 v3, v3
	s_branch .LBB67_216
.LBB67_212:
	s_mov_b32 s2, -1
                                        ; implicit-def: $vgpr3
	s_branch .LBB67_217
.LBB67_213:
	s_or_saveexec_b32 s2, s2
	v_mov_b32_e32 v3, 0x7e00
	s_xor_b32 exec_lo, exec_lo, s2
	s_cbranch_execz .LBB67_194
.LBB67_214:
	v_cmp_ne_u16_e32 vcc_lo, 0, v4
	v_mov_b32_e32 v3, v4
	s_andn2_b32 s1, s1, exec_lo
	s_and_b32 s3, vcc_lo, exec_lo
	s_or_b32 s1, s1, s3
	s_or_b32 exec_lo, exec_lo, s2
	s_and_saveexec_b32 s2, s1
	s_cbranch_execnz .LBB67_195
	s_branch .LBB67_196
.LBB67_215:
	s_mov_b32 s37, -1
                                        ; implicit-def: $vgpr3
.LBB67_216:
	s_mov_b32 s2, 0
.LBB67_217:
	s_and_b32 vcc_lo, exec_lo, s2
	s_cbranch_vccz .LBB67_221
; %bb.218:
	s_cmp_eq_u32 s0, 11
	s_cbranch_scc0 .LBB67_220
; %bb.219:
	global_load_ubyte v3, v[1:2], off
	s_mov_b32 s37, 0
	s_mov_b32 s1, -1
	s_waitcnt vmcnt(0)
	v_cmp_ne_u16_e32 vcc_lo, 0, v3
	v_cndmask_b32_e64 v3, 0, 0x3c00, vcc_lo
	s_branch .LBB67_221
.LBB67_220:
	s_mov_b32 s37, -1
                                        ; implicit-def: $vgpr3
.LBB67_221:
	s_branch .LBB67_24
.LBB67_222:
	s_cmp_lt_i32 s0, 5
	s_cbranch_scc1 .LBB67_227
; %bb.223:
	s_cmp_lt_i32 s0, 8
	s_cbranch_scc1 .LBB67_228
; %bb.224:
	;; [unrolled: 3-line block ×3, first 2 shown]
	s_cmp_gt_i32 s0, 9
	s_cbranch_scc0 .LBB67_230
; %bb.226:
	global_load_dwordx2 v[3:4], v[1:2], off
	s_mov_b32 s1, 0
	s_waitcnt vmcnt(0)
	v_and_or_b32 v3, 0x1ff, v4, v3
	v_lshrrev_b32_e32 v5, 8, v4
	v_bfe_u32 v6, v4, 20, 11
	v_lshrrev_b32_e32 v4, 16, v4
	v_cmp_ne_u32_e32 vcc_lo, 0, v3
	v_sub_nc_u32_e32 v7, 0x3f1, v6
	v_add_nc_u32_e32 v6, 0xfffffc10, v6
	v_cndmask_b32_e64 v3, 0, 1, vcc_lo
	v_and_or_b32 v3, 0xffe, v5, v3
	v_med3_i32 v5, v7, 0, 13
	v_or_b32_e32 v7, 0x1000, v3
	v_lshrrev_b32_e32 v9, v5, v7
	v_lshlrev_b32_e32 v5, v5, v9
	v_cmp_ne_u32_e32 vcc_lo, v5, v7
	v_lshl_or_b32 v7, v6, 12, v3
	v_cndmask_b32_e64 v5, 0, 1, vcc_lo
	v_cmp_gt_i32_e32 vcc_lo, 1, v6
	v_or_b32_e32 v5, v9, v5
	v_cndmask_b32_e32 v5, v7, v5, vcc_lo
	v_and_b32_e32 v7, 7, v5
	v_lshrrev_b32_e32 v5, 2, v5
	v_cmp_lt_i32_e32 vcc_lo, 5, v7
	v_cndmask_b32_e64 v9, 0, 1, vcc_lo
	v_cmp_eq_u32_e32 vcc_lo, 3, v7
	v_cndmask_b32_e64 v7, 0, 1, vcc_lo
	v_cmp_ne_u32_e32 vcc_lo, 0, v3
	v_or_b32_e32 v7, v7, v9
	v_mov_b32_e32 v9, 0x7e00
	v_add_nc_u32_e32 v5, v5, v7
	v_cndmask_b32_e32 v3, 0x7c00, v9, vcc_lo
	v_cmp_gt_i32_e32 vcc_lo, 31, v6
	v_cndmask_b32_e32 v5, 0x7c00, v5, vcc_lo
	v_cmp_eq_u32_e32 vcc_lo, 0x40f, v6
	v_cndmask_b32_e32 v3, v5, v3, vcc_lo
	v_and_or_b32 v3, 0x8000, v4, v3
	s_branch .LBB67_231
.LBB67_227:
                                        ; implicit-def: $vgpr3
	s_branch .LBB67_249
.LBB67_228:
	s_mov_b32 s1, -1
                                        ; implicit-def: $vgpr3
	s_branch .LBB67_237
.LBB67_229:
	s_mov_b32 s1, -1
                                        ; implicit-def: $vgpr3
	s_branch .LBB67_234
.LBB67_230:
	s_mov_b32 s1, -1
                                        ; implicit-def: $vgpr3
.LBB67_231:
	s_andn2_b32 vcc_lo, exec_lo, s1
	s_cbranch_vccnz .LBB67_233
; %bb.232:
	global_load_dword v3, v[1:2], off
	s_waitcnt vmcnt(0)
	v_cvt_f16_f32_e32 v3, v3
.LBB67_233:
	s_mov_b32 s1, 0
.LBB67_234:
	s_andn2_b32 vcc_lo, exec_lo, s1
	s_cbranch_vccnz .LBB67_236
; %bb.235:
	global_load_dword v3, v[1:2], off
.LBB67_236:
	s_mov_b32 s1, 0
.LBB67_237:
	s_andn2_b32 vcc_lo, exec_lo, s1
	s_cbranch_vccnz .LBB67_248
; %bb.238:
	s_cmp_lt_i32 s0, 6
	s_cbranch_scc1 .LBB67_241
; %bb.239:
	s_cmp_gt_i32 s0, 6
	s_cbranch_scc0 .LBB67_242
; %bb.240:
	global_load_dwordx2 v[3:4], v[1:2], off
	s_mov_b32 s1, 0
	s_waitcnt vmcnt(0)
	v_and_or_b32 v3, 0x1ff, v4, v3
	v_lshrrev_b32_e32 v5, 8, v4
	v_bfe_u32 v6, v4, 20, 11
	v_lshrrev_b32_e32 v4, 16, v4
	v_cmp_ne_u32_e32 vcc_lo, 0, v3
	v_sub_nc_u32_e32 v7, 0x3f1, v6
	v_add_nc_u32_e32 v6, 0xfffffc10, v6
	v_cndmask_b32_e64 v3, 0, 1, vcc_lo
	v_and_or_b32 v3, 0xffe, v5, v3
	v_med3_i32 v5, v7, 0, 13
	v_or_b32_e32 v7, 0x1000, v3
	v_lshrrev_b32_e32 v9, v5, v7
	v_lshlrev_b32_e32 v5, v5, v9
	v_cmp_ne_u32_e32 vcc_lo, v5, v7
	v_lshl_or_b32 v7, v6, 12, v3
	v_cndmask_b32_e64 v5, 0, 1, vcc_lo
	v_cmp_gt_i32_e32 vcc_lo, 1, v6
	v_or_b32_e32 v5, v9, v5
	v_cndmask_b32_e32 v5, v7, v5, vcc_lo
	v_and_b32_e32 v7, 7, v5
	v_lshrrev_b32_e32 v5, 2, v5
	v_cmp_lt_i32_e32 vcc_lo, 5, v7
	v_cndmask_b32_e64 v9, 0, 1, vcc_lo
	v_cmp_eq_u32_e32 vcc_lo, 3, v7
	v_cndmask_b32_e64 v7, 0, 1, vcc_lo
	v_cmp_ne_u32_e32 vcc_lo, 0, v3
	v_or_b32_e32 v7, v7, v9
	v_mov_b32_e32 v9, 0x7e00
	v_add_nc_u32_e32 v5, v5, v7
	v_cndmask_b32_e32 v3, 0x7c00, v9, vcc_lo
	v_cmp_gt_i32_e32 vcc_lo, 31, v6
	v_cndmask_b32_e32 v5, 0x7c00, v5, vcc_lo
	v_cmp_eq_u32_e32 vcc_lo, 0x40f, v6
	v_cndmask_b32_e32 v3, v5, v3, vcc_lo
	v_and_or_b32 v3, 0x8000, v4, v3
	s_branch .LBB67_243
.LBB67_241:
	s_mov_b32 s1, -1
                                        ; implicit-def: $vgpr3
	s_branch .LBB67_246
.LBB67_242:
	s_mov_b32 s1, -1
                                        ; implicit-def: $vgpr3
.LBB67_243:
	s_andn2_b32 vcc_lo, exec_lo, s1
	s_cbranch_vccnz .LBB67_245
; %bb.244:
	global_load_dword v3, v[1:2], off
	s_waitcnt vmcnt(0)
	v_cvt_f16_f32_e32 v3, v3
.LBB67_245:
	s_mov_b32 s1, 0
.LBB67_246:
	s_andn2_b32 vcc_lo, exec_lo, s1
	s_cbranch_vccnz .LBB67_248
; %bb.247:
	global_load_ushort v3, v[1:2], off
.LBB67_248:
	s_cbranch_execnz .LBB67_268
.LBB67_249:
	s_cmp_lt_i32 s0, 2
	s_cbranch_scc1 .LBB67_253
; %bb.250:
	s_cmp_lt_i32 s0, 3
	s_cbranch_scc1 .LBB67_254
; %bb.251:
	s_cmp_gt_i32 s0, 3
	s_cbranch_scc0 .LBB67_255
; %bb.252:
	global_load_dwordx2 v[3:4], v[1:2], off
	s_mov_b32 s1, 0
	s_waitcnt vmcnt(0)
	v_xor_b32_e32 v5, v3, v4
	v_ffbh_i32_e32 v6, v4
	v_ashrrev_i32_e32 v5, 31, v5
	v_add_nc_u32_e32 v6, -1, v6
	v_add_nc_u32_e32 v5, 32, v5
	v_min_u32_e32 v5, v6, v5
	v_lshlrev_b64 v[3:4], v5, v[3:4]
	v_min_u32_e32 v3, 1, v3
	v_or_b32_e32 v3, v4, v3
	v_sub_nc_u32_e32 v4, 32, v5
	v_cvt_f32_i32_e32 v3, v3
	v_ldexp_f32 v3, v3, v4
	v_cvt_f16_f32_e32 v3, v3
	s_branch .LBB67_256
.LBB67_253:
	s_mov_b32 s1, -1
                                        ; implicit-def: $vgpr3
	s_branch .LBB67_262
.LBB67_254:
	s_mov_b32 s1, -1
                                        ; implicit-def: $vgpr3
	s_branch .LBB67_259
.LBB67_255:
	s_mov_b32 s1, -1
                                        ; implicit-def: $vgpr3
.LBB67_256:
	s_andn2_b32 vcc_lo, exec_lo, s1
	s_cbranch_vccnz .LBB67_258
; %bb.257:
	global_load_dword v3, v[1:2], off
	s_waitcnt vmcnt(0)
	v_cvt_f32_i32_e32 v3, v3
	v_cvt_f16_f32_e32 v3, v3
.LBB67_258:
	s_mov_b32 s1, 0
.LBB67_259:
	s_andn2_b32 vcc_lo, exec_lo, s1
	s_cbranch_vccnz .LBB67_261
; %bb.260:
	global_load_ushort v3, v[1:2], off
	s_waitcnt vmcnt(0)
	v_cvt_f16_i16_e32 v3, v3
.LBB67_261:
	s_mov_b32 s1, 0
.LBB67_262:
	s_andn2_b32 vcc_lo, exec_lo, s1
	s_cbranch_vccnz .LBB67_268
; %bb.263:
	s_cmp_gt_i32 s0, 0
	s_mov_b32 s0, 0
	s_cbranch_scc0 .LBB67_265
; %bb.264:
	global_load_sbyte v3, v[1:2], off
	s_waitcnt vmcnt(0)
	v_cvt_f16_i16_e32 v3, v3
	s_branch .LBB67_266
.LBB67_265:
	s_mov_b32 s0, -1
                                        ; implicit-def: $vgpr3
.LBB67_266:
	s_andn2_b32 vcc_lo, exec_lo, s0
	s_cbranch_vccnz .LBB67_268
; %bb.267:
	global_load_ubyte v1, v[1:2], off
	s_waitcnt vmcnt(0)
	v_cvt_f16_u16_e32 v3, v1
.LBB67_268:
	s_branch .LBB67_25
.LBB67_269:
	s_mov_b32 s0, 0
.LBB67_270:
	s_mov_b32 s1, 0
                                        ; implicit-def: $vgpr8
.LBB67_271:
	s_and_b32 s36, s0, exec_lo
	s_and_b32 s37, s37, exec_lo
	s_orn2_b32 s1, s1, exec_lo
.LBB67_272:
	s_or_b32 exec_lo, exec_lo, s38
	s_mov_b32 s2, 0
	s_mov_b32 s0, 0
                                        ; implicit-def: $vgpr1_vgpr2
                                        ; implicit-def: $vgpr0
                                        ; implicit-def: $vgpr4
	s_and_saveexec_b32 s38, s1
	s_cbranch_execz .LBB67_279
; %bb.273:
	s_mov_b32 s0, -1
	s_mov_b32 s39, s37
	s_mov_b32 s40, s36
	s_mov_b32 s41, exec_lo
	v_cmpx_gt_i32_e64 s33, v8
	s_cbranch_execz .LBB67_555
; %bb.274:
	s_andn2_b32 vcc_lo, exec_lo, s27
	s_cbranch_vccnz .LBB67_282
; %bb.275:
	s_andn2_b32 vcc_lo, exec_lo, s34
	s_cbranch_vccnz .LBB67_283
; %bb.276:
	s_add_i32 s40, s35, 1
	s_cmp_eq_u32 s25, 2
	s_cbranch_scc1 .LBB67_284
; %bb.277:
	v_mov_b32_e32 v2, 0
	v_mov_b32_e32 v0, 0
	;; [unrolled: 1-line block ×3, first 2 shown]
	s_and_b32 s39, s40, 28
	s_mov_b32 s42, 0
	s_mov_b64 s[0:1], s[6:7]
	s_mov_b64 s[2:3], s[22:23]
.LBB67_278:                             ; =>This Inner Loop Header: Depth=1
	s_clause 0x1
	s_load_dwordx8 s[44:51], s[0:1], 0x4
	s_load_dwordx4 s[60:63], s[0:1], 0x24
	s_load_dwordx8 s[52:59], s[2:3], 0x0
	s_add_u32 s0, s0, 48
	s_addc_u32 s1, s1, 0
	s_add_i32 s42, s42, 4
	s_add_u32 s2, s2, 32
	s_addc_u32 s3, s3, 0
	s_cmp_eq_u32 s39, s42
	s_waitcnt vmcnt(0) lgkmcnt(0)
	v_mul_hi_u32 v3, s45, v1
	v_add_nc_u32_e32 v3, v1, v3
	v_lshrrev_b32_e32 v3, s46, v3
	v_mul_hi_u32 v4, s48, v3
	v_mul_lo_u32 v6, v3, s44
	v_add_nc_u32_e32 v4, v3, v4
	v_sub_nc_u32_e32 v1, v1, v6
	v_lshrrev_b32_e32 v4, s49, v4
	v_mul_lo_u32 v6, v1, s52
	v_mul_lo_u32 v9, v1, s53
	v_mul_hi_u32 v5, s51, v4
	v_add_nc_u32_e32 v5, v4, v5
	v_lshrrev_b32_e32 v5, s60, v5
	v_mul_hi_u32 v7, s62, v5
	v_mul_lo_u32 v10, v5, s50
	v_add_nc_u32_e32 v1, v5, v7
	v_mul_lo_u32 v7, v4, s47
	v_sub_nc_u32_e32 v4, v4, v10
	v_lshrrev_b32_e32 v1, s63, v1
	v_mul_lo_u32 v10, v4, s56
	v_mul_lo_u32 v4, v4, s57
	v_sub_nc_u32_e32 v3, v3, v7
	v_mul_lo_u32 v11, v1, s61
	v_mul_lo_u32 v7, v3, s54
	;; [unrolled: 1-line block ×3, first 2 shown]
	v_sub_nc_u32_e32 v5, v5, v11
	v_add3_u32 v0, v6, v0, v7
	v_mul_lo_u32 v11, v5, s58
	v_mul_lo_u32 v5, v5, s59
	v_add3_u32 v2, v9, v2, v3
	v_add3_u32 v0, v10, v0, v11
	;; [unrolled: 1-line block ×3, first 2 shown]
	s_cbranch_scc0 .LBB67_278
	s_branch .LBB67_285
.LBB67_279:
	s_or_b32 exec_lo, exec_lo, s38
	s_waitcnt lgkmcnt(0)
	s_mov_b32 s10, 0
	s_and_saveexec_b32 s1, s37
	s_cbranch_execnz .LBB67_939
.LBB67_280:
	s_or_b32 exec_lo, exec_lo, s1
	s_and_saveexec_b32 s1, s39
	s_xor_b32 s1, exec_lo, s1
	s_cbranch_execz .LBB67_940
.LBB67_281:
	global_load_ubyte v3, v[1:2], off
	s_or_b32 s0, s0, exec_lo
	s_waitcnt vmcnt(0)
	v_cmp_ne_u16_e32 vcc_lo, 0, v3
	v_cndmask_b32_e64 v4, 0, 0x3c00, vcc_lo
	s_or_b32 exec_lo, exec_lo, s1
	s_and_saveexec_b32 s1, s2
	s_cbranch_execz .LBB67_986
	s_branch .LBB67_941
.LBB67_282:
                                        ; implicit-def: $vgpr0
                                        ; implicit-def: $vgpr2
	s_andn2_b32 vcc_lo, exec_lo, s0
	s_cbranch_vccz .LBB67_289
	s_branch .LBB67_291
.LBB67_283:
	v_mov_b32_e32 v0, 0
	v_mov_b32_e32 v2, 0
	s_branch .LBB67_288
.LBB67_284:
	v_mov_b32_e32 v0, 0
	v_mov_b32_e32 v2, 0
	;; [unrolled: 1-line block ×3, first 2 shown]
	s_mov_b32 s39, 0
.LBB67_285:
	s_and_b32 s40, s40, 3
	s_cmp_eq_u32 s40, 0
	s_cbranch_scc1 .LBB67_288
; %bb.286:
	s_lshl_b32 s0, s39, 3
	s_mul_i32 s2, s39, 12
	s_add_u32 s0, s6, s0
	s_addc_u32 s1, s7, 0
	s_add_u32 s0, s0, 0xc4
	s_addc_u32 s1, s1, 0
	;; [unrolled: 2-line block ×3, first 2 shown]
	.p2align	6
.LBB67_287:                             ; =>This Inner Loop Header: Depth=1
	s_clause 0x1
	s_load_dwordx2 s[42:43], s[2:3], 0x4
	s_load_dword s39, s[2:3], 0xc
	s_load_dwordx2 s[44:45], s[0:1], 0x0
	s_add_u32 s2, s2, 12
	s_addc_u32 s3, s3, 0
	s_add_u32 s0, s0, 8
	s_addc_u32 s1, s1, 0
	s_add_i32 s40, s40, -1
	s_cmp_lg_u32 s40, 0
	s_waitcnt vmcnt(0) lgkmcnt(0)
	v_mul_hi_u32 v3, s43, v1
	v_add_nc_u32_e32 v3, v1, v3
	v_lshrrev_b32_e32 v4, s39, v3
	v_mul_lo_u32 v3, v4, s42
	v_sub_nc_u32_e32 v3, v1, v3
	v_mad_u64_u32 v[0:1], null, v3, s44, v[0:1]
	v_mad_u64_u32 v[2:3], null, v3, s45, v[2:3]
	v_mov_b32_e32 v1, v4
	s_cbranch_scc1 .LBB67_287
.LBB67_288:
	s_cbranch_execnz .LBB67_291
.LBB67_289:
	s_waitcnt lgkmcnt(0)
	v_mul_hi_u32 v0, s17, v8
	s_andn2_b32 vcc_lo, exec_lo, s31
	v_add_nc_u32_e32 v0, v8, v0
	v_lshrrev_b32_e32 v1, s18, v0
	v_mul_lo_u32 v0, v1, s16
	v_sub_nc_u32_e32 v2, v8, v0
	v_mul_lo_u32 v0, v2, s12
	v_mul_lo_u32 v2, v2, s13
	s_cbranch_vccnz .LBB67_291
; %bb.290:
	s_waitcnt vmcnt(0)
	v_mul_hi_u32 v3, s20, v1
	v_add_nc_u32_e32 v3, v1, v3
	v_lshrrev_b32_e32 v3, s21, v3
	v_mul_lo_u32 v3, v3, s19
	v_sub_nc_u32_e32 v3, v1, v3
	v_mad_u64_u32 v[0:1], null, v3, s14, v[0:1]
	v_mad_u64_u32 v[2:3], null, v3, s15, v[2:3]
.LBB67_291:
	s_waitcnt lgkmcnt(0)
	v_add_co_u32 v1, s0, s10, v2
	v_add_co_ci_u32_e64 v2, null, s11, 0, s0
	s_and_b32 s0, 0xffff, s30
	s_cmp_lt_i32 s0, 11
	s_cbranch_scc1 .LBB67_298
; %bb.292:
	s_cmp_gt_i32 s0, 25
	s_cbranch_scc0 .LBB67_313
; %bb.293:
	s_cmp_gt_i32 s0, 28
	s_cbranch_scc0 .LBB67_315
	;; [unrolled: 3-line block ×4, first 2 shown]
; %bb.296:
	s_cmp_eq_u32 s0, 46
	s_mov_b32 s2, 0
	s_cbranch_scc0 .LBB67_325
; %bb.297:
	global_load_dword v3, v[1:2], off
	s_mov_b32 s1, -1
	s_mov_b32 s39, 0
	s_waitcnt vmcnt(0)
	v_lshlrev_b32_e32 v3, 16, v3
	v_cvt_f16_f32_e32 v3, v3
	s_branch .LBB67_327
.LBB67_298:
	s_mov_b32 s1, 0
	s_mov_b32 s39, s37
                                        ; implicit-def: $vgpr3
	s_cbranch_execnz .LBB67_504
.LBB67_299:
	s_andn2_b32 vcc_lo, exec_lo, s1
	s_cbranch_vccnz .LBB67_552
.LBB67_300:
	s_waitcnt vmcnt(0)
	v_cvt_f32_f16_e32 v1, v3
	v_cmp_gt_f16_e32 vcc_lo, 0.5, v3
	v_mov_b32_e32 v3, 0
	v_mov_b32_e32 v2, 1.0
	s_and_saveexec_b32 s2, vcc_lo
	s_cbranch_execz .LBB67_306
; %bb.301:
	v_mul_f32_e32 v2, 0x40490fdb, v1
                                        ; implicit-def: $vgpr5
                                        ; implicit-def: $vgpr4
	s_mov_b32 s1, exec_lo
	v_and_b32_e32 v3, 0x7fffffff, v2
	v_cmpx_ngt_f32_e64 0x48000000, |v2|
	s_xor_b32 s3, exec_lo, s1
	s_cbranch_execz .LBB67_303
; %bb.302:
	s_mov_b32 s0, 0x7fffff
	v_mov_b32_e32 v6, 0
	v_and_or_b32 v7, v3, s0, 0x800000
	v_lshrrev_b32_e32 v13, 23, v3
	v_mad_u64_u32 v[4:5], null, 0xfe5163ab, v7, 0
	v_add_nc_u32_e32 v14, 0xffffff88, v13
	v_cmp_lt_u32_e32 vcc_lo, 63, v14
	v_mad_u64_u32 v[9:10], null, 0x3c439041, v7, v[5:6]
	v_cndmask_b32_e64 v15, 0, 0xffffffc0, vcc_lo
	v_mov_b32_e32 v5, v10
	v_add_nc_u32_e32 v15, v15, v14
	v_mad_u64_u32 v[10:11], null, 0xdb629599, v7, v[5:6]
	v_cmp_lt_u32_e64 s0, 31, v15
	v_cndmask_b32_e64 v16, 0, 0xffffffe0, s0
	v_mov_b32_e32 v5, v11
	v_cndmask_b32_e32 v4, v10, v4, vcc_lo
	v_mad_u64_u32 v[11:12], null, 0xf534ddc0, v7, v[5:6]
	v_mov_b32_e32 v5, v12
	v_cndmask_b32_e32 v9, v11, v9, vcc_lo
	v_mad_u64_u32 v[12:13], null, 0xfc2757d1, v7, v[5:6]
	v_cndmask_b32_e64 v4, v9, v4, s0
	v_mov_b32_e32 v5, v13
	v_mad_u64_u32 v[13:14], null, 0x4e441529, v7, v[5:6]
	v_mov_b32_e32 v5, v14
	v_add_nc_u32_e32 v14, v16, v15
	v_cndmask_b32_e32 v15, v13, v11, vcc_lo
	v_mad_u64_u32 v[5:6], null, 0xa2f9836e, v7, v[5:6]
	v_cmp_lt_u32_e64 s1, 31, v14
	v_cndmask_b32_e64 v7, 0, 0xffffffe0, s1
	v_cndmask_b32_e32 v5, v5, v12, vcc_lo
	v_cndmask_b32_e32 v6, v6, v13, vcc_lo
	;; [unrolled: 1-line block ×3, first 2 shown]
	v_add_nc_u32_e32 v7, v7, v14
	v_cndmask_b32_e64 v11, v5, v15, s0
	v_cndmask_b32_e64 v5, v6, v5, s0
	;; [unrolled: 1-line block ×4, first 2 shown]
	v_sub_nc_u32_e32 v13, 32, v7
	v_cmp_eq_u32_e32 vcc_lo, 0, v7
	v_cndmask_b32_e64 v5, v5, v11, s1
	v_cndmask_b32_e64 v11, v11, v6, s1
	;; [unrolled: 1-line block ×4, first 2 shown]
	v_alignbit_b32 v14, v5, v11, v13
	v_alignbit_b32 v10, v11, v6, v13
	;; [unrolled: 1-line block ×3, first 2 shown]
	v_cndmask_b32_e32 v5, v14, v5, vcc_lo
	v_cndmask_b32_e32 v7, v10, v11, vcc_lo
	v_cndmask_b32_e32 v6, v12, v6, vcc_lo
	v_bfe_u32 v9, v5, 29, 1
	v_alignbit_b32 v10, v5, v7, 30
	v_alignbit_b32 v7, v7, v6, 30
	;; [unrolled: 1-line block ×3, first 2 shown]
	v_sub_nc_u32_e32 v11, 0, v9
	v_xor_b32_e32 v10, v10, v11
	v_xor_b32_e32 v6, v7, v11
	;; [unrolled: 1-line block ×3, first 2 shown]
	v_lshrrev_b32_e32 v11, 29, v5
	v_lshrrev_b32_e32 v5, 30, v5
	v_ffbh_u32_e32 v12, v10
	v_add_nc_u32_e32 v5, v9, v5
	v_min_u32_e32 v12, 32, v12
	v_sub_nc_u32_e32 v7, 31, v12
	v_lshlrev_b32_e32 v13, 23, v12
	v_alignbit_b32 v10, v10, v6, v7
	v_alignbit_b32 v4, v6, v4, v7
	v_lshlrev_b32_e32 v6, 31, v11
	v_alignbit_b32 v7, v10, v4, 9
	v_or_b32_e32 v11, 0.5, v6
	v_lshrrev_b32_e32 v10, 9, v10
	v_or_b32_e32 v6, 0x33000000, v6
	v_ffbh_u32_e32 v14, v7
	v_sub_nc_u32_e32 v11, v11, v13
	v_min_u32_e32 v13, 32, v14
	v_or_b32_e32 v10, v10, v11
	v_not_b32_e32 v11, v13
	v_mul_f32_e32 v14, 0x3fc90fda, v10
	v_add_lshl_u32 v12, v13, v12, 23
	v_alignbit_b32 v4, v7, v4, v11
	v_fma_f32 v7, 0x3fc90fda, v10, -v14
	v_sub_nc_u32_e32 v6, v6, v12
	v_lshrrev_b32_e32 v4, 9, v4
	v_fmamk_f32 v7, v10, 0x33a22168, v7
	v_or_b32_e32 v4, v6, v4
	v_fmac_f32_e32 v7, 0x3fc90fda, v4
	v_add_f32_e32 v4, v14, v7
.LBB67_303:
	s_andn2_saveexec_b32 s0, s3
; %bb.304:
	v_mul_f32_e64 v4, 0x3f22f983, |v2|
	v_rndne_f32_e32 v5, v4
	v_fma_f32 v4, 0xbfc90fda, v5, |v2|
	v_fmamk_f32 v4, v5, 0xb3a22168, v4
	v_fmamk_f32 v4, v5, 0xa7c234c4, v4
	v_cvt_i32_f32_e32 v5, v5
; %bb.305:
	s_or_b32 exec_lo, exec_lo, s0
	v_mul_f32_e32 v6, v4, v4
	s_mov_b32 s0, 0xb94c1982
	s_mov_b32 s1, 0x37d75334
	v_and_b32_e32 v10, 1, v5
	v_lshlrev_b32_e32 v5, 30, v5
	v_fmaak_f32 v7, s0, v6, 0x3c0881c4
	v_fmaak_f32 v9, s1, v6, 0xbab64f3b
	v_xor_b32_e32 v3, v3, v2
	v_cmp_eq_u32_e32 vcc_lo, 0, v10
	v_and_b32_e32 v5, 0x80000000, v5
	v_fmaak_f32 v7, v6, v7, 0xbe2aaa9d
	v_fmaak_f32 v9, v6, v9, 0x3d2aabf7
	v_sub_f32_e32 v1, 1.0, v1
	v_mul_f32_e32 v7, v6, v7
	v_fmaak_f32 v9, v6, v9, 0xbf000004
	v_fmac_f32_e32 v4, v4, v7
	v_fma_f32 v6, v6, v9, 1.0
	v_cndmask_b32_e32 v4, v6, v4, vcc_lo
	v_cmp_class_f32_e64 vcc_lo, v2, 0x1f8
	v_xor3_b32 v3, v3, v5, v4
	v_cndmask_b32_e32 v2, 0x7fc00000, v3, vcc_lo
	v_mul_f32_e32 v2, v2, v2
	v_div_scale_f32 v3, null, v2, v2, 0xc11de9e7
	v_div_scale_f32 v6, vcc_lo, 0xc11de9e7, v2, 0xc11de9e7
	v_rcp_f32_e32 v4, v3
	v_fma_f32 v5, -v3, v4, 1.0
	v_fmac_f32_e32 v4, v5, v4
	v_mul_f32_e32 v5, v6, v4
	v_fma_f32 v7, -v3, v5, v6
	v_fmac_f32_e32 v5, v7, v4
	v_fma_f32 v3, -v3, v5, v6
	v_div_fmas_f32 v3, v3, v4, v5
	v_div_fixup_f32 v2, v3, v2, 0xc11de9e7
	v_add_f32_e32 v3, 0, v2
	v_mov_b32_e32 v2, -1.0
.LBB67_306:
	s_or_b32 exec_lo, exec_lo, s2
	v_add_f32_e32 v4, 1.0, v1
	v_mul_f32_e32 v1, v1, v1
	v_mul_f32_e32 v5, v4, v4
	v_add_f32_e32 v4, 1.0, v4
	v_div_scale_f32 v6, null, v1, v1, 1.0
	v_div_scale_f32 v9, vcc_lo, 1.0, v1, 1.0
	v_mul_f32_e32 v10, v4, v4
	v_div_scale_f32 v7, null, v5, v5, 1.0
	v_rcp_f32_e32 v11, v6
	v_div_scale_f32 v14, s0, 1.0, v5, 1.0
	v_div_scale_f32 v13, null, v10, v10, 1.0
	v_rcp_f32_e32 v12, v7
	v_add_f32_e32 v4, 1.0, v4
	v_div_scale_f32 v15, s1, 1.0, v10, 1.0
	v_rcp_f32_e32 v16, v13
	v_fma_f32 v18, -v6, v11, 1.0
	v_mul_f32_e32 v17, v4, v4
	v_add_f32_e32 v4, 1.0, v4
	v_fma_f32 v19, -v7, v12, 1.0
	v_fmac_f32_e32 v11, v18, v11
	v_mul_f32_e32 v21, v4, v4
	v_add_f32_e32 v4, 1.0, v4
	v_fma_f32 v18, -v13, v16, 1.0
	v_fmac_f32_e32 v12, v19, v12
	v_mul_f32_e32 v22, v9, v11
	v_div_scale_f32 v20, null, v17, v17, 1.0
	v_fmac_f32_e32 v16, v18, v16
	v_mul_f32_e32 v23, v14, v12
	v_fma_f32 v24, -v6, v22, v9
	v_add_f32_e32 v27, 1.0, v4
	v_rcp_f32_e32 v19, v20
	v_mul_f32_e32 v26, v15, v16
	v_fma_f32 v25, -v7, v23, v14
	v_fmac_f32_e32 v22, v24, v11
	v_mul_f32_e32 v4, v4, v4
	v_div_scale_f32 v18, null, v21, v21, 1.0
	v_fma_f32 v24, -v13, v26, v15
	v_fmac_f32_e32 v23, v25, v12
	v_fma_f32 v6, -v6, v22, v9
	v_mul_f32_e32 v9, v27, v27
	v_rcp_f32_e32 v25, v18
	v_fmac_f32_e32 v26, v24, v16
	v_fma_f32 v7, -v7, v23, v14
	v_div_fmas_f32 v6, v6, v11, v22
	s_mov_b32 vcc_lo, s0
	v_fma_f32 v28, -v20, v19, 1.0
	v_fma_f32 v11, -v13, v26, v15
	v_div_fmas_f32 v7, v7, v12, v23
	s_mov_b32 vcc_lo, s1
	v_div_scale_f32 v12, null, v4, v4, 1.0
	v_div_fmas_f32 v11, v11, v16, v26
	v_div_scale_f32 v13, null, v9, v9, 1.0
	v_add_f32_e32 v16, v27, v27
	v_rcp_f32_e32 v15, v12
	v_fmac_f32_e32 v19, v28, v19
	v_rcp_f32_e32 v23, v13
	v_div_scale_f32 v14, vcc_lo, 1.0, v17, 1.0
	v_div_scale_f32 v26, null, v16, v16, 1.0
	v_fma_f32 v22, -v18, v25, 1.0
	v_mul_f32_e32 v24, v14, v19
	v_div_fixup_f32 v1, v6, v1, 1.0
	v_rcp_f32_e32 v29, v26
	v_fma_f32 v28, -v12, v15, 1.0
	v_fmac_f32_e32 v25, v22, v25
	v_div_scale_f32 v22, s0, 1.0, v21, 1.0
	v_fma_f32 v31, -v13, v23, 1.0
	v_fma_f32 v30, -v20, v24, v14
	v_fmac_f32_e32 v15, v28, v15
	v_div_scale_f32 v28, s1, 1.0, v4, 1.0
	v_mul_f32_e32 v32, v22, v25
	v_fmac_f32_e32 v23, v31, v23
	v_div_scale_f32 v31, s2, 1.0, v9, 1.0
	v_fma_f32 v33, -v26, v29, 1.0
	v_fmac_f32_e32 v24, v30, v19
	v_mul_f32_e32 v34, v28, v15
	v_fma_f32 v30, -v18, v32, v22
	v_mul_f32_e32 v35, v31, v23
	v_fmac_f32_e32 v29, v33, v29
	v_div_scale_f32 v33, s3, 1.0, v16, 1.0
	v_fma_f32 v14, -v20, v24, v14
	v_fma_f32 v20, -v12, v34, v28
	v_fmac_f32_e32 v32, v30, v25
	v_fma_f32 v30, -v13, v35, v31
	v_mul_f32_e32 v36, v33, v29
	v_div_fmas_f32 v14, v14, v19, v24
	v_fmac_f32_e32 v34, v20, v15
	v_fma_f32 v18, -v18, v32, v22
	v_fmac_f32_e32 v35, v30, v23
	v_fma_f32 v19, -v26, v36, v33
	s_mov_b32 vcc_lo, s0
	v_fma_f32 v12, -v12, v34, v28
	v_div_fmas_f32 v18, v18, v25, v32
	v_fma_f32 v13, -v13, v35, v31
	v_fmac_f32_e32 v36, v19, v29
	s_mov_b32 vcc_lo, s1
	s_mov_b32 s0, 0xbcc30c31
	v_div_fmas_f32 v12, v12, v15, v34
	s_mov_b32 vcc_lo, s2
	v_fma_f32 v15, -v26, v36, v33
	v_div_fmas_f32 v13, v13, v23, v35
	s_mov_b32 vcc_lo, s3
	v_add_f32_e32 v1, v3, v1
	v_div_fixup_f32 v3, v7, v5, 1.0
	v_div_fmas_f32 v15, v15, v29, v36
	v_div_fixup_f32 v9, v13, v9, 1.0
	s_and_b32 s1, s29, 0xff
	v_add_f32_e32 v1, v1, v3
	v_div_fixup_f32 v13, v15, v16, 1.0
	v_fmaak_f32 v15, s0, v9, 0x3d088889
	v_div_fixup_f32 v3, v11, v10, 1.0
	v_add_co_u32 v0, s0, s8, v0
	v_add_f32_e32 v13, 1.0, v13
	v_fma_f32 v15, -v9, v15, 0x3e2aaaab
	v_add_f32_e32 v1, v1, v3
	v_div_fixup_f32 v3, v14, v17, 1.0
	s_cmp_lt_i32 s1, 11
	v_fmac_f32_e32 v13, v9, v15
	v_add_f32_e32 v1, v1, v3
	v_div_fixup_f32 v3, v18, v21, 1.0
	v_div_scale_f32 v9, null, v27, v27, v13
	v_div_scale_f32 v5, vcc_lo, v13, v27, v13
	v_add_f32_e32 v1, v1, v3
	v_rcp_f32_e32 v15, v9
	v_div_fixup_f32 v3, v12, v4, 1.0
	v_add_f32_e32 v1, v1, v3
	v_fma_f32 v6, -v9, v15, 1.0
	v_fmac_f32_e32 v15, v6, v15
	v_mul_f32_e32 v6, v5, v15
	v_fma_f32 v7, -v9, v6, v5
	v_fmac_f32_e32 v6, v7, v15
	v_fma_f32 v5, -v9, v6, v5
	v_div_fmas_f32 v4, v5, v15, v6
	v_div_fixup_f32 v3, v4, v27, v13
	v_add_f32_e32 v3, v1, v3
	v_add_co_ci_u32_e64 v1, null, s9, 0, s0
	v_fma_mixlo_f16 v2, v2, v3, 0
	s_cbranch_scc1 .LBB67_314
; %bb.307:
	s_and_b32 s2, 0xffff, s1
	s_cmp_gt_i32 s2, 25
	s_cbranch_scc0 .LBB67_316
; %bb.308:
	s_cmp_gt_i32 s2, 28
	s_cbranch_scc0 .LBB67_318
; %bb.309:
	;; [unrolled: 3-line block ×4, first 2 shown]
	s_mov_b32 s40, 0
	s_mov_b32 s0, -1
	s_cmp_eq_u32 s2, 46
	s_mov_b32 s3, 0
	s_cbranch_scc0 .LBB67_331
; %bb.312:
	v_cvt_f32_f16_e32 v3, v2
	v_cmp_o_f16_e32 vcc_lo, v2, v2
	s_mov_b32 s3, -1
	s_mov_b32 s0, 0
	v_bfe_u32 v4, v3, 16, 1
	v_add3_u32 v3, v3, v4, 0x7fff
	v_mov_b32_e32 v4, 0x7fc0
	v_cndmask_b32_sdwa v3, v4, v3, vcc_lo dst_sel:DWORD dst_unused:UNUSED_PAD src0_sel:DWORD src1_sel:WORD_1
	global_store_dword v[0:1], v3, off
	s_branch .LBB67_331
.LBB67_313:
	s_mov_b32 s2, -1
	s_mov_b32 s1, 0
	s_mov_b32 s39, s37
                                        ; implicit-def: $vgpr3
	s_branch .LBB67_468
.LBB67_314:
	s_mov_b32 s2, -1
	s_mov_b32 s3, 0
	s_mov_b32 s0, s36
	s_branch .LBB67_400
.LBB67_315:
	s_mov_b32 s2, -1
	s_mov_b32 s1, 0
	s_mov_b32 s39, s37
                                        ; implicit-def: $vgpr3
	s_branch .LBB67_449
.LBB67_316:
	s_mov_b32 s40, -1
	s_mov_b32 s3, 0
	s_mov_b32 s0, s36
	s_branch .LBB67_358
.LBB67_317:
	s_mov_b32 s2, -1
	s_mov_b32 s1, 0
	s_mov_b32 s39, s37
                                        ; implicit-def: $vgpr3
	s_branch .LBB67_444
.LBB67_318:
	s_mov_b32 s40, -1
	s_mov_b32 s3, 0
	s_mov_b32 s0, s36
	s_branch .LBB67_341
.LBB67_319:
	s_andn2_saveexec_b32 s40, s40
	s_cbranch_execz .LBB67_74
.LBB67_320:
	v_add_f32_e64 v4, 0x46000000, |v3|
	s_andn2_b32 s36, s36, exec_lo
	v_and_b32_e32 v4, 0xff, v4
	v_cmp_ne_u32_e32 vcc_lo, 0, v4
	s_and_b32 s41, vcc_lo, exec_lo
	s_or_b32 s36, s36, s41
	s_or_b32 exec_lo, exec_lo, s40
	v_mov_b32_e32 v5, 0
	s_and_saveexec_b32 s40, s36
	s_cbranch_execnz .LBB67_75
	s_branch .LBB67_76
.LBB67_321:
	s_mov_b32 s2, -1
	s_mov_b32 s1, 0
	s_mov_b32 s39, s37
	s_branch .LBB67_326
.LBB67_322:
	s_mov_b32 s40, -1
	s_mov_b32 s3, 0
	s_mov_b32 s0, s36
	s_branch .LBB67_337
.LBB67_323:
	s_andn2_saveexec_b32 s40, s40
	s_cbranch_execz .LBB67_87
.LBB67_324:
	v_add_f32_e64 v4, 0x42800000, |v3|
	s_andn2_b32 s36, s36, exec_lo
	v_and_b32_e32 v4, 0xff, v4
	v_cmp_ne_u32_e32 vcc_lo, 0, v4
	s_and_b32 s41, vcc_lo, exec_lo
	s_or_b32 s36, s36, s41
	s_or_b32 exec_lo, exec_lo, s40
	v_mov_b32_e32 v5, 0
	s_and_saveexec_b32 s40, s36
	s_cbranch_execnz .LBB67_88
	s_branch .LBB67_89
.LBB67_325:
	s_mov_b32 s39, -1
	s_mov_b32 s1, 0
.LBB67_326:
                                        ; implicit-def: $vgpr3
.LBB67_327:
	s_and_b32 vcc_lo, exec_lo, s2
	s_cbranch_vccz .LBB67_443
; %bb.328:
	s_cmp_eq_u32 s0, 44
	s_cbranch_scc0 .LBB67_442
; %bb.329:
	global_load_ubyte v3, v[1:2], off
	s_mov_b32 s39, 0
	s_mov_b32 s1, -1
	s_waitcnt vmcnt(0)
	v_lshlrev_b32_e32 v4, 23, v3
	v_cmp_ne_u32_e32 vcc_lo, 0xff, v3
	v_cvt_f16_f32_e32 v4, v4
	v_cndmask_b32_e32 v4, 0x7e00, v4, vcc_lo
	v_cmp_ne_u32_e32 vcc_lo, 0, v3
	v_cndmask_b32_e32 v3, 0, v4, vcc_lo
	s_branch .LBB67_443
.LBB67_330:
	s_mov_b32 s40, -1
	s_mov_b32 s3, 0
	s_mov_b32 s0, s36
.LBB67_331:
	s_and_b32 vcc_lo, exec_lo, s40
	s_cbranch_vccz .LBB67_336
; %bb.332:
	s_cmp_eq_u32 s2, 44
	s_mov_b32 s0, -1
	s_cbranch_scc0 .LBB67_336
; %bb.333:
	v_cvt_f32_f16_e32 v3, v2
	v_mov_b32_e32 v4, 0xff
	s_mov_b32 s3, exec_lo
	v_bfe_u32 v5, v3, 23, 8
	v_cmpx_ne_u32_e32 0xff, v5
	s_cbranch_execz .LBB67_335
; %bb.334:
	v_and_b32_e32 v4, 0x400000, v3
	v_and_or_b32 v5, 0x3fffff, v3, v5
	v_lshrrev_b32_e32 v3, 23, v3
	v_cmp_ne_u32_e32 vcc_lo, 0, v4
	v_cmp_ne_u32_e64 s0, 0, v5
	s_and_b32 s0, vcc_lo, s0
	v_cndmask_b32_e64 v4, 0, 1, s0
	v_add_nc_u32_e32 v4, v3, v4
.LBB67_335:
	s_or_b32 exec_lo, exec_lo, s3
	s_mov_b32 s3, -1
	s_mov_b32 s0, 0
	global_store_byte v[0:1], v4, off
.LBB67_336:
	s_mov_b32 s40, 0
.LBB67_337:
	s_and_b32 vcc_lo, exec_lo, s40
	s_cbranch_vccz .LBB67_340
; %bb.338:
	s_cmp_eq_u32 s2, 29
	s_mov_b32 s0, -1
	s_cbranch_scc0 .LBB67_340
; %bb.339:
	v_cvt_f32_f16_e32 v3, v2
	v_mov_b32_e32 v4, 0
	s_mov_b32 s3, -1
	s_mov_b32 s0, 0
	s_mov_b32 s40, 0
	v_cvt_u32_f32_e32 v3, v3
	global_store_dwordx2 v[0:1], v[3:4], off
	s_branch .LBB67_341
.LBB67_340:
	s_mov_b32 s40, 0
.LBB67_341:
	s_and_b32 vcc_lo, exec_lo, s40
	s_cbranch_vccz .LBB67_357
; %bb.342:
	s_cmp_lt_i32 s2, 27
	s_mov_b32 s3, -1
	s_cbranch_scc1 .LBB67_348
; %bb.343:
	s_cmp_gt_i32 s2, 27
	s_cbranch_scc0 .LBB67_345
; %bb.344:
	v_cvt_f32_f16_e32 v3, v2
	s_mov_b32 s3, 0
	v_cvt_u32_f32_e32 v3, v3
	global_store_dword v[0:1], v3, off
.LBB67_345:
	s_andn2_b32 vcc_lo, exec_lo, s3
	s_cbranch_vccnz .LBB67_347
; %bb.346:
	v_cvt_u16_f16_e32 v3, v2
	global_store_short v[0:1], v3, off
.LBB67_347:
	s_mov_b32 s3, 0
.LBB67_348:
	s_andn2_b32 vcc_lo, exec_lo, s3
	s_cbranch_vccnz .LBB67_356
; %bb.349:
	v_cvt_f32_f16_e32 v3, v2
	v_mov_b32_e32 v5, 0x80
	s_mov_b32 s3, exec_lo
	v_and_b32_e32 v4, 0x7fffffff, v3
	v_cmpx_gt_u32_e32 0x43800000, v4
	s_cbranch_execz .LBB67_355
; %bb.350:
	v_cmp_lt_u32_e32 vcc_lo, 0x3bffffff, v4
	s_mov_b32 s40, 0
                                        ; implicit-def: $vgpr4
	s_and_saveexec_b32 s42, vcc_lo
	s_xor_b32 s42, exec_lo, s42
	s_cbranch_execz .LBB67_583
; %bb.351:
	v_bfe_u32 v4, v3, 20, 1
	s_mov_b32 s40, exec_lo
	v_add3_u32 v4, v3, v4, 0x487ffff
	v_lshrrev_b32_e32 v4, 20, v4
	s_andn2_saveexec_b32 s42, s42
	s_cbranch_execnz .LBB67_584
.LBB67_352:
	s_or_b32 exec_lo, exec_lo, s42
	v_mov_b32_e32 v5, 0
	s_and_saveexec_b32 s42, s40
.LBB67_353:
	v_lshrrev_b32_e32 v3, 24, v3
	v_and_or_b32 v5, 0x80, v3, v4
.LBB67_354:
	s_or_b32 exec_lo, exec_lo, s42
.LBB67_355:
	s_or_b32 exec_lo, exec_lo, s3
	global_store_byte v[0:1], v5, off
.LBB67_356:
	s_mov_b32 s3, -1
.LBB67_357:
	s_mov_b32 s40, 0
.LBB67_358:
	s_and_b32 vcc_lo, exec_lo, s40
	s_cbranch_vccz .LBB67_399
; %bb.359:
	s_cmp_gt_i32 s2, 22
	s_mov_b32 s40, -1
	s_cbranch_scc0 .LBB67_391
; %bb.360:
	s_cmp_lt_i32 s2, 24
	s_mov_b32 s3, -1
	s_cbranch_scc1 .LBB67_380
; %bb.361:
	s_cmp_gt_i32 s2, 24
	s_cbranch_scc0 .LBB67_369
; %bb.362:
	v_cvt_f32_f16_e32 v3, v2
	v_mov_b32_e32 v5, 0x80
	s_mov_b32 s3, exec_lo
	v_and_b32_e32 v4, 0x7fffffff, v3
	v_cmpx_gt_u32_e32 0x47800000, v4
	s_cbranch_execz .LBB67_368
; %bb.363:
	v_cmp_lt_u32_e32 vcc_lo, 0x37ffffff, v4
	s_mov_b32 s40, 0
                                        ; implicit-def: $vgpr4
	s_and_saveexec_b32 s42, vcc_lo
	s_xor_b32 s42, exec_lo, s42
	s_cbranch_execz .LBB67_586
; %bb.364:
	v_bfe_u32 v4, v3, 21, 1
	s_mov_b32 s40, exec_lo
	v_add3_u32 v4, v3, v4, 0x88fffff
	v_lshrrev_b32_e32 v4, 21, v4
	s_andn2_saveexec_b32 s42, s42
	s_cbranch_execnz .LBB67_587
.LBB67_365:
	s_or_b32 exec_lo, exec_lo, s42
	v_mov_b32_e32 v5, 0
	s_and_saveexec_b32 s42, s40
.LBB67_366:
	v_lshrrev_b32_e32 v3, 24, v3
	v_and_or_b32 v5, 0x80, v3, v4
.LBB67_367:
	s_or_b32 exec_lo, exec_lo, s42
.LBB67_368:
	s_or_b32 exec_lo, exec_lo, s3
	s_mov_b32 s3, 0
	global_store_byte v[0:1], v5, off
.LBB67_369:
	s_and_b32 vcc_lo, exec_lo, s3
	s_cbranch_vccz .LBB67_379
; %bb.370:
	v_cvt_f32_f16_e32 v3, v2
	s_mov_b32 s3, exec_lo
                                        ; implicit-def: $vgpr4
	v_and_b32_e32 v5, 0x7fffffff, v3
	v_cmpx_gt_u32_e32 0x43f00000, v5
	s_xor_b32 s3, exec_lo, s3
	s_cbranch_execz .LBB67_376
; %bb.371:
	s_mov_b32 s40, exec_lo
                                        ; implicit-def: $vgpr4
	v_cmpx_lt_u32_e32 0x3c7fffff, v5
	s_xor_b32 s40, exec_lo, s40
; %bb.372:
	v_bfe_u32 v4, v3, 20, 1
	v_add3_u32 v4, v3, v4, 0x407ffff
	v_and_b32_e32 v5, 0xff00000, v4
	v_lshrrev_b32_e32 v4, 20, v4
	v_cmp_ne_u32_e32 vcc_lo, 0x7f00000, v5
	v_cndmask_b32_e32 v4, 0x7e, v4, vcc_lo
; %bb.373:
	s_andn2_saveexec_b32 s40, s40
; %bb.374:
	v_add_f32_e64 v4, 0x46800000, |v3|
; %bb.375:
	s_or_b32 exec_lo, exec_lo, s40
                                        ; implicit-def: $vgpr5
.LBB67_376:
	s_andn2_saveexec_b32 s3, s3
; %bb.377:
	v_mov_b32_e32 v4, 0x7f
	v_cmp_lt_u32_e32 vcc_lo, 0x7f800000, v5
	v_cndmask_b32_e32 v4, 0x7e, v4, vcc_lo
; %bb.378:
	s_or_b32 exec_lo, exec_lo, s3
	v_lshrrev_b32_e32 v3, 24, v3
	v_and_or_b32 v3, 0x80, v3, v4
	global_store_byte v[0:1], v3, off
.LBB67_379:
	s_mov_b32 s3, 0
.LBB67_380:
	s_andn2_b32 vcc_lo, exec_lo, s3
	s_cbranch_vccnz .LBB67_390
; %bb.381:
	v_cvt_f32_f16_e32 v3, v2
	s_mov_b32 s3, exec_lo
                                        ; implicit-def: $vgpr4
	v_and_b32_e32 v5, 0x7fffffff, v3
	v_cmpx_gt_u32_e32 0x47800000, v5
	s_xor_b32 s3, exec_lo, s3
	s_cbranch_execz .LBB67_387
; %bb.382:
	s_mov_b32 s40, exec_lo
                                        ; implicit-def: $vgpr4
	v_cmpx_lt_u32_e32 0x387fffff, v5
	s_xor_b32 s40, exec_lo, s40
; %bb.383:
	v_bfe_u32 v4, v3, 21, 1
	v_add3_u32 v4, v3, v4, 0x80fffff
	v_lshrrev_b32_e32 v4, 21, v4
; %bb.384:
	s_andn2_saveexec_b32 s40, s40
; %bb.385:
	v_add_f32_e64 v4, 0x43000000, |v3|
; %bb.386:
	s_or_b32 exec_lo, exec_lo, s40
                                        ; implicit-def: $vgpr5
.LBB67_387:
	s_andn2_saveexec_b32 s3, s3
; %bb.388:
	v_mov_b32_e32 v4, 0x7f
	v_cmp_lt_u32_e32 vcc_lo, 0x7f800000, v5
	v_cndmask_b32_e32 v4, 0x7c, v4, vcc_lo
; %bb.389:
	s_or_b32 exec_lo, exec_lo, s3
	v_lshrrev_b32_e32 v3, 24, v3
	v_and_or_b32 v3, 0x80, v3, v4
	global_store_byte v[0:1], v3, off
.LBB67_390:
	s_mov_b32 s40, 0
	s_mov_b32 s3, -1
.LBB67_391:
	s_andn2_b32 vcc_lo, exec_lo, s40
	s_cbranch_vccnz .LBB67_399
; %bb.392:
	s_cmp_gt_i32 s2, 14
	s_mov_b32 s40, -1
	s_cbranch_scc0 .LBB67_396
; %bb.393:
	s_cmp_eq_u32 s2, 15
	s_mov_b32 s0, -1
	s_cbranch_scc0 .LBB67_395
; %bb.394:
	v_cvt_f32_f16_e32 v3, v2
	v_cmp_o_f16_e32 vcc_lo, v2, v2
	s_mov_b32 s3, -1
	s_mov_b32 s0, 0
	v_bfe_u32 v4, v3, 16, 1
	v_add3_u32 v3, v3, v4, 0x7fff
	v_mov_b32_e32 v4, 0x7fc0
	v_cndmask_b32_sdwa v3, v4, v3, vcc_lo dst_sel:DWORD dst_unused:UNUSED_PAD src0_sel:DWORD src1_sel:WORD_1
	global_store_short v[0:1], v3, off
.LBB67_395:
	s_mov_b32 s40, 0
.LBB67_396:
	s_and_b32 vcc_lo, exec_lo, s40
	s_cbranch_vccz .LBB67_399
; %bb.397:
	s_cmp_eq_u32 s2, 11
	s_mov_b32 s0, -1
	s_cbranch_scc0 .LBB67_399
; %bb.398:
	v_cmp_neq_f16_e32 vcc_lo, 0, v2
	s_mov_b32 s0, 0
	s_mov_b32 s3, -1
	v_cndmask_b32_e64 v3, 0, 1, vcc_lo
	global_store_byte v[0:1], v3, off
.LBB67_399:
	s_mov_b32 s2, 0
.LBB67_400:
	s_and_b32 vcc_lo, exec_lo, s2
	s_cbranch_vccz .LBB67_439
; %bb.401:
	s_and_b32 s1, 0xffff, s1
	s_mov_b32 s2, -1
	s_cmp_lt_i32 s1, 5
	s_cbranch_scc1 .LBB67_422
; %bb.402:
	s_cmp_lt_i32 s1, 8
	s_cbranch_scc1 .LBB67_412
; %bb.403:
	;; [unrolled: 3-line block ×3, first 2 shown]
	s_cmp_gt_i32 s1, 9
	s_cbranch_scc0 .LBB67_406
; %bb.405:
	v_cvt_f32_f16_e32 v3, v2
	v_mov_b32_e32 v5, 0
	s_mov_b32 s2, 0
	v_cvt_f64_f32_e32 v[3:4], v3
	v_mov_b32_e32 v6, v5
	global_store_dwordx4 v[0:1], v[3:6], off
.LBB67_406:
	s_andn2_b32 vcc_lo, exec_lo, s2
	s_cbranch_vccnz .LBB67_408
; %bb.407:
	v_cvt_f32_f16_e32 v3, v2
	v_mov_b32_e32 v4, 0
	global_store_dwordx2 v[0:1], v[3:4], off
.LBB67_408:
	s_mov_b32 s2, 0
.LBB67_409:
	s_andn2_b32 vcc_lo, exec_lo, s2
	s_cbranch_vccnz .LBB67_411
; %bb.410:
	v_and_b32_e32 v3, 0xffff, v2
	global_store_dword v[0:1], v3, off
.LBB67_411:
	s_mov_b32 s2, 0
.LBB67_412:
	s_andn2_b32 vcc_lo, exec_lo, s2
	s_cbranch_vccnz .LBB67_421
; %bb.413:
	s_cmp_lt_i32 s1, 6
	s_mov_b32 s2, -1
	s_cbranch_scc1 .LBB67_419
; %bb.414:
	s_cmp_gt_i32 s1, 6
	s_cbranch_scc0 .LBB67_416
; %bb.415:
	v_cvt_f32_f16_e32 v3, v2
	s_mov_b32 s2, 0
	v_cvt_f64_f32_e32 v[3:4], v3
	global_store_dwordx2 v[0:1], v[3:4], off
.LBB67_416:
	s_andn2_b32 vcc_lo, exec_lo, s2
	s_cbranch_vccnz .LBB67_418
; %bb.417:
	v_cvt_f32_f16_e32 v3, v2
	global_store_dword v[0:1], v3, off
.LBB67_418:
	s_mov_b32 s2, 0
.LBB67_419:
	s_andn2_b32 vcc_lo, exec_lo, s2
	s_cbranch_vccnz .LBB67_421
; %bb.420:
	global_store_short v[0:1], v2, off
.LBB67_421:
	s_mov_b32 s2, 0
.LBB67_422:
	s_andn2_b32 vcc_lo, exec_lo, s2
	s_cbranch_vccnz .LBB67_438
; %bb.423:
	s_cmp_lt_i32 s1, 2
	s_mov_b32 s2, -1
	s_cbranch_scc1 .LBB67_433
; %bb.424:
	s_cmp_lt_i32 s1, 3
	s_cbranch_scc1 .LBB67_430
; %bb.425:
	s_cmp_gt_i32 s1, 3
	s_cbranch_scc0 .LBB67_427
; %bb.426:
	v_cvt_f32_f16_e32 v3, v2
	s_mov_b32 s2, 0
	v_cvt_i32_f32_e32 v3, v3
	v_ashrrev_i32_e32 v4, 31, v3
	global_store_dwordx2 v[0:1], v[3:4], off
.LBB67_427:
	s_andn2_b32 vcc_lo, exec_lo, s2
	s_cbranch_vccnz .LBB67_429
; %bb.428:
	v_cvt_f32_f16_e32 v3, v2
	v_cvt_i32_f32_e32 v3, v3
	global_store_dword v[0:1], v3, off
.LBB67_429:
	s_mov_b32 s2, 0
.LBB67_430:
	s_andn2_b32 vcc_lo, exec_lo, s2
	s_cbranch_vccnz .LBB67_432
; %bb.431:
	v_cvt_i16_f16_e32 v3, v2
	global_store_short v[0:1], v3, off
.LBB67_432:
	s_mov_b32 s2, 0
.LBB67_433:
	s_andn2_b32 vcc_lo, exec_lo, s2
	s_cbranch_vccnz .LBB67_438
; %bb.434:
	s_cmp_gt_i32 s1, 0
	s_mov_b32 s1, -1
	s_cbranch_scc0 .LBB67_436
; %bb.435:
	v_cvt_i16_f16_e32 v3, v2
	s_mov_b32 s1, 0
	global_store_byte v[0:1], v3, off
.LBB67_436:
	s_andn2_b32 vcc_lo, exec_lo, s1
	s_cbranch_vccnz .LBB67_438
; %bb.437:
	v_cvt_f32_f16_e32 v2, v2
	v_cvt_i32_f32_e32 v2, v2
	global_store_byte v[0:1], v2, off
.LBB67_438:
	s_mov_b32 s3, -1
.LBB67_439:
	s_andn2_b32 vcc_lo, exec_lo, s3
	s_cbranch_vccnz .LBB67_441
; %bb.440:
	v_add_nc_u32_e32 v8, 0x80, v8
	s_mov_b32 s1, -1
	s_branch .LBB67_554
.LBB67_441:
	s_mov_b32 s1, 0
	s_branch .LBB67_553
.LBB67_442:
	s_mov_b32 s39, -1
                                        ; implicit-def: $vgpr3
.LBB67_443:
	s_mov_b32 s2, 0
.LBB67_444:
	s_and_b32 vcc_lo, exec_lo, s2
	s_cbranch_vccz .LBB67_448
; %bb.445:
	s_cmp_eq_u32 s0, 29
	s_cbranch_scc0 .LBB67_447
; %bb.446:
	global_load_dwordx2 v[3:4], v[1:2], off
	s_mov_b32 s1, -1
	s_mov_b32 s39, 0
	s_mov_b32 s2, 0
	s_waitcnt vmcnt(0)
	v_ffbh_u32_e32 v5, v4
	v_min_u32_e32 v5, 32, v5
	v_lshlrev_b64 v[3:4], v5, v[3:4]
	v_min_u32_e32 v3, 1, v3
	v_or_b32_e32 v3, v4, v3
	v_sub_nc_u32_e32 v4, 32, v5
	v_cvt_f32_u32_e32 v3, v3
	v_ldexp_f32 v3, v3, v4
	v_cvt_f16_f32_e32 v3, v3
	s_branch .LBB67_449
.LBB67_447:
	s_mov_b32 s39, -1
                                        ; implicit-def: $vgpr3
.LBB67_448:
	s_mov_b32 s2, 0
.LBB67_449:
	s_and_b32 vcc_lo, exec_lo, s2
	s_cbranch_vccz .LBB67_467
; %bb.450:
	s_cmp_lt_i32 s0, 27
	s_cbranch_scc1 .LBB67_453
; %bb.451:
	s_cmp_gt_i32 s0, 27
	s_cbranch_scc0 .LBB67_454
; %bb.452:
	global_load_dword v3, v[1:2], off
	s_mov_b32 s1, 0
	s_waitcnt vmcnt(0)
	v_cvt_f32_u32_e32 v3, v3
	v_cvt_f16_f32_e32 v3, v3
	s_branch .LBB67_455
.LBB67_453:
	s_mov_b32 s1, -1
                                        ; implicit-def: $vgpr3
	s_branch .LBB67_458
.LBB67_454:
	s_mov_b32 s1, -1
                                        ; implicit-def: $vgpr3
.LBB67_455:
	s_andn2_b32 vcc_lo, exec_lo, s1
	s_cbranch_vccnz .LBB67_457
; %bb.456:
	global_load_ushort v3, v[1:2], off
	s_waitcnt vmcnt(0)
	v_cvt_f16_u16_e32 v3, v3
.LBB67_457:
	s_mov_b32 s1, 0
.LBB67_458:
	s_andn2_b32 vcc_lo, exec_lo, s1
	s_cbranch_vccnz .LBB67_466
; %bb.459:
	global_load_ubyte v4, v[1:2], off
	s_mov_b32 s1, 0
	s_mov_b32 s2, exec_lo
	s_waitcnt vmcnt(0)
	v_cmpx_lt_i16_e32 0x7f, v4
	s_xor_b32 s2, exec_lo, s2
	s_cbranch_execz .LBB67_480
; %bb.460:
	s_mov_b32 s1, -1
	s_mov_b32 s3, exec_lo
	v_cmpx_eq_u16_e32 0x80, v4
; %bb.461:
	s_xor_b32 s1, exec_lo, -1
; %bb.462:
	s_or_b32 exec_lo, exec_lo, s3
	s_and_b32 s1, s1, exec_lo
	s_or_saveexec_b32 s2, s2
	v_mov_b32_e32 v3, 0x7e00
	s_xor_b32 exec_lo, exec_lo, s2
	s_cbranch_execnz .LBB67_481
.LBB67_463:
	s_or_b32 exec_lo, exec_lo, s2
	s_and_saveexec_b32 s2, s1
	s_cbranch_execz .LBB67_465
.LBB67_464:
	v_and_b32_e32 v3, 0xffff, v4
	v_lshlrev_b32_e32 v4, 24, v4
	v_and_b32_e32 v5, 7, v3
	v_bfe_u32 v9, v3, 3, 4
	v_and_b32_e32 v4, 0x80000000, v4
	v_ffbh_u32_e32 v6, v5
	v_cmp_eq_u32_e32 vcc_lo, 0, v9
	v_min_u32_e32 v6, 32, v6
	v_subrev_nc_u32_e32 v7, 28, v6
	v_sub_nc_u32_e32 v6, 29, v6
	v_lshlrev_b32_e32 v3, v7, v3
	v_cndmask_b32_e32 v6, v9, v6, vcc_lo
	v_and_b32_e32 v3, 7, v3
	v_cndmask_b32_e32 v3, v5, v3, vcc_lo
	v_lshl_add_u32 v5, v6, 23, 0x3b800000
	v_lshlrev_b32_e32 v3, 20, v3
	v_or3_b32 v3, v4, v5, v3
	v_cvt_f16_f32_e32 v3, v3
.LBB67_465:
	s_or_b32 exec_lo, exec_lo, s2
.LBB67_466:
	s_mov_b32 s1, -1
.LBB67_467:
	s_mov_b32 s2, 0
.LBB67_468:
	s_and_b32 vcc_lo, exec_lo, s2
	s_cbranch_vccz .LBB67_503
; %bb.469:
	s_cmp_gt_i32 s0, 22
	s_cbranch_scc0 .LBB67_479
; %bb.470:
	s_cmp_lt_i32 s0, 24
	s_cbranch_scc1 .LBB67_482
; %bb.471:
	s_cmp_gt_i32 s0, 24
	s_cbranch_scc0 .LBB67_483
; %bb.472:
	global_load_ubyte v4, v[1:2], off
	s_mov_b32 s1, 0
	s_mov_b32 s2, exec_lo
	s_waitcnt vmcnt(0)
	v_cmpx_lt_i16_e32 0x7f, v4
	s_xor_b32 s2, exec_lo, s2
	s_cbranch_execz .LBB67_495
; %bb.473:
	s_mov_b32 s1, -1
	s_mov_b32 s3, exec_lo
	v_cmpx_eq_u16_e32 0x80, v4
; %bb.474:
	s_xor_b32 s1, exec_lo, -1
; %bb.475:
	s_or_b32 exec_lo, exec_lo, s3
	s_and_b32 s1, s1, exec_lo
	s_or_saveexec_b32 s2, s2
	v_mov_b32_e32 v3, 0x7e00
	s_xor_b32 exec_lo, exec_lo, s2
	s_cbranch_execnz .LBB67_496
.LBB67_476:
	s_or_b32 exec_lo, exec_lo, s2
	s_and_saveexec_b32 s2, s1
	s_cbranch_execz .LBB67_478
.LBB67_477:
	v_and_b32_e32 v3, 0xffff, v4
	v_lshlrev_b32_e32 v4, 24, v4
	v_and_b32_e32 v5, 3, v3
	v_bfe_u32 v9, v3, 2, 5
	v_and_b32_e32 v4, 0x80000000, v4
	v_ffbh_u32_e32 v6, v5
	v_cmp_eq_u32_e32 vcc_lo, 0, v9
	v_min_u32_e32 v6, 32, v6
	v_subrev_nc_u32_e32 v7, 29, v6
	v_sub_nc_u32_e32 v6, 30, v6
	v_lshlrev_b32_e32 v3, v7, v3
	v_cndmask_b32_e32 v6, v9, v6, vcc_lo
	v_and_b32_e32 v3, 3, v3
	v_cndmask_b32_e32 v3, v5, v3, vcc_lo
	v_lshl_add_u32 v5, v6, 23, 0x37800000
	v_lshlrev_b32_e32 v3, 21, v3
	v_or3_b32 v3, v4, v5, v3
	v_cvt_f16_f32_e32 v3, v3
.LBB67_478:
	s_or_b32 exec_lo, exec_lo, s2
	s_mov_b32 s1, 0
	s_branch .LBB67_484
.LBB67_479:
	s_mov_b32 s2, -1
                                        ; implicit-def: $vgpr3
	s_branch .LBB67_490
.LBB67_480:
	s_or_saveexec_b32 s2, s2
	v_mov_b32_e32 v3, 0x7e00
	s_xor_b32 exec_lo, exec_lo, s2
	s_cbranch_execz .LBB67_463
.LBB67_481:
	v_cmp_ne_u16_e32 vcc_lo, 0, v4
	v_mov_b32_e32 v3, v4
	s_andn2_b32 s1, s1, exec_lo
	s_and_b32 s3, vcc_lo, exec_lo
	s_or_b32 s1, s1, s3
	s_or_b32 exec_lo, exec_lo, s2
	s_and_saveexec_b32 s2, s1
	s_cbranch_execnz .LBB67_464
	s_branch .LBB67_465
.LBB67_482:
	s_mov_b32 s1, -1
                                        ; implicit-def: $vgpr3
	s_branch .LBB67_487
.LBB67_483:
	s_mov_b32 s1, -1
                                        ; implicit-def: $vgpr3
.LBB67_484:
	s_and_b32 vcc_lo, exec_lo, s1
	s_cbranch_vccz .LBB67_486
; %bb.485:
	global_load_ubyte v3, v[1:2], off
	s_waitcnt vmcnt(0)
	v_lshlrev_b32_e32 v3, 24, v3
	v_and_b32_e32 v4, 0x7f000000, v3
	v_ffbh_u32_e32 v5, v4
	v_add_nc_u32_e32 v7, 0x1000000, v4
	v_cmp_ne_u32_e32 vcc_lo, 0, v4
	v_min_u32_e32 v5, 32, v5
	v_sub_nc_u32_e64 v5, v5, 4 clamp
	v_lshlrev_b32_e32 v6, v5, v4
	v_lshlrev_b32_e32 v5, 23, v5
	v_lshrrev_b32_e32 v6, 4, v6
	v_sub_nc_u32_e32 v5, v6, v5
	v_ashrrev_i32_e32 v6, 8, v7
	v_add_nc_u32_e32 v5, 0x3c000000, v5
	v_and_or_b32 v5, 0x7f800000, v6, v5
	v_cndmask_b32_e32 v4, 0, v5, vcc_lo
	v_and_or_b32 v3, 0x80000000, v3, v4
	v_cvt_f16_f32_e32 v3, v3
.LBB67_486:
	s_mov_b32 s1, 0
.LBB67_487:
	s_andn2_b32 vcc_lo, exec_lo, s1
	s_cbranch_vccnz .LBB67_489
; %bb.488:
	global_load_ubyte v3, v[1:2], off
	s_waitcnt vmcnt(0)
	v_lshlrev_b32_e32 v4, 25, v3
	v_lshlrev_b16 v3, 8, v3
	v_lshrrev_b32_e32 v5, 4, v4
	v_and_or_b32 v6, 0x7f00, v3, 0.5
	v_cmp_gt_u32_e32 vcc_lo, 0x8000000, v4
	v_bfe_i32 v3, v3, 0, 16
	v_or_b32_e32 v5, 0x70000000, v5
	v_add_f32_e32 v6, -0.5, v6
	v_mul_f32_e32 v5, 0x7800000, v5
	v_cndmask_b32_e32 v4, v5, v6, vcc_lo
	v_and_or_b32 v3, 0x80000000, v3, v4
	v_cvt_f16_f32_e32 v3, v3
.LBB67_489:
	s_mov_b32 s2, 0
	s_mov_b32 s1, -1
.LBB67_490:
	s_andn2_b32 vcc_lo, exec_lo, s2
	s_cbranch_vccnz .LBB67_503
; %bb.491:
	s_cmp_gt_i32 s0, 14
	s_cbranch_scc0 .LBB67_494
; %bb.492:
	s_cmp_eq_u32 s0, 15
	s_cbranch_scc0 .LBB67_497
; %bb.493:
	global_load_ushort v3, v[1:2], off
	s_mov_b32 s1, -1
	s_mov_b32 s39, 0
	s_waitcnt vmcnt(0)
	v_lshlrev_b32_e32 v3, 16, v3
	v_cvt_f16_f32_e32 v3, v3
	s_branch .LBB67_498
.LBB67_494:
	s_mov_b32 s2, -1
                                        ; implicit-def: $vgpr3
	s_branch .LBB67_499
.LBB67_495:
	s_or_saveexec_b32 s2, s2
	v_mov_b32_e32 v3, 0x7e00
	s_xor_b32 exec_lo, exec_lo, s2
	s_cbranch_execz .LBB67_476
.LBB67_496:
	v_cmp_ne_u16_e32 vcc_lo, 0, v4
	v_mov_b32_e32 v3, v4
	s_andn2_b32 s1, s1, exec_lo
	s_and_b32 s3, vcc_lo, exec_lo
	s_or_b32 s1, s1, s3
	s_or_b32 exec_lo, exec_lo, s2
	s_and_saveexec_b32 s2, s1
	s_cbranch_execnz .LBB67_477
	s_branch .LBB67_478
.LBB67_497:
	s_mov_b32 s39, -1
                                        ; implicit-def: $vgpr3
.LBB67_498:
	s_mov_b32 s2, 0
.LBB67_499:
	s_and_b32 vcc_lo, exec_lo, s2
	s_cbranch_vccz .LBB67_503
; %bb.500:
	s_cmp_eq_u32 s0, 11
	s_cbranch_scc0 .LBB67_502
; %bb.501:
	global_load_ubyte v3, v[1:2], off
	s_mov_b32 s39, 0
	s_mov_b32 s1, -1
	s_waitcnt vmcnt(0)
	v_cmp_ne_u16_e32 vcc_lo, 0, v3
	v_cndmask_b32_e64 v3, 0, 0x3c00, vcc_lo
	s_branch .LBB67_503
.LBB67_502:
	s_mov_b32 s39, -1
                                        ; implicit-def: $vgpr3
.LBB67_503:
	s_branch .LBB67_299
.LBB67_504:
	s_cmp_lt_i32 s0, 5
	s_cbranch_scc1 .LBB67_509
; %bb.505:
	s_cmp_lt_i32 s0, 8
	s_cbranch_scc1 .LBB67_510
; %bb.506:
	;; [unrolled: 3-line block ×3, first 2 shown]
	s_cmp_gt_i32 s0, 9
	s_cbranch_scc0 .LBB67_512
; %bb.508:
	global_load_dwordx2 v[3:4], v[1:2], off
	s_mov_b32 s1, 0
	s_waitcnt vmcnt(0)
	v_and_or_b32 v3, 0x1ff, v4, v3
	v_lshrrev_b32_e32 v5, 8, v4
	v_bfe_u32 v6, v4, 20, 11
	v_lshrrev_b32_e32 v4, 16, v4
	v_cmp_ne_u32_e32 vcc_lo, 0, v3
	v_sub_nc_u32_e32 v7, 0x3f1, v6
	v_add_nc_u32_e32 v6, 0xfffffc10, v6
	v_cndmask_b32_e64 v3, 0, 1, vcc_lo
	v_and_or_b32 v3, 0xffe, v5, v3
	v_med3_i32 v5, v7, 0, 13
	v_or_b32_e32 v7, 0x1000, v3
	v_lshrrev_b32_e32 v9, v5, v7
	v_lshlrev_b32_e32 v5, v5, v9
	v_cmp_ne_u32_e32 vcc_lo, v5, v7
	v_lshl_or_b32 v7, v6, 12, v3
	v_cndmask_b32_e64 v5, 0, 1, vcc_lo
	v_cmp_gt_i32_e32 vcc_lo, 1, v6
	v_or_b32_e32 v5, v9, v5
	v_cndmask_b32_e32 v5, v7, v5, vcc_lo
	v_and_b32_e32 v7, 7, v5
	v_lshrrev_b32_e32 v5, 2, v5
	v_cmp_lt_i32_e32 vcc_lo, 5, v7
	v_cndmask_b32_e64 v9, 0, 1, vcc_lo
	v_cmp_eq_u32_e32 vcc_lo, 3, v7
	v_cndmask_b32_e64 v7, 0, 1, vcc_lo
	v_cmp_ne_u32_e32 vcc_lo, 0, v3
	v_or_b32_e32 v7, v7, v9
	v_mov_b32_e32 v9, 0x7e00
	v_add_nc_u32_e32 v5, v5, v7
	v_cndmask_b32_e32 v3, 0x7c00, v9, vcc_lo
	v_cmp_gt_i32_e32 vcc_lo, 31, v6
	v_cndmask_b32_e32 v5, 0x7c00, v5, vcc_lo
	v_cmp_eq_u32_e32 vcc_lo, 0x40f, v6
	v_cndmask_b32_e32 v3, v5, v3, vcc_lo
	v_and_or_b32 v3, 0x8000, v4, v3
	s_branch .LBB67_513
.LBB67_509:
	s_mov_b32 s1, -1
                                        ; implicit-def: $vgpr3
	s_branch .LBB67_531
.LBB67_510:
	s_mov_b32 s1, -1
                                        ; implicit-def: $vgpr3
	s_branch .LBB67_519
.LBB67_511:
	s_mov_b32 s1, -1
                                        ; implicit-def: $vgpr3
	s_branch .LBB67_516
.LBB67_512:
	s_mov_b32 s1, -1
                                        ; implicit-def: $vgpr3
.LBB67_513:
	s_andn2_b32 vcc_lo, exec_lo, s1
	s_cbranch_vccnz .LBB67_515
; %bb.514:
	global_load_dword v3, v[1:2], off
	s_waitcnt vmcnt(0)
	v_cvt_f16_f32_e32 v3, v3
.LBB67_515:
	s_mov_b32 s1, 0
.LBB67_516:
	s_andn2_b32 vcc_lo, exec_lo, s1
	s_cbranch_vccnz .LBB67_518
; %bb.517:
	global_load_dword v3, v[1:2], off
.LBB67_518:
	s_mov_b32 s1, 0
.LBB67_519:
	s_andn2_b32 vcc_lo, exec_lo, s1
	s_cbranch_vccnz .LBB67_530
; %bb.520:
	s_cmp_lt_i32 s0, 6
	s_cbranch_scc1 .LBB67_523
; %bb.521:
	s_cmp_gt_i32 s0, 6
	s_cbranch_scc0 .LBB67_524
; %bb.522:
	global_load_dwordx2 v[3:4], v[1:2], off
	s_mov_b32 s1, 0
	s_waitcnt vmcnt(0)
	v_and_or_b32 v3, 0x1ff, v4, v3
	v_lshrrev_b32_e32 v5, 8, v4
	v_bfe_u32 v6, v4, 20, 11
	v_lshrrev_b32_e32 v4, 16, v4
	v_cmp_ne_u32_e32 vcc_lo, 0, v3
	v_sub_nc_u32_e32 v7, 0x3f1, v6
	v_add_nc_u32_e32 v6, 0xfffffc10, v6
	v_cndmask_b32_e64 v3, 0, 1, vcc_lo
	v_and_or_b32 v3, 0xffe, v5, v3
	v_med3_i32 v5, v7, 0, 13
	v_or_b32_e32 v7, 0x1000, v3
	v_lshrrev_b32_e32 v9, v5, v7
	v_lshlrev_b32_e32 v5, v5, v9
	v_cmp_ne_u32_e32 vcc_lo, v5, v7
	v_lshl_or_b32 v7, v6, 12, v3
	v_cndmask_b32_e64 v5, 0, 1, vcc_lo
	v_cmp_gt_i32_e32 vcc_lo, 1, v6
	v_or_b32_e32 v5, v9, v5
	v_cndmask_b32_e32 v5, v7, v5, vcc_lo
	v_and_b32_e32 v7, 7, v5
	v_lshrrev_b32_e32 v5, 2, v5
	v_cmp_lt_i32_e32 vcc_lo, 5, v7
	v_cndmask_b32_e64 v9, 0, 1, vcc_lo
	v_cmp_eq_u32_e32 vcc_lo, 3, v7
	v_cndmask_b32_e64 v7, 0, 1, vcc_lo
	v_cmp_ne_u32_e32 vcc_lo, 0, v3
	v_or_b32_e32 v7, v7, v9
	v_mov_b32_e32 v9, 0x7e00
	v_add_nc_u32_e32 v5, v5, v7
	v_cndmask_b32_e32 v3, 0x7c00, v9, vcc_lo
	v_cmp_gt_i32_e32 vcc_lo, 31, v6
	v_cndmask_b32_e32 v5, 0x7c00, v5, vcc_lo
	v_cmp_eq_u32_e32 vcc_lo, 0x40f, v6
	v_cndmask_b32_e32 v3, v5, v3, vcc_lo
	v_and_or_b32 v3, 0x8000, v4, v3
	s_branch .LBB67_525
.LBB67_523:
	s_mov_b32 s1, -1
                                        ; implicit-def: $vgpr3
	s_branch .LBB67_528
.LBB67_524:
	s_mov_b32 s1, -1
                                        ; implicit-def: $vgpr3
.LBB67_525:
	s_andn2_b32 vcc_lo, exec_lo, s1
	s_cbranch_vccnz .LBB67_527
; %bb.526:
	global_load_dword v3, v[1:2], off
	s_waitcnt vmcnt(0)
	v_cvt_f16_f32_e32 v3, v3
.LBB67_527:
	s_mov_b32 s1, 0
.LBB67_528:
	s_andn2_b32 vcc_lo, exec_lo, s1
	s_cbranch_vccnz .LBB67_530
; %bb.529:
	global_load_ushort v3, v[1:2], off
.LBB67_530:
	s_mov_b32 s1, 0
.LBB67_531:
	s_andn2_b32 vcc_lo, exec_lo, s1
	s_cbranch_vccnz .LBB67_551
; %bb.532:
	s_cmp_lt_i32 s0, 2
	s_cbranch_scc1 .LBB67_536
; %bb.533:
	s_cmp_lt_i32 s0, 3
	s_cbranch_scc1 .LBB67_537
; %bb.534:
	s_cmp_gt_i32 s0, 3
	s_cbranch_scc0 .LBB67_538
; %bb.535:
	global_load_dwordx2 v[3:4], v[1:2], off
	s_mov_b32 s1, 0
	s_waitcnt vmcnt(0)
	v_xor_b32_e32 v5, v3, v4
	v_ffbh_i32_e32 v6, v4
	v_ashrrev_i32_e32 v5, 31, v5
	v_add_nc_u32_e32 v6, -1, v6
	v_add_nc_u32_e32 v5, 32, v5
	v_min_u32_e32 v5, v6, v5
	v_lshlrev_b64 v[3:4], v5, v[3:4]
	v_min_u32_e32 v3, 1, v3
	v_or_b32_e32 v3, v4, v3
	v_sub_nc_u32_e32 v4, 32, v5
	v_cvt_f32_i32_e32 v3, v3
	v_ldexp_f32 v3, v3, v4
	v_cvt_f16_f32_e32 v3, v3
	s_branch .LBB67_539
.LBB67_536:
	s_mov_b32 s1, -1
                                        ; implicit-def: $vgpr3
	s_branch .LBB67_545
.LBB67_537:
	s_mov_b32 s1, -1
                                        ; implicit-def: $vgpr3
	s_branch .LBB67_542
.LBB67_538:
	s_mov_b32 s1, -1
                                        ; implicit-def: $vgpr3
.LBB67_539:
	s_andn2_b32 vcc_lo, exec_lo, s1
	s_cbranch_vccnz .LBB67_541
; %bb.540:
	global_load_dword v3, v[1:2], off
	s_waitcnt vmcnt(0)
	v_cvt_f32_i32_e32 v3, v3
	v_cvt_f16_f32_e32 v3, v3
.LBB67_541:
	s_mov_b32 s1, 0
.LBB67_542:
	s_andn2_b32 vcc_lo, exec_lo, s1
	s_cbranch_vccnz .LBB67_544
; %bb.543:
	global_load_ushort v3, v[1:2], off
	s_waitcnt vmcnt(0)
	v_cvt_f16_i16_e32 v3, v3
.LBB67_544:
	s_mov_b32 s1, 0
.LBB67_545:
	s_andn2_b32 vcc_lo, exec_lo, s1
	s_cbranch_vccnz .LBB67_551
; %bb.546:
	s_cmp_gt_i32 s0, 0
	s_mov_b32 s0, 0
	s_cbranch_scc0 .LBB67_548
; %bb.547:
	global_load_sbyte v3, v[1:2], off
	s_waitcnt vmcnt(0)
	v_cvt_f16_i16_e32 v3, v3
	s_branch .LBB67_549
.LBB67_548:
	s_mov_b32 s0, -1
                                        ; implicit-def: $vgpr3
.LBB67_549:
	s_andn2_b32 vcc_lo, exec_lo, s0
	s_cbranch_vccnz .LBB67_551
; %bb.550:
	global_load_ubyte v1, v[1:2], off
	s_waitcnt vmcnt(0)
	v_cvt_f16_u16_e32 v3, v1
.LBB67_551:
	s_branch .LBB67_300
.LBB67_552:
	s_mov_b32 s1, 0
	s_mov_b32 s0, s36
.LBB67_553:
                                        ; implicit-def: $vgpr8
.LBB67_554:
	s_andn2_b32 s2, s36, exec_lo
	s_and_b32 s0, s0, exec_lo
	s_andn2_b32 s3, s37, exec_lo
	s_and_b32 s39, s39, exec_lo
	s_or_b32 s40, s2, s0
	s_or_b32 s39, s3, s39
	s_orn2_b32 s0, s1, exec_lo
.LBB67_555:
	s_or_b32 exec_lo, exec_lo, s41
	s_mov_b32 s1, 0
	s_mov_b32 s2, 0
	;; [unrolled: 1-line block ×3, first 2 shown]
                                        ; implicit-def: $vgpr1_vgpr2
                                        ; implicit-def: $vgpr0
                                        ; implicit-def: $vgpr4
	s_and_saveexec_b32 s41, s0
	s_cbranch_execz .LBB67_938
; %bb.556:
	s_mov_b32 s3, -1
	s_mov_b32 s43, s39
	s_mov_b32 s44, s40
	s_mov_b32 s42, exec_lo
	v_cmpx_gt_i32_e64 s33, v8
	s_cbranch_execz .LBB67_837
; %bb.557:
	s_andn2_b32 vcc_lo, exec_lo, s27
	s_cbranch_vccnz .LBB67_562
; %bb.558:
	s_andn2_b32 vcc_lo, exec_lo, s34
	s_cbranch_vccnz .LBB67_563
; %bb.559:
	s_add_i32 s44, s35, 1
	s_cmp_eq_u32 s25, 2
	s_cbranch_scc1 .LBB67_564
; %bb.560:
	v_mov_b32_e32 v2, 0
	v_mov_b32_e32 v0, 0
	;; [unrolled: 1-line block ×3, first 2 shown]
	s_and_b32 s43, s44, 28
	s_mov_b32 s45, 0
	s_mov_b64 s[0:1], s[6:7]
	s_mov_b64 s[2:3], s[22:23]
.LBB67_561:                             ; =>This Inner Loop Header: Depth=1
	s_clause 0x1
	s_load_dwordx8 s[48:55], s[0:1], 0x4
	s_load_dwordx4 s[64:67], s[0:1], 0x24
	s_load_dwordx8 s[56:63], s[2:3], 0x0
	s_add_u32 s0, s0, 48
	s_addc_u32 s1, s1, 0
	s_add_i32 s45, s45, 4
	s_add_u32 s2, s2, 32
	s_addc_u32 s3, s3, 0
	s_cmp_eq_u32 s43, s45
	s_waitcnt vmcnt(0) lgkmcnt(0)
	v_mul_hi_u32 v3, s49, v1
	v_add_nc_u32_e32 v3, v1, v3
	v_lshrrev_b32_e32 v3, s50, v3
	v_mul_hi_u32 v4, s52, v3
	v_mul_lo_u32 v6, v3, s48
	v_add_nc_u32_e32 v4, v3, v4
	v_sub_nc_u32_e32 v1, v1, v6
	v_lshrrev_b32_e32 v4, s53, v4
	v_mul_lo_u32 v6, v1, s56
	v_mul_lo_u32 v9, v1, s57
	v_mul_hi_u32 v5, s55, v4
	v_add_nc_u32_e32 v5, v4, v5
	v_lshrrev_b32_e32 v5, s64, v5
	v_mul_hi_u32 v7, s66, v5
	v_mul_lo_u32 v10, v5, s54
	v_add_nc_u32_e32 v1, v5, v7
	v_mul_lo_u32 v7, v4, s51
	v_sub_nc_u32_e32 v4, v4, v10
	v_lshrrev_b32_e32 v1, s67, v1
	v_mul_lo_u32 v10, v4, s60
	v_mul_lo_u32 v4, v4, s61
	v_sub_nc_u32_e32 v3, v3, v7
	v_mul_lo_u32 v11, v1, s65
	v_mul_lo_u32 v7, v3, s58
	;; [unrolled: 1-line block ×3, first 2 shown]
	v_sub_nc_u32_e32 v5, v5, v11
	v_add3_u32 v0, v6, v0, v7
	v_mul_lo_u32 v11, v5, s62
	v_mul_lo_u32 v5, v5, s63
	v_add3_u32 v2, v9, v2, v3
	v_add3_u32 v0, v10, v0, v11
	;; [unrolled: 1-line block ×3, first 2 shown]
	s_cbranch_scc0 .LBB67_561
	s_branch .LBB67_565
.LBB67_562:
	s_mov_b32 s0, -1
                                        ; implicit-def: $vgpr0
                                        ; implicit-def: $vgpr2
	s_branch .LBB67_569
.LBB67_563:
	v_mov_b32_e32 v0, 0
	v_mov_b32_e32 v2, 0
	s_branch .LBB67_568
.LBB67_564:
	v_mov_b32_e32 v0, 0
	v_mov_b32_e32 v2, 0
	;; [unrolled: 1-line block ×3, first 2 shown]
	s_mov_b32 s43, 0
.LBB67_565:
	s_and_b32 s44, s44, 3
	s_cmp_eq_u32 s44, 0
	s_cbranch_scc1 .LBB67_568
; %bb.566:
	s_lshl_b32 s0, s43, 3
	s_mul_i32 s2, s43, 12
	s_add_u32 s0, s6, s0
	s_addc_u32 s1, s7, 0
	s_add_u32 s0, s0, 0xc4
	s_addc_u32 s1, s1, 0
	;; [unrolled: 2-line block ×3, first 2 shown]
	.p2align	6
.LBB67_567:                             ; =>This Inner Loop Header: Depth=1
	s_clause 0x1
	s_load_dwordx2 s[46:47], s[2:3], 0x4
	s_load_dword s43, s[2:3], 0xc
	s_load_dwordx2 s[48:49], s[0:1], 0x0
	s_add_u32 s2, s2, 12
	s_addc_u32 s3, s3, 0
	s_add_u32 s0, s0, 8
	s_addc_u32 s1, s1, 0
	s_add_i32 s44, s44, -1
	s_cmp_lg_u32 s44, 0
	s_waitcnt vmcnt(0) lgkmcnt(0)
	v_mul_hi_u32 v3, s47, v1
	v_add_nc_u32_e32 v3, v1, v3
	v_lshrrev_b32_e32 v4, s43, v3
	v_mul_lo_u32 v3, v4, s46
	v_sub_nc_u32_e32 v3, v1, v3
	v_mad_u64_u32 v[0:1], null, v3, s48, v[0:1]
	v_mad_u64_u32 v[2:3], null, v3, s49, v[2:3]
	v_mov_b32_e32 v1, v4
	s_cbranch_scc1 .LBB67_567
.LBB67_568:
	s_mov_b32 s0, 0
.LBB67_569:
	s_andn2_b32 vcc_lo, exec_lo, s0
	s_cbranch_vccnz .LBB67_572
; %bb.570:
	s_waitcnt lgkmcnt(0)
	v_mul_hi_u32 v0, s17, v8
	s_andn2_b32 vcc_lo, exec_lo, s31
	v_add_nc_u32_e32 v0, v8, v0
	v_lshrrev_b32_e32 v1, s18, v0
	v_mul_lo_u32 v0, v1, s16
	v_sub_nc_u32_e32 v2, v8, v0
	v_mul_lo_u32 v0, v2, s12
	v_mul_lo_u32 v2, v2, s13
	s_cbranch_vccnz .LBB67_572
; %bb.571:
	s_waitcnt vmcnt(0)
	v_mul_hi_u32 v3, s20, v1
	v_add_nc_u32_e32 v3, v1, v3
	v_lshrrev_b32_e32 v3, s21, v3
	v_mul_lo_u32 v3, v3, s19
	v_sub_nc_u32_e32 v3, v1, v3
	v_mad_u64_u32 v[0:1], null, v3, s14, v[0:1]
	v_mad_u64_u32 v[2:3], null, v3, s15, v[2:3]
.LBB67_572:
	s_waitcnt lgkmcnt(0)
	v_add_co_u32 v1, s0, s10, v2
	v_add_co_ci_u32_e64 v2, null, s11, 0, s0
	s_and_b32 s0, 0xffff, s30
	s_cmp_lt_i32 s0, 11
	s_cbranch_scc1 .LBB67_579
; %bb.573:
	s_cmp_gt_i32 s0, 25
	s_cbranch_scc0 .LBB67_580
; %bb.574:
	s_cmp_gt_i32 s0, 28
	s_cbranch_scc0 .LBB67_581
	;; [unrolled: 3-line block ×4, first 2 shown]
; %bb.577:
	s_cmp_eq_u32 s0, 46
	s_mov_b32 s2, 0
	s_cbranch_scc0 .LBB67_588
; %bb.578:
	global_load_dword v3, v[1:2], off
	s_mov_b32 s1, -1
	s_mov_b32 s43, 0
	s_waitcnt vmcnt(0)
	v_lshlrev_b32_e32 v3, 16, v3
	v_cvt_f16_f32_e32 v3, v3
	s_branch .LBB67_590
.LBB67_579:
	s_mov_b32 s2, -1
	s_mov_b32 s1, 0
	s_mov_b32 s43, s39
                                        ; implicit-def: $vgpr3
	s_branch .LBB67_655
.LBB67_580:
	s_mov_b32 s2, -1
	s_mov_b32 s1, 0
	s_mov_b32 s43, s39
                                        ; implicit-def: $vgpr3
	s_branch .LBB67_619
.LBB67_581:
	s_mov_b32 s2, -1
	s_mov_b32 s1, 0
	s_mov_b32 s43, s39
                                        ; implicit-def: $vgpr3
	s_branch .LBB67_600
.LBB67_582:
	s_mov_b32 s2, -1
	s_mov_b32 s1, 0
	s_mov_b32 s43, s39
                                        ; implicit-def: $vgpr3
	s_branch .LBB67_595
.LBB67_583:
	s_andn2_saveexec_b32 s42, s42
	s_cbranch_execz .LBB67_352
.LBB67_584:
	v_add_f32_e64 v4, 0x46000000, |v3|
	s_andn2_b32 s40, s40, exec_lo
	v_and_b32_e32 v4, 0xff, v4
	v_cmp_ne_u32_e32 vcc_lo, 0, v4
	s_and_b32 s43, vcc_lo, exec_lo
	s_or_b32 s40, s40, s43
	s_or_b32 exec_lo, exec_lo, s42
	v_mov_b32_e32 v5, 0
	s_and_saveexec_b32 s42, s40
	s_cbranch_execnz .LBB67_353
	s_branch .LBB67_354
.LBB67_585:
	s_mov_b32 s2, -1
	s_mov_b32 s1, 0
	s_mov_b32 s43, s39
	s_branch .LBB67_589
.LBB67_586:
	s_andn2_saveexec_b32 s42, s42
	s_cbranch_execz .LBB67_365
.LBB67_587:
	v_add_f32_e64 v4, 0x42800000, |v3|
	s_andn2_b32 s40, s40, exec_lo
	v_and_b32_e32 v4, 0xff, v4
	v_cmp_ne_u32_e32 vcc_lo, 0, v4
	s_and_b32 s43, vcc_lo, exec_lo
	s_or_b32 s40, s40, s43
	s_or_b32 exec_lo, exec_lo, s42
	v_mov_b32_e32 v5, 0
	s_and_saveexec_b32 s42, s40
	s_cbranch_execnz .LBB67_366
	s_branch .LBB67_367
.LBB67_588:
	s_mov_b32 s43, -1
	s_mov_b32 s1, 0
.LBB67_589:
                                        ; implicit-def: $vgpr3
.LBB67_590:
	s_and_b32 vcc_lo, exec_lo, s2
	s_cbranch_vccz .LBB67_594
; %bb.591:
	s_cmp_eq_u32 s0, 44
	s_cbranch_scc0 .LBB67_593
; %bb.592:
	global_load_ubyte v3, v[1:2], off
	s_mov_b32 s43, 0
	s_mov_b32 s1, -1
	s_waitcnt vmcnt(0)
	v_lshlrev_b32_e32 v4, 23, v3
	v_cmp_ne_u32_e32 vcc_lo, 0xff, v3
	v_cvt_f16_f32_e32 v4, v4
	v_cndmask_b32_e32 v4, 0x7e00, v4, vcc_lo
	v_cmp_ne_u32_e32 vcc_lo, 0, v3
	v_cndmask_b32_e32 v3, 0, v4, vcc_lo
	s_branch .LBB67_594
.LBB67_593:
	s_mov_b32 s43, -1
                                        ; implicit-def: $vgpr3
.LBB67_594:
	s_mov_b32 s2, 0
.LBB67_595:
	s_and_b32 vcc_lo, exec_lo, s2
	s_cbranch_vccz .LBB67_599
; %bb.596:
	s_cmp_eq_u32 s0, 29
	s_cbranch_scc0 .LBB67_598
; %bb.597:
	global_load_dwordx2 v[3:4], v[1:2], off
	s_mov_b32 s1, -1
	s_mov_b32 s43, 0
	s_mov_b32 s2, 0
	s_waitcnt vmcnt(0)
	v_ffbh_u32_e32 v5, v4
	v_min_u32_e32 v5, 32, v5
	v_lshlrev_b64 v[3:4], v5, v[3:4]
	v_min_u32_e32 v3, 1, v3
	v_or_b32_e32 v3, v4, v3
	v_sub_nc_u32_e32 v4, 32, v5
	v_cvt_f32_u32_e32 v3, v3
	v_ldexp_f32 v3, v3, v4
	v_cvt_f16_f32_e32 v3, v3
	s_branch .LBB67_600
.LBB67_598:
	s_mov_b32 s43, -1
                                        ; implicit-def: $vgpr3
.LBB67_599:
	s_mov_b32 s2, 0
.LBB67_600:
	s_and_b32 vcc_lo, exec_lo, s2
	s_cbranch_vccz .LBB67_618
; %bb.601:
	s_cmp_lt_i32 s0, 27
	s_cbranch_scc1 .LBB67_604
; %bb.602:
	s_cmp_gt_i32 s0, 27
	s_cbranch_scc0 .LBB67_605
; %bb.603:
	global_load_dword v3, v[1:2], off
	s_mov_b32 s1, 0
	s_waitcnt vmcnt(0)
	v_cvt_f32_u32_e32 v3, v3
	v_cvt_f16_f32_e32 v3, v3
	s_branch .LBB67_606
.LBB67_604:
	s_mov_b32 s1, -1
                                        ; implicit-def: $vgpr3
	s_branch .LBB67_609
.LBB67_605:
	s_mov_b32 s1, -1
                                        ; implicit-def: $vgpr3
.LBB67_606:
	s_andn2_b32 vcc_lo, exec_lo, s1
	s_cbranch_vccnz .LBB67_608
; %bb.607:
	global_load_ushort v3, v[1:2], off
	s_waitcnt vmcnt(0)
	v_cvt_f16_u16_e32 v3, v3
.LBB67_608:
	s_mov_b32 s1, 0
.LBB67_609:
	s_andn2_b32 vcc_lo, exec_lo, s1
	s_cbranch_vccnz .LBB67_617
; %bb.610:
	global_load_ubyte v4, v[1:2], off
	s_mov_b32 s1, 0
	s_mov_b32 s2, exec_lo
	s_waitcnt vmcnt(0)
	v_cmpx_lt_i16_e32 0x7f, v4
	s_xor_b32 s2, exec_lo, s2
	s_cbranch_execz .LBB67_631
; %bb.611:
	s_mov_b32 s1, -1
	s_mov_b32 s3, exec_lo
	v_cmpx_eq_u16_e32 0x80, v4
; %bb.612:
	s_xor_b32 s1, exec_lo, -1
; %bb.613:
	s_or_b32 exec_lo, exec_lo, s3
	s_and_b32 s1, s1, exec_lo
	s_or_saveexec_b32 s2, s2
	v_mov_b32_e32 v3, 0x7e00
	s_xor_b32 exec_lo, exec_lo, s2
	s_cbranch_execnz .LBB67_632
.LBB67_614:
	s_or_b32 exec_lo, exec_lo, s2
	s_and_saveexec_b32 s2, s1
	s_cbranch_execz .LBB67_616
.LBB67_615:
	v_and_b32_e32 v3, 0xffff, v4
	v_lshlrev_b32_e32 v4, 24, v4
	v_and_b32_e32 v5, 7, v3
	v_bfe_u32 v9, v3, 3, 4
	v_and_b32_e32 v4, 0x80000000, v4
	v_ffbh_u32_e32 v6, v5
	v_cmp_eq_u32_e32 vcc_lo, 0, v9
	v_min_u32_e32 v6, 32, v6
	v_subrev_nc_u32_e32 v7, 28, v6
	v_sub_nc_u32_e32 v6, 29, v6
	v_lshlrev_b32_e32 v3, v7, v3
	v_cndmask_b32_e32 v6, v9, v6, vcc_lo
	v_and_b32_e32 v3, 7, v3
	v_cndmask_b32_e32 v3, v5, v3, vcc_lo
	v_lshl_add_u32 v5, v6, 23, 0x3b800000
	v_lshlrev_b32_e32 v3, 20, v3
	v_or3_b32 v3, v4, v5, v3
	v_cvt_f16_f32_e32 v3, v3
.LBB67_616:
	s_or_b32 exec_lo, exec_lo, s2
.LBB67_617:
	s_mov_b32 s1, -1
.LBB67_618:
	s_mov_b32 s2, 0
.LBB67_619:
	s_and_b32 vcc_lo, exec_lo, s2
	s_cbranch_vccz .LBB67_654
; %bb.620:
	s_cmp_gt_i32 s0, 22
	s_cbranch_scc0 .LBB67_630
; %bb.621:
	s_cmp_lt_i32 s0, 24
	s_cbranch_scc1 .LBB67_633
; %bb.622:
	s_cmp_gt_i32 s0, 24
	s_cbranch_scc0 .LBB67_634
; %bb.623:
	global_load_ubyte v4, v[1:2], off
	s_mov_b32 s1, 0
	s_mov_b32 s2, exec_lo
	s_waitcnt vmcnt(0)
	v_cmpx_lt_i16_e32 0x7f, v4
	s_xor_b32 s2, exec_lo, s2
	s_cbranch_execz .LBB67_646
; %bb.624:
	s_mov_b32 s1, -1
	s_mov_b32 s3, exec_lo
	v_cmpx_eq_u16_e32 0x80, v4
; %bb.625:
	s_xor_b32 s1, exec_lo, -1
; %bb.626:
	s_or_b32 exec_lo, exec_lo, s3
	s_and_b32 s1, s1, exec_lo
	s_or_saveexec_b32 s2, s2
	v_mov_b32_e32 v3, 0x7e00
	s_xor_b32 exec_lo, exec_lo, s2
	s_cbranch_execnz .LBB67_647
.LBB67_627:
	s_or_b32 exec_lo, exec_lo, s2
	s_and_saveexec_b32 s2, s1
	s_cbranch_execz .LBB67_629
.LBB67_628:
	v_and_b32_e32 v3, 0xffff, v4
	v_lshlrev_b32_e32 v4, 24, v4
	v_and_b32_e32 v5, 3, v3
	v_bfe_u32 v9, v3, 2, 5
	v_and_b32_e32 v4, 0x80000000, v4
	v_ffbh_u32_e32 v6, v5
	v_cmp_eq_u32_e32 vcc_lo, 0, v9
	v_min_u32_e32 v6, 32, v6
	v_subrev_nc_u32_e32 v7, 29, v6
	v_sub_nc_u32_e32 v6, 30, v6
	v_lshlrev_b32_e32 v3, v7, v3
	v_cndmask_b32_e32 v6, v9, v6, vcc_lo
	v_and_b32_e32 v3, 3, v3
	v_cndmask_b32_e32 v3, v5, v3, vcc_lo
	v_lshl_add_u32 v5, v6, 23, 0x37800000
	v_lshlrev_b32_e32 v3, 21, v3
	v_or3_b32 v3, v4, v5, v3
	v_cvt_f16_f32_e32 v3, v3
.LBB67_629:
	s_or_b32 exec_lo, exec_lo, s2
	s_mov_b32 s1, 0
	s_branch .LBB67_635
.LBB67_630:
	s_mov_b32 s2, -1
                                        ; implicit-def: $vgpr3
	s_branch .LBB67_641
.LBB67_631:
	s_or_saveexec_b32 s2, s2
	v_mov_b32_e32 v3, 0x7e00
	s_xor_b32 exec_lo, exec_lo, s2
	s_cbranch_execz .LBB67_614
.LBB67_632:
	v_cmp_ne_u16_e32 vcc_lo, 0, v4
	v_mov_b32_e32 v3, v4
	s_andn2_b32 s1, s1, exec_lo
	s_and_b32 s3, vcc_lo, exec_lo
	s_or_b32 s1, s1, s3
	s_or_b32 exec_lo, exec_lo, s2
	s_and_saveexec_b32 s2, s1
	s_cbranch_execnz .LBB67_615
	s_branch .LBB67_616
.LBB67_633:
	s_mov_b32 s1, -1
                                        ; implicit-def: $vgpr3
	s_branch .LBB67_638
.LBB67_634:
	s_mov_b32 s1, -1
                                        ; implicit-def: $vgpr3
.LBB67_635:
	s_and_b32 vcc_lo, exec_lo, s1
	s_cbranch_vccz .LBB67_637
; %bb.636:
	global_load_ubyte v3, v[1:2], off
	s_waitcnt vmcnt(0)
	v_lshlrev_b32_e32 v3, 24, v3
	v_and_b32_e32 v4, 0x7f000000, v3
	v_ffbh_u32_e32 v5, v4
	v_add_nc_u32_e32 v7, 0x1000000, v4
	v_cmp_ne_u32_e32 vcc_lo, 0, v4
	v_min_u32_e32 v5, 32, v5
	v_sub_nc_u32_e64 v5, v5, 4 clamp
	v_lshlrev_b32_e32 v6, v5, v4
	v_lshlrev_b32_e32 v5, 23, v5
	v_lshrrev_b32_e32 v6, 4, v6
	v_sub_nc_u32_e32 v5, v6, v5
	v_ashrrev_i32_e32 v6, 8, v7
	v_add_nc_u32_e32 v5, 0x3c000000, v5
	v_and_or_b32 v5, 0x7f800000, v6, v5
	v_cndmask_b32_e32 v4, 0, v5, vcc_lo
	v_and_or_b32 v3, 0x80000000, v3, v4
	v_cvt_f16_f32_e32 v3, v3
.LBB67_637:
	s_mov_b32 s1, 0
.LBB67_638:
	s_andn2_b32 vcc_lo, exec_lo, s1
	s_cbranch_vccnz .LBB67_640
; %bb.639:
	global_load_ubyte v3, v[1:2], off
	s_waitcnt vmcnt(0)
	v_lshlrev_b32_e32 v4, 25, v3
	v_lshlrev_b16 v3, 8, v3
	v_lshrrev_b32_e32 v5, 4, v4
	v_and_or_b32 v6, 0x7f00, v3, 0.5
	v_cmp_gt_u32_e32 vcc_lo, 0x8000000, v4
	v_bfe_i32 v3, v3, 0, 16
	v_or_b32_e32 v5, 0x70000000, v5
	v_add_f32_e32 v6, -0.5, v6
	v_mul_f32_e32 v5, 0x7800000, v5
	v_cndmask_b32_e32 v4, v5, v6, vcc_lo
	v_and_or_b32 v3, 0x80000000, v3, v4
	v_cvt_f16_f32_e32 v3, v3
.LBB67_640:
	s_mov_b32 s2, 0
	s_mov_b32 s1, -1
.LBB67_641:
	s_andn2_b32 vcc_lo, exec_lo, s2
	s_cbranch_vccnz .LBB67_654
; %bb.642:
	s_cmp_gt_i32 s0, 14
	s_cbranch_scc0 .LBB67_645
; %bb.643:
	s_cmp_eq_u32 s0, 15
	s_cbranch_scc0 .LBB67_648
; %bb.644:
	global_load_ushort v3, v[1:2], off
	s_mov_b32 s1, -1
	s_mov_b32 s43, 0
	s_waitcnt vmcnt(0)
	v_lshlrev_b32_e32 v3, 16, v3
	v_cvt_f16_f32_e32 v3, v3
	s_branch .LBB67_649
.LBB67_645:
	s_mov_b32 s2, -1
                                        ; implicit-def: $vgpr3
	s_branch .LBB67_650
.LBB67_646:
	s_or_saveexec_b32 s2, s2
	v_mov_b32_e32 v3, 0x7e00
	s_xor_b32 exec_lo, exec_lo, s2
	s_cbranch_execz .LBB67_627
.LBB67_647:
	v_cmp_ne_u16_e32 vcc_lo, 0, v4
	v_mov_b32_e32 v3, v4
	s_andn2_b32 s1, s1, exec_lo
	s_and_b32 s3, vcc_lo, exec_lo
	s_or_b32 s1, s1, s3
	s_or_b32 exec_lo, exec_lo, s2
	s_and_saveexec_b32 s2, s1
	s_cbranch_execnz .LBB67_628
	s_branch .LBB67_629
.LBB67_648:
	s_mov_b32 s43, -1
                                        ; implicit-def: $vgpr3
.LBB67_649:
	s_mov_b32 s2, 0
.LBB67_650:
	s_and_b32 vcc_lo, exec_lo, s2
	s_cbranch_vccz .LBB67_654
; %bb.651:
	s_cmp_eq_u32 s0, 11
	s_cbranch_scc0 .LBB67_653
; %bb.652:
	global_load_ubyte v3, v[1:2], off
	s_mov_b32 s43, 0
	s_mov_b32 s1, -1
	s_waitcnt vmcnt(0)
	v_cmp_ne_u16_e32 vcc_lo, 0, v3
	v_cndmask_b32_e64 v3, 0, 0x3c00, vcc_lo
	s_branch .LBB67_654
.LBB67_653:
	s_mov_b32 s43, -1
                                        ; implicit-def: $vgpr3
.LBB67_654:
	s_mov_b32 s2, 0
.LBB67_655:
	s_and_b32 vcc_lo, exec_lo, s2
	s_cbranch_vccz .LBB67_704
; %bb.656:
	s_cmp_lt_i32 s0, 5
	s_cbranch_scc1 .LBB67_661
; %bb.657:
	s_cmp_lt_i32 s0, 8
	s_cbranch_scc1 .LBB67_662
	;; [unrolled: 3-line block ×3, first 2 shown]
; %bb.659:
	s_cmp_gt_i32 s0, 9
	s_cbranch_scc0 .LBB67_664
; %bb.660:
	global_load_dwordx2 v[3:4], v[1:2], off
	s_mov_b32 s1, 0
	s_waitcnt vmcnt(0)
	v_and_or_b32 v3, 0x1ff, v4, v3
	v_lshrrev_b32_e32 v5, 8, v4
	v_bfe_u32 v6, v4, 20, 11
	v_lshrrev_b32_e32 v4, 16, v4
	v_cmp_ne_u32_e32 vcc_lo, 0, v3
	v_sub_nc_u32_e32 v7, 0x3f1, v6
	v_add_nc_u32_e32 v6, 0xfffffc10, v6
	v_cndmask_b32_e64 v3, 0, 1, vcc_lo
	v_and_or_b32 v3, 0xffe, v5, v3
	v_med3_i32 v5, v7, 0, 13
	v_or_b32_e32 v7, 0x1000, v3
	v_lshrrev_b32_e32 v9, v5, v7
	v_lshlrev_b32_e32 v5, v5, v9
	v_cmp_ne_u32_e32 vcc_lo, v5, v7
	v_lshl_or_b32 v7, v6, 12, v3
	v_cndmask_b32_e64 v5, 0, 1, vcc_lo
	v_cmp_gt_i32_e32 vcc_lo, 1, v6
	v_or_b32_e32 v5, v9, v5
	v_cndmask_b32_e32 v5, v7, v5, vcc_lo
	v_and_b32_e32 v7, 7, v5
	v_lshrrev_b32_e32 v5, 2, v5
	v_cmp_lt_i32_e32 vcc_lo, 5, v7
	v_cndmask_b32_e64 v9, 0, 1, vcc_lo
	v_cmp_eq_u32_e32 vcc_lo, 3, v7
	v_cndmask_b32_e64 v7, 0, 1, vcc_lo
	v_cmp_ne_u32_e32 vcc_lo, 0, v3
	v_or_b32_e32 v7, v7, v9
	v_mov_b32_e32 v9, 0x7e00
	v_add_nc_u32_e32 v5, v5, v7
	v_cndmask_b32_e32 v3, 0x7c00, v9, vcc_lo
	v_cmp_gt_i32_e32 vcc_lo, 31, v6
	v_cndmask_b32_e32 v5, 0x7c00, v5, vcc_lo
	v_cmp_eq_u32_e32 vcc_lo, 0x40f, v6
	v_cndmask_b32_e32 v3, v5, v3, vcc_lo
	v_and_or_b32 v3, 0x8000, v4, v3
	s_branch .LBB67_665
.LBB67_661:
	s_mov_b32 s1, -1
                                        ; implicit-def: $vgpr3
	s_branch .LBB67_683
.LBB67_662:
	s_mov_b32 s1, -1
                                        ; implicit-def: $vgpr3
	s_branch .LBB67_671
.LBB67_663:
	s_mov_b32 s1, -1
                                        ; implicit-def: $vgpr3
	s_branch .LBB67_668
.LBB67_664:
	s_mov_b32 s1, -1
                                        ; implicit-def: $vgpr3
.LBB67_665:
	s_andn2_b32 vcc_lo, exec_lo, s1
	s_cbranch_vccnz .LBB67_667
; %bb.666:
	global_load_dword v3, v[1:2], off
	s_waitcnt vmcnt(0)
	v_cvt_f16_f32_e32 v3, v3
.LBB67_667:
	s_mov_b32 s1, 0
.LBB67_668:
	s_andn2_b32 vcc_lo, exec_lo, s1
	s_cbranch_vccnz .LBB67_670
; %bb.669:
	global_load_dword v3, v[1:2], off
.LBB67_670:
	s_mov_b32 s1, 0
.LBB67_671:
	s_andn2_b32 vcc_lo, exec_lo, s1
	s_cbranch_vccnz .LBB67_682
; %bb.672:
	s_cmp_lt_i32 s0, 6
	s_cbranch_scc1 .LBB67_675
; %bb.673:
	s_cmp_gt_i32 s0, 6
	s_cbranch_scc0 .LBB67_676
; %bb.674:
	global_load_dwordx2 v[3:4], v[1:2], off
	s_mov_b32 s1, 0
	s_waitcnt vmcnt(0)
	v_and_or_b32 v3, 0x1ff, v4, v3
	v_lshrrev_b32_e32 v5, 8, v4
	v_bfe_u32 v6, v4, 20, 11
	v_lshrrev_b32_e32 v4, 16, v4
	v_cmp_ne_u32_e32 vcc_lo, 0, v3
	v_sub_nc_u32_e32 v7, 0x3f1, v6
	v_add_nc_u32_e32 v6, 0xfffffc10, v6
	v_cndmask_b32_e64 v3, 0, 1, vcc_lo
	v_and_or_b32 v3, 0xffe, v5, v3
	v_med3_i32 v5, v7, 0, 13
	v_or_b32_e32 v7, 0x1000, v3
	v_lshrrev_b32_e32 v9, v5, v7
	v_lshlrev_b32_e32 v5, v5, v9
	v_cmp_ne_u32_e32 vcc_lo, v5, v7
	v_lshl_or_b32 v7, v6, 12, v3
	v_cndmask_b32_e64 v5, 0, 1, vcc_lo
	v_cmp_gt_i32_e32 vcc_lo, 1, v6
	v_or_b32_e32 v5, v9, v5
	v_cndmask_b32_e32 v5, v7, v5, vcc_lo
	v_and_b32_e32 v7, 7, v5
	v_lshrrev_b32_e32 v5, 2, v5
	v_cmp_lt_i32_e32 vcc_lo, 5, v7
	v_cndmask_b32_e64 v9, 0, 1, vcc_lo
	v_cmp_eq_u32_e32 vcc_lo, 3, v7
	v_cndmask_b32_e64 v7, 0, 1, vcc_lo
	v_cmp_ne_u32_e32 vcc_lo, 0, v3
	v_or_b32_e32 v7, v7, v9
	v_mov_b32_e32 v9, 0x7e00
	v_add_nc_u32_e32 v5, v5, v7
	v_cndmask_b32_e32 v3, 0x7c00, v9, vcc_lo
	v_cmp_gt_i32_e32 vcc_lo, 31, v6
	v_cndmask_b32_e32 v5, 0x7c00, v5, vcc_lo
	v_cmp_eq_u32_e32 vcc_lo, 0x40f, v6
	v_cndmask_b32_e32 v3, v5, v3, vcc_lo
	v_and_or_b32 v3, 0x8000, v4, v3
	s_branch .LBB67_677
.LBB67_675:
	s_mov_b32 s1, -1
                                        ; implicit-def: $vgpr3
	s_branch .LBB67_680
.LBB67_676:
	s_mov_b32 s1, -1
                                        ; implicit-def: $vgpr3
.LBB67_677:
	s_andn2_b32 vcc_lo, exec_lo, s1
	s_cbranch_vccnz .LBB67_679
; %bb.678:
	global_load_dword v3, v[1:2], off
	s_waitcnt vmcnt(0)
	v_cvt_f16_f32_e32 v3, v3
.LBB67_679:
	s_mov_b32 s1, 0
.LBB67_680:
	s_andn2_b32 vcc_lo, exec_lo, s1
	s_cbranch_vccnz .LBB67_682
; %bb.681:
	global_load_ushort v3, v[1:2], off
.LBB67_682:
	s_mov_b32 s1, 0
.LBB67_683:
	s_andn2_b32 vcc_lo, exec_lo, s1
	s_cbranch_vccnz .LBB67_703
; %bb.684:
	s_cmp_lt_i32 s0, 2
	s_cbranch_scc1 .LBB67_688
; %bb.685:
	s_cmp_lt_i32 s0, 3
	s_cbranch_scc1 .LBB67_689
; %bb.686:
	s_cmp_gt_i32 s0, 3
	s_cbranch_scc0 .LBB67_690
; %bb.687:
	global_load_dwordx2 v[3:4], v[1:2], off
	s_mov_b32 s1, 0
	s_waitcnt vmcnt(0)
	v_xor_b32_e32 v5, v3, v4
	v_ffbh_i32_e32 v6, v4
	v_ashrrev_i32_e32 v5, 31, v5
	v_add_nc_u32_e32 v6, -1, v6
	v_add_nc_u32_e32 v5, 32, v5
	v_min_u32_e32 v5, v6, v5
	v_lshlrev_b64 v[3:4], v5, v[3:4]
	v_min_u32_e32 v3, 1, v3
	v_or_b32_e32 v3, v4, v3
	v_sub_nc_u32_e32 v4, 32, v5
	v_cvt_f32_i32_e32 v3, v3
	v_ldexp_f32 v3, v3, v4
	v_cvt_f16_f32_e32 v3, v3
	s_branch .LBB67_691
.LBB67_688:
	s_mov_b32 s1, -1
                                        ; implicit-def: $vgpr3
	s_branch .LBB67_697
.LBB67_689:
	s_mov_b32 s1, -1
                                        ; implicit-def: $vgpr3
	s_branch .LBB67_694
.LBB67_690:
	s_mov_b32 s1, -1
                                        ; implicit-def: $vgpr3
.LBB67_691:
	s_andn2_b32 vcc_lo, exec_lo, s1
	s_cbranch_vccnz .LBB67_693
; %bb.692:
	global_load_dword v3, v[1:2], off
	s_waitcnt vmcnt(0)
	v_cvt_f32_i32_e32 v3, v3
	v_cvt_f16_f32_e32 v3, v3
.LBB67_693:
	s_mov_b32 s1, 0
.LBB67_694:
	s_andn2_b32 vcc_lo, exec_lo, s1
	s_cbranch_vccnz .LBB67_696
; %bb.695:
	global_load_ushort v3, v[1:2], off
	s_waitcnt vmcnt(0)
	v_cvt_f16_i16_e32 v3, v3
.LBB67_696:
	s_mov_b32 s1, 0
.LBB67_697:
	s_andn2_b32 vcc_lo, exec_lo, s1
	s_cbranch_vccnz .LBB67_703
; %bb.698:
	s_cmp_gt_i32 s0, 0
	s_mov_b32 s0, 0
	s_cbranch_scc0 .LBB67_700
; %bb.699:
	global_load_sbyte v3, v[1:2], off
	s_waitcnt vmcnt(0)
	v_cvt_f16_i16_e32 v3, v3
	s_branch .LBB67_701
.LBB67_700:
	s_mov_b32 s0, -1
                                        ; implicit-def: $vgpr3
.LBB67_701:
	s_andn2_b32 vcc_lo, exec_lo, s0
	s_cbranch_vccnz .LBB67_703
; %bb.702:
	global_load_ubyte v1, v[1:2], off
	s_waitcnt vmcnt(0)
	v_cvt_f16_u16_e32 v3, v1
.LBB67_703:
	s_mov_b32 s1, -1
.LBB67_704:
	s_andn2_b32 vcc_lo, exec_lo, s1
	s_cbranch_vccnz .LBB67_718
; %bb.705:
	s_waitcnt vmcnt(0)
	v_cvt_f32_f16_e32 v1, v3
	v_cmp_gt_f16_e32 vcc_lo, 0.5, v3
	v_mov_b32_e32 v3, 0
	v_mov_b32_e32 v2, 1.0
	s_and_saveexec_b32 s2, vcc_lo
	s_cbranch_execz .LBB67_711
; %bb.706:
	v_mul_f32_e32 v2, 0x40490fdb, v1
                                        ; implicit-def: $vgpr5
                                        ; implicit-def: $vgpr4
	s_mov_b32 s1, exec_lo
	v_and_b32_e32 v3, 0x7fffffff, v2
	v_cmpx_ngt_f32_e64 0x48000000, |v2|
	s_xor_b32 s3, exec_lo, s1
	s_cbranch_execz .LBB67_708
; %bb.707:
	s_mov_b32 s0, 0x7fffff
	v_mov_b32_e32 v6, 0
	v_and_or_b32 v7, v3, s0, 0x800000
	v_lshrrev_b32_e32 v13, 23, v3
	v_mad_u64_u32 v[4:5], null, 0xfe5163ab, v7, 0
	v_add_nc_u32_e32 v14, 0xffffff88, v13
	v_cmp_lt_u32_e32 vcc_lo, 63, v14
	v_mad_u64_u32 v[9:10], null, 0x3c439041, v7, v[5:6]
	v_cndmask_b32_e64 v15, 0, 0xffffffc0, vcc_lo
	v_mov_b32_e32 v5, v10
	v_add_nc_u32_e32 v15, v15, v14
	v_mad_u64_u32 v[10:11], null, 0xdb629599, v7, v[5:6]
	v_cmp_lt_u32_e64 s0, 31, v15
	v_cndmask_b32_e64 v16, 0, 0xffffffe0, s0
	v_mov_b32_e32 v5, v11
	v_cndmask_b32_e32 v4, v10, v4, vcc_lo
	v_mad_u64_u32 v[11:12], null, 0xf534ddc0, v7, v[5:6]
	v_mov_b32_e32 v5, v12
	v_cndmask_b32_e32 v9, v11, v9, vcc_lo
	v_mad_u64_u32 v[12:13], null, 0xfc2757d1, v7, v[5:6]
	v_cndmask_b32_e64 v4, v9, v4, s0
	v_mov_b32_e32 v5, v13
	v_mad_u64_u32 v[13:14], null, 0x4e441529, v7, v[5:6]
	v_mov_b32_e32 v5, v14
	v_add_nc_u32_e32 v14, v16, v15
	v_cndmask_b32_e32 v15, v13, v11, vcc_lo
	v_mad_u64_u32 v[5:6], null, 0xa2f9836e, v7, v[5:6]
	v_cmp_lt_u32_e64 s1, 31, v14
	v_cndmask_b32_e64 v7, 0, 0xffffffe0, s1
	v_cndmask_b32_e32 v5, v5, v12, vcc_lo
	v_cndmask_b32_e32 v6, v6, v13, vcc_lo
	;; [unrolled: 1-line block ×3, first 2 shown]
	v_add_nc_u32_e32 v7, v7, v14
	v_cndmask_b32_e64 v11, v5, v15, s0
	v_cndmask_b32_e64 v5, v6, v5, s0
	v_cndmask_b32_e64 v6, v15, v12, s0
	v_cndmask_b32_e64 v12, v12, v9, s0
	v_sub_nc_u32_e32 v13, 32, v7
	v_cmp_eq_u32_e32 vcc_lo, 0, v7
	v_cndmask_b32_e64 v5, v5, v11, s1
	v_cndmask_b32_e64 v11, v11, v6, s1
	;; [unrolled: 1-line block ×4, first 2 shown]
	v_alignbit_b32 v14, v5, v11, v13
	v_alignbit_b32 v10, v11, v6, v13
	;; [unrolled: 1-line block ×3, first 2 shown]
	v_cndmask_b32_e32 v5, v14, v5, vcc_lo
	v_cndmask_b32_e32 v7, v10, v11, vcc_lo
	;; [unrolled: 1-line block ×3, first 2 shown]
	v_bfe_u32 v9, v5, 29, 1
	v_alignbit_b32 v10, v5, v7, 30
	v_alignbit_b32 v7, v7, v6, 30
	;; [unrolled: 1-line block ×3, first 2 shown]
	v_sub_nc_u32_e32 v11, 0, v9
	v_xor_b32_e32 v10, v10, v11
	v_xor_b32_e32 v6, v7, v11
	;; [unrolled: 1-line block ×3, first 2 shown]
	v_lshrrev_b32_e32 v11, 29, v5
	v_lshrrev_b32_e32 v5, 30, v5
	v_ffbh_u32_e32 v12, v10
	v_add_nc_u32_e32 v5, v9, v5
	v_min_u32_e32 v12, 32, v12
	v_sub_nc_u32_e32 v7, 31, v12
	v_lshlrev_b32_e32 v13, 23, v12
	v_alignbit_b32 v10, v10, v6, v7
	v_alignbit_b32 v4, v6, v4, v7
	v_lshlrev_b32_e32 v6, 31, v11
	v_alignbit_b32 v7, v10, v4, 9
	v_or_b32_e32 v11, 0.5, v6
	v_lshrrev_b32_e32 v10, 9, v10
	v_or_b32_e32 v6, 0x33000000, v6
	v_ffbh_u32_e32 v14, v7
	v_sub_nc_u32_e32 v11, v11, v13
	v_min_u32_e32 v13, 32, v14
	v_or_b32_e32 v10, v10, v11
	v_not_b32_e32 v11, v13
	v_mul_f32_e32 v14, 0x3fc90fda, v10
	v_add_lshl_u32 v12, v13, v12, 23
	v_alignbit_b32 v4, v7, v4, v11
	v_fma_f32 v7, 0x3fc90fda, v10, -v14
	v_sub_nc_u32_e32 v6, v6, v12
	v_lshrrev_b32_e32 v4, 9, v4
	v_fmamk_f32 v7, v10, 0x33a22168, v7
	v_or_b32_e32 v4, v6, v4
	v_fmac_f32_e32 v7, 0x3fc90fda, v4
	v_add_f32_e32 v4, v14, v7
.LBB67_708:
	s_andn2_saveexec_b32 s0, s3
; %bb.709:
	v_mul_f32_e64 v4, 0x3f22f983, |v2|
	v_rndne_f32_e32 v5, v4
	v_fma_f32 v4, 0xbfc90fda, v5, |v2|
	v_fmamk_f32 v4, v5, 0xb3a22168, v4
	v_fmamk_f32 v4, v5, 0xa7c234c4, v4
	v_cvt_i32_f32_e32 v5, v5
; %bb.710:
	s_or_b32 exec_lo, exec_lo, s0
	v_mul_f32_e32 v6, v4, v4
	s_mov_b32 s0, 0xb94c1982
	s_mov_b32 s1, 0x37d75334
	v_and_b32_e32 v10, 1, v5
	v_lshlrev_b32_e32 v5, 30, v5
	v_fmaak_f32 v7, s0, v6, 0x3c0881c4
	v_fmaak_f32 v9, s1, v6, 0xbab64f3b
	v_xor_b32_e32 v3, v3, v2
	v_cmp_eq_u32_e32 vcc_lo, 0, v10
	v_and_b32_e32 v5, 0x80000000, v5
	v_fmaak_f32 v7, v6, v7, 0xbe2aaa9d
	v_fmaak_f32 v9, v6, v9, 0x3d2aabf7
	v_sub_f32_e32 v1, 1.0, v1
	v_mul_f32_e32 v7, v6, v7
	v_fmaak_f32 v9, v6, v9, 0xbf000004
	v_fmac_f32_e32 v4, v4, v7
	v_fma_f32 v6, v6, v9, 1.0
	v_cndmask_b32_e32 v4, v6, v4, vcc_lo
	v_cmp_class_f32_e64 vcc_lo, v2, 0x1f8
	v_xor3_b32 v3, v3, v5, v4
	v_cndmask_b32_e32 v2, 0x7fc00000, v3, vcc_lo
	v_mul_f32_e32 v2, v2, v2
	v_div_scale_f32 v3, null, v2, v2, 0xc11de9e7
	v_div_scale_f32 v6, vcc_lo, 0xc11de9e7, v2, 0xc11de9e7
	v_rcp_f32_e32 v4, v3
	v_fma_f32 v5, -v3, v4, 1.0
	v_fmac_f32_e32 v4, v5, v4
	v_mul_f32_e32 v5, v6, v4
	v_fma_f32 v7, -v3, v5, v6
	v_fmac_f32_e32 v5, v7, v4
	v_fma_f32 v3, -v3, v5, v6
	v_div_fmas_f32 v3, v3, v4, v5
	v_div_fixup_f32 v2, v3, v2, 0xc11de9e7
	v_add_f32_e32 v3, 0, v2
	v_mov_b32_e32 v2, -1.0
.LBB67_711:
	s_or_b32 exec_lo, exec_lo, s2
	v_add_f32_e32 v4, 1.0, v1
	v_mul_f32_e32 v1, v1, v1
	v_mul_f32_e32 v5, v4, v4
	v_add_f32_e32 v4, 1.0, v4
	v_div_scale_f32 v6, null, v1, v1, 1.0
	v_div_scale_f32 v9, vcc_lo, 1.0, v1, 1.0
	v_mul_f32_e32 v10, v4, v4
	v_div_scale_f32 v7, null, v5, v5, 1.0
	v_rcp_f32_e32 v11, v6
	v_div_scale_f32 v14, s0, 1.0, v5, 1.0
	v_div_scale_f32 v13, null, v10, v10, 1.0
	v_rcp_f32_e32 v12, v7
	v_add_f32_e32 v4, 1.0, v4
	v_div_scale_f32 v15, s1, 1.0, v10, 1.0
	v_rcp_f32_e32 v16, v13
	v_fma_f32 v18, -v6, v11, 1.0
	v_mul_f32_e32 v17, v4, v4
	v_add_f32_e32 v4, 1.0, v4
	v_fma_f32 v19, -v7, v12, 1.0
	v_fmac_f32_e32 v11, v18, v11
	v_mul_f32_e32 v21, v4, v4
	v_add_f32_e32 v4, 1.0, v4
	v_fma_f32 v18, -v13, v16, 1.0
	v_fmac_f32_e32 v12, v19, v12
	v_mul_f32_e32 v22, v9, v11
	v_div_scale_f32 v20, null, v17, v17, 1.0
	v_fmac_f32_e32 v16, v18, v16
	v_mul_f32_e32 v23, v14, v12
	v_fma_f32 v24, -v6, v22, v9
	v_add_f32_e32 v27, 1.0, v4
	v_rcp_f32_e32 v19, v20
	v_mul_f32_e32 v26, v15, v16
	v_fma_f32 v25, -v7, v23, v14
	v_fmac_f32_e32 v22, v24, v11
	v_mul_f32_e32 v4, v4, v4
	v_div_scale_f32 v18, null, v21, v21, 1.0
	v_fma_f32 v24, -v13, v26, v15
	v_fmac_f32_e32 v23, v25, v12
	v_fma_f32 v6, -v6, v22, v9
	v_mul_f32_e32 v9, v27, v27
	v_rcp_f32_e32 v25, v18
	v_fmac_f32_e32 v26, v24, v16
	v_fma_f32 v7, -v7, v23, v14
	v_div_fmas_f32 v6, v6, v11, v22
	s_mov_b32 vcc_lo, s0
	v_fma_f32 v28, -v20, v19, 1.0
	v_fma_f32 v11, -v13, v26, v15
	v_div_fmas_f32 v7, v7, v12, v23
	s_mov_b32 vcc_lo, s1
	v_div_scale_f32 v12, null, v4, v4, 1.0
	v_div_fmas_f32 v11, v11, v16, v26
	v_div_scale_f32 v13, null, v9, v9, 1.0
	v_add_f32_e32 v16, v27, v27
	v_rcp_f32_e32 v15, v12
	v_fmac_f32_e32 v19, v28, v19
	v_rcp_f32_e32 v23, v13
	v_div_scale_f32 v14, vcc_lo, 1.0, v17, 1.0
	v_div_scale_f32 v26, null, v16, v16, 1.0
	v_fma_f32 v22, -v18, v25, 1.0
	v_mul_f32_e32 v24, v14, v19
	v_div_fixup_f32 v1, v6, v1, 1.0
	v_rcp_f32_e32 v29, v26
	v_fma_f32 v28, -v12, v15, 1.0
	v_fmac_f32_e32 v25, v22, v25
	v_div_scale_f32 v22, s0, 1.0, v21, 1.0
	v_fma_f32 v31, -v13, v23, 1.0
	v_fma_f32 v30, -v20, v24, v14
	v_fmac_f32_e32 v15, v28, v15
	v_div_scale_f32 v28, s1, 1.0, v4, 1.0
	v_mul_f32_e32 v32, v22, v25
	v_fmac_f32_e32 v23, v31, v23
	v_div_scale_f32 v31, s2, 1.0, v9, 1.0
	v_fma_f32 v33, -v26, v29, 1.0
	v_fmac_f32_e32 v24, v30, v19
	v_mul_f32_e32 v34, v28, v15
	v_fma_f32 v30, -v18, v32, v22
	v_mul_f32_e32 v35, v31, v23
	v_fmac_f32_e32 v29, v33, v29
	v_div_scale_f32 v33, s3, 1.0, v16, 1.0
	v_fma_f32 v14, -v20, v24, v14
	v_fma_f32 v20, -v12, v34, v28
	v_fmac_f32_e32 v32, v30, v25
	v_fma_f32 v30, -v13, v35, v31
	v_mul_f32_e32 v36, v33, v29
	v_div_fmas_f32 v14, v14, v19, v24
	v_fmac_f32_e32 v34, v20, v15
	v_fma_f32 v18, -v18, v32, v22
	v_fmac_f32_e32 v35, v30, v23
	v_fma_f32 v19, -v26, v36, v33
	s_mov_b32 vcc_lo, s0
	v_fma_f32 v12, -v12, v34, v28
	v_div_fmas_f32 v18, v18, v25, v32
	v_fma_f32 v13, -v13, v35, v31
	v_fmac_f32_e32 v36, v19, v29
	s_mov_b32 vcc_lo, s1
	s_mov_b32 s0, 0xbcc30c31
	v_div_fmas_f32 v12, v12, v15, v34
	s_mov_b32 vcc_lo, s2
	v_fma_f32 v15, -v26, v36, v33
	v_div_fmas_f32 v13, v13, v23, v35
	s_mov_b32 vcc_lo, s3
	v_add_f32_e32 v1, v3, v1
	v_div_fixup_f32 v3, v7, v5, 1.0
	v_div_fmas_f32 v15, v15, v29, v36
	v_div_fixup_f32 v9, v13, v9, 1.0
	s_and_b32 s1, s29, 0xff
	v_add_f32_e32 v1, v1, v3
	v_div_fixup_f32 v13, v15, v16, 1.0
	v_fmaak_f32 v15, s0, v9, 0x3d088889
	v_div_fixup_f32 v3, v11, v10, 1.0
	v_add_co_u32 v0, s0, s8, v0
	v_add_f32_e32 v13, 1.0, v13
	v_fma_f32 v15, -v9, v15, 0x3e2aaaab
	v_add_f32_e32 v1, v1, v3
	v_div_fixup_f32 v3, v14, v17, 1.0
	s_cmp_lt_i32 s1, 11
	v_fmac_f32_e32 v13, v9, v15
	v_add_f32_e32 v1, v1, v3
	v_div_fixup_f32 v3, v18, v21, 1.0
	v_div_scale_f32 v9, null, v27, v27, v13
	v_div_scale_f32 v5, vcc_lo, v13, v27, v13
	v_add_f32_e32 v1, v1, v3
	v_rcp_f32_e32 v15, v9
	v_div_fixup_f32 v3, v12, v4, 1.0
	v_add_f32_e32 v1, v1, v3
	v_fma_f32 v6, -v9, v15, 1.0
	v_fmac_f32_e32 v15, v6, v15
	v_mul_f32_e32 v6, v5, v15
	v_fma_f32 v7, -v9, v6, v5
	v_fmac_f32_e32 v6, v7, v15
	v_fma_f32 v5, -v9, v6, v5
	v_div_fmas_f32 v4, v5, v15, v6
	v_div_fixup_f32 v3, v4, v27, v13
	v_add_f32_e32 v3, v1, v3
	v_add_co_ci_u32_e64 v1, null, s9, 0, s0
	v_fma_mixlo_f16 v2, v2, v3, 0
	s_cbranch_scc1 .LBB67_719
; %bb.712:
	s_and_b32 s2, 0xffff, s1
	s_cmp_gt_i32 s2, 25
	s_cbranch_scc0 .LBB67_720
; %bb.713:
	s_cmp_gt_i32 s2, 28
	s_cbranch_scc0 .LBB67_721
; %bb.714:
	;; [unrolled: 3-line block ×4, first 2 shown]
	s_mov_b32 s44, 0
	s_mov_b32 s0, -1
	s_cmp_eq_u32 s2, 46
	s_mov_b32 s3, 0
	s_cbranch_scc0 .LBB67_724
; %bb.717:
	v_cvt_f32_f16_e32 v3, v2
	v_cmp_o_f16_e32 vcc_lo, v2, v2
	s_mov_b32 s3, -1
	s_mov_b32 s0, 0
	v_bfe_u32 v4, v3, 16, 1
	v_add3_u32 v3, v3, v4, 0x7fff
	v_mov_b32_e32 v4, 0x7fc0
	v_cndmask_b32_sdwa v3, v4, v3, vcc_lo dst_sel:DWORD dst_unused:UNUSED_PAD src0_sel:DWORD src1_sel:WORD_1
	global_store_dword v[0:1], v3, off
	s_branch .LBB67_724
.LBB67_718:
	s_mov_b32 s1, 0
	s_mov_b32 s0, s40
	s_branch .LBB67_835
.LBB67_719:
	s_mov_b32 s2, -1
	s_mov_b32 s3, 0
	s_mov_b32 s0, s40
	s_branch .LBB67_793
.LBB67_720:
	s_mov_b32 s44, -1
	s_mov_b32 s3, 0
	s_mov_b32 s0, s40
	s_branch .LBB67_751
.LBB67_721:
	s_mov_b32 s44, -1
	s_mov_b32 s3, 0
	s_mov_b32 s0, s40
	s_branch .LBB67_734
.LBB67_722:
	s_mov_b32 s44, -1
	s_mov_b32 s3, 0
	s_mov_b32 s0, s40
	s_branch .LBB67_730
.LBB67_723:
	s_mov_b32 s44, -1
	s_mov_b32 s3, 0
	s_mov_b32 s0, s40
.LBB67_724:
	s_and_b32 vcc_lo, exec_lo, s44
	s_cbranch_vccz .LBB67_729
; %bb.725:
	s_cmp_eq_u32 s2, 44
	s_mov_b32 s0, -1
	s_cbranch_scc0 .LBB67_729
; %bb.726:
	v_cvt_f32_f16_e32 v3, v2
	v_mov_b32_e32 v4, 0xff
	s_mov_b32 s3, exec_lo
	v_bfe_u32 v5, v3, 23, 8
	v_cmpx_ne_u32_e32 0xff, v5
	s_cbranch_execz .LBB67_728
; %bb.727:
	v_and_b32_e32 v4, 0x400000, v3
	v_and_or_b32 v5, 0x3fffff, v3, v5
	v_lshrrev_b32_e32 v3, 23, v3
	v_cmp_ne_u32_e32 vcc_lo, 0, v4
	v_cmp_ne_u32_e64 s0, 0, v5
	s_and_b32 s0, vcc_lo, s0
	v_cndmask_b32_e64 v4, 0, 1, s0
	v_add_nc_u32_e32 v4, v3, v4
.LBB67_728:
	s_or_b32 exec_lo, exec_lo, s3
	s_mov_b32 s3, -1
	s_mov_b32 s0, 0
	global_store_byte v[0:1], v4, off
.LBB67_729:
	s_mov_b32 s44, 0
.LBB67_730:
	s_and_b32 vcc_lo, exec_lo, s44
	s_cbranch_vccz .LBB67_733
; %bb.731:
	s_cmp_eq_u32 s2, 29
	s_mov_b32 s0, -1
	s_cbranch_scc0 .LBB67_733
; %bb.732:
	v_cvt_f32_f16_e32 v3, v2
	v_mov_b32_e32 v4, 0
	s_mov_b32 s3, -1
	s_mov_b32 s0, 0
	s_mov_b32 s44, 0
	v_cvt_u32_f32_e32 v3, v3
	global_store_dwordx2 v[0:1], v[3:4], off
	s_branch .LBB67_734
.LBB67_733:
	s_mov_b32 s44, 0
.LBB67_734:
	s_and_b32 vcc_lo, exec_lo, s44
	s_cbranch_vccz .LBB67_750
; %bb.735:
	s_cmp_lt_i32 s2, 27
	s_mov_b32 s3, -1
	s_cbranch_scc1 .LBB67_741
; %bb.736:
	s_cmp_gt_i32 s2, 27
	s_cbranch_scc0 .LBB67_738
; %bb.737:
	v_cvt_f32_f16_e32 v3, v2
	s_mov_b32 s3, 0
	v_cvt_u32_f32_e32 v3, v3
	global_store_dword v[0:1], v3, off
.LBB67_738:
	s_andn2_b32 vcc_lo, exec_lo, s3
	s_cbranch_vccnz .LBB67_740
; %bb.739:
	v_cvt_u16_f16_e32 v3, v2
	global_store_short v[0:1], v3, off
.LBB67_740:
	s_mov_b32 s3, 0
.LBB67_741:
	s_andn2_b32 vcc_lo, exec_lo, s3
	s_cbranch_vccnz .LBB67_749
; %bb.742:
	v_cvt_f32_f16_e32 v3, v2
	v_mov_b32_e32 v5, 0x80
	s_mov_b32 s3, exec_lo
	v_and_b32_e32 v4, 0x7fffffff, v3
	v_cmpx_gt_u32_e32 0x43800000, v4
	s_cbranch_execz .LBB67_748
; %bb.743:
	v_cmp_lt_u32_e32 vcc_lo, 0x3bffffff, v4
	s_mov_b32 s44, 0
                                        ; implicit-def: $vgpr4
	s_and_saveexec_b32 s45, vcc_lo
	s_xor_b32 s45, exec_lo, s45
	s_cbranch_execz .LBB67_865
; %bb.744:
	v_bfe_u32 v4, v3, 20, 1
	s_mov_b32 s44, exec_lo
	v_add3_u32 v4, v3, v4, 0x487ffff
	v_lshrrev_b32_e32 v4, 20, v4
	s_andn2_saveexec_b32 s45, s45
	s_cbranch_execnz .LBB67_866
.LBB67_745:
	s_or_b32 exec_lo, exec_lo, s45
	v_mov_b32_e32 v5, 0
	s_and_saveexec_b32 s45, s44
.LBB67_746:
	v_lshrrev_b32_e32 v3, 24, v3
	v_and_or_b32 v5, 0x80, v3, v4
.LBB67_747:
	s_or_b32 exec_lo, exec_lo, s45
.LBB67_748:
	s_or_b32 exec_lo, exec_lo, s3
	global_store_byte v[0:1], v5, off
.LBB67_749:
	s_mov_b32 s3, -1
.LBB67_750:
	s_mov_b32 s44, 0
.LBB67_751:
	s_and_b32 vcc_lo, exec_lo, s44
	s_cbranch_vccz .LBB67_792
; %bb.752:
	s_cmp_gt_i32 s2, 22
	s_mov_b32 s44, -1
	s_cbranch_scc0 .LBB67_784
; %bb.753:
	s_cmp_lt_i32 s2, 24
	s_mov_b32 s3, -1
	s_cbranch_scc1 .LBB67_773
; %bb.754:
	s_cmp_gt_i32 s2, 24
	s_cbranch_scc0 .LBB67_762
; %bb.755:
	v_cvt_f32_f16_e32 v3, v2
	v_mov_b32_e32 v5, 0x80
	s_mov_b32 s3, exec_lo
	v_and_b32_e32 v4, 0x7fffffff, v3
	v_cmpx_gt_u32_e32 0x47800000, v4
	s_cbranch_execz .LBB67_761
; %bb.756:
	v_cmp_lt_u32_e32 vcc_lo, 0x37ffffff, v4
	s_mov_b32 s44, 0
                                        ; implicit-def: $vgpr4
	s_and_saveexec_b32 s45, vcc_lo
	s_xor_b32 s45, exec_lo, s45
	s_cbranch_execz .LBB67_868
; %bb.757:
	v_bfe_u32 v4, v3, 21, 1
	s_mov_b32 s44, exec_lo
	v_add3_u32 v4, v3, v4, 0x88fffff
	v_lshrrev_b32_e32 v4, 21, v4
	s_andn2_saveexec_b32 s45, s45
	s_cbranch_execnz .LBB67_869
.LBB67_758:
	s_or_b32 exec_lo, exec_lo, s45
	v_mov_b32_e32 v5, 0
	s_and_saveexec_b32 s45, s44
.LBB67_759:
	v_lshrrev_b32_e32 v3, 24, v3
	v_and_or_b32 v5, 0x80, v3, v4
.LBB67_760:
	s_or_b32 exec_lo, exec_lo, s45
.LBB67_761:
	s_or_b32 exec_lo, exec_lo, s3
	s_mov_b32 s3, 0
	global_store_byte v[0:1], v5, off
.LBB67_762:
	s_and_b32 vcc_lo, exec_lo, s3
	s_cbranch_vccz .LBB67_772
; %bb.763:
	v_cvt_f32_f16_e32 v3, v2
	s_mov_b32 s3, exec_lo
                                        ; implicit-def: $vgpr4
	v_and_b32_e32 v5, 0x7fffffff, v3
	v_cmpx_gt_u32_e32 0x43f00000, v5
	s_xor_b32 s3, exec_lo, s3
	s_cbranch_execz .LBB67_769
; %bb.764:
	s_mov_b32 s44, exec_lo
                                        ; implicit-def: $vgpr4
	v_cmpx_lt_u32_e32 0x3c7fffff, v5
	s_xor_b32 s44, exec_lo, s44
; %bb.765:
	v_bfe_u32 v4, v3, 20, 1
	v_add3_u32 v4, v3, v4, 0x407ffff
	v_and_b32_e32 v5, 0xff00000, v4
	v_lshrrev_b32_e32 v4, 20, v4
	v_cmp_ne_u32_e32 vcc_lo, 0x7f00000, v5
	v_cndmask_b32_e32 v4, 0x7e, v4, vcc_lo
; %bb.766:
	s_andn2_saveexec_b32 s44, s44
; %bb.767:
	v_add_f32_e64 v4, 0x46800000, |v3|
; %bb.768:
	s_or_b32 exec_lo, exec_lo, s44
                                        ; implicit-def: $vgpr5
.LBB67_769:
	s_andn2_saveexec_b32 s3, s3
; %bb.770:
	v_mov_b32_e32 v4, 0x7f
	v_cmp_lt_u32_e32 vcc_lo, 0x7f800000, v5
	v_cndmask_b32_e32 v4, 0x7e, v4, vcc_lo
; %bb.771:
	s_or_b32 exec_lo, exec_lo, s3
	v_lshrrev_b32_e32 v3, 24, v3
	v_and_or_b32 v3, 0x80, v3, v4
	global_store_byte v[0:1], v3, off
.LBB67_772:
	s_mov_b32 s3, 0
.LBB67_773:
	s_andn2_b32 vcc_lo, exec_lo, s3
	s_cbranch_vccnz .LBB67_783
; %bb.774:
	v_cvt_f32_f16_e32 v3, v2
	s_mov_b32 s3, exec_lo
                                        ; implicit-def: $vgpr4
	v_and_b32_e32 v5, 0x7fffffff, v3
	v_cmpx_gt_u32_e32 0x47800000, v5
	s_xor_b32 s3, exec_lo, s3
	s_cbranch_execz .LBB67_780
; %bb.775:
	s_mov_b32 s44, exec_lo
                                        ; implicit-def: $vgpr4
	v_cmpx_lt_u32_e32 0x387fffff, v5
	s_xor_b32 s44, exec_lo, s44
; %bb.776:
	v_bfe_u32 v4, v3, 21, 1
	v_add3_u32 v4, v3, v4, 0x80fffff
	v_lshrrev_b32_e32 v4, 21, v4
; %bb.777:
	s_andn2_saveexec_b32 s44, s44
; %bb.778:
	v_add_f32_e64 v4, 0x43000000, |v3|
; %bb.779:
	s_or_b32 exec_lo, exec_lo, s44
                                        ; implicit-def: $vgpr5
.LBB67_780:
	s_andn2_saveexec_b32 s3, s3
; %bb.781:
	v_mov_b32_e32 v4, 0x7f
	v_cmp_lt_u32_e32 vcc_lo, 0x7f800000, v5
	v_cndmask_b32_e32 v4, 0x7c, v4, vcc_lo
; %bb.782:
	s_or_b32 exec_lo, exec_lo, s3
	v_lshrrev_b32_e32 v3, 24, v3
	v_and_or_b32 v3, 0x80, v3, v4
	global_store_byte v[0:1], v3, off
.LBB67_783:
	s_mov_b32 s44, 0
	s_mov_b32 s3, -1
.LBB67_784:
	s_andn2_b32 vcc_lo, exec_lo, s44
	s_cbranch_vccnz .LBB67_792
; %bb.785:
	s_cmp_gt_i32 s2, 14
	s_mov_b32 s44, -1
	s_cbranch_scc0 .LBB67_789
; %bb.786:
	s_cmp_eq_u32 s2, 15
	s_mov_b32 s0, -1
	s_cbranch_scc0 .LBB67_788
; %bb.787:
	v_cvt_f32_f16_e32 v3, v2
	v_cmp_o_f16_e32 vcc_lo, v2, v2
	s_mov_b32 s3, -1
	s_mov_b32 s0, 0
	v_bfe_u32 v4, v3, 16, 1
	v_add3_u32 v3, v3, v4, 0x7fff
	v_mov_b32_e32 v4, 0x7fc0
	v_cndmask_b32_sdwa v3, v4, v3, vcc_lo dst_sel:DWORD dst_unused:UNUSED_PAD src0_sel:DWORD src1_sel:WORD_1
	global_store_short v[0:1], v3, off
.LBB67_788:
	s_mov_b32 s44, 0
.LBB67_789:
	s_and_b32 vcc_lo, exec_lo, s44
	s_cbranch_vccz .LBB67_792
; %bb.790:
	s_cmp_eq_u32 s2, 11
	s_mov_b32 s0, -1
	s_cbranch_scc0 .LBB67_792
; %bb.791:
	v_cmp_neq_f16_e32 vcc_lo, 0, v2
	s_mov_b32 s0, 0
	s_mov_b32 s3, -1
	v_cndmask_b32_e64 v3, 0, 1, vcc_lo
	global_store_byte v[0:1], v3, off
.LBB67_792:
	s_mov_b32 s2, 0
.LBB67_793:
	s_and_b32 vcc_lo, exec_lo, s2
	s_cbranch_vccz .LBB67_832
; %bb.794:
	s_and_b32 s1, 0xffff, s1
	s_mov_b32 s2, -1
	s_cmp_lt_i32 s1, 5
	s_cbranch_scc1 .LBB67_815
; %bb.795:
	s_cmp_lt_i32 s1, 8
	s_cbranch_scc1 .LBB67_805
; %bb.796:
	;; [unrolled: 3-line block ×3, first 2 shown]
	s_cmp_gt_i32 s1, 9
	s_cbranch_scc0 .LBB67_799
; %bb.798:
	v_cvt_f32_f16_e32 v3, v2
	v_mov_b32_e32 v5, 0
	s_mov_b32 s2, 0
	v_cvt_f64_f32_e32 v[3:4], v3
	v_mov_b32_e32 v6, v5
	global_store_dwordx4 v[0:1], v[3:6], off
.LBB67_799:
	s_andn2_b32 vcc_lo, exec_lo, s2
	s_cbranch_vccnz .LBB67_801
; %bb.800:
	v_cvt_f32_f16_e32 v3, v2
	v_mov_b32_e32 v4, 0
	global_store_dwordx2 v[0:1], v[3:4], off
.LBB67_801:
	s_mov_b32 s2, 0
.LBB67_802:
	s_andn2_b32 vcc_lo, exec_lo, s2
	s_cbranch_vccnz .LBB67_804
; %bb.803:
	v_and_b32_e32 v3, 0xffff, v2
	global_store_dword v[0:1], v3, off
.LBB67_804:
	s_mov_b32 s2, 0
.LBB67_805:
	s_andn2_b32 vcc_lo, exec_lo, s2
	s_cbranch_vccnz .LBB67_814
; %bb.806:
	s_cmp_lt_i32 s1, 6
	s_mov_b32 s2, -1
	s_cbranch_scc1 .LBB67_812
; %bb.807:
	s_cmp_gt_i32 s1, 6
	s_cbranch_scc0 .LBB67_809
; %bb.808:
	v_cvt_f32_f16_e32 v3, v2
	s_mov_b32 s2, 0
	v_cvt_f64_f32_e32 v[3:4], v3
	global_store_dwordx2 v[0:1], v[3:4], off
.LBB67_809:
	s_andn2_b32 vcc_lo, exec_lo, s2
	s_cbranch_vccnz .LBB67_811
; %bb.810:
	v_cvt_f32_f16_e32 v3, v2
	global_store_dword v[0:1], v3, off
.LBB67_811:
	s_mov_b32 s2, 0
.LBB67_812:
	s_andn2_b32 vcc_lo, exec_lo, s2
	s_cbranch_vccnz .LBB67_814
; %bb.813:
	global_store_short v[0:1], v2, off
.LBB67_814:
	s_mov_b32 s2, 0
.LBB67_815:
	s_andn2_b32 vcc_lo, exec_lo, s2
	s_cbranch_vccnz .LBB67_831
; %bb.816:
	s_cmp_lt_i32 s1, 2
	s_mov_b32 s2, -1
	s_cbranch_scc1 .LBB67_826
; %bb.817:
	s_cmp_lt_i32 s1, 3
	s_cbranch_scc1 .LBB67_823
; %bb.818:
	s_cmp_gt_i32 s1, 3
	s_cbranch_scc0 .LBB67_820
; %bb.819:
	v_cvt_f32_f16_e32 v3, v2
	s_mov_b32 s2, 0
	v_cvt_i32_f32_e32 v3, v3
	v_ashrrev_i32_e32 v4, 31, v3
	global_store_dwordx2 v[0:1], v[3:4], off
.LBB67_820:
	s_andn2_b32 vcc_lo, exec_lo, s2
	s_cbranch_vccnz .LBB67_822
; %bb.821:
	v_cvt_f32_f16_e32 v3, v2
	v_cvt_i32_f32_e32 v3, v3
	global_store_dword v[0:1], v3, off
.LBB67_822:
	s_mov_b32 s2, 0
.LBB67_823:
	s_andn2_b32 vcc_lo, exec_lo, s2
	s_cbranch_vccnz .LBB67_825
; %bb.824:
	v_cvt_i16_f16_e32 v3, v2
	global_store_short v[0:1], v3, off
.LBB67_825:
	s_mov_b32 s2, 0
.LBB67_826:
	s_andn2_b32 vcc_lo, exec_lo, s2
	s_cbranch_vccnz .LBB67_831
; %bb.827:
	s_cmp_gt_i32 s1, 0
	s_mov_b32 s1, -1
	s_cbranch_scc0 .LBB67_829
; %bb.828:
	v_cvt_i16_f16_e32 v3, v2
	s_mov_b32 s1, 0
	global_store_byte v[0:1], v3, off
.LBB67_829:
	s_andn2_b32 vcc_lo, exec_lo, s1
	s_cbranch_vccnz .LBB67_831
; %bb.830:
	v_cvt_f32_f16_e32 v2, v2
	v_cvt_i32_f32_e32 v2, v2
	global_store_byte v[0:1], v2, off
.LBB67_831:
	s_mov_b32 s3, -1
.LBB67_832:
	s_andn2_b32 vcc_lo, exec_lo, s3
	s_cbranch_vccnz .LBB67_834
; %bb.833:
	v_add_nc_u32_e32 v8, 0x80, v8
	s_mov_b32 s1, -1
	s_branch .LBB67_836
.LBB67_834:
	s_mov_b32 s1, 0
.LBB67_835:
                                        ; implicit-def: $vgpr8
.LBB67_836:
	s_andn2_b32 s2, s40, exec_lo
	s_and_b32 s0, s0, exec_lo
	s_andn2_b32 s3, s39, exec_lo
	s_and_b32 s43, s43, exec_lo
	s_or_b32 s44, s2, s0
	s_or_b32 s43, s3, s43
	s_orn2_b32 s3, s1, exec_lo
.LBB67_837:
	s_or_b32 exec_lo, exec_lo, s42
	s_mov_b32 s0, 0
	s_mov_b32 s1, 0
	;; [unrolled: 1-line block ×3, first 2 shown]
                                        ; implicit-def: $vgpr1_vgpr2
                                        ; implicit-def: $vgpr0
                                        ; implicit-def: $vgpr4
	s_and_saveexec_b32 s42, s3
	s_cbranch_execz .LBB67_937
; %bb.838:
	v_cmp_gt_i32_e32 vcc_lo, s33, v8
	s_mov_b32 s45, s43
	s_mov_b32 s3, 0
	;; [unrolled: 1-line block ×3, first 2 shown]
                                        ; implicit-def: $vgpr1_vgpr2
                                        ; implicit-def: $vgpr0
                                        ; implicit-def: $vgpr4
	s_and_saveexec_b32 s33, vcc_lo
	s_cbranch_execz .LBB67_936
; %bb.839:
	s_andn2_b32 vcc_lo, exec_lo, s27
	s_cbranch_vccnz .LBB67_844
; %bb.840:
	s_andn2_b32 vcc_lo, exec_lo, s34
	s_cbranch_vccnz .LBB67_845
; %bb.841:
	s_add_i32 s35, s35, 1
	s_cmp_eq_u32 s25, 2
	s_cbranch_scc1 .LBB67_846
; %bb.842:
	v_mov_b32_e32 v2, 0
	v_mov_b32_e32 v0, 0
	;; [unrolled: 1-line block ×3, first 2 shown]
	s_and_b32 s2, s35, 28
	s_mov_b64 s[0:1], s[6:7]
.LBB67_843:                             ; =>This Inner Loop Header: Depth=1
	s_clause 0x1
	s_load_dwordx8 s[48:55], s[0:1], 0x4
	s_load_dwordx4 s[64:67], s[0:1], 0x24
	s_load_dwordx8 s[56:63], s[22:23], 0x0
	s_add_u32 s0, s0, 48
	s_addc_u32 s1, s1, 0
	s_add_i32 s3, s3, 4
	s_add_u32 s22, s22, 32
	s_addc_u32 s23, s23, 0
	s_cmp_eq_u32 s2, s3
	s_waitcnt vmcnt(0) lgkmcnt(0)
	v_mul_hi_u32 v3, s49, v1
	v_add_nc_u32_e32 v3, v1, v3
	v_lshrrev_b32_e32 v3, s50, v3
	v_mul_hi_u32 v4, s52, v3
	v_mul_lo_u32 v6, v3, s48
	v_add_nc_u32_e32 v4, v3, v4
	v_sub_nc_u32_e32 v1, v1, v6
	v_lshrrev_b32_e32 v4, s53, v4
	v_mul_lo_u32 v6, v1, s56
	v_mul_lo_u32 v9, v1, s57
	v_mul_hi_u32 v5, s55, v4
	v_add_nc_u32_e32 v5, v4, v5
	v_lshrrev_b32_e32 v5, s64, v5
	v_mul_hi_u32 v7, s66, v5
	v_mul_lo_u32 v10, v5, s54
	v_add_nc_u32_e32 v1, v5, v7
	v_mul_lo_u32 v7, v4, s51
	v_sub_nc_u32_e32 v4, v4, v10
	v_lshrrev_b32_e32 v1, s67, v1
	v_mul_lo_u32 v10, v4, s60
	v_mul_lo_u32 v4, v4, s61
	v_sub_nc_u32_e32 v3, v3, v7
	v_mul_lo_u32 v11, v1, s65
	v_mul_lo_u32 v7, v3, s58
	;; [unrolled: 1-line block ×3, first 2 shown]
	v_sub_nc_u32_e32 v5, v5, v11
	v_add3_u32 v0, v6, v0, v7
	v_mul_lo_u32 v11, v5, s62
	v_mul_lo_u32 v5, v5, s63
	v_add3_u32 v2, v9, v2, v3
	v_add3_u32 v0, v10, v0, v11
	;; [unrolled: 1-line block ×3, first 2 shown]
	s_cbranch_scc0 .LBB67_843
	s_branch .LBB67_847
.LBB67_844:
	s_mov_b32 s0, -1
                                        ; implicit-def: $vgpr0
                                        ; implicit-def: $vgpr2
	s_branch .LBB67_851
.LBB67_845:
	v_mov_b32_e32 v0, 0
	v_mov_b32_e32 v2, 0
	s_branch .LBB67_850
.LBB67_846:
	v_mov_b32_e32 v0, 0
	v_mov_b32_e32 v2, 0
	;; [unrolled: 1-line block ×3, first 2 shown]
.LBB67_847:
	s_and_b32 s22, s35, 3
	s_cmp_eq_u32 s22, 0
	s_cbranch_scc1 .LBB67_850
; %bb.848:
	s_lshl_b32 s0, s2, 3
	s_mul_i32 s2, s2, 12
	s_add_u32 s0, s6, s0
	s_addc_u32 s1, s7, 0
	s_add_u32 s0, s0, 0xc4
	s_addc_u32 s1, s1, 0
	;; [unrolled: 2-line block ×3, first 2 shown]
.LBB67_849:                             ; =>This Inner Loop Header: Depth=1
	s_clause 0x1
	s_load_dwordx2 s[34:35], s[2:3], 0x4
	s_load_dword s23, s[2:3], 0xc
	s_load_dwordx2 s[46:47], s[0:1], 0x0
	s_add_u32 s2, s2, 12
	s_addc_u32 s3, s3, 0
	s_add_u32 s0, s0, 8
	s_addc_u32 s1, s1, 0
	s_add_i32 s22, s22, -1
	s_cmp_lg_u32 s22, 0
	s_waitcnt vmcnt(0) lgkmcnt(0)
	v_mul_hi_u32 v3, s35, v1
	v_add_nc_u32_e32 v3, v1, v3
	v_lshrrev_b32_e32 v4, s23, v3
	v_mul_lo_u32 v3, v4, s34
	v_sub_nc_u32_e32 v3, v1, v3
	v_mad_u64_u32 v[0:1], null, v3, s46, v[0:1]
	v_mad_u64_u32 v[2:3], null, v3, s47, v[2:3]
	v_mov_b32_e32 v1, v4
	s_cbranch_scc1 .LBB67_849
.LBB67_850:
	s_mov_b32 s0, 0
.LBB67_851:
	s_andn2_b32 vcc_lo, exec_lo, s0
	s_cbranch_vccnz .LBB67_854
; %bb.852:
	s_waitcnt lgkmcnt(0)
	v_mul_hi_u32 v0, s17, v8
	s_andn2_b32 vcc_lo, exec_lo, s31
	v_add_nc_u32_e32 v0, v8, v0
	v_lshrrev_b32_e32 v1, s18, v0
	v_mul_lo_u32 v0, v1, s16
	v_sub_nc_u32_e32 v2, v8, v0
	v_mul_lo_u32 v0, v2, s12
	v_mul_lo_u32 v2, v2, s13
	s_cbranch_vccnz .LBB67_854
; %bb.853:
	s_waitcnt vmcnt(0)
	v_mul_hi_u32 v3, s20, v1
	v_add_nc_u32_e32 v3, v1, v3
	v_lshrrev_b32_e32 v3, s21, v3
	v_mul_lo_u32 v3, v3, s19
	v_sub_nc_u32_e32 v3, v1, v3
	v_mad_u64_u32 v[0:1], null, v3, s14, v[0:1]
	v_mad_u64_u32 v[2:3], null, v3, s15, v[2:3]
.LBB67_854:
	s_waitcnt lgkmcnt(0)
	v_add_co_u32 v1, s0, s10, v2
	v_add_co_ci_u32_e64 v2, null, s11, 0, s0
	s_and_b32 s0, 0xffff, s30
	s_cmp_lt_i32 s0, 11
	s_cbranch_scc1 .LBB67_861
; %bb.855:
	s_cmp_gt_i32 s0, 25
	s_mov_b32 s2, 0
	s_cbranch_scc0 .LBB67_862
; %bb.856:
	s_cmp_gt_i32 s0, 28
	s_cbranch_scc0 .LBB67_863
; %bb.857:
	s_cmp_gt_i32 s0, 43
	;; [unrolled: 3-line block ×3, first 2 shown]
	s_cbranch_scc0 .LBB67_867
; %bb.859:
	s_cmp_eq_u32 s0, 46
	s_mov_b32 s10, 0
	s_cbranch_scc0 .LBB67_870
; %bb.860:
	global_load_dword v3, v[1:2], off
	s_mov_b32 s1, 0
	s_mov_b32 s3, -1
	s_waitcnt vmcnt(0)
	v_lshlrev_b32_e32 v3, 16, v3
	v_cvt_f16_f32_e32 v4, v3
	s_branch .LBB67_872
.LBB67_861:
	s_mov_b32 s0, -1
	s_mov_b32 s3, 0
	s_mov_b32 s2, 0
	;; [unrolled: 1-line block ×3, first 2 shown]
                                        ; implicit-def: $vgpr4
	s_branch .LBB67_935
.LBB67_862:
	s_mov_b32 s10, -1
	s_mov_b32 s3, 0
	s_mov_b32 s1, s43
                                        ; implicit-def: $vgpr4
	s_branch .LBB67_901
.LBB67_863:
	s_mov_b32 s10, -1
	s_mov_b32 s3, 0
	s_mov_b32 s1, s43
                                        ; implicit-def: $vgpr4
	s_branch .LBB67_882
.LBB67_864:
	s_mov_b32 s10, -1
	s_mov_b32 s3, 0
	s_mov_b32 s1, s43
                                        ; implicit-def: $vgpr4
	s_branch .LBB67_877
.LBB67_865:
	s_andn2_saveexec_b32 s45, s45
	s_cbranch_execz .LBB67_745
.LBB67_866:
	v_add_f32_e64 v4, 0x46000000, |v3|
	s_andn2_b32 s44, s44, exec_lo
	v_and_b32_e32 v4, 0xff, v4
	v_cmp_ne_u32_e32 vcc_lo, 0, v4
	s_and_b32 s46, vcc_lo, exec_lo
	s_or_b32 s44, s44, s46
	s_or_b32 exec_lo, exec_lo, s45
	v_mov_b32_e32 v5, 0
	s_and_saveexec_b32 s45, s44
	s_cbranch_execnz .LBB67_746
	s_branch .LBB67_747
.LBB67_867:
	s_mov_b32 s10, -1
	s_mov_b32 s3, 0
	s_mov_b32 s1, s43
	s_branch .LBB67_871
.LBB67_868:
	s_andn2_saveexec_b32 s45, s45
	s_cbranch_execz .LBB67_758
.LBB67_869:
	v_add_f32_e64 v4, 0x42800000, |v3|
	s_andn2_b32 s44, s44, exec_lo
	v_and_b32_e32 v4, 0xff, v4
	v_cmp_ne_u32_e32 vcc_lo, 0, v4
	s_and_b32 s46, vcc_lo, exec_lo
	s_or_b32 s44, s44, s46
	s_or_b32 exec_lo, exec_lo, s45
	v_mov_b32_e32 v5, 0
	s_and_saveexec_b32 s45, s44
	s_cbranch_execnz .LBB67_759
	s_branch .LBB67_760
.LBB67_870:
	s_mov_b32 s1, -1
	s_mov_b32 s3, 0
.LBB67_871:
                                        ; implicit-def: $vgpr4
.LBB67_872:
	s_and_b32 vcc_lo, exec_lo, s10
	s_cbranch_vccz .LBB67_876
; %bb.873:
	s_cmp_eq_u32 s0, 44
	s_cbranch_scc0 .LBB67_875
; %bb.874:
	global_load_ubyte v3, v[1:2], off
	s_mov_b32 s1, 0
	s_mov_b32 s3, -1
	s_waitcnt vmcnt(0)
	v_lshlrev_b32_e32 v4, 23, v3
	v_cmp_ne_u32_e32 vcc_lo, 0xff, v3
	v_cvt_f16_f32_e32 v4, v4
	v_cndmask_b32_e32 v4, 0x7e00, v4, vcc_lo
	v_cmp_ne_u32_e32 vcc_lo, 0, v3
	v_cndmask_b32_e32 v4, 0, v4, vcc_lo
	s_branch .LBB67_876
.LBB67_875:
	s_mov_b32 s1, -1
                                        ; implicit-def: $vgpr4
.LBB67_876:
	s_mov_b32 s10, 0
.LBB67_877:
	s_and_b32 vcc_lo, exec_lo, s10
	s_cbranch_vccz .LBB67_881
; %bb.878:
	s_cmp_eq_u32 s0, 29
	s_cbranch_scc0 .LBB67_880
; %bb.879:
	global_load_dwordx2 v[3:4], v[1:2], off
	s_mov_b32 s1, 0
	s_mov_b32 s3, -1
	s_mov_b32 s10, 0
	s_waitcnt vmcnt(0)
	v_ffbh_u32_e32 v5, v4
	v_min_u32_e32 v5, 32, v5
	v_lshlrev_b64 v[3:4], v5, v[3:4]
	v_min_u32_e32 v3, 1, v3
	v_or_b32_e32 v3, v4, v3
	v_sub_nc_u32_e32 v4, 32, v5
	v_cvt_f32_u32_e32 v3, v3
	v_ldexp_f32 v3, v3, v4
	v_cvt_f16_f32_e32 v4, v3
	s_branch .LBB67_882
.LBB67_880:
	s_mov_b32 s1, -1
                                        ; implicit-def: $vgpr4
.LBB67_881:
	s_mov_b32 s10, 0
.LBB67_882:
	s_and_b32 vcc_lo, exec_lo, s10
	s_cbranch_vccz .LBB67_900
; %bb.883:
	s_cmp_lt_i32 s0, 27
	s_cbranch_scc1 .LBB67_886
; %bb.884:
	s_cmp_gt_i32 s0, 27
	s_cbranch_scc0 .LBB67_887
; %bb.885:
	global_load_dword v3, v[1:2], off
	s_mov_b32 s3, 0
	s_waitcnt vmcnt(0)
	v_cvt_f32_u32_e32 v3, v3
	v_cvt_f16_f32_e32 v4, v3
	s_branch .LBB67_888
.LBB67_886:
	s_mov_b32 s3, -1
                                        ; implicit-def: $vgpr4
	s_branch .LBB67_891
.LBB67_887:
	s_mov_b32 s3, -1
                                        ; implicit-def: $vgpr4
.LBB67_888:
	s_andn2_b32 vcc_lo, exec_lo, s3
	s_cbranch_vccnz .LBB67_890
; %bb.889:
	global_load_ushort v3, v[1:2], off
	s_waitcnt vmcnt(0)
	v_cvt_f16_u16_e32 v4, v3
.LBB67_890:
	s_mov_b32 s3, 0
.LBB67_891:
	s_andn2_b32 vcc_lo, exec_lo, s3
	s_cbranch_vccnz .LBB67_899
; %bb.892:
	global_load_ubyte v3, v[1:2], off
	s_mov_b32 s3, 0
	s_mov_b32 s10, exec_lo
	s_waitcnt vmcnt(0)
	v_cmpx_lt_i16_e32 0x7f, v3
	s_xor_b32 s10, exec_lo, s10
	s_cbranch_execz .LBB67_913
; %bb.893:
	s_mov_b32 s3, -1
	s_mov_b32 s11, exec_lo
	v_cmpx_eq_u16_e32 0x80, v3
; %bb.894:
	s_xor_b32 s3, exec_lo, -1
; %bb.895:
	s_or_b32 exec_lo, exec_lo, s11
	s_and_b32 s3, s3, exec_lo
	s_or_saveexec_b32 s10, s10
	v_mov_b32_e32 v4, 0x7e00
	s_xor_b32 exec_lo, exec_lo, s10
	s_cbranch_execnz .LBB67_914
.LBB67_896:
	s_or_b32 exec_lo, exec_lo, s10
	s_and_saveexec_b32 s10, s3
	s_cbranch_execz .LBB67_898
.LBB67_897:
	v_and_b32_e32 v4, 0xffff, v3
	v_lshlrev_b32_e32 v3, 24, v3
	v_and_b32_e32 v5, 7, v4
	v_bfe_u32 v8, v4, 3, 4
	v_and_b32_e32 v3, 0x80000000, v3
	v_ffbh_u32_e32 v6, v5
	v_cmp_eq_u32_e32 vcc_lo, 0, v8
	v_min_u32_e32 v6, 32, v6
	v_subrev_nc_u32_e32 v7, 28, v6
	v_sub_nc_u32_e32 v6, 29, v6
	v_lshlrev_b32_e32 v4, v7, v4
	v_cndmask_b32_e32 v6, v8, v6, vcc_lo
	v_and_b32_e32 v4, 7, v4
	v_cndmask_b32_e32 v4, v5, v4, vcc_lo
	v_lshl_add_u32 v5, v6, 23, 0x3b800000
	v_lshlrev_b32_e32 v4, 20, v4
	v_or3_b32 v3, v3, v5, v4
	v_cvt_f16_f32_e32 v4, v3
.LBB67_898:
	s_or_b32 exec_lo, exec_lo, s10
.LBB67_899:
	s_mov_b32 s3, -1
.LBB67_900:
	s_mov_b32 s10, 0
.LBB67_901:
	s_and_b32 vcc_lo, exec_lo, s10
	s_cbranch_vccz .LBB67_934
; %bb.902:
	s_cmp_gt_i32 s0, 22
	s_cbranch_scc0 .LBB67_912
; %bb.903:
	s_cmp_lt_i32 s0, 24
	s_cbranch_scc1 .LBB67_915
; %bb.904:
	s_cmp_gt_i32 s0, 24
	s_cbranch_scc0 .LBB67_916
; %bb.905:
	global_load_ubyte v3, v[1:2], off
	s_mov_b32 s3, exec_lo
	s_waitcnt vmcnt(0)
	v_cmpx_lt_i16_e32 0x7f, v3
	s_xor_b32 s3, exec_lo, s3
	s_cbranch_execz .LBB67_928
; %bb.906:
	s_mov_b32 s2, -1
	s_mov_b32 s10, exec_lo
	v_cmpx_eq_u16_e32 0x80, v3
; %bb.907:
	s_xor_b32 s2, exec_lo, -1
; %bb.908:
	s_or_b32 exec_lo, exec_lo, s10
	s_and_b32 s2, s2, exec_lo
	s_or_saveexec_b32 s3, s3
	v_mov_b32_e32 v4, 0x7e00
	s_xor_b32 exec_lo, exec_lo, s3
	s_cbranch_execnz .LBB67_929
.LBB67_909:
	s_or_b32 exec_lo, exec_lo, s3
	s_and_saveexec_b32 s3, s2
	s_cbranch_execz .LBB67_911
.LBB67_910:
	v_and_b32_e32 v4, 0xffff, v3
	v_lshlrev_b32_e32 v3, 24, v3
	v_and_b32_e32 v5, 3, v4
	v_bfe_u32 v8, v4, 2, 5
	v_and_b32_e32 v3, 0x80000000, v3
	v_ffbh_u32_e32 v6, v5
	v_cmp_eq_u32_e32 vcc_lo, 0, v8
	v_min_u32_e32 v6, 32, v6
	v_subrev_nc_u32_e32 v7, 29, v6
	v_sub_nc_u32_e32 v6, 30, v6
	v_lshlrev_b32_e32 v4, v7, v4
	v_cndmask_b32_e32 v6, v8, v6, vcc_lo
	v_and_b32_e32 v4, 3, v4
	v_cndmask_b32_e32 v4, v5, v4, vcc_lo
	v_lshl_add_u32 v5, v6, 23, 0x37800000
	v_lshlrev_b32_e32 v4, 21, v4
	v_or3_b32 v3, v3, v5, v4
	v_cvt_f16_f32_e32 v4, v3
.LBB67_911:
	s_or_b32 exec_lo, exec_lo, s3
	s_mov_b32 s2, 0
	s_branch .LBB67_917
.LBB67_912:
	s_mov_b32 s2, -1
                                        ; implicit-def: $vgpr4
	s_branch .LBB67_923
.LBB67_913:
	s_or_saveexec_b32 s10, s10
	v_mov_b32_e32 v4, 0x7e00
	s_xor_b32 exec_lo, exec_lo, s10
	s_cbranch_execz .LBB67_896
.LBB67_914:
	v_cmp_ne_u16_e32 vcc_lo, 0, v3
	v_mov_b32_e32 v4, v3
	s_andn2_b32 s3, s3, exec_lo
	s_and_b32 s11, vcc_lo, exec_lo
	s_or_b32 s3, s3, s11
	s_or_b32 exec_lo, exec_lo, s10
	s_and_saveexec_b32 s10, s3
	s_cbranch_execnz .LBB67_897
	s_branch .LBB67_898
.LBB67_915:
	s_mov_b32 s2, -1
                                        ; implicit-def: $vgpr4
	s_branch .LBB67_920
.LBB67_916:
	s_mov_b32 s2, -1
                                        ; implicit-def: $vgpr4
.LBB67_917:
	s_and_b32 vcc_lo, exec_lo, s2
	s_cbranch_vccz .LBB67_919
; %bb.918:
	global_load_ubyte v3, v[1:2], off
	s_waitcnt vmcnt(0)
	v_lshlrev_b32_e32 v3, 24, v3
	v_and_b32_e32 v4, 0x7f000000, v3
	v_ffbh_u32_e32 v5, v4
	v_add_nc_u32_e32 v7, 0x1000000, v4
	v_cmp_ne_u32_e32 vcc_lo, 0, v4
	v_min_u32_e32 v5, 32, v5
	v_sub_nc_u32_e64 v5, v5, 4 clamp
	v_lshlrev_b32_e32 v6, v5, v4
	v_lshlrev_b32_e32 v5, 23, v5
	v_lshrrev_b32_e32 v6, 4, v6
	v_sub_nc_u32_e32 v5, v6, v5
	v_ashrrev_i32_e32 v6, 8, v7
	v_add_nc_u32_e32 v5, 0x3c000000, v5
	v_and_or_b32 v5, 0x7f800000, v6, v5
	v_cndmask_b32_e32 v4, 0, v5, vcc_lo
	v_and_or_b32 v3, 0x80000000, v3, v4
	v_cvt_f16_f32_e32 v4, v3
.LBB67_919:
	s_mov_b32 s2, 0
.LBB67_920:
	s_andn2_b32 vcc_lo, exec_lo, s2
	s_cbranch_vccnz .LBB67_922
; %bb.921:
	global_load_ubyte v3, v[1:2], off
	s_waitcnt vmcnt(0)
	v_lshlrev_b32_e32 v4, 25, v3
	v_lshlrev_b16 v3, 8, v3
	v_lshrrev_b32_e32 v5, 4, v4
	v_and_or_b32 v6, 0x7f00, v3, 0.5
	v_cmp_gt_u32_e32 vcc_lo, 0x8000000, v4
	v_bfe_i32 v3, v3, 0, 16
	v_or_b32_e32 v5, 0x70000000, v5
	v_add_f32_e32 v6, -0.5, v6
	v_mul_f32_e32 v5, 0x7800000, v5
	v_cndmask_b32_e32 v4, v5, v6, vcc_lo
	v_and_or_b32 v3, 0x80000000, v3, v4
	v_cvt_f16_f32_e32 v4, v3
.LBB67_922:
	s_mov_b32 s2, 0
	s_mov_b32 s3, -1
.LBB67_923:
	s_andn2_b32 vcc_lo, exec_lo, s2
	s_mov_b32 s2, 0
	s_cbranch_vccnz .LBB67_934
; %bb.924:
	s_cmp_gt_i32 s0, 14
	s_cbranch_scc0 .LBB67_927
; %bb.925:
	s_cmp_eq_u32 s0, 15
	s_cbranch_scc0 .LBB67_930
; %bb.926:
	global_load_ushort v3, v[1:2], off
	s_mov_b32 s1, 0
	s_mov_b32 s3, -1
	s_waitcnt vmcnt(0)
	v_lshlrev_b32_e32 v3, 16, v3
	v_cvt_f16_f32_e32 v4, v3
	s_branch .LBB67_932
.LBB67_927:
	s_mov_b32 s2, -1
	s_branch .LBB67_931
.LBB67_928:
	s_or_saveexec_b32 s3, s3
	v_mov_b32_e32 v4, 0x7e00
	s_xor_b32 exec_lo, exec_lo, s3
	s_cbranch_execz .LBB67_909
.LBB67_929:
	v_cmp_ne_u16_e32 vcc_lo, 0, v3
	v_mov_b32_e32 v4, v3
	s_andn2_b32 s2, s2, exec_lo
	s_and_b32 s10, vcc_lo, exec_lo
	s_or_b32 s2, s2, s10
	s_or_b32 exec_lo, exec_lo, s3
	s_and_saveexec_b32 s3, s2
	s_cbranch_execnz .LBB67_910
	s_branch .LBB67_911
.LBB67_930:
	s_mov_b32 s1, -1
.LBB67_931:
                                        ; implicit-def: $vgpr4
.LBB67_932:
	s_and_b32 vcc_lo, exec_lo, s2
	s_mov_b32 s2, 0
	s_cbranch_vccz .LBB67_934
; %bb.933:
	s_cmp_lg_u32 s0, 11
	s_mov_b32 s2, -1
	s_cselect_b32 s0, -1, 0
	s_andn2_b32 s1, s1, exec_lo
	s_and_b32 s0, s0, exec_lo
	s_or_b32 s1, s1, s0
.LBB67_934:
	s_mov_b32 s0, 0
.LBB67_935:
	s_andn2_b32 s10, s43, exec_lo
	s_and_b32 s1, s1, exec_lo
	s_and_b32 s46, s3, exec_lo
	;; [unrolled: 1-line block ×4, first 2 shown]
	s_or_b32 s45, s10, s1
.LBB67_936:
	s_or_b32 exec_lo, exec_lo, s33
	s_and_b32 s1, s3, exec_lo
	s_andn2_b32 s3, s43, exec_lo
	s_waitcnt lgkmcnt(0)
	s_and_b32 s10, s45, exec_lo
	s_and_b32 s2, s46, exec_lo
	;; [unrolled: 1-line block ×3, first 2 shown]
	s_or_b32 s43, s3, s10
.LBB67_937:
	s_or_b32 exec_lo, exec_lo, s42
	s_andn2_b32 s3, s40, exec_lo
	s_waitcnt lgkmcnt(0)
	s_and_b32 s10, s44, exec_lo
	s_and_b32 s11, s43, exec_lo
	s_or_b32 s40, s3, s10
	s_andn2_b32 s10, s39, exec_lo
	s_and_b32 s3, s2, exec_lo
	s_and_b32 s2, s1, exec_lo
	;; [unrolled: 1-line block ×3, first 2 shown]
	s_or_b32 s39, s10, s11
.LBB67_938:
	s_or_b32 exec_lo, exec_lo, s41
	s_andn2_b32 s0, s36, exec_lo
	s_waitcnt lgkmcnt(0)
	s_and_b32 s10, s40, exec_lo
	s_and_b32 s2, s2, exec_lo
	s_or_b32 s36, s0, s10
	s_and_b32 s0, s3, exec_lo
	s_andn2_b32 s3, s37, exec_lo
	s_and_b32 s10, s39, exec_lo
	s_and_b32 s39, s1, exec_lo
	s_or_b32 s37, s3, s10
	s_or_b32 exec_lo, exec_lo, s38
	s_mov_b32 s10, 0
	s_and_saveexec_b32 s1, s37
	s_cbranch_execz .LBB67_280
.LBB67_939:
	s_mov_b32 s10, exec_lo
	s_andn2_b32 s39, s39, exec_lo
	s_trap 2
	s_or_b32 exec_lo, exec_lo, s1
	s_and_saveexec_b32 s1, s39
	s_xor_b32 s1, exec_lo, s1
	s_cbranch_execnz .LBB67_281
.LBB67_940:
	s_or_b32 exec_lo, exec_lo, s1
	s_and_saveexec_b32 s1, s2
	s_cbranch_execz .LBB67_986
.LBB67_941:
	s_sext_i32_i16 s2, s30
	s_cmp_lt_i32 s2, 5
	s_cbranch_scc1 .LBB67_946
; %bb.942:
	s_cmp_lt_i32 s2, 8
	s_cbranch_scc1 .LBB67_947
; %bb.943:
	;; [unrolled: 3-line block ×3, first 2 shown]
	s_cmp_gt_i32 s2, 9
	s_cbranch_scc0 .LBB67_949
; %bb.945:
	global_load_dwordx2 v[3:4], v[1:2], off
	s_mov_b32 s2, 0
	s_waitcnt vmcnt(0)
	v_and_or_b32 v3, 0x1ff, v4, v3
	v_lshrrev_b32_e32 v5, 8, v4
	v_bfe_u32 v6, v4, 20, 11
	v_lshrrev_b32_e32 v4, 16, v4
	v_cmp_ne_u32_e32 vcc_lo, 0, v3
	v_sub_nc_u32_e32 v7, 0x3f1, v6
	v_add_nc_u32_e32 v6, 0xfffffc10, v6
	v_cndmask_b32_e64 v3, 0, 1, vcc_lo
	v_and_or_b32 v3, 0xffe, v5, v3
	v_med3_i32 v5, v7, 0, 13
	v_or_b32_e32 v7, 0x1000, v3
	v_lshrrev_b32_e32 v8, v5, v7
	v_lshlrev_b32_e32 v5, v5, v8
	v_cmp_ne_u32_e32 vcc_lo, v5, v7
	v_lshl_or_b32 v7, v6, 12, v3
	v_cndmask_b32_e64 v5, 0, 1, vcc_lo
	v_cmp_gt_i32_e32 vcc_lo, 1, v6
	v_or_b32_e32 v5, v8, v5
	v_cndmask_b32_e32 v5, v7, v5, vcc_lo
	v_and_b32_e32 v7, 7, v5
	v_lshrrev_b32_e32 v5, 2, v5
	v_cmp_lt_i32_e32 vcc_lo, 5, v7
	v_cndmask_b32_e64 v8, 0, 1, vcc_lo
	v_cmp_eq_u32_e32 vcc_lo, 3, v7
	v_cndmask_b32_e64 v7, 0, 1, vcc_lo
	v_cmp_ne_u32_e32 vcc_lo, 0, v3
	v_or_b32_e32 v7, v7, v8
	v_mov_b32_e32 v8, 0x7e00
	v_add_nc_u32_e32 v5, v5, v7
	v_cndmask_b32_e32 v3, 0x7c00, v8, vcc_lo
	v_cmp_gt_i32_e32 vcc_lo, 31, v6
	v_cndmask_b32_e32 v5, 0x7c00, v5, vcc_lo
	v_cmp_eq_u32_e32 vcc_lo, 0x40f, v6
	v_cndmask_b32_e32 v3, v5, v3, vcc_lo
	v_and_or_b32 v4, 0x8000, v4, v3
	s_branch .LBB67_950
.LBB67_946:
                                        ; implicit-def: $vgpr4
	s_branch .LBB67_967
.LBB67_947:
                                        ; implicit-def: $vgpr4
	s_branch .LBB67_956
.LBB67_948:
	s_mov_b32 s2, -1
                                        ; implicit-def: $vgpr4
	s_branch .LBB67_953
.LBB67_949:
	s_mov_b32 s2, -1
                                        ; implicit-def: $vgpr4
.LBB67_950:
	s_andn2_b32 vcc_lo, exec_lo, s2
	s_cbranch_vccnz .LBB67_952
; %bb.951:
	global_load_dword v3, v[1:2], off
	s_waitcnt vmcnt(0)
	v_cvt_f16_f32_e32 v4, v3
.LBB67_952:
	s_mov_b32 s2, 0
.LBB67_953:
	s_andn2_b32 vcc_lo, exec_lo, s2
	s_cbranch_vccnz .LBB67_955
; %bb.954:
	global_load_dword v4, v[1:2], off
.LBB67_955:
	s_cbranch_execnz .LBB67_966
.LBB67_956:
	s_sext_i32_i16 s2, s30
	s_cmp_lt_i32 s2, 6
	s_cbranch_scc1 .LBB67_959
; %bb.957:
	s_cmp_gt_i32 s2, 6
	s_cbranch_scc0 .LBB67_960
; %bb.958:
	global_load_dwordx2 v[3:4], v[1:2], off
	s_mov_b32 s2, 0
	s_waitcnt vmcnt(0)
	v_and_or_b32 v3, 0x1ff, v4, v3
	v_lshrrev_b32_e32 v5, 8, v4
	v_bfe_u32 v6, v4, 20, 11
	v_lshrrev_b32_e32 v4, 16, v4
	v_cmp_ne_u32_e32 vcc_lo, 0, v3
	v_sub_nc_u32_e32 v7, 0x3f1, v6
	v_add_nc_u32_e32 v6, 0xfffffc10, v6
	v_cndmask_b32_e64 v3, 0, 1, vcc_lo
	v_and_or_b32 v3, 0xffe, v5, v3
	v_med3_i32 v5, v7, 0, 13
	v_or_b32_e32 v7, 0x1000, v3
	v_lshrrev_b32_e32 v8, v5, v7
	v_lshlrev_b32_e32 v5, v5, v8
	v_cmp_ne_u32_e32 vcc_lo, v5, v7
	v_lshl_or_b32 v7, v6, 12, v3
	v_cndmask_b32_e64 v5, 0, 1, vcc_lo
	v_cmp_gt_i32_e32 vcc_lo, 1, v6
	v_or_b32_e32 v5, v8, v5
	v_cndmask_b32_e32 v5, v7, v5, vcc_lo
	v_and_b32_e32 v7, 7, v5
	v_lshrrev_b32_e32 v5, 2, v5
	v_cmp_lt_i32_e32 vcc_lo, 5, v7
	v_cndmask_b32_e64 v8, 0, 1, vcc_lo
	v_cmp_eq_u32_e32 vcc_lo, 3, v7
	v_cndmask_b32_e64 v7, 0, 1, vcc_lo
	v_cmp_ne_u32_e32 vcc_lo, 0, v3
	v_or_b32_e32 v7, v7, v8
	v_mov_b32_e32 v8, 0x7e00
	v_add_nc_u32_e32 v5, v5, v7
	v_cndmask_b32_e32 v3, 0x7c00, v8, vcc_lo
	v_cmp_gt_i32_e32 vcc_lo, 31, v6
	v_cndmask_b32_e32 v5, 0x7c00, v5, vcc_lo
	v_cmp_eq_u32_e32 vcc_lo, 0x40f, v6
	v_cndmask_b32_e32 v3, v5, v3, vcc_lo
	v_and_or_b32 v4, 0x8000, v4, v3
	s_branch .LBB67_961
.LBB67_959:
	s_mov_b32 s2, -1
                                        ; implicit-def: $vgpr4
	s_branch .LBB67_964
.LBB67_960:
	s_mov_b32 s2, -1
                                        ; implicit-def: $vgpr4
.LBB67_961:
	s_andn2_b32 vcc_lo, exec_lo, s2
	s_cbranch_vccnz .LBB67_963
; %bb.962:
	global_load_dword v3, v[1:2], off
	s_waitcnt vmcnt(0)
	v_cvt_f16_f32_e32 v4, v3
.LBB67_963:
	s_mov_b32 s2, 0
.LBB67_964:
	s_andn2_b32 vcc_lo, exec_lo, s2
	s_cbranch_vccnz .LBB67_966
; %bb.965:
	global_load_ushort v4, v[1:2], off
.LBB67_966:
	s_cbranch_execnz .LBB67_985
.LBB67_967:
	s_sext_i32_i16 s2, s30
	s_cmp_lt_i32 s2, 2
	s_cbranch_scc1 .LBB67_971
; %bb.968:
	s_cmp_lt_i32 s2, 3
	s_cbranch_scc1 .LBB67_972
; %bb.969:
	s_cmp_gt_i32 s2, 3
	s_cbranch_scc0 .LBB67_973
; %bb.970:
	global_load_dwordx2 v[3:4], v[1:2], off
	s_mov_b32 s2, 0
	s_waitcnt vmcnt(0)
	v_xor_b32_e32 v5, v3, v4
	v_ffbh_i32_e32 v6, v4
	v_ashrrev_i32_e32 v5, 31, v5
	v_add_nc_u32_e32 v6, -1, v6
	v_add_nc_u32_e32 v5, 32, v5
	v_min_u32_e32 v5, v6, v5
	v_lshlrev_b64 v[3:4], v5, v[3:4]
	v_min_u32_e32 v3, 1, v3
	v_or_b32_e32 v3, v4, v3
	v_sub_nc_u32_e32 v4, 32, v5
	v_cvt_f32_i32_e32 v3, v3
	v_ldexp_f32 v3, v3, v4
	v_cvt_f16_f32_e32 v4, v3
	s_branch .LBB67_974
.LBB67_971:
                                        ; implicit-def: $vgpr4
	s_branch .LBB67_980
.LBB67_972:
	s_mov_b32 s2, -1
                                        ; implicit-def: $vgpr4
	s_branch .LBB67_977
.LBB67_973:
	s_mov_b32 s2, -1
                                        ; implicit-def: $vgpr4
.LBB67_974:
	s_andn2_b32 vcc_lo, exec_lo, s2
	s_cbranch_vccnz .LBB67_976
; %bb.975:
	global_load_dword v3, v[1:2], off
	s_waitcnt vmcnt(0)
	v_cvt_f32_i32_e32 v3, v3
	v_cvt_f16_f32_e32 v4, v3
.LBB67_976:
	s_mov_b32 s2, 0
.LBB67_977:
	s_andn2_b32 vcc_lo, exec_lo, s2
	s_cbranch_vccnz .LBB67_979
; %bb.978:
	global_load_ushort v3, v[1:2], off
	s_waitcnt vmcnt(0)
	v_cvt_f16_i16_e32 v4, v3
.LBB67_979:
	s_cbranch_execnz .LBB67_985
.LBB67_980:
	s_sext_i32_i16 s2, s30
	s_cmp_gt_i32 s2, 0
	s_mov_b32 s2, 0
	s_cbranch_scc0 .LBB67_982
; %bb.981:
	global_load_sbyte v3, v[1:2], off
	s_waitcnt vmcnt(0)
	v_cvt_f16_i16_e32 v4, v3
	s_branch .LBB67_983
.LBB67_982:
	s_mov_b32 s2, -1
                                        ; implicit-def: $vgpr4
.LBB67_983:
	s_andn2_b32 vcc_lo, exec_lo, s2
	s_cbranch_vccnz .LBB67_985
; %bb.984:
	global_load_ubyte v1, v[1:2], off
	s_waitcnt vmcnt(0)
	v_cvt_f16_u16_e32 v4, v1
.LBB67_985:
	s_or_b32 s0, s0, exec_lo
.LBB67_986:
	s_or_b32 exec_lo, exec_lo, s1
	s_mov_b32 s3, 0
	s_mov_b32 s2, 0
                                        ; implicit-def: $sgpr1
                                        ; implicit-def: $vgpr1_vgpr2
                                        ; implicit-def: $vgpr3
	s_and_saveexec_b32 s11, s0
	s_cbranch_execz .LBB67_1000
; %bb.987:
	s_waitcnt vmcnt(0)
	v_cvt_f32_f16_e32 v1, v4
	v_mov_b32_e32 v2, 0
	v_mov_b32_e32 v3, 1.0
	s_mov_b32 s2, exec_lo
	v_cmpx_gt_f16_e32 0.5, v4
	s_cbranch_execz .LBB67_993
; %bb.988:
	v_mul_f32_e32 v2, 0x40490fdb, v1
                                        ; implicit-def: $vgpr5
                                        ; implicit-def: $vgpr4
	s_mov_b32 s1, exec_lo
	v_and_b32_e32 v3, 0x7fffffff, v2
	v_cmpx_ngt_f32_e64 0x48000000, |v2|
	s_xor_b32 s3, exec_lo, s1
	s_cbranch_execz .LBB67_990
; %bb.989:
	s_mov_b32 s0, 0x7fffff
	v_mov_b32_e32 v6, 0
	v_and_or_b32 v13, v3, s0, 0x800000
	v_lshrrev_b32_e32 v11, 23, v3
	v_mad_u64_u32 v[4:5], null, 0xfe5163ab, v13, 0
	v_add_nc_u32_e32 v12, 0xffffff88, v11
	v_cmp_lt_u32_e32 vcc_lo, 63, v12
	v_mad_u64_u32 v[7:8], null, 0x3c439041, v13, v[5:6]
	v_cndmask_b32_e64 v14, 0, 0xffffffc0, vcc_lo
	v_mov_b32_e32 v5, v8
	v_add_nc_u32_e32 v14, v14, v12
	v_mad_u64_u32 v[8:9], null, 0xdb629599, v13, v[5:6]
	v_cmp_lt_u32_e64 s0, 31, v14
	v_cndmask_b32_e64 v15, 0, 0xffffffe0, s0
	v_mov_b32_e32 v5, v9
	v_cndmask_b32_e32 v4, v8, v4, vcc_lo
	v_mad_u64_u32 v[9:10], null, 0xf534ddc0, v13, v[5:6]
	v_mov_b32_e32 v5, v10
	v_cndmask_b32_e32 v7, v9, v7, vcc_lo
	v_mad_u64_u32 v[10:11], null, 0xfc2757d1, v13, v[5:6]
	v_cndmask_b32_e64 v4, v7, v4, s0
	v_mov_b32_e32 v5, v11
	v_mad_u64_u32 v[11:12], null, 0x4e441529, v13, v[5:6]
	v_mov_b32_e32 v5, v12
	v_add_nc_u32_e32 v12, v15, v14
	v_cndmask_b32_e32 v14, v11, v9, vcc_lo
	v_mad_u64_u32 v[5:6], null, 0xa2f9836e, v13, v[5:6]
	v_cmp_lt_u32_e64 s1, 31, v12
	v_cndmask_b32_e64 v13, 0, 0xffffffe0, s1
	v_cndmask_b32_e32 v5, v5, v10, vcc_lo
	v_cndmask_b32_e32 v6, v6, v11, vcc_lo
	;; [unrolled: 1-line block ×3, first 2 shown]
	v_add_nc_u32_e32 v11, v13, v12
	v_cndmask_b32_e64 v9, v5, v14, s0
	v_cndmask_b32_e64 v5, v6, v5, s0
	;; [unrolled: 1-line block ×4, first 2 shown]
	v_sub_nc_u32_e32 v12, 32, v11
	v_cmp_eq_u32_e32 vcc_lo, 0, v11
	v_cndmask_b32_e64 v5, v5, v9, s1
	v_cndmask_b32_e64 v9, v9, v6, s1
	;; [unrolled: 1-line block ×4, first 2 shown]
	v_alignbit_b32 v13, v5, v9, v12
	v_alignbit_b32 v8, v9, v6, v12
	;; [unrolled: 1-line block ×3, first 2 shown]
	v_cndmask_b32_e32 v5, v13, v5, vcc_lo
	v_cndmask_b32_e32 v7, v8, v9, vcc_lo
	;; [unrolled: 1-line block ×3, first 2 shown]
	v_bfe_u32 v8, v5, 29, 1
	v_alignbit_b32 v9, v5, v7, 30
	v_alignbit_b32 v7, v7, v6, 30
	;; [unrolled: 1-line block ×3, first 2 shown]
	v_sub_nc_u32_e32 v10, 0, v8
	v_xor_b32_e32 v9, v9, v10
	v_xor_b32_e32 v6, v7, v10
	;; [unrolled: 1-line block ×3, first 2 shown]
	v_lshrrev_b32_e32 v10, 29, v5
	v_lshrrev_b32_e32 v5, 30, v5
	v_ffbh_u32_e32 v11, v9
	v_add_nc_u32_e32 v5, v8, v5
	v_min_u32_e32 v11, 32, v11
	v_sub_nc_u32_e32 v7, 31, v11
	v_lshlrev_b32_e32 v12, 23, v11
	v_alignbit_b32 v9, v9, v6, v7
	v_alignbit_b32 v4, v6, v4, v7
	v_lshlrev_b32_e32 v6, 31, v10
	v_alignbit_b32 v7, v9, v4, 9
	v_or_b32_e32 v10, 0.5, v6
	v_lshrrev_b32_e32 v9, 9, v9
	v_or_b32_e32 v6, 0x33000000, v6
	v_ffbh_u32_e32 v13, v7
	v_sub_nc_u32_e32 v10, v10, v12
	v_min_u32_e32 v12, 32, v13
	v_or_b32_e32 v9, v9, v10
	v_not_b32_e32 v10, v12
	v_mul_f32_e32 v13, 0x3fc90fda, v9
	v_add_lshl_u32 v11, v12, v11, 23
	v_alignbit_b32 v4, v7, v4, v10
	v_fma_f32 v7, 0x3fc90fda, v9, -v13
	v_sub_nc_u32_e32 v6, v6, v11
	v_lshrrev_b32_e32 v4, 9, v4
	v_fmamk_f32 v7, v9, 0x33a22168, v7
	v_or_b32_e32 v4, v6, v4
	v_fmac_f32_e32 v7, 0x3fc90fda, v4
	v_add_f32_e32 v4, v13, v7
.LBB67_990:
	s_andn2_saveexec_b32 s0, s3
; %bb.991:
	v_mul_f32_e64 v4, 0x3f22f983, |v2|
	v_rndne_f32_e32 v5, v4
	v_fma_f32 v4, 0xbfc90fda, v5, |v2|
	v_fmamk_f32 v4, v5, 0xb3a22168, v4
	v_fmamk_f32 v4, v5, 0xa7c234c4, v4
	v_cvt_i32_f32_e32 v5, v5
; %bb.992:
	s_or_b32 exec_lo, exec_lo, s0
	v_mul_f32_e32 v6, v4, v4
	s_mov_b32 s0, 0xb94c1982
	s_mov_b32 s1, 0x37d75334
	v_and_b32_e32 v9, 1, v5
	v_lshlrev_b32_e32 v5, 30, v5
	v_fmaak_f32 v7, s0, v6, 0x3c0881c4
	v_fmaak_f32 v8, s1, v6, 0xbab64f3b
	v_xor_b32_e32 v3, v3, v2
	v_cmp_eq_u32_e32 vcc_lo, 0, v9
	v_and_b32_e32 v5, 0x80000000, v5
	v_fmaak_f32 v7, v6, v7, 0xbe2aaa9d
	v_fmaak_f32 v8, v6, v8, 0x3d2aabf7
	v_sub_f32_e32 v1, 1.0, v1
	v_mul_f32_e32 v7, v6, v7
	v_fmaak_f32 v8, v6, v8, 0xbf000004
	v_fmac_f32_e32 v4, v4, v7
	v_fma_f32 v6, v6, v8, 1.0
	v_cndmask_b32_e32 v4, v6, v4, vcc_lo
	v_cmp_class_f32_e64 vcc_lo, v2, 0x1f8
	v_xor3_b32 v3, v3, v5, v4
	v_cndmask_b32_e32 v2, 0x7fc00000, v3, vcc_lo
	v_mul_f32_e32 v2, v2, v2
	v_div_scale_f32 v3, null, v2, v2, 0xc11de9e7
	v_div_scale_f32 v6, vcc_lo, 0xc11de9e7, v2, 0xc11de9e7
	v_rcp_f32_e32 v4, v3
	v_fma_f32 v5, -v3, v4, 1.0
	v_fmac_f32_e32 v4, v5, v4
	v_mul_f32_e32 v5, v6, v4
	v_fma_f32 v7, -v3, v5, v6
	v_fmac_f32_e32 v5, v7, v4
	v_fma_f32 v3, -v3, v5, v6
	v_div_fmas_f32 v3, v3, v4, v5
	v_div_fixup_f32 v2, v3, v2, 0xc11de9e7
	v_mov_b32_e32 v3, -1.0
	v_add_f32_e32 v2, 0, v2
.LBB67_993:
	s_or_b32 exec_lo, exec_lo, s2
	v_add_f32_e32 v4, 1.0, v1
	v_mul_f32_e32 v1, v1, v1
	v_mul_f32_e32 v5, v4, v4
	v_add_f32_e32 v4, 1.0, v4
	v_div_scale_f32 v6, null, v1, v1, 1.0
	v_div_scale_f32 v8, vcc_lo, 1.0, v1, 1.0
	v_mul_f32_e32 v9, v4, v4
	v_div_scale_f32 v7, null, v5, v5, 1.0
	v_rcp_f32_e32 v10, v6
	v_div_scale_f32 v13, s0, 1.0, v5, 1.0
	v_div_scale_f32 v12, null, v9, v9, 1.0
	v_rcp_f32_e32 v11, v7
	v_add_f32_e32 v4, 1.0, v4
	v_div_scale_f32 v14, s1, 1.0, v9, 1.0
	v_rcp_f32_e32 v15, v12
	v_fma_f32 v17, -v6, v10, 1.0
	v_mul_f32_e32 v16, v4, v4
	v_add_f32_e32 v4, 1.0, v4
	v_fma_f32 v18, -v7, v11, 1.0
	v_fmac_f32_e32 v10, v17, v10
	v_mul_f32_e32 v20, v4, v4
	v_add_f32_e32 v4, 1.0, v4
	v_fma_f32 v17, -v12, v15, 1.0
	v_fmac_f32_e32 v11, v18, v11
	v_mul_f32_e32 v21, v8, v10
	v_div_scale_f32 v19, null, v16, v16, 1.0
	v_fmac_f32_e32 v15, v17, v15
	v_mul_f32_e32 v22, v13, v11
	v_fma_f32 v23, -v6, v21, v8
	v_add_f32_e32 v26, 1.0, v4
	v_rcp_f32_e32 v18, v19
	v_mul_f32_e32 v25, v14, v15
	v_fma_f32 v24, -v7, v22, v13
	v_fmac_f32_e32 v21, v23, v10
	v_mul_f32_e32 v4, v4, v4
	v_div_scale_f32 v17, null, v20, v20, 1.0
	v_fma_f32 v23, -v12, v25, v14
	v_fmac_f32_e32 v22, v24, v11
	v_fma_f32 v6, -v6, v21, v8
	v_mul_f32_e32 v8, v26, v26
	v_rcp_f32_e32 v24, v17
	v_fmac_f32_e32 v25, v23, v15
	v_fma_f32 v7, -v7, v22, v13
	v_div_fmas_f32 v6, v6, v10, v21
	s_mov_b32 vcc_lo, s0
	v_fma_f32 v27, -v19, v18, 1.0
	v_fma_f32 v10, -v12, v25, v14
	v_div_fmas_f32 v7, v7, v11, v22
	s_mov_b32 vcc_lo, s1
	v_div_scale_f32 v11, null, v4, v4, 1.0
	v_div_fmas_f32 v10, v10, v15, v25
	v_div_scale_f32 v12, null, v8, v8, 1.0
	v_add_f32_e32 v15, v26, v26
	v_rcp_f32_e32 v14, v11
	v_fmac_f32_e32 v18, v27, v18
	v_rcp_f32_e32 v22, v12
	v_div_scale_f32 v13, vcc_lo, 1.0, v16, 1.0
	v_div_scale_f32 v25, null, v15, v15, 1.0
	v_fma_f32 v21, -v17, v24, 1.0
	v_mul_f32_e32 v23, v13, v18
	v_div_fixup_f32 v1, v6, v1, 1.0
	v_rcp_f32_e32 v28, v25
	v_fma_f32 v27, -v11, v14, 1.0
	v_fmac_f32_e32 v24, v21, v24
	v_div_scale_f32 v21, s0, 1.0, v20, 1.0
	v_fma_f32 v30, -v12, v22, 1.0
	v_fma_f32 v29, -v19, v23, v13
	v_fmac_f32_e32 v14, v27, v14
	v_div_scale_f32 v27, s1, 1.0, v4, 1.0
	v_mul_f32_e32 v31, v21, v24
	v_fmac_f32_e32 v22, v30, v22
	v_div_scale_f32 v30, s2, 1.0, v8, 1.0
	v_fma_f32 v32, -v25, v28, 1.0
	v_fmac_f32_e32 v23, v29, v18
	v_mul_f32_e32 v33, v27, v14
	v_fma_f32 v29, -v17, v31, v21
	v_mul_f32_e32 v34, v30, v22
	v_fmac_f32_e32 v28, v32, v28
	v_div_scale_f32 v32, s3, 1.0, v15, 1.0
	v_fma_f32 v13, -v19, v23, v13
	v_fma_f32 v19, -v11, v33, v27
	v_fmac_f32_e32 v31, v29, v24
	v_fma_f32 v29, -v12, v34, v30
	v_mul_f32_e32 v35, v32, v28
	v_div_fmas_f32 v13, v13, v18, v23
	v_fmac_f32_e32 v33, v19, v14
	v_fma_f32 v17, -v17, v31, v21
	v_fmac_f32_e32 v34, v29, v22
	v_fma_f32 v18, -v25, v35, v32
	s_mov_b32 vcc_lo, s0
	v_fma_f32 v11, -v11, v33, v27
	v_div_fmas_f32 v17, v17, v24, v31
	v_fma_f32 v12, -v12, v34, v30
	v_fmac_f32_e32 v35, v18, v28
	s_mov_b32 vcc_lo, s1
	s_mov_b32 s0, 0xbcc30c31
	v_div_fmas_f32 v11, v11, v14, v33
	s_mov_b32 vcc_lo, s2
	v_fma_f32 v14, -v25, v35, v32
	v_div_fmas_f32 v12, v12, v22, v34
	s_mov_b32 vcc_lo, s3
	v_add_f32_e32 v1, v2, v1
	v_div_fixup_f32 v2, v7, v5, 1.0
	v_div_fmas_f32 v14, v14, v28, v35
	v_div_fixup_f32 v8, v12, v8, 1.0
	s_and_b32 s1, s29, 0xff
	v_add_f32_e32 v1, v1, v2
	v_div_fixup_f32 v12, v14, v15, 1.0
	v_fmaak_f32 v14, s0, v8, 0x3d088889
	v_div_fixup_f32 v2, v10, v9, 1.0
	s_cmp_lt_i32 s1, 11
	v_add_f32_e32 v12, 1.0, v12
	v_fma_f32 v14, -v8, v14, 0x3e2aaaab
	v_add_f32_e32 v1, v1, v2
	v_div_fixup_f32 v2, v13, v16, 1.0
	v_fmac_f32_e32 v12, v8, v14
	v_add_f32_e32 v1, v1, v2
	v_div_fixup_f32 v2, v17, v20, 1.0
	v_div_scale_f32 v8, null, v26, v26, v12
	v_div_scale_f32 v5, vcc_lo, v12, v26, v12
	v_add_f32_e32 v1, v1, v2
	v_rcp_f32_e32 v14, v8
	v_div_fixup_f32 v2, v11, v4, 1.0
	v_add_f32_e32 v1, v1, v2
	v_fma_f32 v6, -v8, v14, 1.0
	v_fmac_f32_e32 v14, v6, v14
	v_mul_f32_e32 v6, v5, v14
	v_fma_f32 v7, -v8, v6, v5
	v_fmac_f32_e32 v6, v7, v14
	v_fma_f32 v5, -v8, v6, v5
	v_div_fmas_f32 v4, v5, v14, v6
	v_div_fixup_f32 v2, v4, v26, v12
	v_add_f32_e32 v4, v1, v2
	v_add_co_u32 v1, s0, s8, v0
	v_add_co_ci_u32_e64 v2, null, s9, 0, s0
	v_fma_mixlo_f16 v3, v3, v4, 0
	s_cbranch_scc1 .LBB67_1003
; %bb.994:
	s_and_b32 s2, 0xffff, s1
	s_mov_b32 s3, -1
	s_cmp_gt_i32 s2, 25
	s_mov_b32 s0, s36
	s_cbranch_scc0 .LBB67_1031
; %bb.995:
	s_cmp_gt_i32 s2, 28
	s_mov_b32 s0, s36
	s_cbranch_scc0 .LBB67_1015
; %bb.996:
	;; [unrolled: 4-line block ×4, first 2 shown]
	s_cmp_eq_u32 s2, 46
	s_mov_b32 s0, -1
	s_cbranch_scc0 .LBB67_1004
; %bb.999:
	v_cvt_f32_f16_e32 v0, v3
	v_cmp_o_f16_e32 vcc_lo, v3, v3
	s_mov_b32 s0, 0
	s_mov_b32 s3, 0
	v_bfe_u32 v4, v0, 16, 1
	v_add3_u32 v0, v0, v4, 0x7fff
	v_mov_b32_e32 v4, 0x7fc0
	v_cndmask_b32_sdwa v0, v4, v0, vcc_lo dst_sel:DWORD dst_unused:UNUSED_PAD src0_sel:DWORD src1_sel:WORD_1
	global_store_dword v[1:2], v0, off
	s_branch .LBB67_1005
.LBB67_1000:
	s_or_b32 exec_lo, exec_lo, s11
	s_and_saveexec_b32 s0, s36
	s_cbranch_execnz .LBB67_1073
.LBB67_1001:
	s_or_b32 exec_lo, exec_lo, s0
	s_and_saveexec_b32 s0, s3
	s_xor_b32 s0, exec_lo, s0
	s_cbranch_execz .LBB67_1074
.LBB67_1002:
	s_waitcnt vmcnt(0)
	v_cmp_neq_f16_e32 vcc_lo, 0, v3
	v_cndmask_b32_e64 v0, 0, 1, vcc_lo
	global_store_byte v[1:2], v0, off
	s_or_b32 exec_lo, exec_lo, s0
	s_and_saveexec_b32 s0, s2
	s_xor_b32 s0, exec_lo, s0
	s_cbranch_execz .LBB67_1112
	s_branch .LBB67_1075
.LBB67_1003:
	s_mov_b32 s8, 0
	s_mov_b32 s3, -1
	s_mov_b32 s0, s36
	s_branch .LBB67_1072
.LBB67_1004:
	s_mov_b32 s3, 0
.LBB67_1005:
	s_and_b32 vcc_lo, exec_lo, s3
	s_cbranch_vccz .LBB67_1010
; %bb.1006:
	s_cmp_eq_u32 s2, 44
	s_mov_b32 s0, -1
	s_cbranch_scc0 .LBB67_1010
; %bb.1007:
	v_cvt_f32_f16_e32 v0, v3
	v_mov_b32_e32 v4, 0xff
	s_mov_b32 s3, exec_lo
	v_bfe_u32 v5, v0, 23, 8
	v_cmpx_ne_u32_e32 0xff, v5
	s_cbranch_execz .LBB67_1009
; %bb.1008:
	v_and_b32_e32 v4, 0x400000, v0
	v_and_or_b32 v5, 0x3fffff, v0, v5
	v_lshrrev_b32_e32 v0, 23, v0
	v_cmp_ne_u32_e32 vcc_lo, 0, v4
	v_cmp_ne_u32_e64 s0, 0, v5
	s_and_b32 s0, vcc_lo, s0
	v_cndmask_b32_e64 v4, 0, 1, s0
	v_add_nc_u32_e32 v4, v0, v4
.LBB67_1009:
	s_or_b32 exec_lo, exec_lo, s3
	s_mov_b32 s0, 0
	global_store_byte v[1:2], v4, off
.LBB67_1010:
	s_mov_b32 s3, 0
.LBB67_1011:
	s_and_b32 vcc_lo, exec_lo, s3
	s_cbranch_vccz .LBB67_1014
; %bb.1012:
	s_cmp_eq_u32 s2, 29
	s_mov_b32 s0, -1
	s_cbranch_scc0 .LBB67_1014
; %bb.1013:
	v_cvt_f32_f16_e32 v0, v3
	v_mov_b32_e32 v5, 0
	s_mov_b32 s0, 0
	s_mov_b32 s3, 0
	v_cvt_u32_f32_e32 v4, v0
	global_store_dwordx2 v[1:2], v[4:5], off
	s_branch .LBB67_1015
.LBB67_1014:
	s_mov_b32 s3, 0
.LBB67_1015:
	s_and_b32 vcc_lo, exec_lo, s3
	s_cbranch_vccz .LBB67_1030
; %bb.1016:
	s_cmp_lt_i32 s2, 27
	s_mov_b32 s3, -1
	s_cbranch_scc1 .LBB67_1022
; %bb.1017:
	s_cmp_gt_i32 s2, 27
	s_cbranch_scc0 .LBB67_1019
; %bb.1018:
	v_cvt_f32_f16_e32 v0, v3
	s_mov_b32 s3, 0
	v_cvt_u32_f32_e32 v0, v0
	global_store_dword v[1:2], v0, off
.LBB67_1019:
	s_andn2_b32 vcc_lo, exec_lo, s3
	s_cbranch_vccnz .LBB67_1021
; %bb.1020:
	v_cvt_u16_f16_e32 v0, v3
	global_store_short v[1:2], v0, off
.LBB67_1021:
	s_mov_b32 s3, 0
.LBB67_1022:
	s_andn2_b32 vcc_lo, exec_lo, s3
	s_cbranch_vccnz .LBB67_1030
; %bb.1023:
	v_cvt_f32_f16_e32 v0, v3
	v_mov_b32_e32 v5, 0x80
	s_mov_b32 s3, exec_lo
	v_and_b32_e32 v4, 0x7fffffff, v0
	v_cmpx_gt_u32_e32 0x43800000, v4
	s_cbranch_execz .LBB67_1029
; %bb.1024:
	v_cmp_lt_u32_e32 vcc_lo, 0x3bffffff, v4
	s_mov_b32 s8, 0
                                        ; implicit-def: $vgpr4
	s_and_saveexec_b32 s9, vcc_lo
	s_xor_b32 s9, exec_lo, s9
	s_cbranch_execz .LBB67_1183
; %bb.1025:
	v_bfe_u32 v4, v0, 20, 1
	s_mov_b32 s8, exec_lo
	v_add3_u32 v4, v0, v4, 0x487ffff
	v_lshrrev_b32_e32 v4, 20, v4
	s_andn2_saveexec_b32 s9, s9
	s_cbranch_execnz .LBB67_1184
.LBB67_1026:
	s_or_b32 exec_lo, exec_lo, s9
	v_mov_b32_e32 v5, 0
	s_and_saveexec_b32 s9, s8
.LBB67_1027:
	v_lshrrev_b32_e32 v0, 24, v0
	v_and_or_b32 v5, 0x80, v0, v4
.LBB67_1028:
	s_or_b32 exec_lo, exec_lo, s9
.LBB67_1029:
	s_or_b32 exec_lo, exec_lo, s3
	global_store_byte v[1:2], v5, off
.LBB67_1030:
	s_mov_b32 s3, 0
.LBB67_1031:
	s_and_b32 vcc_lo, exec_lo, s3
	s_mov_b32 s3, 0
	s_cbranch_vccz .LBB67_1071
; %bb.1032:
	s_cmp_gt_i32 s2, 22
	s_mov_b32 s8, -1
	s_cbranch_scc0 .LBB67_1064
; %bb.1033:
	s_cmp_lt_i32 s2, 24
	s_cbranch_scc1 .LBB67_1053
; %bb.1034:
	s_cmp_gt_i32 s2, 24
	s_cbranch_scc0 .LBB67_1042
; %bb.1035:
	v_cvt_f32_f16_e32 v0, v3
	v_mov_b32_e32 v5, 0x80
	s_mov_b32 s8, exec_lo
	v_and_b32_e32 v4, 0x7fffffff, v0
	v_cmpx_gt_u32_e32 0x47800000, v4
	s_cbranch_execz .LBB67_1041
; %bb.1036:
	v_cmp_lt_u32_e32 vcc_lo, 0x37ffffff, v4
	s_mov_b32 s9, 0
                                        ; implicit-def: $vgpr4
	s_and_saveexec_b32 s12, vcc_lo
	s_xor_b32 s12, exec_lo, s12
	s_cbranch_execz .LBB67_1315
; %bb.1037:
	v_bfe_u32 v4, v0, 21, 1
	s_mov_b32 s9, exec_lo
	v_add3_u32 v4, v0, v4, 0x88fffff
	v_lshrrev_b32_e32 v4, 21, v4
	s_andn2_saveexec_b32 s12, s12
	s_cbranch_execnz .LBB67_1316
.LBB67_1038:
	s_or_b32 exec_lo, exec_lo, s12
	v_mov_b32_e32 v5, 0
	s_and_saveexec_b32 s12, s9
.LBB67_1039:
	v_lshrrev_b32_e32 v0, 24, v0
	v_and_or_b32 v5, 0x80, v0, v4
.LBB67_1040:
	s_or_b32 exec_lo, exec_lo, s12
.LBB67_1041:
	s_or_b32 exec_lo, exec_lo, s8
	s_mov_b32 s8, 0
	global_store_byte v[1:2], v5, off
.LBB67_1042:
	s_and_b32 vcc_lo, exec_lo, s8
	s_cbranch_vccz .LBB67_1052
; %bb.1043:
	v_cvt_f32_f16_e32 v0, v3
	s_mov_b32 s8, exec_lo
                                        ; implicit-def: $vgpr4
	v_and_b32_e32 v5, 0x7fffffff, v0
	v_cmpx_gt_u32_e32 0x43f00000, v5
	s_xor_b32 s8, exec_lo, s8
	s_cbranch_execz .LBB67_1049
; %bb.1044:
	s_mov_b32 s9, exec_lo
                                        ; implicit-def: $vgpr4
	v_cmpx_lt_u32_e32 0x3c7fffff, v5
	s_xor_b32 s9, exec_lo, s9
; %bb.1045:
	v_bfe_u32 v4, v0, 20, 1
	v_add3_u32 v4, v0, v4, 0x407ffff
	v_and_b32_e32 v5, 0xff00000, v4
	v_lshrrev_b32_e32 v4, 20, v4
	v_cmp_ne_u32_e32 vcc_lo, 0x7f00000, v5
	v_cndmask_b32_e32 v4, 0x7e, v4, vcc_lo
; %bb.1046:
	s_andn2_saveexec_b32 s9, s9
; %bb.1047:
	v_add_f32_e64 v4, 0x46800000, |v0|
; %bb.1048:
	s_or_b32 exec_lo, exec_lo, s9
                                        ; implicit-def: $vgpr5
.LBB67_1049:
	s_andn2_saveexec_b32 s8, s8
; %bb.1050:
	v_mov_b32_e32 v4, 0x7f
	v_cmp_lt_u32_e32 vcc_lo, 0x7f800000, v5
	v_cndmask_b32_e32 v4, 0x7e, v4, vcc_lo
; %bb.1051:
	s_or_b32 exec_lo, exec_lo, s8
	v_lshrrev_b32_e32 v0, 24, v0
	v_and_or_b32 v0, 0x80, v0, v4
	global_store_byte v[1:2], v0, off
.LBB67_1052:
	s_mov_b32 s8, 0
.LBB67_1053:
	s_andn2_b32 vcc_lo, exec_lo, s8
	s_cbranch_vccnz .LBB67_1063
; %bb.1054:
	v_cvt_f32_f16_e32 v0, v3
	s_mov_b32 s8, exec_lo
                                        ; implicit-def: $vgpr4
	v_and_b32_e32 v5, 0x7fffffff, v0
	v_cmpx_gt_u32_e32 0x47800000, v5
	s_xor_b32 s8, exec_lo, s8
	s_cbranch_execz .LBB67_1060
; %bb.1055:
	s_mov_b32 s9, exec_lo
                                        ; implicit-def: $vgpr4
	v_cmpx_lt_u32_e32 0x387fffff, v5
	s_xor_b32 s9, exec_lo, s9
; %bb.1056:
	v_bfe_u32 v4, v0, 21, 1
	v_add3_u32 v4, v0, v4, 0x80fffff
	v_lshrrev_b32_e32 v4, 21, v4
; %bb.1057:
	s_andn2_saveexec_b32 s9, s9
; %bb.1058:
	v_add_f32_e64 v4, 0x43000000, |v0|
; %bb.1059:
	s_or_b32 exec_lo, exec_lo, s9
                                        ; implicit-def: $vgpr5
.LBB67_1060:
	s_andn2_saveexec_b32 s8, s8
; %bb.1061:
	v_mov_b32_e32 v4, 0x7f
	v_cmp_lt_u32_e32 vcc_lo, 0x7f800000, v5
	v_cndmask_b32_e32 v4, 0x7c, v4, vcc_lo
; %bb.1062:
	s_or_b32 exec_lo, exec_lo, s8
	v_lshrrev_b32_e32 v0, 24, v0
	v_and_or_b32 v0, 0x80, v0, v4
	global_store_byte v[1:2], v0, off
.LBB67_1063:
	s_mov_b32 s8, 0
.LBB67_1064:
	s_andn2_b32 vcc_lo, exec_lo, s8
	s_mov_b32 s8, 0
	s_cbranch_vccnz .LBB67_1072
; %bb.1065:
	s_cmp_gt_i32 s2, 14
	s_mov_b32 s8, -1
	s_cbranch_scc0 .LBB67_1069
; %bb.1066:
	s_cmp_eq_u32 s2, 15
	s_mov_b32 s0, -1
	s_cbranch_scc0 .LBB67_1068
; %bb.1067:
	v_cvt_f32_f16_e32 v0, v3
	v_cmp_o_f16_e32 vcc_lo, v3, v3
	s_mov_b32 s0, 0
	v_bfe_u32 v4, v0, 16, 1
	v_add3_u32 v0, v0, v4, 0x7fff
	v_mov_b32_e32 v4, 0x7fc0
	v_cndmask_b32_sdwa v0, v4, v0, vcc_lo dst_sel:DWORD dst_unused:UNUSED_PAD src0_sel:DWORD src1_sel:WORD_1
	global_store_short v[1:2], v0, off
.LBB67_1068:
	s_mov_b32 s8, 0
.LBB67_1069:
	s_and_b32 vcc_lo, exec_lo, s8
	s_mov_b32 s8, 0
	s_cbranch_vccz .LBB67_1072
; %bb.1070:
	s_cmp_lg_u32 s2, 11
	s_mov_b32 s8, -1
	s_cselect_b32 s2, -1, 0
	s_andn2_b32 s0, s0, exec_lo
	s_and_b32 s2, s2, exec_lo
	s_or_b32 s0, s0, s2
	s_branch .LBB67_1072
.LBB67_1071:
	s_mov_b32 s8, 0
.LBB67_1072:
	s_andn2_b32 s9, s36, exec_lo
	s_and_b32 s0, s0, exec_lo
	s_and_b32 s2, s3, exec_lo
	;; [unrolled: 1-line block ×3, first 2 shown]
	s_or_b32 s36, s9, s0
	s_or_b32 exec_lo, exec_lo, s11
	s_and_saveexec_b32 s0, s36
	s_cbranch_execz .LBB67_1001
.LBB67_1073:
	s_or_b32 s10, s10, exec_lo
	s_andn2_b32 s3, s3, exec_lo
	s_trap 2
	s_or_b32 exec_lo, exec_lo, s0
	s_and_saveexec_b32 s0, s3
	s_xor_b32 s0, exec_lo, s0
	s_cbranch_execnz .LBB67_1002
.LBB67_1074:
	s_or_b32 exec_lo, exec_lo, s0
	s_and_saveexec_b32 s0, s2
	s_xor_b32 s0, exec_lo, s0
	s_cbranch_execz .LBB67_1112
.LBB67_1075:
	s_sext_i32_i16 s3, s1
	s_mov_b32 s2, -1
	s_cmp_lt_i32 s3, 5
	s_cbranch_scc1 .LBB67_1096
; %bb.1076:
	s_cmp_lt_i32 s3, 8
	s_cbranch_scc1 .LBB67_1086
; %bb.1077:
	;; [unrolled: 3-line block ×3, first 2 shown]
	s_cmp_gt_i32 s3, 9
	s_cbranch_scc0 .LBB67_1080
; %bb.1079:
	s_waitcnt vmcnt(0)
	v_cvt_f32_f16_e32 v0, v3
	v_mov_b32_e32 v6, 0
	s_mov_b32 s2, 0
	v_cvt_f64_f32_e32 v[4:5], v0
	v_mov_b32_e32 v7, v6
	global_store_dwordx4 v[1:2], v[4:7], off
.LBB67_1080:
	s_andn2_b32 vcc_lo, exec_lo, s2
	s_cbranch_vccnz .LBB67_1082
; %bb.1081:
	s_waitcnt vmcnt(0)
	v_cvt_f32_f16_e32 v4, v3
	v_mov_b32_e32 v5, 0
	global_store_dwordx2 v[1:2], v[4:5], off
.LBB67_1082:
	s_mov_b32 s2, 0
.LBB67_1083:
	s_andn2_b32 vcc_lo, exec_lo, s2
	s_cbranch_vccnz .LBB67_1085
; %bb.1084:
	s_waitcnt vmcnt(0)
	v_and_b32_e32 v0, 0xffff, v3
	global_store_dword v[1:2], v0, off
.LBB67_1085:
	s_mov_b32 s2, 0
.LBB67_1086:
	s_andn2_b32 vcc_lo, exec_lo, s2
	s_cbranch_vccnz .LBB67_1095
; %bb.1087:
	s_sext_i32_i16 s3, s1
	s_mov_b32 s2, -1
	s_cmp_lt_i32 s3, 6
	s_cbranch_scc1 .LBB67_1093
; %bb.1088:
	s_cmp_gt_i32 s3, 6
	s_cbranch_scc0 .LBB67_1090
; %bb.1089:
	s_waitcnt vmcnt(0)
	v_cvt_f32_f16_e32 v0, v3
	s_mov_b32 s2, 0
	v_cvt_f64_f32_e32 v[4:5], v0
	global_store_dwordx2 v[1:2], v[4:5], off
.LBB67_1090:
	s_andn2_b32 vcc_lo, exec_lo, s2
	s_cbranch_vccnz .LBB67_1092
; %bb.1091:
	s_waitcnt vmcnt(0)
	v_cvt_f32_f16_e32 v0, v3
	global_store_dword v[1:2], v0, off
.LBB67_1092:
	s_mov_b32 s2, 0
.LBB67_1093:
	s_andn2_b32 vcc_lo, exec_lo, s2
	s_cbranch_vccnz .LBB67_1095
; %bb.1094:
	s_waitcnt vmcnt(0)
	global_store_short v[1:2], v3, off
.LBB67_1095:
	s_mov_b32 s2, 0
.LBB67_1096:
	s_andn2_b32 vcc_lo, exec_lo, s2
	s_cbranch_vccnz .LBB67_1112
; %bb.1097:
	s_sext_i32_i16 s3, s1
	s_mov_b32 s2, -1
	s_cmp_lt_i32 s3, 2
	s_cbranch_scc1 .LBB67_1107
; %bb.1098:
	s_cmp_lt_i32 s3, 3
	s_cbranch_scc1 .LBB67_1104
; %bb.1099:
	s_cmp_gt_i32 s3, 3
	s_cbranch_scc0 .LBB67_1101
; %bb.1100:
	s_waitcnt vmcnt(0)
	v_cvt_f32_f16_e32 v0, v3
	s_mov_b32 s2, 0
	v_cvt_i32_f32_e32 v4, v0
	v_ashrrev_i32_e32 v5, 31, v4
	global_store_dwordx2 v[1:2], v[4:5], off
.LBB67_1101:
	s_andn2_b32 vcc_lo, exec_lo, s2
	s_cbranch_vccnz .LBB67_1103
; %bb.1102:
	s_waitcnt vmcnt(0)
	v_cvt_f32_f16_e32 v0, v3
	v_cvt_i32_f32_e32 v0, v0
	global_store_dword v[1:2], v0, off
.LBB67_1103:
	s_mov_b32 s2, 0
.LBB67_1104:
	s_andn2_b32 vcc_lo, exec_lo, s2
	s_cbranch_vccnz .LBB67_1106
; %bb.1105:
	s_waitcnt vmcnt(0)
	v_cvt_i16_f16_e32 v0, v3
	global_store_short v[1:2], v0, off
.LBB67_1106:
	s_mov_b32 s2, 0
.LBB67_1107:
	s_andn2_b32 vcc_lo, exec_lo, s2
	s_cbranch_vccnz .LBB67_1112
; %bb.1108:
	s_sext_i32_i16 s1, s1
	s_cmp_gt_i32 s1, 0
	s_mov_b32 s1, -1
	s_cbranch_scc0 .LBB67_1110
; %bb.1109:
	s_waitcnt vmcnt(0)
	v_cvt_i16_f16_e32 v0, v3
	s_mov_b32 s1, 0
	global_store_byte v[1:2], v0, off
.LBB67_1110:
	s_andn2_b32 vcc_lo, exec_lo, s1
	s_cbranch_vccnz .LBB67_1112
; %bb.1111:
	s_waitcnt vmcnt(0)
	v_cvt_f32_f16_e32 v0, v3
	v_cvt_i32_f32_e32 v0, v0
	global_store_byte v[1:2], v0, off
.LBB67_1112:
	s_or_b32 exec_lo, exec_lo, s0
	s_and_b32 s12, s10, exec_lo
                                        ; implicit-def: $vgpr15
                                        ; implicit-def: $vgpr8
.LBB67_1113:
	s_or_saveexec_b32 s13, s28
	s_mov_b32 s0, 0
                                        ; implicit-def: $vgpr0_vgpr1
                                        ; implicit-def: $sgpr10
                                        ; implicit-def: $vgpr2
	s_xor_b32 exec_lo, exec_lo, s13
	s_cbranch_execz .LBB67_2145
; %bb.1114:
	v_cndmask_b32_e64 v0, 0, 1, s27
	s_andn2_b32 vcc_lo, exec_lo, s27
	s_cbranch_vccnz .LBB67_1120
; %bb.1115:
	s_cmp_lg_u32 s24, 0
	s_mov_b32 s8, 0
	s_cbranch_scc0 .LBB67_1121
; %bb.1116:
	s_min_u32 s10, s25, 15
	s_add_i32 s10, s10, 1
	s_cmp_eq_u32 s25, 2
	s_cbranch_scc1 .LBB67_1122
; %bb.1117:
	v_mov_b32_e32 v13, 0
	v_mov_b32_e32 v6, 0
	v_mov_b32_e32 v1, v8
	s_and_b32 s9, s10, 28
	s_add_u32 s0, s6, 0xc4
	s_addc_u32 s1, s7, 0
	s_mov_b32 s11, 0
	s_mov_b64 s[2:3], s[6:7]
.LBB67_1118:                            ; =>This Inner Loop Header: Depth=1
	s_clause 0x1
	s_load_dwordx8 s[16:23], s[2:3], 0x4
	s_load_dwordx4 s[28:31], s[2:3], 0x24
	s_load_dwordx8 s[36:43], s[0:1], 0x0
	s_add_u32 s2, s2, 48
	s_addc_u32 s3, s3, 0
	s_add_i32 s11, s11, 4
	s_add_u32 s0, s0, 32
	s_addc_u32 s1, s1, 0
	s_cmp_lg_u32 s9, s11
	s_waitcnt lgkmcnt(0)
	v_mul_hi_u32 v2, s17, v1
	v_add_nc_u32_e32 v2, v1, v2
	v_lshrrev_b32_e32 v2, s18, v2
	s_waitcnt vmcnt(0)
	v_mul_hi_u32 v3, s20, v2
	v_mul_lo_u32 v5, v2, s16
	v_add_nc_u32_e32 v3, v2, v3
	v_sub_nc_u32_e32 v1, v1, v5
	v_lshrrev_b32_e32 v3, s21, v3
	v_mul_lo_u32 v5, v1, s36
	v_mul_lo_u32 v9, v1, s37
	v_mul_hi_u32 v4, s23, v3
	v_add_nc_u32_e32 v4, v3, v4
	v_lshrrev_b32_e32 v4, s28, v4
	v_mul_hi_u32 v7, s30, v4
	v_mul_lo_u32 v10, v4, s22
	v_add_nc_u32_e32 v1, v4, v7
	v_mul_lo_u32 v7, v3, s19
	v_sub_nc_u32_e32 v3, v3, v10
	v_lshrrev_b32_e32 v1, s31, v1
	v_mul_lo_u32 v10, v3, s40
	v_mul_lo_u32 v3, v3, s41
	v_sub_nc_u32_e32 v2, v2, v7
	v_mul_lo_u32 v11, v1, s29
	v_mul_lo_u32 v7, v2, s38
	;; [unrolled: 1-line block ×3, first 2 shown]
	v_sub_nc_u32_e32 v4, v4, v11
	v_add3_u32 v5, v5, v6, v7
	v_mul_lo_u32 v11, v4, s42
	v_mul_lo_u32 v4, v4, s43
	v_add3_u32 v2, v9, v13, v2
	v_add3_u32 v6, v10, v5, v11
	;; [unrolled: 1-line block ×3, first 2 shown]
	s_cbranch_scc1 .LBB67_1118
; %bb.1119:
	s_and_b32 s10, s10, 3
	s_cmp_eq_u32 s10, 0
	s_cbranch_scc0 .LBB67_1123
	s_branch .LBB67_1125
.LBB67_1120:
	s_mov_b32 s8, -1
                                        ; implicit-def: $vgpr6
                                        ; implicit-def: $vgpr13
	s_branch .LBB67_1125
.LBB67_1121:
	v_mov_b32_e32 v6, 0
	v_mov_b32_e32 v13, 0
	s_branch .LBB67_1125
.LBB67_1122:
	v_mov_b32_e32 v6, 0
	v_mov_b32_e32 v13, 0
	;; [unrolled: 1-line block ×3, first 2 shown]
	s_mov_b32 s9, 0
	s_and_b32 s10, s10, 3
	s_cmp_eq_u32 s10, 0
	s_cbranch_scc1 .LBB67_1125
.LBB67_1123:
	s_lshl_b32 s0, s9, 3
	s_mul_i32 s2, s9, 12
	s_add_u32 s0, s6, s0
	s_addc_u32 s1, s7, 0
	s_add_u32 s0, s0, 0xc4
	s_addc_u32 s1, s1, 0
	s_add_u32 s2, s6, s2
	s_addc_u32 s3, s7, 0
	.p2align	6
.LBB67_1124:                            ; =>This Inner Loop Header: Depth=1
	s_clause 0x1
	s_load_dwordx2 s[14:15], s[2:3], 0x4
	s_load_dword s9, s[2:3], 0xc
	s_load_dwordx2 s[16:17], s[0:1], 0x0
	s_add_u32 s2, s2, 12
	s_addc_u32 s3, s3, 0
	s_add_u32 s0, s0, 8
	s_addc_u32 s1, s1, 0
	s_add_i32 s10, s10, -1
	s_cmp_lg_u32 s10, 0
	s_waitcnt lgkmcnt(0)
	v_mul_hi_u32 v2, s15, v1
	v_add_nc_u32_e32 v2, v1, v2
	v_lshrrev_b32_e32 v2, s9, v2
	s_waitcnt vmcnt(0)
	v_mul_lo_u32 v3, v2, s14
	v_sub_nc_u32_e32 v1, v1, v3
	v_mad_u64_u32 v[6:7], null, v1, s16, v[6:7]
	v_mad_u64_u32 v[13:14], null, v1, s17, v[13:14]
	v_mov_b32_e32 v1, v2
	s_cbranch_scc1 .LBB67_1124
.LBB67_1125:
	s_andn2_b32 vcc_lo, exec_lo, s8
	s_cbranch_vccnz .LBB67_1128
; %bb.1126:
	s_clause 0x1
	s_load_dwordx4 s[0:3], s[6:7], 0x4
	s_load_dwordx2 s[8:9], s[6:7], 0xc4
	s_cmp_lt_u32 s24, 2
	s_waitcnt lgkmcnt(0)
	v_mul_hi_u32 v1, s1, v8
	v_add_nc_u32_e32 v1, v8, v1
	v_lshrrev_b32_e32 v1, s2, v1
	v_mul_lo_u32 v2, v1, s0
	v_sub_nc_u32_e32 v2, v8, v2
	v_mul_lo_u32 v6, v2, s8
	v_mul_lo_u32 v13, v2, s9
	s_cbranch_scc1 .LBB67_1128
; %bb.1127:
	s_clause 0x1
	s_load_dwordx4 s[0:3], s[6:7], 0x10
	s_load_dwordx2 s[8:9], s[6:7], 0xcc
	s_waitcnt lgkmcnt(0)
	v_mul_hi_u32 v2, s1, v1
	v_add_nc_u32_e32 v2, v1, v2
	v_lshrrev_b32_e32 v2, s2, v2
	v_mul_lo_u32 v2, v2, s0
	v_sub_nc_u32_e32 v1, v1, v2
	v_mad_u64_u32 v[6:7], null, v1, s8, v[6:7]
	v_mad_u64_u32 v[13:14], null, v1, s9, v[13:14]
.LBB67_1128:
	v_cmp_ne_u32_e32 vcc_lo, 1, v0
	v_add_nc_u32_e32 v1, 0x80, v8
	s_cbranch_vccnz .LBB67_1134
; %bb.1129:
	s_cmp_lg_u32 s24, 0
	s_mov_b32 s8, 0
	s_cbranch_scc0 .LBB67_1135
; %bb.1130:
	s_min_u32 s10, s25, 15
	s_add_i32 s10, s10, 1
	s_cmp_eq_u32 s25, 2
	s_cbranch_scc1 .LBB67_1136
; %bb.1131:
	v_mov_b32_e32 v11, 0
	s_waitcnt vmcnt(0)
	v_mov_b32_e32 v4, 0
	v_mov_b32_e32 v2, v1
	s_and_b32 s9, s10, 28
	s_add_u32 s0, s6, 0xc4
	s_addc_u32 s1, s7, 0
	s_mov_b32 s11, 0
	s_mov_b64 s[2:3], s[6:7]
.LBB67_1132:                            ; =>This Inner Loop Header: Depth=1
	s_clause 0x1
	s_load_dwordx8 s[16:23], s[2:3], 0x4
	s_load_dwordx4 s[28:31], s[2:3], 0x24
	s_load_dwordx8 s[36:43], s[0:1], 0x0
	s_add_u32 s2, s2, 48
	s_addc_u32 s3, s3, 0
	s_add_i32 s11, s11, 4
	s_add_u32 s0, s0, 32
	s_addc_u32 s1, s1, 0
	s_cmp_lg_u32 s9, s11
	s_waitcnt lgkmcnt(0)
	v_mul_hi_u32 v3, s17, v2
	v_add_nc_u32_e32 v3, v2, v3
	v_lshrrev_b32_e32 v3, s18, v3
	v_mul_hi_u32 v5, s20, v3
	v_mul_lo_u32 v9, v3, s16
	v_add_nc_u32_e32 v5, v3, v5
	v_sub_nc_u32_e32 v2, v2, v9
	v_lshrrev_b32_e32 v5, s21, v5
	v_mul_lo_u32 v9, v2, s36
	v_mul_lo_u32 v12, v2, s37
	v_mul_hi_u32 v7, s23, v5
	v_add_nc_u32_e32 v7, v5, v7
	v_lshrrev_b32_e32 v7, s28, v7
	v_mul_hi_u32 v10, s30, v7
	v_mul_lo_u32 v14, v7, s22
	v_add_nc_u32_e32 v2, v7, v10
	v_mul_lo_u32 v10, v5, s19
	v_sub_nc_u32_e32 v5, v5, v14
	v_lshrrev_b32_e32 v2, s31, v2
	v_mul_lo_u32 v14, v5, s40
	v_mul_lo_u32 v5, v5, s41
	v_sub_nc_u32_e32 v3, v3, v10
	v_mul_lo_u32 v16, v2, s29
	v_mul_lo_u32 v10, v3, s38
	;; [unrolled: 1-line block ×3, first 2 shown]
	v_sub_nc_u32_e32 v7, v7, v16
	v_add3_u32 v4, v9, v4, v10
	v_mul_lo_u32 v16, v7, s42
	v_mul_lo_u32 v7, v7, s43
	v_add3_u32 v3, v12, v11, v3
	v_add3_u32 v4, v14, v4, v16
	;; [unrolled: 1-line block ×3, first 2 shown]
	s_cbranch_scc1 .LBB67_1132
; %bb.1133:
	s_and_b32 s10, s10, 3
	s_cmp_eq_u32 s10, 0
	s_cbranch_scc0 .LBB67_1137
	s_branch .LBB67_1139
.LBB67_1134:
	s_mov_b32 s8, -1
                                        ; implicit-def: $vgpr4
                                        ; implicit-def: $vgpr11
	s_branch .LBB67_1139
.LBB67_1135:
	s_waitcnt vmcnt(0)
	v_mov_b32_e32 v4, 0
	v_mov_b32_e32 v11, 0
	s_branch .LBB67_1139
.LBB67_1136:
	s_waitcnt vmcnt(0)
	v_mov_b32_e32 v4, 0
	v_mov_b32_e32 v11, 0
	;; [unrolled: 1-line block ×3, first 2 shown]
	s_mov_b32 s9, 0
	s_and_b32 s10, s10, 3
	s_cmp_eq_u32 s10, 0
	s_cbranch_scc1 .LBB67_1139
.LBB67_1137:
	s_lshl_b32 s0, s9, 3
	s_mul_i32 s2, s9, 12
	s_add_u32 s0, s6, s0
	s_addc_u32 s1, s7, 0
	s_add_u32 s0, s0, 0xc4
	s_addc_u32 s1, s1, 0
	;; [unrolled: 2-line block ×3, first 2 shown]
	.p2align	6
.LBB67_1138:                            ; =>This Inner Loop Header: Depth=1
	s_clause 0x1
	s_load_dwordx2 s[14:15], s[2:3], 0x4
	s_load_dword s9, s[2:3], 0xc
	s_load_dwordx2 s[16:17], s[0:1], 0x0
	s_add_u32 s2, s2, 12
	s_addc_u32 s3, s3, 0
	s_add_u32 s0, s0, 8
	s_addc_u32 s1, s1, 0
	s_add_i32 s10, s10, -1
	s_cmp_lg_u32 s10, 0
	s_waitcnt lgkmcnt(0)
	v_mul_hi_u32 v3, s15, v2
	v_add_nc_u32_e32 v3, v2, v3
	v_lshrrev_b32_e32 v3, s9, v3
	v_mul_lo_u32 v5, v3, s14
	v_sub_nc_u32_e32 v2, v2, v5
	v_mad_u64_u32 v[4:5], null, v2, s16, v[4:5]
	v_mad_u64_u32 v[11:12], null, v2, s17, v[11:12]
	v_mov_b32_e32 v2, v3
	s_cbranch_scc1 .LBB67_1138
.LBB67_1139:
	s_andn2_b32 vcc_lo, exec_lo, s8
	s_cbranch_vccnz .LBB67_1142
; %bb.1140:
	s_clause 0x1
	s_load_dwordx4 s[0:3], s[6:7], 0x4
	s_load_dwordx2 s[8:9], s[6:7], 0xc4
	s_cmp_lt_u32 s24, 2
	s_waitcnt lgkmcnt(0)
	v_mul_hi_u32 v2, s1, v1
	v_add_nc_u32_e32 v2, v1, v2
	v_lshrrev_b32_e32 v2, s2, v2
	s_waitcnt vmcnt(0)
	v_mul_lo_u32 v3, v2, s0
	v_sub_nc_u32_e32 v1, v1, v3
	v_mul_lo_u32 v4, v1, s8
	v_mul_lo_u32 v11, v1, s9
	s_cbranch_scc1 .LBB67_1142
; %bb.1141:
	s_clause 0x1
	s_load_dwordx4 s[0:3], s[6:7], 0x10
	s_load_dwordx2 s[8:9], s[6:7], 0xcc
	s_waitcnt lgkmcnt(0)
	v_mul_hi_u32 v1, s1, v2
	v_add_nc_u32_e32 v1, v2, v1
	v_lshrrev_b32_e32 v1, s2, v1
	v_mul_lo_u32 v1, v1, s0
	v_sub_nc_u32_e32 v1, v2, v1
	v_mad_u64_u32 v[4:5], null, v1, s8, v[4:5]
	v_mad_u64_u32 v[11:12], null, v1, s9, v[11:12]
.LBB67_1142:
	v_cmp_ne_u32_e32 vcc_lo, 1, v0
	v_add_nc_u32_e32 v1, 0x100, v8
	s_cbranch_vccnz .LBB67_1148
; %bb.1143:
	s_cmp_lg_u32 s24, 0
	s_mov_b32 s8, 0
	s_cbranch_scc0 .LBB67_1149
; %bb.1144:
	s_min_u32 s10, s25, 15
	s_add_i32 s10, s10, 1
	s_cmp_eq_u32 s25, 2
	s_cbranch_scc1 .LBB67_1150
; %bb.1145:
	v_mov_b32_e32 v9, 0
	v_mov_b32_e32 v2, 0
	s_waitcnt vmcnt(0)
	v_mov_b32_e32 v3, v1
	s_and_b32 s9, s10, 28
	s_add_u32 s0, s6, 0xc4
	s_addc_u32 s1, s7, 0
	s_mov_b32 s11, 0
	s_mov_b64 s[2:3], s[6:7]
.LBB67_1146:                            ; =>This Inner Loop Header: Depth=1
	s_clause 0x1
	s_load_dwordx8 s[16:23], s[2:3], 0x4
	s_load_dwordx4 s[28:31], s[2:3], 0x24
	s_load_dwordx8 s[36:43], s[0:1], 0x0
	s_add_u32 s2, s2, 48
	s_addc_u32 s3, s3, 0
	s_add_i32 s11, s11, 4
	s_add_u32 s0, s0, 32
	s_addc_u32 s1, s1, 0
	s_cmp_lg_u32 s9, s11
	s_waitcnt lgkmcnt(0)
	v_mul_hi_u32 v5, s17, v3
	v_add_nc_u32_e32 v5, v3, v5
	v_lshrrev_b32_e32 v5, s18, v5
	v_mul_hi_u32 v7, s20, v5
	v_mul_lo_u32 v10, v5, s16
	v_add_nc_u32_e32 v7, v5, v7
	v_sub_nc_u32_e32 v3, v3, v10
	v_lshrrev_b32_e32 v7, s21, v7
	v_mul_lo_u32 v10, v3, s36
	v_mul_lo_u32 v14, v3, s37
	v_mul_hi_u32 v8, s23, v7
	v_add_nc_u32_e32 v8, v7, v8
	v_lshrrev_b32_e32 v8, s28, v8
	v_mul_hi_u32 v12, s30, v8
	v_mul_lo_u32 v16, v8, s22
	v_add_nc_u32_e32 v3, v8, v12
	v_mul_lo_u32 v12, v7, s19
	v_sub_nc_u32_e32 v7, v7, v16
	v_lshrrev_b32_e32 v3, s31, v3
	v_mul_lo_u32 v16, v7, s40
	v_mul_lo_u32 v7, v7, s41
	v_sub_nc_u32_e32 v5, v5, v12
	v_mul_lo_u32 v17, v3, s29
	v_mul_lo_u32 v12, v5, s38
	;; [unrolled: 1-line block ×3, first 2 shown]
	v_sub_nc_u32_e32 v8, v8, v17
	v_add3_u32 v2, v10, v2, v12
	v_mul_lo_u32 v17, v8, s42
	v_mul_lo_u32 v8, v8, s43
	v_add3_u32 v5, v14, v9, v5
	v_add3_u32 v2, v16, v2, v17
	;; [unrolled: 1-line block ×3, first 2 shown]
	s_cbranch_scc1 .LBB67_1146
; %bb.1147:
	s_and_b32 s10, s10, 3
	s_cmp_eq_u32 s10, 0
	s_cbranch_scc0 .LBB67_1151
	s_branch .LBB67_1153
.LBB67_1148:
	s_mov_b32 s8, -1
                                        ; implicit-def: $vgpr2
                                        ; implicit-def: $vgpr9
	s_branch .LBB67_1153
.LBB67_1149:
	v_mov_b32_e32 v2, 0
	v_mov_b32_e32 v9, 0
	s_branch .LBB67_1153
.LBB67_1150:
	v_mov_b32_e32 v2, 0
	v_mov_b32_e32 v9, 0
	s_waitcnt vmcnt(0)
	v_mov_b32_e32 v3, v1
	s_mov_b32 s9, 0
	s_and_b32 s10, s10, 3
	s_cmp_eq_u32 s10, 0
	s_cbranch_scc1 .LBB67_1153
.LBB67_1151:
	s_lshl_b32 s0, s9, 3
	s_mul_i32 s2, s9, 12
	s_add_u32 s0, s6, s0
	s_addc_u32 s1, s7, 0
	s_add_u32 s0, s0, 0xc4
	s_addc_u32 s1, s1, 0
	s_add_u32 s2, s6, s2
	s_addc_u32 s3, s7, 0
	.p2align	6
.LBB67_1152:                            ; =>This Inner Loop Header: Depth=1
	s_clause 0x1
	s_load_dwordx2 s[14:15], s[2:3], 0x4
	s_load_dword s9, s[2:3], 0xc
	s_load_dwordx2 s[16:17], s[0:1], 0x0
	s_add_u32 s2, s2, 12
	s_addc_u32 s3, s3, 0
	s_add_u32 s0, s0, 8
	s_addc_u32 s1, s1, 0
	s_add_i32 s10, s10, -1
	s_cmp_lg_u32 s10, 0
	s_waitcnt lgkmcnt(0)
	v_mul_hi_u32 v5, s15, v3
	v_add_nc_u32_e32 v5, v3, v5
	v_lshrrev_b32_e32 v5, s9, v5
	v_mul_lo_u32 v7, v5, s14
	v_sub_nc_u32_e32 v7, v3, v7
	v_mad_u64_u32 v[2:3], null, v7, s16, v[2:3]
	v_mad_u64_u32 v[9:10], null, v7, s17, v[9:10]
	v_mov_b32_e32 v3, v5
	s_cbranch_scc1 .LBB67_1152
.LBB67_1153:
	s_andn2_b32 vcc_lo, exec_lo, s8
	s_cbranch_vccnz .LBB67_1156
; %bb.1154:
	s_clause 0x1
	s_load_dwordx4 s[0:3], s[6:7], 0x4
	s_load_dwordx2 s[8:9], s[6:7], 0xc4
	s_cmp_lt_u32 s24, 2
	s_waitcnt lgkmcnt(0)
	v_mul_hi_u32 v2, s1, v1
	v_add_nc_u32_e32 v2, v1, v2
	s_waitcnt vmcnt(0)
	v_lshrrev_b32_e32 v3, s2, v2
	v_mul_lo_u32 v2, v3, s0
	v_sub_nc_u32_e32 v1, v1, v2
	v_mul_lo_u32 v2, v1, s8
	v_mul_lo_u32 v9, v1, s9
	s_cbranch_scc1 .LBB67_1156
; %bb.1155:
	s_clause 0x1
	s_load_dwordx4 s[0:3], s[6:7], 0x10
	s_load_dwordx2 s[8:9], s[6:7], 0xcc
	s_waitcnt lgkmcnt(0)
	v_mul_hi_u32 v1, s1, v3
	v_add_nc_u32_e32 v1, v3, v1
	v_lshrrev_b32_e32 v1, s2, v1
	v_mul_lo_u32 v1, v1, s0
	v_sub_nc_u32_e32 v1, v3, v1
	v_mad_u64_u32 v[2:3], null, v1, s8, v[2:3]
	v_mad_u64_u32 v[9:10], null, v1, s9, v[9:10]
.LBB67_1156:
	v_cmp_ne_u32_e32 vcc_lo, 1, v0
	s_cbranch_vccnz .LBB67_1162
; %bb.1157:
	s_cmp_lg_u32 s24, 0
	s_mov_b32 s8, 0
	s_cbranch_scc0 .LBB67_1163
; %bb.1158:
	s_min_u32 s10, s25, 15
	s_add_i32 s10, s10, 1
	s_cmp_eq_u32 s25, 2
	s_cbranch_scc1 .LBB67_1164
; %bb.1159:
	v_mov_b32_e32 v7, 0
	v_mov_b32_e32 v0, 0
	;; [unrolled: 1-line block ×3, first 2 shown]
	s_and_b32 s9, s10, 28
	s_add_u32 s0, s6, 0xc4
	s_addc_u32 s1, s7, 0
	s_mov_b32 s11, 0
	s_mov_b64 s[2:3], s[6:7]
.LBB67_1160:                            ; =>This Inner Loop Header: Depth=1
	s_clause 0x1
	s_load_dwordx8 s[16:23], s[2:3], 0x4
	s_load_dwordx4 s[28:31], s[2:3], 0x24
	s_load_dwordx8 s[36:43], s[0:1], 0x0
	s_add_u32 s2, s2, 48
	s_addc_u32 s3, s3, 0
	s_add_i32 s11, s11, 4
	s_add_u32 s0, s0, 32
	s_addc_u32 s1, s1, 0
	s_cmp_lg_u32 s9, s11
	s_waitcnt vmcnt(0) lgkmcnt(0)
	v_mul_hi_u32 v3, s17, v1
	v_add_nc_u32_e32 v3, v1, v3
	v_lshrrev_b32_e32 v3, s18, v3
	v_mul_hi_u32 v5, s20, v3
	v_mul_lo_u32 v10, v3, s16
	v_add_nc_u32_e32 v5, v3, v5
	v_sub_nc_u32_e32 v1, v1, v10
	v_lshrrev_b32_e32 v5, s21, v5
	v_mul_lo_u32 v10, v1, s36
	v_mul_lo_u32 v14, v1, s37
	v_mul_hi_u32 v8, s23, v5
	v_add_nc_u32_e32 v8, v5, v8
	v_lshrrev_b32_e32 v8, s28, v8
	v_mul_hi_u32 v12, s30, v8
	v_mul_lo_u32 v16, v8, s22
	v_add_nc_u32_e32 v1, v8, v12
	v_mul_lo_u32 v12, v5, s19
	v_sub_nc_u32_e32 v5, v5, v16
	v_lshrrev_b32_e32 v1, s31, v1
	v_mul_lo_u32 v16, v5, s40
	v_mul_lo_u32 v5, v5, s41
	v_sub_nc_u32_e32 v3, v3, v12
	v_mul_lo_u32 v17, v1, s29
	v_mul_lo_u32 v12, v3, s38
	;; [unrolled: 1-line block ×3, first 2 shown]
	v_sub_nc_u32_e32 v8, v8, v17
	v_add3_u32 v0, v10, v0, v12
	v_mul_lo_u32 v17, v8, s42
	v_mul_lo_u32 v8, v8, s43
	v_add3_u32 v3, v14, v7, v3
	v_add3_u32 v0, v16, v0, v17
	;; [unrolled: 1-line block ×3, first 2 shown]
	s_cbranch_scc1 .LBB67_1160
; %bb.1161:
	s_and_b32 s10, s10, 3
	s_cmp_eq_u32 s10, 0
	s_cbranch_scc0 .LBB67_1165
	s_branch .LBB67_1167
.LBB67_1162:
	s_mov_b32 s8, -1
                                        ; implicit-def: $vgpr0
                                        ; implicit-def: $vgpr7
	s_branch .LBB67_1167
.LBB67_1163:
	v_mov_b32_e32 v0, 0
	v_mov_b32_e32 v7, 0
	s_branch .LBB67_1167
.LBB67_1164:
	v_mov_b32_e32 v0, 0
	v_mov_b32_e32 v7, 0
	;; [unrolled: 1-line block ×3, first 2 shown]
	s_mov_b32 s9, 0
	s_and_b32 s10, s10, 3
	s_cmp_eq_u32 s10, 0
	s_cbranch_scc1 .LBB67_1167
.LBB67_1165:
	s_lshl_b32 s0, s9, 3
	s_mul_i32 s2, s9, 12
	s_add_u32 s0, s6, s0
	s_addc_u32 s1, s7, 0
	s_add_u32 s0, s0, 0xc4
	s_addc_u32 s1, s1, 0
	;; [unrolled: 2-line block ×3, first 2 shown]
	.p2align	6
.LBB67_1166:                            ; =>This Inner Loop Header: Depth=1
	s_clause 0x1
	s_load_dwordx2 s[14:15], s[2:3], 0x4
	s_load_dword s9, s[2:3], 0xc
	s_load_dwordx2 s[16:17], s[0:1], 0x0
	s_add_u32 s2, s2, 12
	s_addc_u32 s3, s3, 0
	s_add_u32 s0, s0, 8
	s_addc_u32 s1, s1, 0
	s_add_i32 s10, s10, -1
	s_cmp_lg_u32 s10, 0
	s_waitcnt vmcnt(0) lgkmcnt(0)
	v_mul_hi_u32 v3, s15, v1
	v_add_nc_u32_e32 v3, v1, v3
	v_lshrrev_b32_e32 v3, s9, v3
	v_mul_lo_u32 v5, v3, s14
	v_sub_nc_u32_e32 v5, v1, v5
	v_mad_u64_u32 v[0:1], null, v5, s16, v[0:1]
	v_mad_u64_u32 v[7:8], null, v5, s17, v[7:8]
	v_mov_b32_e32 v1, v3
	s_cbranch_scc1 .LBB67_1166
.LBB67_1167:
	s_andn2_b32 vcc_lo, exec_lo, s8
	s_cbranch_vccnz .LBB67_1170
; %bb.1168:
	s_clause 0x1
	s_load_dwordx4 s[0:3], s[6:7], 0x4
	s_load_dwordx2 s[8:9], s[6:7], 0xc4
	s_cmp_lt_u32 s24, 2
	s_waitcnt lgkmcnt(0)
	v_mul_hi_u32 v0, s1, v15
	v_add_nc_u32_e32 v0, v15, v0
	v_lshrrev_b32_e32 v1, s2, v0
	v_mul_lo_u32 v0, v1, s0
	s_waitcnt vmcnt(0)
	v_sub_nc_u32_e32 v3, v15, v0
	v_mul_lo_u32 v0, v3, s8
	v_mul_lo_u32 v7, v3, s9
	s_cbranch_scc1 .LBB67_1170
; %bb.1169:
	s_clause 0x1
	s_load_dwordx4 s[0:3], s[6:7], 0x10
	s_load_dwordx2 s[8:9], s[6:7], 0xcc
	s_waitcnt lgkmcnt(0)
	v_mul_hi_u32 v3, s1, v1
	v_add_nc_u32_e32 v3, v1, v3
	v_lshrrev_b32_e32 v3, s2, v3
	v_mul_lo_u32 v3, v3, s0
	v_sub_nc_u32_e32 v3, v1, v3
	v_mad_u64_u32 v[0:1], null, v3, s8, v[0:1]
	v_mad_u64_u32 v[7:8], null, v3, s9, v[7:8]
.LBB67_1170:
	s_clause 0x1
	s_load_dwordx4 s[8:11], s[6:7], 0x148
	s_load_dword s5, s[4:5], 0x160
	s_waitcnt lgkmcnt(0)
	v_add_co_u32 v12, s0, s10, v13
	v_add_co_ci_u32_e64 v13, null, s11, 0, s0
	s_bfe_u32 s0, s5, 0x80010
	s_cmp_lt_i32 s0, 11
	s_cbranch_scc1 .LBB67_1177
; %bb.1171:
	s_and_b32 s1, 0xffff, s0
	s_mov_b32 s3, 0
	s_cmp_gt_i32 s1, 25
	s_cbranch_scc0 .LBB67_1179
; %bb.1172:
	s_cmp_gt_i32 s1, 28
	s_cbranch_scc0 .LBB67_1180
; %bb.1173:
	;; [unrolled: 3-line block ×4, first 2 shown]
	s_cmp_eq_u32 s1, 46
	s_mov_b32 s4, 0
	s_cbranch_scc0 .LBB67_1185
; %bb.1176:
	global_load_dword v1, v[12:13], off
	s_mov_b32 s2, 0
	s_mov_b32 s6, -1
	s_waitcnt vmcnt(0)
	v_lshlrev_b32_e32 v1, 16, v1
	v_cvt_f16_f32_e32 v3, v1
	s_branch .LBB67_1187
.LBB67_1177:
	s_mov_b32 s6, 0
	s_mov_b32 s4, s12
                                        ; implicit-def: $vgpr3
	s_cbranch_execnz .LBB67_1250
.LBB67_1178:
	s_andn2_b32 vcc_lo, exec_lo, s6
	s_cbranch_vccz .LBB67_1295
	s_branch .LBB67_2143
.LBB67_1179:
	s_mov_b32 s6, 0
	s_mov_b32 s2, 0
                                        ; implicit-def: $vgpr3
	s_cbranch_execnz .LBB67_1215
	s_branch .LBB67_1246
.LBB67_1180:
	s_mov_b32 s4, -1
	s_mov_b32 s6, 0
	s_mov_b32 s2, 0
                                        ; implicit-def: $vgpr3
	s_branch .LBB67_1196
.LBB67_1181:
	s_mov_b32 s6, 0
	s_mov_b32 s2, 0
                                        ; implicit-def: $vgpr3
	s_cbranch_execnz .LBB67_1192
	s_branch .LBB67_1195
.LBB67_1182:
	s_mov_b32 s4, -1
	s_mov_b32 s6, 0
	s_mov_b32 s2, 0
	s_branch .LBB67_1186
.LBB67_1183:
	s_andn2_saveexec_b32 s9, s9
	s_cbranch_execz .LBB67_1026
.LBB67_1184:
	v_add_f32_e64 v4, 0x46000000, |v0|
	s_andn2_b32 s8, s8, exec_lo
	v_and_b32_e32 v4, 0xff, v4
	v_cmp_ne_u32_e32 vcc_lo, 0, v4
	s_and_b32 s12, vcc_lo, exec_lo
	s_or_b32 s8, s8, s12
	s_or_b32 exec_lo, exec_lo, s9
	v_mov_b32_e32 v5, 0
	s_and_saveexec_b32 s9, s8
	s_cbranch_execnz .LBB67_1027
	s_branch .LBB67_1028
.LBB67_1185:
	s_mov_b32 s2, -1
	s_mov_b32 s6, 0
.LBB67_1186:
                                        ; implicit-def: $vgpr3
.LBB67_1187:
	s_and_b32 vcc_lo, exec_lo, s4
	s_cbranch_vccz .LBB67_1190
; %bb.1188:
	s_cmp_eq_u32 s1, 44
	s_cbranch_scc0 .LBB67_1191
; %bb.1189:
	global_load_ubyte v1, v[12:13], off
	s_mov_b32 s2, 0
	s_mov_b32 s6, -1
	s_waitcnt vmcnt(0)
	v_lshlrev_b32_e32 v3, 23, v1
	v_cmp_ne_u32_e32 vcc_lo, 0xff, v1
	v_cvt_f16_f32_e32 v3, v3
	v_cndmask_b32_e32 v3, 0x7e00, v3, vcc_lo
	v_cmp_ne_u32_e32 vcc_lo, 0, v1
	v_cndmask_b32_e32 v3, 0, v3, vcc_lo
.LBB67_1190:
	s_branch .LBB67_1195
.LBB67_1191:
	s_mov_b32 s2, -1
                                        ; implicit-def: $vgpr3
	s_branch .LBB67_1195
.LBB67_1192:
	s_cmp_eq_u32 s1, 29
	s_cbranch_scc0 .LBB67_1194
; %bb.1193:
	global_load_dwordx2 v[14:15], v[12:13], off
	s_mov_b32 s2, 0
	s_mov_b32 s6, -1
	s_mov_b32 s4, 0
	s_waitcnt vmcnt(0)
	v_ffbh_u32_e32 v1, v15
	v_min_u32_e32 v1, 32, v1
	v_lshlrev_b64 v[14:15], v1, v[14:15]
	v_sub_nc_u32_e32 v1, 32, v1
	v_min_u32_e32 v3, 1, v14
	v_or_b32_e32 v3, v15, v3
	v_cvt_f32_u32_e32 v3, v3
	v_ldexp_f32 v1, v3, v1
	v_cvt_f16_f32_e32 v3, v1
	s_branch .LBB67_1196
.LBB67_1194:
	s_mov_b32 s2, -1
                                        ; implicit-def: $vgpr3
.LBB67_1195:
	s_mov_b32 s4, 0
.LBB67_1196:
	s_and_b32 vcc_lo, exec_lo, s4
	s_cbranch_vccz .LBB67_1214
; %bb.1197:
	s_cmp_lt_i32 s1, 27
	s_cbranch_scc1 .LBB67_1200
; %bb.1198:
	s_cmp_gt_i32 s1, 27
	s_cbranch_scc0 .LBB67_1201
; %bb.1199:
	global_load_dword v1, v[12:13], off
	s_mov_b32 s4, 0
	s_waitcnt vmcnt(0)
	v_cvt_f32_u32_e32 v1, v1
	v_cvt_f16_f32_e32 v3, v1
	s_branch .LBB67_1202
.LBB67_1200:
	s_mov_b32 s4, -1
                                        ; implicit-def: $vgpr3
	s_branch .LBB67_1205
.LBB67_1201:
	s_mov_b32 s4, -1
                                        ; implicit-def: $vgpr3
.LBB67_1202:
	s_andn2_b32 vcc_lo, exec_lo, s4
	s_cbranch_vccnz .LBB67_1204
; %bb.1203:
	global_load_ushort v1, v[12:13], off
	s_waitcnt vmcnt(0)
	v_cvt_f16_u16_e32 v3, v1
.LBB67_1204:
	s_mov_b32 s4, 0
.LBB67_1205:
	s_andn2_b32 vcc_lo, exec_lo, s4
	s_cbranch_vccnz .LBB67_1213
; %bb.1206:
	global_load_ubyte v1, v[12:13], off
	s_mov_b32 s4, 0
	s_mov_b32 s6, exec_lo
	s_waitcnt vmcnt(0)
	v_cmpx_lt_i16_e32 0x7f, v1
	s_xor_b32 s6, exec_lo, s6
	s_cbranch_execz .LBB67_1226
; %bb.1207:
	s_mov_b32 s4, -1
	s_mov_b32 s7, exec_lo
	v_cmpx_eq_u16_e32 0x80, v1
; %bb.1208:
	s_xor_b32 s4, exec_lo, -1
; %bb.1209:
	s_or_b32 exec_lo, exec_lo, s7
	s_and_b32 s4, s4, exec_lo
	s_or_saveexec_b32 s6, s6
	v_mov_b32_e32 v3, 0x7e00
	s_xor_b32 exec_lo, exec_lo, s6
	s_cbranch_execnz .LBB67_1227
.LBB67_1210:
	s_or_b32 exec_lo, exec_lo, s6
	s_and_saveexec_b32 s6, s4
	s_cbranch_execz .LBB67_1212
.LBB67_1211:
	v_and_b32_e32 v3, 0xffff, v1
	v_lshlrev_b32_e32 v1, 24, v1
	v_and_b32_e32 v5, 7, v3
	v_bfe_u32 v14, v3, 3, 4
	v_and_b32_e32 v1, 0x80000000, v1
	v_ffbh_u32_e32 v8, v5
	v_cmp_eq_u32_e32 vcc_lo, 0, v14
	v_min_u32_e32 v8, 32, v8
	v_subrev_nc_u32_e32 v10, 28, v8
	v_sub_nc_u32_e32 v8, 29, v8
	v_lshlrev_b32_e32 v3, v10, v3
	v_cndmask_b32_e32 v8, v14, v8, vcc_lo
	v_and_b32_e32 v3, 7, v3
	v_cndmask_b32_e32 v3, v5, v3, vcc_lo
	v_lshl_add_u32 v5, v8, 23, 0x3b800000
	v_lshlrev_b32_e32 v3, 20, v3
	v_or3_b32 v1, v1, v5, v3
	v_cvt_f16_f32_e32 v3, v1
.LBB67_1212:
	s_or_b32 exec_lo, exec_lo, s6
.LBB67_1213:
	s_mov_b32 s6, -1
.LBB67_1214:
	s_branch .LBB67_1246
.LBB67_1215:
	s_cmp_gt_i32 s1, 22
	s_cbranch_scc0 .LBB67_1225
; %bb.1216:
	s_cmp_lt_i32 s1, 24
	s_cbranch_scc1 .LBB67_1228
; %bb.1217:
	s_cmp_gt_i32 s1, 24
	s_cbranch_scc0 .LBB67_1229
; %bb.1218:
	global_load_ubyte v1, v[12:13], off
	s_mov_b32 s4, exec_lo
	s_waitcnt vmcnt(0)
	v_cmpx_lt_i16_e32 0x7f, v1
	s_xor_b32 s4, exec_lo, s4
	s_cbranch_execz .LBB67_1240
; %bb.1219:
	s_mov_b32 s3, -1
	s_mov_b32 s6, exec_lo
	v_cmpx_eq_u16_e32 0x80, v1
; %bb.1220:
	s_xor_b32 s3, exec_lo, -1
; %bb.1221:
	s_or_b32 exec_lo, exec_lo, s6
	s_and_b32 s3, s3, exec_lo
	s_or_saveexec_b32 s4, s4
	v_mov_b32_e32 v3, 0x7e00
	s_xor_b32 exec_lo, exec_lo, s4
	s_cbranch_execnz .LBB67_1241
.LBB67_1222:
	s_or_b32 exec_lo, exec_lo, s4
	s_and_saveexec_b32 s4, s3
	s_cbranch_execz .LBB67_1224
.LBB67_1223:
	v_and_b32_e32 v3, 0xffff, v1
	v_lshlrev_b32_e32 v1, 24, v1
	v_and_b32_e32 v5, 3, v3
	v_bfe_u32 v14, v3, 2, 5
	v_and_b32_e32 v1, 0x80000000, v1
	v_ffbh_u32_e32 v8, v5
	v_cmp_eq_u32_e32 vcc_lo, 0, v14
	v_min_u32_e32 v8, 32, v8
	v_subrev_nc_u32_e32 v10, 29, v8
	v_sub_nc_u32_e32 v8, 30, v8
	v_lshlrev_b32_e32 v3, v10, v3
	v_cndmask_b32_e32 v8, v14, v8, vcc_lo
	v_and_b32_e32 v3, 3, v3
	v_cndmask_b32_e32 v3, v5, v3, vcc_lo
	v_lshl_add_u32 v5, v8, 23, 0x37800000
	v_lshlrev_b32_e32 v3, 21, v3
	v_or3_b32 v1, v1, v5, v3
	v_cvt_f16_f32_e32 v3, v1
.LBB67_1224:
	s_or_b32 exec_lo, exec_lo, s4
	s_mov_b32 s3, 0
	s_branch .LBB67_1230
.LBB67_1225:
                                        ; implicit-def: $vgpr3
	s_mov_b32 s3, 0
	s_branch .LBB67_1236
.LBB67_1226:
	s_or_saveexec_b32 s6, s6
	v_mov_b32_e32 v3, 0x7e00
	s_xor_b32 exec_lo, exec_lo, s6
	s_cbranch_execz .LBB67_1210
.LBB67_1227:
	v_cmp_ne_u16_e32 vcc_lo, 0, v1
	v_mov_b32_e32 v3, v1
	s_andn2_b32 s4, s4, exec_lo
	s_and_b32 s7, vcc_lo, exec_lo
	s_or_b32 s4, s4, s7
	s_or_b32 exec_lo, exec_lo, s6
	s_and_saveexec_b32 s6, s4
	s_cbranch_execnz .LBB67_1211
	s_branch .LBB67_1212
.LBB67_1228:
	s_mov_b32 s3, -1
                                        ; implicit-def: $vgpr3
	s_branch .LBB67_1233
.LBB67_1229:
	s_mov_b32 s3, -1
                                        ; implicit-def: $vgpr3
.LBB67_1230:
	s_and_b32 vcc_lo, exec_lo, s3
	s_cbranch_vccz .LBB67_1232
; %bb.1231:
	global_load_ubyte v1, v[12:13], off
	s_waitcnt vmcnt(0)
	v_lshlrev_b32_e32 v1, 24, v1
	v_and_b32_e32 v3, 0x7f000000, v1
	v_ffbh_u32_e32 v5, v3
	v_add_nc_u32_e32 v10, 0x1000000, v3
	v_cmp_ne_u32_e32 vcc_lo, 0, v3
	v_min_u32_e32 v5, 32, v5
	v_sub_nc_u32_e64 v5, v5, 4 clamp
	v_lshlrev_b32_e32 v8, v5, v3
	v_lshlrev_b32_e32 v5, 23, v5
	v_lshrrev_b32_e32 v8, 4, v8
	v_sub_nc_u32_e32 v5, v8, v5
	v_ashrrev_i32_e32 v8, 8, v10
	v_add_nc_u32_e32 v5, 0x3c000000, v5
	v_and_or_b32 v5, 0x7f800000, v8, v5
	v_cndmask_b32_e32 v3, 0, v5, vcc_lo
	v_and_or_b32 v1, 0x80000000, v1, v3
	v_cvt_f16_f32_e32 v3, v1
.LBB67_1232:
	s_mov_b32 s3, 0
.LBB67_1233:
	s_andn2_b32 vcc_lo, exec_lo, s3
	s_cbranch_vccnz .LBB67_1235
; %bb.1234:
	global_load_ubyte v1, v[12:13], off
	s_waitcnt vmcnt(0)
	v_lshlrev_b32_e32 v3, 25, v1
	v_lshlrev_b16 v1, 8, v1
	v_lshrrev_b32_e32 v5, 4, v3
	v_and_or_b32 v8, 0x7f00, v1, 0.5
	v_cmp_gt_u32_e32 vcc_lo, 0x8000000, v3
	v_bfe_i32 v1, v1, 0, 16
	v_or_b32_e32 v5, 0x70000000, v5
	v_add_f32_e32 v8, -0.5, v8
	v_mul_f32_e32 v5, 0x7800000, v5
	v_cndmask_b32_e32 v3, v5, v8, vcc_lo
	v_and_or_b32 v1, 0x80000000, v1, v3
	v_cvt_f16_f32_e32 v3, v1
.LBB67_1235:
	s_mov_b32 s6, -1
	s_mov_b32 s3, 0
	s_cbranch_execnz .LBB67_1246
.LBB67_1236:
	s_cmp_gt_i32 s1, 14
	s_cbranch_scc0 .LBB67_1239
; %bb.1237:
	s_cmp_eq_u32 s1, 15
	s_cbranch_scc0 .LBB67_1242
; %bb.1238:
	global_load_ushort v1, v[12:13], off
	s_mov_b32 s2, 0
	s_mov_b32 s6, -1
	s_waitcnt vmcnt(0)
	v_lshlrev_b32_e32 v1, 16, v1
	v_cvt_f16_f32_e32 v3, v1
	s_branch .LBB67_1244
.LBB67_1239:
	s_mov_b32 s3, -1
	s_branch .LBB67_1243
.LBB67_1240:
	s_or_saveexec_b32 s4, s4
	v_mov_b32_e32 v3, 0x7e00
	s_xor_b32 exec_lo, exec_lo, s4
	s_cbranch_execz .LBB67_1222
.LBB67_1241:
	v_cmp_ne_u16_e32 vcc_lo, 0, v1
	v_mov_b32_e32 v3, v1
	s_andn2_b32 s3, s3, exec_lo
	s_and_b32 s6, vcc_lo, exec_lo
	s_or_b32 s3, s3, s6
	s_or_b32 exec_lo, exec_lo, s4
	s_and_saveexec_b32 s4, s3
	s_cbranch_execnz .LBB67_1223
	s_branch .LBB67_1224
.LBB67_1242:
	s_mov_b32 s2, -1
.LBB67_1243:
                                        ; implicit-def: $vgpr3
.LBB67_1244:
	s_and_b32 vcc_lo, exec_lo, s3
	s_mov_b32 s3, 0
	s_cbranch_vccz .LBB67_1246
; %bb.1245:
	s_cmp_lg_u32 s1, 11
	s_mov_b32 s3, -1
	s_cselect_b32 s2, -1, 0
.LBB67_1246:
	s_and_b32 vcc_lo, exec_lo, s2
	s_mov_b32 s4, s12
	s_cbranch_vccnz .LBB67_1313
; %bb.1247:
	s_andn2_b32 vcc_lo, exec_lo, s3
	s_cbranch_vccnz .LBB67_1249
.LBB67_1248:
	global_load_ubyte v1, v[12:13], off
	s_mov_b32 s6, -1
	s_waitcnt vmcnt(0)
	v_cmp_ne_u16_e32 vcc_lo, 0, v1
	v_cndmask_b32_e64 v3, 0, 0x3c00, vcc_lo
.LBB67_1249:
	s_branch .LBB67_1178
.LBB67_1250:
	s_and_b32 s0, 0xffff, s0
	s_cmp_lt_i32 s0, 5
	s_cbranch_scc1 .LBB67_1255
; %bb.1251:
	s_cmp_lt_i32 s0, 8
	s_cbranch_scc1 .LBB67_1256
; %bb.1252:
	;; [unrolled: 3-line block ×3, first 2 shown]
	s_cmp_gt_i32 s0, 9
	s_cbranch_scc0 .LBB67_1258
; %bb.1254:
	global_load_dwordx2 v[14:15], v[12:13], off
	s_mov_b32 s1, 0
	s_waitcnt vmcnt(0)
	v_and_or_b32 v1, 0x1ff, v15, v14
	v_lshrrev_b32_e32 v3, 8, v15
	v_bfe_u32 v5, v15, 20, 11
	v_cmp_ne_u32_e32 vcc_lo, 0, v1
	v_sub_nc_u32_e32 v8, 0x3f1, v5
	v_add_nc_u32_e32 v5, 0xfffffc10, v5
	v_cndmask_b32_e64 v1, 0, 1, vcc_lo
	v_and_or_b32 v1, 0xffe, v3, v1
	v_med3_i32 v3, v8, 0, 13
	v_or_b32_e32 v8, 0x1000, v1
	v_lshrrev_b32_e32 v10, v3, v8
	v_lshlrev_b32_e32 v3, v3, v10
	v_cmp_ne_u32_e32 vcc_lo, v3, v8
	v_lshl_or_b32 v8, v5, 12, v1
	v_cndmask_b32_e64 v3, 0, 1, vcc_lo
	v_cmp_gt_i32_e32 vcc_lo, 1, v5
	v_or_b32_e32 v3, v10, v3
	v_cndmask_b32_e32 v3, v8, v3, vcc_lo
	v_and_b32_e32 v8, 7, v3
	v_lshrrev_b32_e32 v3, 2, v3
	v_cmp_lt_i32_e32 vcc_lo, 5, v8
	v_cndmask_b32_e64 v10, 0, 1, vcc_lo
	v_cmp_eq_u32_e32 vcc_lo, 3, v8
	v_cndmask_b32_e64 v8, 0, 1, vcc_lo
	v_cmp_ne_u32_e32 vcc_lo, 0, v1
	v_or_b32_e32 v8, v8, v10
	v_mov_b32_e32 v10, 0x7e00
	v_add_nc_u32_e32 v3, v3, v8
	v_cndmask_b32_e32 v1, 0x7c00, v10, vcc_lo
	v_cmp_gt_i32_e32 vcc_lo, 31, v5
	v_cndmask_b32_e32 v3, 0x7c00, v3, vcc_lo
	v_cmp_eq_u32_e32 vcc_lo, 0x40f, v5
	v_cndmask_b32_e32 v1, v3, v1, vcc_lo
	v_lshrrev_b32_e32 v3, 16, v15
	v_and_or_b32 v3, 0x8000, v3, v1
	s_branch .LBB67_1259
.LBB67_1255:
                                        ; implicit-def: $vgpr3
	s_branch .LBB67_1276
.LBB67_1256:
                                        ; implicit-def: $vgpr3
	s_branch .LBB67_1265
.LBB67_1257:
	s_mov_b32 s1, -1
                                        ; implicit-def: $vgpr3
	s_branch .LBB67_1262
.LBB67_1258:
	s_mov_b32 s1, -1
                                        ; implicit-def: $vgpr3
.LBB67_1259:
	s_andn2_b32 vcc_lo, exec_lo, s1
	s_cbranch_vccnz .LBB67_1261
; %bb.1260:
	global_load_dword v1, v[12:13], off
	s_waitcnt vmcnt(0)
	v_cvt_f16_f32_e32 v3, v1
.LBB67_1261:
	s_mov_b32 s1, 0
.LBB67_1262:
	s_andn2_b32 vcc_lo, exec_lo, s1
	s_cbranch_vccnz .LBB67_1264
; %bb.1263:
	global_load_dword v3, v[12:13], off
.LBB67_1264:
	s_cbranch_execnz .LBB67_1275
.LBB67_1265:
	s_cmp_lt_i32 s0, 6
	s_cbranch_scc1 .LBB67_1268
; %bb.1266:
	s_cmp_gt_i32 s0, 6
	s_cbranch_scc0 .LBB67_1269
; %bb.1267:
	global_load_dwordx2 v[14:15], v[12:13], off
	s_mov_b32 s1, 0
	s_waitcnt vmcnt(0)
	v_and_or_b32 v1, 0x1ff, v15, v14
	v_lshrrev_b32_e32 v3, 8, v15
	v_bfe_u32 v5, v15, 20, 11
	v_cmp_ne_u32_e32 vcc_lo, 0, v1
	v_sub_nc_u32_e32 v8, 0x3f1, v5
	v_add_nc_u32_e32 v5, 0xfffffc10, v5
	v_cndmask_b32_e64 v1, 0, 1, vcc_lo
	v_and_or_b32 v1, 0xffe, v3, v1
	v_med3_i32 v3, v8, 0, 13
	v_or_b32_e32 v8, 0x1000, v1
	v_lshrrev_b32_e32 v10, v3, v8
	v_lshlrev_b32_e32 v3, v3, v10
	v_cmp_ne_u32_e32 vcc_lo, v3, v8
	v_lshl_or_b32 v8, v5, 12, v1
	v_cndmask_b32_e64 v3, 0, 1, vcc_lo
	v_cmp_gt_i32_e32 vcc_lo, 1, v5
	v_or_b32_e32 v3, v10, v3
	v_cndmask_b32_e32 v3, v8, v3, vcc_lo
	v_and_b32_e32 v8, 7, v3
	v_lshrrev_b32_e32 v3, 2, v3
	v_cmp_lt_i32_e32 vcc_lo, 5, v8
	v_cndmask_b32_e64 v10, 0, 1, vcc_lo
	v_cmp_eq_u32_e32 vcc_lo, 3, v8
	v_cndmask_b32_e64 v8, 0, 1, vcc_lo
	v_cmp_ne_u32_e32 vcc_lo, 0, v1
	v_or_b32_e32 v8, v8, v10
	v_mov_b32_e32 v10, 0x7e00
	v_add_nc_u32_e32 v3, v3, v8
	v_cndmask_b32_e32 v1, 0x7c00, v10, vcc_lo
	v_cmp_gt_i32_e32 vcc_lo, 31, v5
	v_cndmask_b32_e32 v3, 0x7c00, v3, vcc_lo
	v_cmp_eq_u32_e32 vcc_lo, 0x40f, v5
	v_cndmask_b32_e32 v1, v3, v1, vcc_lo
	v_lshrrev_b32_e32 v3, 16, v15
	v_and_or_b32 v3, 0x8000, v3, v1
	s_branch .LBB67_1270
.LBB67_1268:
	s_mov_b32 s1, -1
                                        ; implicit-def: $vgpr3
	s_branch .LBB67_1273
.LBB67_1269:
	s_mov_b32 s1, -1
                                        ; implicit-def: $vgpr3
.LBB67_1270:
	s_andn2_b32 vcc_lo, exec_lo, s1
	s_cbranch_vccnz .LBB67_1272
; %bb.1271:
	global_load_dword v1, v[12:13], off
	s_waitcnt vmcnt(0)
	v_cvt_f16_f32_e32 v3, v1
.LBB67_1272:
	s_mov_b32 s1, 0
.LBB67_1273:
	s_andn2_b32 vcc_lo, exec_lo, s1
	s_cbranch_vccnz .LBB67_1275
; %bb.1274:
	global_load_ushort v3, v[12:13], off
.LBB67_1275:
	s_cbranch_execnz .LBB67_1294
.LBB67_1276:
	s_cmp_lt_i32 s0, 2
	s_cbranch_scc1 .LBB67_1280
; %bb.1277:
	s_cmp_lt_i32 s0, 3
	s_cbranch_scc1 .LBB67_1281
; %bb.1278:
	s_cmp_gt_i32 s0, 3
	s_cbranch_scc0 .LBB67_1282
; %bb.1279:
	global_load_dwordx2 v[14:15], v[12:13], off
	s_mov_b32 s1, 0
	s_waitcnt vmcnt(0)
	v_xor_b32_e32 v1, v14, v15
	v_ffbh_i32_e32 v3, v15
	v_ashrrev_i32_e32 v1, 31, v1
	v_add_nc_u32_e32 v3, -1, v3
	v_add_nc_u32_e32 v1, 32, v1
	v_min_u32_e32 v1, v3, v1
	v_lshlrev_b64 v[14:15], v1, v[14:15]
	v_sub_nc_u32_e32 v1, 32, v1
	v_min_u32_e32 v3, 1, v14
	v_or_b32_e32 v3, v15, v3
	v_cvt_f32_i32_e32 v3, v3
	v_ldexp_f32 v1, v3, v1
	v_cvt_f16_f32_e32 v3, v1
	s_branch .LBB67_1283
.LBB67_1280:
                                        ; implicit-def: $vgpr3
	s_branch .LBB67_1289
.LBB67_1281:
	s_mov_b32 s1, -1
                                        ; implicit-def: $vgpr3
	s_branch .LBB67_1286
.LBB67_1282:
	s_mov_b32 s1, -1
                                        ; implicit-def: $vgpr3
.LBB67_1283:
	s_andn2_b32 vcc_lo, exec_lo, s1
	s_cbranch_vccnz .LBB67_1285
; %bb.1284:
	global_load_dword v1, v[12:13], off
	s_waitcnt vmcnt(0)
	v_cvt_f32_i32_e32 v1, v1
	v_cvt_f16_f32_e32 v3, v1
.LBB67_1285:
	s_mov_b32 s1, 0
.LBB67_1286:
	s_andn2_b32 vcc_lo, exec_lo, s1
	s_cbranch_vccnz .LBB67_1288
; %bb.1287:
	global_load_ushort v1, v[12:13], off
	s_waitcnt vmcnt(0)
	v_cvt_f16_i16_e32 v3, v1
.LBB67_1288:
	s_cbranch_execnz .LBB67_1294
.LBB67_1289:
	s_cmp_gt_i32 s0, 0
	s_mov_b32 s0, 0
	s_cbranch_scc0 .LBB67_1291
; %bb.1290:
	global_load_sbyte v1, v[12:13], off
	s_waitcnt vmcnt(0)
	v_cvt_f16_i16_e32 v3, v1
	s_branch .LBB67_1292
.LBB67_1291:
	s_mov_b32 s0, -1
                                        ; implicit-def: $vgpr3
.LBB67_1292:
	s_andn2_b32 vcc_lo, exec_lo, s0
	s_cbranch_vccnz .LBB67_1294
; %bb.1293:
	global_load_ubyte v1, v[12:13], off
	s_waitcnt vmcnt(0)
	v_cvt_f16_u16_e32 v3, v1
.LBB67_1294:
.LBB67_1295:
	s_waitcnt vmcnt(0)
	v_cvt_f32_f16_e32 v1, v3
	v_cmp_gt_f16_e32 vcc_lo, 0.5, v3
	v_mov_b32_e32 v5, 0
	v_mov_b32_e32 v3, 1.0
	s_and_saveexec_b32 s2, vcc_lo
	s_cbranch_execz .LBB67_1301
; %bb.1296:
	v_mul_f32_e32 v3, 0x40490fdb, v1
                                        ; implicit-def: $vgpr10
                                        ; implicit-def: $vgpr8
	s_mov_b32 s1, exec_lo
	v_and_b32_e32 v5, 0x7fffffff, v3
	v_cmpx_ngt_f32_e64 0x48000000, |v3|
	s_xor_b32 s3, exec_lo, s1
	s_cbranch_execz .LBB67_1298
; %bb.1297:
	s_mov_b32 s0, 0x7fffff
	v_mov_b32_e32 v14, 0
	v_and_or_b32 v8, v5, s0, 0x800000
	v_lshrrev_b32_e32 v10, 23, v5
	v_mad_u64_u32 v[12:13], null, 0xfe5163ab, v8, 0
	v_add_nc_u32_e32 v10, 0xffffff88, v10
	v_cmp_lt_u32_e32 vcc_lo, 63, v10
	v_mad_u64_u32 v[15:16], null, 0x3c439041, v8, v[13:14]
	v_cndmask_b32_e64 v20, 0, 0xffffffc0, vcc_lo
	v_mov_b32_e32 v13, v16
	v_add_nc_u32_e32 v10, v20, v10
	v_mad_u64_u32 v[16:17], null, 0xdb629599, v8, v[13:14]
	v_cmp_lt_u32_e64 s0, 31, v10
	v_cndmask_b32_e64 v21, 0, 0xffffffe0, s0
	v_mov_b32_e32 v13, v17
	v_cndmask_b32_e32 v12, v16, v12, vcc_lo
	v_add_nc_u32_e32 v10, v21, v10
	v_mad_u64_u32 v[17:18], null, 0xf534ddc0, v8, v[13:14]
	v_cmp_lt_u32_e64 s1, 31, v10
	v_mov_b32_e32 v13, v18
	v_mad_u64_u32 v[18:19], null, 0xfc2757d1, v8, v[13:14]
	v_mov_b32_e32 v13, v19
	v_mad_u64_u32 v[19:20], null, 0x4e441529, v8, v[13:14]
	v_mov_b32_e32 v13, v20
	v_cndmask_b32_e32 v20, v19, v17, vcc_lo
	v_mad_u64_u32 v[13:14], null, 0xa2f9836e, v8, v[13:14]
	v_cndmask_b32_e64 v8, 0, 0xffffffe0, s1
	v_add_nc_u32_e32 v8, v8, v10
	v_cndmask_b32_e32 v13, v13, v18, vcc_lo
	v_cndmask_b32_e32 v14, v14, v19, vcc_lo
	v_cndmask_b32_e32 v18, v18, v16, vcc_lo
	v_cndmask_b32_e32 v10, v17, v15, vcc_lo
	v_sub_nc_u32_e32 v17, 32, v8
	v_cndmask_b32_e64 v15, v13, v20, s0
	v_cndmask_b32_e64 v13, v14, v13, s0
	;; [unrolled: 1-line block ×4, first 2 shown]
	v_cmp_eq_u32_e32 vcc_lo, 0, v8
	v_cndmask_b32_e64 v10, v10, v12, s0
	v_cndmask_b32_e64 v13, v13, v15, s1
	;; [unrolled: 1-line block ×5, first 2 shown]
	v_alignbit_b32 v19, v13, v15, v17
	v_alignbit_b32 v16, v15, v14, v17
	;; [unrolled: 1-line block ×3, first 2 shown]
	v_cndmask_b32_e32 v8, v19, v13, vcc_lo
	v_cndmask_b32_e32 v12, v16, v15, vcc_lo
	;; [unrolled: 1-line block ×3, first 2 shown]
	v_bfe_u32 v13, v8, 29, 1
	v_alignbit_b32 v15, v8, v12, 30
	v_alignbit_b32 v12, v12, v14, 30
	;; [unrolled: 1-line block ×3, first 2 shown]
	v_sub_nc_u32_e32 v16, 0, v13
	v_xor_b32_e32 v15, v15, v16
	v_xor_b32_e32 v12, v12, v16
	;; [unrolled: 1-line block ×3, first 2 shown]
	v_lshrrev_b32_e32 v16, 29, v8
	v_ffbh_u32_e32 v17, v15
	v_min_u32_e32 v17, 32, v17
	v_sub_nc_u32_e32 v14, 31, v17
	v_lshlrev_b32_e32 v18, 23, v17
	v_alignbit_b32 v15, v15, v12, v14
	v_alignbit_b32 v10, v12, v10, v14
	v_lshlrev_b32_e32 v12, 31, v16
	v_alignbit_b32 v14, v15, v10, 9
	v_or_b32_e32 v16, 0.5, v12
	v_lshrrev_b32_e32 v15, 9, v15
	v_or_b32_e32 v12, 0x33000000, v12
	v_ffbh_u32_e32 v19, v14
	v_sub_nc_u32_e32 v16, v16, v18
	v_min_u32_e32 v18, 32, v19
	v_or_b32_e32 v15, v15, v16
	v_not_b32_e32 v16, v18
	v_mul_f32_e32 v19, 0x3fc90fda, v15
	v_add_lshl_u32 v17, v18, v17, 23
	v_alignbit_b32 v10, v14, v10, v16
	v_fma_f32 v14, 0x3fc90fda, v15, -v19
	v_sub_nc_u32_e32 v12, v12, v17
	v_lshrrev_b32_e32 v10, 9, v10
	v_fmamk_f32 v14, v15, 0x33a22168, v14
	v_or_b32_e32 v10, v12, v10
	v_fmac_f32_e32 v14, 0x3fc90fda, v10
	v_lshrrev_b32_e32 v10, 30, v8
	v_add_f32_e32 v8, v19, v14
	v_add_nc_u32_e32 v10, v13, v10
.LBB67_1298:
	s_andn2_saveexec_b32 s0, s3
; %bb.1299:
	v_mul_f32_e64 v8, 0x3f22f983, |v3|
	v_rndne_f32_e32 v10, v8
	v_fma_f32 v8, 0xbfc90fda, v10, |v3|
	v_fmamk_f32 v8, v10, 0xb3a22168, v8
	v_fmamk_f32 v8, v10, 0xa7c234c4, v8
	v_cvt_i32_f32_e32 v10, v10
; %bb.1300:
	s_or_b32 exec_lo, exec_lo, s0
	v_mul_f32_e32 v12, v8, v8
	s_mov_b32 s0, 0xb94c1982
	s_mov_b32 s1, 0x37d75334
	v_and_b32_e32 v15, 1, v10
	v_lshlrev_b32_e32 v10, 30, v10
	v_fmaak_f32 v13, s0, v12, 0x3c0881c4
	v_fmaak_f32 v14, s1, v12, 0xbab64f3b
	v_xor_b32_e32 v5, v5, v3
	v_cmp_eq_u32_e32 vcc_lo, 0, v15
	v_and_b32_e32 v10, 0x80000000, v10
	v_fmaak_f32 v13, v12, v13, 0xbe2aaa9d
	v_fmaak_f32 v14, v12, v14, 0x3d2aabf7
	v_sub_f32_e32 v1, 1.0, v1
	v_mul_f32_e32 v13, v12, v13
	v_fmaak_f32 v14, v12, v14, 0xbf000004
	v_fmac_f32_e32 v8, v8, v13
	v_fma_f32 v12, v12, v14, 1.0
	v_cndmask_b32_e32 v8, v12, v8, vcc_lo
	v_cmp_class_f32_e64 vcc_lo, v3, 0x1f8
	v_xor3_b32 v5, v5, v10, v8
	v_cndmask_b32_e32 v3, 0x7fc00000, v5, vcc_lo
	v_mul_f32_e32 v3, v3, v3
	v_div_scale_f32 v5, null, v3, v3, 0xc11de9e7
	v_div_scale_f32 v12, vcc_lo, 0xc11de9e7, v3, 0xc11de9e7
	v_rcp_f32_e32 v8, v5
	v_fma_f32 v10, -v5, v8, 1.0
	v_fmac_f32_e32 v8, v10, v8
	v_mul_f32_e32 v10, v12, v8
	v_fma_f32 v13, -v5, v10, v12
	v_fmac_f32_e32 v10, v13, v8
	v_fma_f32 v5, -v5, v10, v12
	v_div_fmas_f32 v5, v5, v8, v10
	v_div_fixup_f32 v3, v5, v3, 0xc11de9e7
	v_add_f32_e32 v5, 0, v3
	v_mov_b32_e32 v3, -1.0
.LBB67_1301:
	s_or_b32 exec_lo, exec_lo, s2
	v_add_co_u32 v10, s1, s10, v11
	s_lshr_b32 s0, s5, 16
	v_add_co_ci_u32_e64 v11, null, s11, 0, s1
	s_and_b32 s2, s0, 0xff
	s_cmp_lt_i32 s2, 11
	s_cbranch_scc1 .LBB67_1308
; %bb.1302:
	s_and_b32 s0, 0xffff, s2
	s_mov_b32 s3, 0
	s_cmp_gt_i32 s0, 25
	s_cbranch_scc0 .LBB67_1310
; %bb.1303:
	s_cmp_gt_i32 s0, 28
	s_cbranch_scc0 .LBB67_1311
; %bb.1304:
	;; [unrolled: 3-line block ×4, first 2 shown]
	s_cmp_eq_u32 s0, 46
	s_mov_b32 s7, 0
	s_cbranch_scc0 .LBB67_1317
; %bb.1307:
	global_load_dword v8, v[10:11], off
	s_mov_b32 s1, 0
	s_mov_b32 s6, -1
	s_waitcnt vmcnt(0)
	v_lshlrev_b32_e32 v8, 16, v8
	v_cvt_f16_f32_e32 v8, v8
	s_branch .LBB67_1319
.LBB67_1308:
	s_mov_b32 s6, 0
                                        ; implicit-def: $vgpr8
	s_cbranch_execnz .LBB67_1384
.LBB67_1309:
	s_andn2_b32 vcc_lo, exec_lo, s6
	s_cbranch_vccnz .LBB67_2143
	s_branch .LBB67_1431
.LBB67_1310:
	s_mov_b32 s6, 0
	s_mov_b32 s1, 0
                                        ; implicit-def: $vgpr8
	s_cbranch_execnz .LBB67_1348
	s_branch .LBB67_1380
.LBB67_1311:
	s_mov_b32 s7, -1
	s_mov_b32 s6, 0
	s_mov_b32 s1, 0
                                        ; implicit-def: $vgpr8
	s_branch .LBB67_1329
.LBB67_1312:
	s_mov_b32 s7, -1
	s_mov_b32 s6, 0
	s_mov_b32 s1, 0
                                        ; implicit-def: $vgpr8
	s_branch .LBB67_1324
.LBB67_1313:
	s_or_b32 s4, s12, exec_lo
	s_trap 2
	s_cbranch_execz .LBB67_1248
	s_branch .LBB67_1249
.LBB67_1314:
	s_mov_b32 s7, -1
	s_mov_b32 s6, 0
	s_mov_b32 s1, 0
	s_branch .LBB67_1318
.LBB67_1315:
	s_andn2_saveexec_b32 s12, s12
	s_cbranch_execz .LBB67_1038
.LBB67_1316:
	v_add_f32_e64 v4, 0x42800000, |v0|
	s_andn2_b32 s9, s9, exec_lo
	v_and_b32_e32 v4, 0xff, v4
	v_cmp_ne_u32_e32 vcc_lo, 0, v4
	s_and_b32 s13, vcc_lo, exec_lo
	s_or_b32 s9, s9, s13
	s_or_b32 exec_lo, exec_lo, s12
	v_mov_b32_e32 v5, 0
	s_and_saveexec_b32 s12, s9
	s_cbranch_execnz .LBB67_1039
	s_branch .LBB67_1040
.LBB67_1317:
	s_mov_b32 s1, -1
	s_mov_b32 s6, 0
.LBB67_1318:
                                        ; implicit-def: $vgpr8
.LBB67_1319:
	s_and_b32 vcc_lo, exec_lo, s7
	s_cbranch_vccz .LBB67_1323
; %bb.1320:
	s_cmp_eq_u32 s0, 44
	s_cbranch_scc0 .LBB67_1322
; %bb.1321:
	global_load_ubyte v8, v[10:11], off
	s_mov_b32 s1, 0
	s_mov_b32 s6, -1
	s_waitcnt vmcnt(0)
	v_lshlrev_b32_e32 v12, 23, v8
	v_cmp_ne_u32_e32 vcc_lo, 0xff, v8
	v_cvt_f16_f32_e32 v12, v12
	v_cndmask_b32_e32 v12, 0x7e00, v12, vcc_lo
	v_cmp_ne_u32_e32 vcc_lo, 0, v8
	v_cndmask_b32_e32 v8, 0, v12, vcc_lo
	s_branch .LBB67_1323
.LBB67_1322:
	s_mov_b32 s1, -1
                                        ; implicit-def: $vgpr8
.LBB67_1323:
	s_mov_b32 s7, 0
.LBB67_1324:
	s_and_b32 vcc_lo, exec_lo, s7
	s_cbranch_vccz .LBB67_1328
; %bb.1325:
	s_cmp_eq_u32 s0, 29
	s_cbranch_scc0 .LBB67_1327
; %bb.1326:
	global_load_dwordx2 v[12:13], v[10:11], off
	s_mov_b32 s1, 0
	s_mov_b32 s6, -1
	s_mov_b32 s7, 0
	s_waitcnt vmcnt(0)
	v_ffbh_u32_e32 v8, v13
	v_min_u32_e32 v8, 32, v8
	v_lshlrev_b64 v[12:13], v8, v[12:13]
	v_sub_nc_u32_e32 v8, 32, v8
	v_min_u32_e32 v12, 1, v12
	v_or_b32_e32 v12, v13, v12
	v_cvt_f32_u32_e32 v12, v12
	v_ldexp_f32 v8, v12, v8
	v_cvt_f16_f32_e32 v8, v8
	s_branch .LBB67_1329
.LBB67_1327:
	s_mov_b32 s1, -1
                                        ; implicit-def: $vgpr8
.LBB67_1328:
	s_mov_b32 s7, 0
.LBB67_1329:
	s_and_b32 vcc_lo, exec_lo, s7
	s_cbranch_vccz .LBB67_1347
; %bb.1330:
	s_cmp_lt_i32 s0, 27
	s_cbranch_scc1 .LBB67_1333
; %bb.1331:
	s_cmp_gt_i32 s0, 27
	s_cbranch_scc0 .LBB67_1334
; %bb.1332:
	global_load_dword v8, v[10:11], off
	s_mov_b32 s6, 0
	s_waitcnt vmcnt(0)
	v_cvt_f32_u32_e32 v8, v8
	v_cvt_f16_f32_e32 v8, v8
	s_branch .LBB67_1335
.LBB67_1333:
	s_mov_b32 s6, -1
                                        ; implicit-def: $vgpr8
	s_branch .LBB67_1338
.LBB67_1334:
	s_mov_b32 s6, -1
                                        ; implicit-def: $vgpr8
.LBB67_1335:
	s_andn2_b32 vcc_lo, exec_lo, s6
	s_cbranch_vccnz .LBB67_1337
; %bb.1336:
	global_load_ushort v8, v[10:11], off
	s_waitcnt vmcnt(0)
	v_cvt_f16_u16_e32 v8, v8
.LBB67_1337:
	s_mov_b32 s6, 0
.LBB67_1338:
	s_andn2_b32 vcc_lo, exec_lo, s6
	s_cbranch_vccnz .LBB67_1346
; %bb.1339:
	global_load_ubyte v12, v[10:11], off
	s_mov_b32 s6, 0
	s_mov_b32 s7, exec_lo
	s_waitcnt vmcnt(0)
	v_cmpx_lt_i16_e32 0x7f, v12
	s_xor_b32 s7, exec_lo, s7
	s_cbranch_execz .LBB67_1359
; %bb.1340:
	s_mov_b32 s6, -1
	s_mov_b32 s14, exec_lo
	v_cmpx_eq_u16_e32 0x80, v12
; %bb.1341:
	s_xor_b32 s6, exec_lo, -1
; %bb.1342:
	s_or_b32 exec_lo, exec_lo, s14
	s_and_b32 s6, s6, exec_lo
	s_or_saveexec_b32 s7, s7
	v_mov_b32_e32 v8, 0x7e00
	s_xor_b32 exec_lo, exec_lo, s7
	s_cbranch_execnz .LBB67_1360
.LBB67_1343:
	s_or_b32 exec_lo, exec_lo, s7
	s_and_saveexec_b32 s7, s6
	s_cbranch_execz .LBB67_1345
.LBB67_1344:
	v_and_b32_e32 v8, 0xffff, v12
	v_lshlrev_b32_e32 v12, 24, v12
	v_and_b32_e32 v13, 7, v8
	v_bfe_u32 v16, v8, 3, 4
	v_and_b32_e32 v12, 0x80000000, v12
	v_ffbh_u32_e32 v14, v13
	v_cmp_eq_u32_e32 vcc_lo, 0, v16
	v_min_u32_e32 v14, 32, v14
	v_subrev_nc_u32_e32 v15, 28, v14
	v_sub_nc_u32_e32 v14, 29, v14
	v_lshlrev_b32_e32 v8, v15, v8
	v_cndmask_b32_e32 v14, v16, v14, vcc_lo
	v_and_b32_e32 v8, 7, v8
	v_cndmask_b32_e32 v8, v13, v8, vcc_lo
	v_lshl_add_u32 v13, v14, 23, 0x3b800000
	v_lshlrev_b32_e32 v8, 20, v8
	v_or3_b32 v8, v12, v13, v8
	v_cvt_f16_f32_e32 v8, v8
.LBB67_1345:
	s_or_b32 exec_lo, exec_lo, s7
.LBB67_1346:
	s_mov_b32 s6, -1
.LBB67_1347:
	s_branch .LBB67_1380
.LBB67_1348:
	s_cmp_gt_i32 s0, 22
	s_cbranch_scc0 .LBB67_1358
; %bb.1349:
	s_cmp_lt_i32 s0, 24
	s_cbranch_scc1 .LBB67_1361
; %bb.1350:
	s_cmp_gt_i32 s0, 24
	s_cbranch_scc0 .LBB67_1362
; %bb.1351:
	global_load_ubyte v12, v[10:11], off
	s_mov_b32 s6, exec_lo
	s_waitcnt vmcnt(0)
	v_cmpx_lt_i16_e32 0x7f, v12
	s_xor_b32 s6, exec_lo, s6
	s_cbranch_execz .LBB67_1374
; %bb.1352:
	s_mov_b32 s3, -1
	s_mov_b32 s7, exec_lo
	v_cmpx_eq_u16_e32 0x80, v12
; %bb.1353:
	s_xor_b32 s3, exec_lo, -1
; %bb.1354:
	s_or_b32 exec_lo, exec_lo, s7
	s_and_b32 s3, s3, exec_lo
	s_or_saveexec_b32 s6, s6
	v_mov_b32_e32 v8, 0x7e00
	s_xor_b32 exec_lo, exec_lo, s6
	s_cbranch_execnz .LBB67_1375
.LBB67_1355:
	s_or_b32 exec_lo, exec_lo, s6
	s_and_saveexec_b32 s6, s3
	s_cbranch_execz .LBB67_1357
.LBB67_1356:
	v_and_b32_e32 v8, 0xffff, v12
	v_lshlrev_b32_e32 v12, 24, v12
	v_and_b32_e32 v13, 3, v8
	v_bfe_u32 v16, v8, 2, 5
	v_and_b32_e32 v12, 0x80000000, v12
	v_ffbh_u32_e32 v14, v13
	v_cmp_eq_u32_e32 vcc_lo, 0, v16
	v_min_u32_e32 v14, 32, v14
	v_subrev_nc_u32_e32 v15, 29, v14
	v_sub_nc_u32_e32 v14, 30, v14
	v_lshlrev_b32_e32 v8, v15, v8
	v_cndmask_b32_e32 v14, v16, v14, vcc_lo
	v_and_b32_e32 v8, 3, v8
	v_cndmask_b32_e32 v8, v13, v8, vcc_lo
	v_lshl_add_u32 v13, v14, 23, 0x37800000
	v_lshlrev_b32_e32 v8, 21, v8
	v_or3_b32 v8, v12, v13, v8
	v_cvt_f16_f32_e32 v8, v8
.LBB67_1357:
	s_or_b32 exec_lo, exec_lo, s6
	s_mov_b32 s3, 0
	s_branch .LBB67_1363
.LBB67_1358:
	s_mov_b32 s3, -1
                                        ; implicit-def: $vgpr8
	s_branch .LBB67_1369
.LBB67_1359:
	s_or_saveexec_b32 s7, s7
	v_mov_b32_e32 v8, 0x7e00
	s_xor_b32 exec_lo, exec_lo, s7
	s_cbranch_execz .LBB67_1343
.LBB67_1360:
	v_cmp_ne_u16_e32 vcc_lo, 0, v12
	v_mov_b32_e32 v8, v12
	s_andn2_b32 s6, s6, exec_lo
	s_and_b32 s14, vcc_lo, exec_lo
	s_or_b32 s6, s6, s14
	s_or_b32 exec_lo, exec_lo, s7
	s_and_saveexec_b32 s7, s6
	s_cbranch_execnz .LBB67_1344
	s_branch .LBB67_1345
.LBB67_1361:
	s_mov_b32 s3, -1
                                        ; implicit-def: $vgpr8
	s_branch .LBB67_1366
.LBB67_1362:
	s_mov_b32 s3, -1
                                        ; implicit-def: $vgpr8
.LBB67_1363:
	s_and_b32 vcc_lo, exec_lo, s3
	s_cbranch_vccz .LBB67_1365
; %bb.1364:
	global_load_ubyte v8, v[10:11], off
	s_waitcnt vmcnt(0)
	v_lshlrev_b32_e32 v8, 24, v8
	v_and_b32_e32 v12, 0x7f000000, v8
	v_ffbh_u32_e32 v13, v12
	v_add_nc_u32_e32 v15, 0x1000000, v12
	v_cmp_ne_u32_e32 vcc_lo, 0, v12
	v_min_u32_e32 v13, 32, v13
	v_sub_nc_u32_e64 v13, v13, 4 clamp
	v_lshlrev_b32_e32 v14, v13, v12
	v_lshlrev_b32_e32 v13, 23, v13
	v_lshrrev_b32_e32 v14, 4, v14
	v_sub_nc_u32_e32 v13, v14, v13
	v_ashrrev_i32_e32 v14, 8, v15
	v_add_nc_u32_e32 v13, 0x3c000000, v13
	v_and_or_b32 v13, 0x7f800000, v14, v13
	v_cndmask_b32_e32 v12, 0, v13, vcc_lo
	v_and_or_b32 v8, 0x80000000, v8, v12
	v_cvt_f16_f32_e32 v8, v8
.LBB67_1365:
	s_mov_b32 s3, 0
.LBB67_1366:
	s_andn2_b32 vcc_lo, exec_lo, s3
	s_cbranch_vccnz .LBB67_1368
; %bb.1367:
	global_load_ubyte v8, v[10:11], off
	s_waitcnt vmcnt(0)
	v_lshlrev_b32_e32 v12, 25, v8
	v_lshlrev_b16 v8, 8, v8
	v_lshrrev_b32_e32 v13, 4, v12
	v_and_or_b32 v14, 0x7f00, v8, 0.5
	v_cmp_gt_u32_e32 vcc_lo, 0x8000000, v12
	v_bfe_i32 v8, v8, 0, 16
	v_or_b32_e32 v13, 0x70000000, v13
	v_add_f32_e32 v14, -0.5, v14
	v_mul_f32_e32 v13, 0x7800000, v13
	v_cndmask_b32_e32 v12, v13, v14, vcc_lo
	v_and_or_b32 v8, 0x80000000, v8, v12
	v_cvt_f16_f32_e32 v8, v8
.LBB67_1368:
	s_mov_b32 s3, 0
	s_mov_b32 s6, -1
.LBB67_1369:
	s_andn2_b32 vcc_lo, exec_lo, s3
	s_mov_b32 s3, 0
	s_cbranch_vccnz .LBB67_1380
; %bb.1370:
	s_cmp_gt_i32 s0, 14
	s_cbranch_scc0 .LBB67_1373
; %bb.1371:
	s_cmp_eq_u32 s0, 15
	s_cbranch_scc0 .LBB67_1376
; %bb.1372:
	global_load_ushort v8, v[10:11], off
	s_mov_b32 s1, 0
	s_mov_b32 s6, -1
	s_waitcnt vmcnt(0)
	v_lshlrev_b32_e32 v8, 16, v8
	v_cvt_f16_f32_e32 v8, v8
	s_branch .LBB67_1378
.LBB67_1373:
	s_mov_b32 s3, -1
	s_branch .LBB67_1377
.LBB67_1374:
	s_or_saveexec_b32 s6, s6
	v_mov_b32_e32 v8, 0x7e00
	s_xor_b32 exec_lo, exec_lo, s6
	s_cbranch_execz .LBB67_1355
.LBB67_1375:
	v_cmp_ne_u16_e32 vcc_lo, 0, v12
	v_mov_b32_e32 v8, v12
	s_andn2_b32 s3, s3, exec_lo
	s_and_b32 s7, vcc_lo, exec_lo
	s_or_b32 s3, s3, s7
	s_or_b32 exec_lo, exec_lo, s6
	s_and_saveexec_b32 s6, s3
	s_cbranch_execnz .LBB67_1356
	s_branch .LBB67_1357
.LBB67_1376:
	s_mov_b32 s1, -1
.LBB67_1377:
                                        ; implicit-def: $vgpr8
.LBB67_1378:
	s_and_b32 vcc_lo, exec_lo, s3
	s_mov_b32 s3, 0
	s_cbranch_vccz .LBB67_1380
; %bb.1379:
	s_cmp_lg_u32 s0, 11
	s_mov_b32 s3, -1
	s_cselect_b32 s1, -1, 0
.LBB67_1380:
	s_and_b32 vcc_lo, exec_lo, s1
	s_cbranch_vccnz .LBB67_1449
; %bb.1381:
	s_andn2_b32 vcc_lo, exec_lo, s3
	s_cbranch_vccnz .LBB67_1383
.LBB67_1382:
	global_load_ubyte v8, v[10:11], off
	s_mov_b32 s6, -1
	s_waitcnt vmcnt(0)
	v_cmp_ne_u16_e32 vcc_lo, 0, v8
	v_cndmask_b32_e64 v8, 0, 0x3c00, vcc_lo
.LBB67_1383:
	s_branch .LBB67_1309
.LBB67_1384:
	s_and_b32 s0, 0xffff, s2
	s_cmp_lt_i32 s0, 5
	s_cbranch_scc1 .LBB67_1389
; %bb.1385:
	s_cmp_lt_i32 s0, 8
	s_cbranch_scc1 .LBB67_1390
; %bb.1386:
	;; [unrolled: 3-line block ×3, first 2 shown]
	s_cmp_gt_i32 s0, 9
	s_cbranch_scc0 .LBB67_1392
; %bb.1388:
	global_load_dwordx2 v[12:13], v[10:11], off
	s_mov_b32 s1, 0
	s_waitcnt vmcnt(0)
	v_and_or_b32 v8, 0x1ff, v13, v12
	v_lshrrev_b32_e32 v12, 8, v13
	v_bfe_u32 v14, v13, 20, 11
	v_cmp_ne_u32_e32 vcc_lo, 0, v8
	v_sub_nc_u32_e32 v15, 0x3f1, v14
	v_add_nc_u32_e32 v14, 0xfffffc10, v14
	v_cndmask_b32_e64 v8, 0, 1, vcc_lo
	v_and_or_b32 v8, 0xffe, v12, v8
	v_med3_i32 v12, v15, 0, 13
	v_or_b32_e32 v15, 0x1000, v8
	v_lshrrev_b32_e32 v16, v12, v15
	v_lshlrev_b32_e32 v12, v12, v16
	v_cmp_ne_u32_e32 vcc_lo, v12, v15
	v_lshl_or_b32 v15, v14, 12, v8
	v_cndmask_b32_e64 v12, 0, 1, vcc_lo
	v_cmp_gt_i32_e32 vcc_lo, 1, v14
	v_or_b32_e32 v12, v16, v12
	v_cndmask_b32_e32 v12, v15, v12, vcc_lo
	v_and_b32_e32 v15, 7, v12
	v_lshrrev_b32_e32 v12, 2, v12
	v_cmp_lt_i32_e32 vcc_lo, 5, v15
	v_cndmask_b32_e64 v16, 0, 1, vcc_lo
	v_cmp_eq_u32_e32 vcc_lo, 3, v15
	v_cndmask_b32_e64 v15, 0, 1, vcc_lo
	v_cmp_ne_u32_e32 vcc_lo, 0, v8
	v_or_b32_e32 v15, v15, v16
	v_mov_b32_e32 v16, 0x7e00
	v_add_nc_u32_e32 v12, v12, v15
	v_cndmask_b32_e32 v8, 0x7c00, v16, vcc_lo
	v_cmp_gt_i32_e32 vcc_lo, 31, v14
	v_cndmask_b32_e32 v12, 0x7c00, v12, vcc_lo
	v_cmp_eq_u32_e32 vcc_lo, 0x40f, v14
	v_cndmask_b32_e32 v8, v12, v8, vcc_lo
	v_lshrrev_b32_e32 v12, 16, v13
	v_and_or_b32 v8, 0x8000, v12, v8
	s_branch .LBB67_1393
.LBB67_1389:
                                        ; implicit-def: $vgpr8
	s_branch .LBB67_1411
.LBB67_1390:
	s_mov_b32 s1, -1
                                        ; implicit-def: $vgpr8
	s_branch .LBB67_1399
.LBB67_1391:
	s_mov_b32 s1, -1
                                        ; implicit-def: $vgpr8
	s_branch .LBB67_1396
.LBB67_1392:
	s_mov_b32 s1, -1
                                        ; implicit-def: $vgpr8
.LBB67_1393:
	s_andn2_b32 vcc_lo, exec_lo, s1
	s_cbranch_vccnz .LBB67_1395
; %bb.1394:
	global_load_dword v8, v[10:11], off
	s_waitcnt vmcnt(0)
	v_cvt_f16_f32_e32 v8, v8
.LBB67_1395:
	s_mov_b32 s1, 0
.LBB67_1396:
	s_andn2_b32 vcc_lo, exec_lo, s1
	s_cbranch_vccnz .LBB67_1398
; %bb.1397:
	global_load_dword v8, v[10:11], off
.LBB67_1398:
	s_mov_b32 s1, 0
.LBB67_1399:
	s_andn2_b32 vcc_lo, exec_lo, s1
	s_cbranch_vccnz .LBB67_1410
; %bb.1400:
	s_cmp_lt_i32 s0, 6
	s_cbranch_scc1 .LBB67_1403
; %bb.1401:
	s_cmp_gt_i32 s0, 6
	s_cbranch_scc0 .LBB67_1404
; %bb.1402:
	global_load_dwordx2 v[12:13], v[10:11], off
	s_mov_b32 s1, 0
	s_waitcnt vmcnt(0)
	v_and_or_b32 v8, 0x1ff, v13, v12
	v_lshrrev_b32_e32 v12, 8, v13
	v_bfe_u32 v14, v13, 20, 11
	v_cmp_ne_u32_e32 vcc_lo, 0, v8
	v_sub_nc_u32_e32 v15, 0x3f1, v14
	v_add_nc_u32_e32 v14, 0xfffffc10, v14
	v_cndmask_b32_e64 v8, 0, 1, vcc_lo
	v_and_or_b32 v8, 0xffe, v12, v8
	v_med3_i32 v12, v15, 0, 13
	v_or_b32_e32 v15, 0x1000, v8
	v_lshrrev_b32_e32 v16, v12, v15
	v_lshlrev_b32_e32 v12, v12, v16
	v_cmp_ne_u32_e32 vcc_lo, v12, v15
	v_lshl_or_b32 v15, v14, 12, v8
	v_cndmask_b32_e64 v12, 0, 1, vcc_lo
	v_cmp_gt_i32_e32 vcc_lo, 1, v14
	v_or_b32_e32 v12, v16, v12
	v_cndmask_b32_e32 v12, v15, v12, vcc_lo
	v_and_b32_e32 v15, 7, v12
	v_lshrrev_b32_e32 v12, 2, v12
	v_cmp_lt_i32_e32 vcc_lo, 5, v15
	v_cndmask_b32_e64 v16, 0, 1, vcc_lo
	v_cmp_eq_u32_e32 vcc_lo, 3, v15
	v_cndmask_b32_e64 v15, 0, 1, vcc_lo
	v_cmp_ne_u32_e32 vcc_lo, 0, v8
	v_or_b32_e32 v15, v15, v16
	v_mov_b32_e32 v16, 0x7e00
	v_add_nc_u32_e32 v12, v12, v15
	v_cndmask_b32_e32 v8, 0x7c00, v16, vcc_lo
	v_cmp_gt_i32_e32 vcc_lo, 31, v14
	v_cndmask_b32_e32 v12, 0x7c00, v12, vcc_lo
	v_cmp_eq_u32_e32 vcc_lo, 0x40f, v14
	v_cndmask_b32_e32 v8, v12, v8, vcc_lo
	v_lshrrev_b32_e32 v12, 16, v13
	v_and_or_b32 v8, 0x8000, v12, v8
	s_branch .LBB67_1405
.LBB67_1403:
	s_mov_b32 s1, -1
                                        ; implicit-def: $vgpr8
	s_branch .LBB67_1408
.LBB67_1404:
	s_mov_b32 s1, -1
                                        ; implicit-def: $vgpr8
.LBB67_1405:
	s_andn2_b32 vcc_lo, exec_lo, s1
	s_cbranch_vccnz .LBB67_1407
; %bb.1406:
	global_load_dword v8, v[10:11], off
	s_waitcnt vmcnt(0)
	v_cvt_f16_f32_e32 v8, v8
.LBB67_1407:
	s_mov_b32 s1, 0
.LBB67_1408:
	s_andn2_b32 vcc_lo, exec_lo, s1
	s_cbranch_vccnz .LBB67_1410
; %bb.1409:
	global_load_ushort v8, v[10:11], off
.LBB67_1410:
	s_cbranch_execnz .LBB67_1430
.LBB67_1411:
	s_cmp_lt_i32 s0, 2
	s_cbranch_scc1 .LBB67_1415
; %bb.1412:
	s_cmp_lt_i32 s0, 3
	s_cbranch_scc1 .LBB67_1416
; %bb.1413:
	s_cmp_gt_i32 s0, 3
	s_cbranch_scc0 .LBB67_1417
; %bb.1414:
	global_load_dwordx2 v[12:13], v[10:11], off
	s_mov_b32 s1, 0
	s_waitcnt vmcnt(0)
	v_xor_b32_e32 v8, v12, v13
	v_ffbh_i32_e32 v14, v13
	v_ashrrev_i32_e32 v8, 31, v8
	v_add_nc_u32_e32 v14, -1, v14
	v_add_nc_u32_e32 v8, 32, v8
	v_min_u32_e32 v8, v14, v8
	v_lshlrev_b64 v[12:13], v8, v[12:13]
	v_sub_nc_u32_e32 v8, 32, v8
	v_min_u32_e32 v12, 1, v12
	v_or_b32_e32 v12, v13, v12
	v_cvt_f32_i32_e32 v12, v12
	v_ldexp_f32 v8, v12, v8
	v_cvt_f16_f32_e32 v8, v8
	s_branch .LBB67_1418
.LBB67_1415:
	s_mov_b32 s1, -1
                                        ; implicit-def: $vgpr8
	s_branch .LBB67_1424
.LBB67_1416:
	s_mov_b32 s1, -1
                                        ; implicit-def: $vgpr8
	s_branch .LBB67_1421
.LBB67_1417:
	s_mov_b32 s1, -1
                                        ; implicit-def: $vgpr8
.LBB67_1418:
	s_andn2_b32 vcc_lo, exec_lo, s1
	s_cbranch_vccnz .LBB67_1420
; %bb.1419:
	global_load_dword v8, v[10:11], off
	s_waitcnt vmcnt(0)
	v_cvt_f32_i32_e32 v8, v8
	v_cvt_f16_f32_e32 v8, v8
.LBB67_1420:
	s_mov_b32 s1, 0
.LBB67_1421:
	s_andn2_b32 vcc_lo, exec_lo, s1
	s_cbranch_vccnz .LBB67_1423
; %bb.1422:
	global_load_ushort v8, v[10:11], off
	s_waitcnt vmcnt(0)
	v_cvt_f16_i16_e32 v8, v8
.LBB67_1423:
	s_mov_b32 s1, 0
.LBB67_1424:
	s_andn2_b32 vcc_lo, exec_lo, s1
	s_cbranch_vccnz .LBB67_1430
; %bb.1425:
	s_cmp_gt_i32 s0, 0
	s_mov_b32 s0, 0
	s_cbranch_scc0 .LBB67_1427
; %bb.1426:
	global_load_sbyte v8, v[10:11], off
	s_waitcnt vmcnt(0)
	v_cvt_f16_i16_e32 v8, v8
	s_branch .LBB67_1428
.LBB67_1427:
	s_mov_b32 s0, -1
                                        ; implicit-def: $vgpr8
.LBB67_1428:
	s_andn2_b32 vcc_lo, exec_lo, s0
	s_cbranch_vccnz .LBB67_1430
; %bb.1429:
	global_load_ubyte v8, v[10:11], off
	s_waitcnt vmcnt(0)
	v_cvt_f16_u16_e32 v8, v8
.LBB67_1430:
.LBB67_1431:
	s_waitcnt vmcnt(0)
	v_cvt_f32_f16_e32 v10, v8
	v_mov_b32_e32 v12, 0
	v_mov_b32_e32 v11, 1.0
	s_mov_b32 s3, exec_lo
	v_cmpx_gt_f16_e32 0.5, v8
	s_cbranch_execz .LBB67_1437
; %bb.1432:
	v_mul_f32_e32 v8, 0x40490fdb, v10
                                        ; implicit-def: $vgpr13
                                        ; implicit-def: $vgpr12
	s_mov_b32 s1, exec_lo
	v_and_b32_e32 v11, 0x7fffffff, v8
	v_cmpx_ngt_f32_e64 0x48000000, |v8|
	s_xor_b32 s6, exec_lo, s1
	s_cbranch_execz .LBB67_1434
; %bb.1433:
	s_mov_b32 s0, 0x7fffff
	v_mov_b32_e32 v14, 0
	v_and_or_b32 v21, v11, s0, 0x800000
	v_lshrrev_b32_e32 v19, 23, v11
	v_mad_u64_u32 v[12:13], null, 0xfe5163ab, v21, 0
	v_add_nc_u32_e32 v20, 0xffffff88, v19
	v_cmp_lt_u32_e32 vcc_lo, 63, v20
	v_mad_u64_u32 v[15:16], null, 0x3c439041, v21, v[13:14]
	v_cndmask_b32_e64 v22, 0, 0xffffffc0, vcc_lo
	v_mov_b32_e32 v13, v16
	v_add_nc_u32_e32 v22, v22, v20
	v_mad_u64_u32 v[16:17], null, 0xdb629599, v21, v[13:14]
	v_cmp_lt_u32_e64 s0, 31, v22
	v_cndmask_b32_e64 v23, 0, 0xffffffe0, s0
	v_mov_b32_e32 v13, v17
	v_cndmask_b32_e32 v12, v16, v12, vcc_lo
	v_mad_u64_u32 v[17:18], null, 0xf534ddc0, v21, v[13:14]
	v_mov_b32_e32 v13, v18
	v_cndmask_b32_e32 v15, v17, v15, vcc_lo
	v_mad_u64_u32 v[18:19], null, 0xfc2757d1, v21, v[13:14]
	v_cndmask_b32_e64 v12, v15, v12, s0
	v_mov_b32_e32 v13, v19
	v_mad_u64_u32 v[19:20], null, 0x4e441529, v21, v[13:14]
	v_mov_b32_e32 v13, v20
	v_add_nc_u32_e32 v20, v23, v22
	v_cndmask_b32_e32 v22, v19, v17, vcc_lo
	v_mad_u64_u32 v[13:14], null, 0xa2f9836e, v21, v[13:14]
	v_cmp_lt_u32_e64 s1, 31, v20
	v_cndmask_b32_e64 v21, 0, 0xffffffe0, s1
	v_cndmask_b32_e32 v13, v13, v18, vcc_lo
	v_cndmask_b32_e32 v14, v14, v19, vcc_lo
	;; [unrolled: 1-line block ×3, first 2 shown]
	v_add_nc_u32_e32 v19, v21, v20
	v_cndmask_b32_e64 v17, v13, v22, s0
	v_cndmask_b32_e64 v13, v14, v13, s0
	v_cndmask_b32_e64 v14, v22, v18, s0
	v_cndmask_b32_e64 v18, v18, v15, s0
	v_sub_nc_u32_e32 v20, 32, v19
	v_cmp_eq_u32_e32 vcc_lo, 0, v19
	v_cndmask_b32_e64 v13, v13, v17, s1
	v_cndmask_b32_e64 v17, v17, v14, s1
	;; [unrolled: 1-line block ×4, first 2 shown]
	v_alignbit_b32 v21, v13, v17, v20
	v_alignbit_b32 v16, v17, v14, v20
	;; [unrolled: 1-line block ×3, first 2 shown]
	v_cndmask_b32_e32 v13, v21, v13, vcc_lo
	v_cndmask_b32_e32 v15, v16, v17, vcc_lo
	v_cndmask_b32_e32 v14, v19, v14, vcc_lo
	v_bfe_u32 v16, v13, 29, 1
	v_alignbit_b32 v17, v13, v15, 30
	v_alignbit_b32 v15, v15, v14, 30
	;; [unrolled: 1-line block ×3, first 2 shown]
	v_sub_nc_u32_e32 v18, 0, v16
	v_xor_b32_e32 v17, v17, v18
	v_xor_b32_e32 v14, v15, v18
	;; [unrolled: 1-line block ×3, first 2 shown]
	v_lshrrev_b32_e32 v18, 29, v13
	v_lshrrev_b32_e32 v13, 30, v13
	v_ffbh_u32_e32 v19, v17
	v_add_nc_u32_e32 v13, v16, v13
	v_min_u32_e32 v19, 32, v19
	v_sub_nc_u32_e32 v15, 31, v19
	v_lshlrev_b32_e32 v20, 23, v19
	v_alignbit_b32 v17, v17, v14, v15
	v_alignbit_b32 v12, v14, v12, v15
	v_lshlrev_b32_e32 v14, 31, v18
	v_alignbit_b32 v15, v17, v12, 9
	v_or_b32_e32 v18, 0.5, v14
	v_lshrrev_b32_e32 v17, 9, v17
	v_or_b32_e32 v14, 0x33000000, v14
	v_ffbh_u32_e32 v21, v15
	v_sub_nc_u32_e32 v18, v18, v20
	v_min_u32_e32 v20, 32, v21
	v_or_b32_e32 v17, v17, v18
	v_not_b32_e32 v18, v20
	v_mul_f32_e32 v21, 0x3fc90fda, v17
	v_add_lshl_u32 v19, v20, v19, 23
	v_alignbit_b32 v12, v15, v12, v18
	v_fma_f32 v15, 0x3fc90fda, v17, -v21
	v_sub_nc_u32_e32 v14, v14, v19
	v_lshrrev_b32_e32 v12, 9, v12
	v_fmamk_f32 v15, v17, 0x33a22168, v15
	v_or_b32_e32 v12, v14, v12
	v_fmac_f32_e32 v15, 0x3fc90fda, v12
	v_add_f32_e32 v12, v21, v15
.LBB67_1434:
	s_andn2_saveexec_b32 s0, s6
; %bb.1435:
	v_mul_f32_e64 v12, 0x3f22f983, |v8|
	v_rndne_f32_e32 v13, v12
	v_fma_f32 v12, 0xbfc90fda, v13, |v8|
	v_fmamk_f32 v12, v13, 0xb3a22168, v12
	v_fmamk_f32 v12, v13, 0xa7c234c4, v12
	v_cvt_i32_f32_e32 v13, v13
; %bb.1436:
	s_or_b32 exec_lo, exec_lo, s0
	v_mul_f32_e32 v14, v12, v12
	s_mov_b32 s0, 0xb94c1982
	s_mov_b32 s1, 0x37d75334
	v_and_b32_e32 v17, 1, v13
	v_lshlrev_b32_e32 v13, 30, v13
	v_fmaak_f32 v15, s0, v14, 0x3c0881c4
	v_fmaak_f32 v16, s1, v14, 0xbab64f3b
	v_xor_b32_e32 v11, v11, v8
	v_cmp_eq_u32_e32 vcc_lo, 0, v17
	v_and_b32_e32 v13, 0x80000000, v13
	v_fmaak_f32 v15, v14, v15, 0xbe2aaa9d
	v_fmaak_f32 v16, v14, v16, 0x3d2aabf7
	v_sub_f32_e32 v10, 1.0, v10
	v_mul_f32_e32 v15, v14, v15
	v_fmaak_f32 v16, v14, v16, 0xbf000004
	v_fmac_f32_e32 v12, v12, v15
	v_fma_f32 v14, v14, v16, 1.0
	v_cndmask_b32_e32 v12, v14, v12, vcc_lo
	v_cmp_class_f32_e64 vcc_lo, v8, 0x1f8
	v_xor3_b32 v11, v11, v13, v12
	v_cndmask_b32_e32 v8, 0x7fc00000, v11, vcc_lo
	v_mul_f32_e32 v8, v8, v8
	v_div_scale_f32 v11, null, v8, v8, 0xc11de9e7
	v_div_scale_f32 v14, vcc_lo, 0xc11de9e7, v8, 0xc11de9e7
	v_rcp_f32_e32 v12, v11
	v_fma_f32 v13, -v11, v12, 1.0
	v_fmac_f32_e32 v12, v13, v12
	v_mul_f32_e32 v13, v14, v12
	v_fma_f32 v15, -v11, v13, v14
	v_fmac_f32_e32 v13, v15, v12
	v_fma_f32 v11, -v11, v13, v14
	v_div_fmas_f32 v11, v11, v12, v13
	v_div_fixup_f32 v8, v11, v8, 0xc11de9e7
	v_mov_b32_e32 v11, -1.0
	v_add_f32_e32 v12, 0, v8
.LBB67_1437:
	s_or_b32 exec_lo, exec_lo, s3
	v_add_co_u32 v8, s0, s10, v9
	v_add_co_ci_u32_e64 v9, null, s11, 0, s0
	s_cmp_lt_i32 s2, 11
	s_cbranch_scc1 .LBB67_1444
; %bb.1438:
	s_and_b32 s0, 0xffff, s2
	s_mov_b32 s3, 0
	s_cmp_gt_i32 s0, 25
	s_cbranch_scc0 .LBB67_1446
; %bb.1439:
	s_cmp_gt_i32 s0, 28
	s_cbranch_scc0 .LBB67_1447
; %bb.1440:
	;; [unrolled: 3-line block ×4, first 2 shown]
	s_cmp_eq_u32 s0, 46
	s_mov_b32 s7, 0
	s_cbranch_scc0 .LBB67_1451
; %bb.1443:
	global_load_dword v13, v[8:9], off
	s_mov_b32 s1, 0
	s_mov_b32 s6, -1
	s_waitcnt vmcnt(0)
	v_lshlrev_b32_e32 v13, 16, v13
	v_cvt_f16_f32_e32 v13, v13
	s_branch .LBB67_1453
.LBB67_1444:
	s_mov_b32 s6, 0
                                        ; implicit-def: $vgpr13
	s_cbranch_execnz .LBB67_1519
.LBB67_1445:
	s_andn2_b32 vcc_lo, exec_lo, s6
	s_cbranch_vccnz .LBB67_2143
	s_branch .LBB67_1567
.LBB67_1446:
	s_mov_b32 s7, -1
	s_mov_b32 s6, 0
	s_mov_b32 s1, 0
                                        ; implicit-def: $vgpr13
	s_branch .LBB67_1482
.LBB67_1447:
	s_mov_b32 s7, -1
	s_mov_b32 s6, 0
	s_mov_b32 s1, 0
                                        ; implicit-def: $vgpr13
	s_branch .LBB67_1463
.LBB67_1448:
	s_mov_b32 s7, -1
	s_mov_b32 s6, 0
	s_mov_b32 s1, 0
                                        ; implicit-def: $vgpr13
	s_branch .LBB67_1458
.LBB67_1449:
	s_or_b32 s4, s4, exec_lo
	s_trap 2
	s_cbranch_execz .LBB67_1382
	s_branch .LBB67_1383
.LBB67_1450:
	s_mov_b32 s7, -1
	s_mov_b32 s6, 0
	s_mov_b32 s1, 0
	s_branch .LBB67_1452
.LBB67_1451:
	s_mov_b32 s1, -1
	s_mov_b32 s6, 0
.LBB67_1452:
                                        ; implicit-def: $vgpr13
.LBB67_1453:
	s_and_b32 vcc_lo, exec_lo, s7
	s_cbranch_vccz .LBB67_1457
; %bb.1454:
	s_cmp_eq_u32 s0, 44
	s_cbranch_scc0 .LBB67_1456
; %bb.1455:
	global_load_ubyte v13, v[8:9], off
	s_mov_b32 s1, 0
	s_mov_b32 s6, -1
	s_waitcnt vmcnt(0)
	v_lshlrev_b32_e32 v14, 23, v13
	v_cmp_ne_u32_e32 vcc_lo, 0xff, v13
	v_cvt_f16_f32_e32 v14, v14
	v_cndmask_b32_e32 v14, 0x7e00, v14, vcc_lo
	v_cmp_ne_u32_e32 vcc_lo, 0, v13
	v_cndmask_b32_e32 v13, 0, v14, vcc_lo
	s_branch .LBB67_1457
.LBB67_1456:
	s_mov_b32 s1, -1
                                        ; implicit-def: $vgpr13
.LBB67_1457:
	s_mov_b32 s7, 0
.LBB67_1458:
	s_and_b32 vcc_lo, exec_lo, s7
	s_cbranch_vccz .LBB67_1462
; %bb.1459:
	s_cmp_eq_u32 s0, 29
	s_cbranch_scc0 .LBB67_1461
; %bb.1460:
	global_load_dwordx2 v[13:14], v[8:9], off
	s_mov_b32 s1, 0
	s_mov_b32 s6, -1
	s_mov_b32 s7, 0
	s_waitcnt vmcnt(0)
	v_ffbh_u32_e32 v15, v14
	v_min_u32_e32 v15, 32, v15
	v_lshlrev_b64 v[13:14], v15, v[13:14]
	v_min_u32_e32 v13, 1, v13
	v_or_b32_e32 v13, v14, v13
	v_sub_nc_u32_e32 v14, 32, v15
	v_cvt_f32_u32_e32 v13, v13
	v_ldexp_f32 v13, v13, v14
	v_cvt_f16_f32_e32 v13, v13
	s_branch .LBB67_1463
.LBB67_1461:
	s_mov_b32 s1, -1
                                        ; implicit-def: $vgpr13
.LBB67_1462:
	s_mov_b32 s7, 0
.LBB67_1463:
	s_and_b32 vcc_lo, exec_lo, s7
	s_cbranch_vccz .LBB67_1481
; %bb.1464:
	s_cmp_lt_i32 s0, 27
	s_cbranch_scc1 .LBB67_1467
; %bb.1465:
	s_cmp_gt_i32 s0, 27
	s_cbranch_scc0 .LBB67_1468
; %bb.1466:
	global_load_dword v13, v[8:9], off
	s_mov_b32 s6, 0
	s_waitcnt vmcnt(0)
	v_cvt_f32_u32_e32 v13, v13
	v_cvt_f16_f32_e32 v13, v13
	s_branch .LBB67_1469
.LBB67_1467:
	s_mov_b32 s6, -1
                                        ; implicit-def: $vgpr13
	s_branch .LBB67_1472
.LBB67_1468:
	s_mov_b32 s6, -1
                                        ; implicit-def: $vgpr13
.LBB67_1469:
	s_andn2_b32 vcc_lo, exec_lo, s6
	s_cbranch_vccnz .LBB67_1471
; %bb.1470:
	global_load_ushort v13, v[8:9], off
	s_waitcnt vmcnt(0)
	v_cvt_f16_u16_e32 v13, v13
.LBB67_1471:
	s_mov_b32 s6, 0
.LBB67_1472:
	s_andn2_b32 vcc_lo, exec_lo, s6
	s_cbranch_vccnz .LBB67_1480
; %bb.1473:
	global_load_ubyte v14, v[8:9], off
	s_mov_b32 s6, 0
	s_mov_b32 s7, exec_lo
	s_waitcnt vmcnt(0)
	v_cmpx_lt_i16_e32 0x7f, v14
	s_xor_b32 s7, exec_lo, s7
	s_cbranch_execz .LBB67_1494
; %bb.1474:
	s_mov_b32 s6, -1
	s_mov_b32 s14, exec_lo
	v_cmpx_eq_u16_e32 0x80, v14
; %bb.1475:
	s_xor_b32 s6, exec_lo, -1
; %bb.1476:
	s_or_b32 exec_lo, exec_lo, s14
	s_and_b32 s6, s6, exec_lo
	s_or_saveexec_b32 s7, s7
	v_mov_b32_e32 v13, 0x7e00
	s_xor_b32 exec_lo, exec_lo, s7
	s_cbranch_execnz .LBB67_1495
.LBB67_1477:
	s_or_b32 exec_lo, exec_lo, s7
	s_and_saveexec_b32 s7, s6
	s_cbranch_execz .LBB67_1479
.LBB67_1478:
	v_and_b32_e32 v13, 0xffff, v14
	v_lshlrev_b32_e32 v14, 24, v14
	v_and_b32_e32 v15, 7, v13
	v_bfe_u32 v18, v13, 3, 4
	v_and_b32_e32 v14, 0x80000000, v14
	v_ffbh_u32_e32 v16, v15
	v_cmp_eq_u32_e32 vcc_lo, 0, v18
	v_min_u32_e32 v16, 32, v16
	v_subrev_nc_u32_e32 v17, 28, v16
	v_sub_nc_u32_e32 v16, 29, v16
	v_lshlrev_b32_e32 v13, v17, v13
	v_cndmask_b32_e32 v16, v18, v16, vcc_lo
	v_and_b32_e32 v13, 7, v13
	v_cndmask_b32_e32 v13, v15, v13, vcc_lo
	v_lshl_add_u32 v15, v16, 23, 0x3b800000
	v_lshlrev_b32_e32 v13, 20, v13
	v_or3_b32 v13, v14, v15, v13
	v_cvt_f16_f32_e32 v13, v13
.LBB67_1479:
	s_or_b32 exec_lo, exec_lo, s7
.LBB67_1480:
	s_mov_b32 s6, -1
.LBB67_1481:
	s_mov_b32 s7, 0
.LBB67_1482:
	s_and_b32 vcc_lo, exec_lo, s7
	s_cbranch_vccz .LBB67_1515
; %bb.1483:
	s_cmp_gt_i32 s0, 22
	s_cbranch_scc0 .LBB67_1493
; %bb.1484:
	s_cmp_lt_i32 s0, 24
	s_cbranch_scc1 .LBB67_1496
; %bb.1485:
	s_cmp_gt_i32 s0, 24
	s_cbranch_scc0 .LBB67_1497
; %bb.1486:
	global_load_ubyte v14, v[8:9], off
	s_mov_b32 s6, exec_lo
	s_waitcnt vmcnt(0)
	v_cmpx_lt_i16_e32 0x7f, v14
	s_xor_b32 s6, exec_lo, s6
	s_cbranch_execz .LBB67_1509
; %bb.1487:
	s_mov_b32 s3, -1
	s_mov_b32 s7, exec_lo
	v_cmpx_eq_u16_e32 0x80, v14
; %bb.1488:
	s_xor_b32 s3, exec_lo, -1
; %bb.1489:
	s_or_b32 exec_lo, exec_lo, s7
	s_and_b32 s3, s3, exec_lo
	s_or_saveexec_b32 s6, s6
	v_mov_b32_e32 v13, 0x7e00
	s_xor_b32 exec_lo, exec_lo, s6
	s_cbranch_execnz .LBB67_1510
.LBB67_1490:
	s_or_b32 exec_lo, exec_lo, s6
	s_and_saveexec_b32 s6, s3
	s_cbranch_execz .LBB67_1492
.LBB67_1491:
	v_and_b32_e32 v13, 0xffff, v14
	v_lshlrev_b32_e32 v14, 24, v14
	v_and_b32_e32 v15, 3, v13
	v_bfe_u32 v18, v13, 2, 5
	v_and_b32_e32 v14, 0x80000000, v14
	v_ffbh_u32_e32 v16, v15
	v_cmp_eq_u32_e32 vcc_lo, 0, v18
	v_min_u32_e32 v16, 32, v16
	v_subrev_nc_u32_e32 v17, 29, v16
	v_sub_nc_u32_e32 v16, 30, v16
	v_lshlrev_b32_e32 v13, v17, v13
	v_cndmask_b32_e32 v16, v18, v16, vcc_lo
	v_and_b32_e32 v13, 3, v13
	v_cndmask_b32_e32 v13, v15, v13, vcc_lo
	v_lshl_add_u32 v15, v16, 23, 0x37800000
	v_lshlrev_b32_e32 v13, 21, v13
	v_or3_b32 v13, v14, v15, v13
	v_cvt_f16_f32_e32 v13, v13
.LBB67_1492:
	s_or_b32 exec_lo, exec_lo, s6
	s_mov_b32 s3, 0
	s_branch .LBB67_1498
.LBB67_1493:
	s_mov_b32 s3, -1
                                        ; implicit-def: $vgpr13
	s_branch .LBB67_1504
.LBB67_1494:
	s_or_saveexec_b32 s7, s7
	v_mov_b32_e32 v13, 0x7e00
	s_xor_b32 exec_lo, exec_lo, s7
	s_cbranch_execz .LBB67_1477
.LBB67_1495:
	v_cmp_ne_u16_e32 vcc_lo, 0, v14
	v_mov_b32_e32 v13, v14
	s_andn2_b32 s6, s6, exec_lo
	s_and_b32 s14, vcc_lo, exec_lo
	s_or_b32 s6, s6, s14
	s_or_b32 exec_lo, exec_lo, s7
	s_and_saveexec_b32 s7, s6
	s_cbranch_execnz .LBB67_1478
	s_branch .LBB67_1479
.LBB67_1496:
	s_mov_b32 s3, -1
                                        ; implicit-def: $vgpr13
	s_branch .LBB67_1501
.LBB67_1497:
	s_mov_b32 s3, -1
                                        ; implicit-def: $vgpr13
.LBB67_1498:
	s_and_b32 vcc_lo, exec_lo, s3
	s_cbranch_vccz .LBB67_1500
; %bb.1499:
	global_load_ubyte v13, v[8:9], off
	s_waitcnt vmcnt(0)
	v_lshlrev_b32_e32 v13, 24, v13
	v_and_b32_e32 v14, 0x7f000000, v13
	v_ffbh_u32_e32 v15, v14
	v_add_nc_u32_e32 v17, 0x1000000, v14
	v_cmp_ne_u32_e32 vcc_lo, 0, v14
	v_min_u32_e32 v15, 32, v15
	v_sub_nc_u32_e64 v15, v15, 4 clamp
	v_lshlrev_b32_e32 v16, v15, v14
	v_lshlrev_b32_e32 v15, 23, v15
	v_lshrrev_b32_e32 v16, 4, v16
	v_sub_nc_u32_e32 v15, v16, v15
	v_ashrrev_i32_e32 v16, 8, v17
	v_add_nc_u32_e32 v15, 0x3c000000, v15
	v_and_or_b32 v15, 0x7f800000, v16, v15
	v_cndmask_b32_e32 v14, 0, v15, vcc_lo
	v_and_or_b32 v13, 0x80000000, v13, v14
	v_cvt_f16_f32_e32 v13, v13
.LBB67_1500:
	s_mov_b32 s3, 0
.LBB67_1501:
	s_andn2_b32 vcc_lo, exec_lo, s3
	s_cbranch_vccnz .LBB67_1503
; %bb.1502:
	global_load_ubyte v13, v[8:9], off
	s_waitcnt vmcnt(0)
	v_lshlrev_b32_e32 v14, 25, v13
	v_lshlrev_b16 v13, 8, v13
	v_lshrrev_b32_e32 v15, 4, v14
	v_and_or_b32 v16, 0x7f00, v13, 0.5
	v_cmp_gt_u32_e32 vcc_lo, 0x8000000, v14
	v_bfe_i32 v13, v13, 0, 16
	v_or_b32_e32 v15, 0x70000000, v15
	v_add_f32_e32 v16, -0.5, v16
	v_mul_f32_e32 v15, 0x7800000, v15
	v_cndmask_b32_e32 v14, v15, v16, vcc_lo
	v_and_or_b32 v13, 0x80000000, v13, v14
	v_cvt_f16_f32_e32 v13, v13
.LBB67_1503:
	s_mov_b32 s3, 0
	s_mov_b32 s6, -1
.LBB67_1504:
	s_andn2_b32 vcc_lo, exec_lo, s3
	s_mov_b32 s3, 0
	s_cbranch_vccnz .LBB67_1515
; %bb.1505:
	s_cmp_gt_i32 s0, 14
	s_cbranch_scc0 .LBB67_1508
; %bb.1506:
	s_cmp_eq_u32 s0, 15
	s_cbranch_scc0 .LBB67_1511
; %bb.1507:
	global_load_ushort v13, v[8:9], off
	s_mov_b32 s1, 0
	s_mov_b32 s6, -1
	s_waitcnt vmcnt(0)
	v_lshlrev_b32_e32 v13, 16, v13
	v_cvt_f16_f32_e32 v13, v13
	s_branch .LBB67_1513
.LBB67_1508:
	s_mov_b32 s3, -1
	s_branch .LBB67_1512
.LBB67_1509:
	s_or_saveexec_b32 s6, s6
	v_mov_b32_e32 v13, 0x7e00
	s_xor_b32 exec_lo, exec_lo, s6
	s_cbranch_execz .LBB67_1490
.LBB67_1510:
	v_cmp_ne_u16_e32 vcc_lo, 0, v14
	v_mov_b32_e32 v13, v14
	s_andn2_b32 s3, s3, exec_lo
	s_and_b32 s7, vcc_lo, exec_lo
	s_or_b32 s3, s3, s7
	s_or_b32 exec_lo, exec_lo, s6
	s_and_saveexec_b32 s6, s3
	s_cbranch_execnz .LBB67_1491
	s_branch .LBB67_1492
.LBB67_1511:
	s_mov_b32 s1, -1
.LBB67_1512:
                                        ; implicit-def: $vgpr13
.LBB67_1513:
	s_and_b32 vcc_lo, exec_lo, s3
	s_mov_b32 s3, 0
	s_cbranch_vccz .LBB67_1515
; %bb.1514:
	s_cmp_lg_u32 s0, 11
	s_mov_b32 s3, -1
	s_cselect_b32 s1, -1, 0
.LBB67_1515:
	s_and_b32 vcc_lo, exec_lo, s1
	s_cbranch_vccnz .LBB67_1584
; %bb.1516:
	s_andn2_b32 vcc_lo, exec_lo, s3
	s_cbranch_vccnz .LBB67_1518
.LBB67_1517:
	global_load_ubyte v13, v[8:9], off
	s_mov_b32 s6, -1
	s_waitcnt vmcnt(0)
	v_cmp_ne_u16_e32 vcc_lo, 0, v13
	v_cndmask_b32_e64 v13, 0, 0x3c00, vcc_lo
.LBB67_1518:
	s_branch .LBB67_1445
.LBB67_1519:
	s_and_b32 s0, 0xffff, s2
	s_cmp_lt_i32 s0, 5
	s_cbranch_scc1 .LBB67_1524
; %bb.1520:
	s_cmp_lt_i32 s0, 8
	s_cbranch_scc1 .LBB67_1525
; %bb.1521:
	;; [unrolled: 3-line block ×3, first 2 shown]
	s_cmp_gt_i32 s0, 9
	s_cbranch_scc0 .LBB67_1527
; %bb.1523:
	global_load_dwordx2 v[13:14], v[8:9], off
	s_mov_b32 s1, 0
	s_waitcnt vmcnt(0)
	v_and_or_b32 v13, 0x1ff, v14, v13
	v_lshrrev_b32_e32 v15, 8, v14
	v_bfe_u32 v16, v14, 20, 11
	v_lshrrev_b32_e32 v14, 16, v14
	v_cmp_ne_u32_e32 vcc_lo, 0, v13
	v_sub_nc_u32_e32 v17, 0x3f1, v16
	v_add_nc_u32_e32 v16, 0xfffffc10, v16
	v_cndmask_b32_e64 v13, 0, 1, vcc_lo
	v_and_or_b32 v13, 0xffe, v15, v13
	v_med3_i32 v15, v17, 0, 13
	v_or_b32_e32 v17, 0x1000, v13
	v_lshrrev_b32_e32 v18, v15, v17
	v_lshlrev_b32_e32 v15, v15, v18
	v_cmp_ne_u32_e32 vcc_lo, v15, v17
	v_lshl_or_b32 v17, v16, 12, v13
	v_cndmask_b32_e64 v15, 0, 1, vcc_lo
	v_cmp_gt_i32_e32 vcc_lo, 1, v16
	v_or_b32_e32 v15, v18, v15
	v_cndmask_b32_e32 v15, v17, v15, vcc_lo
	v_and_b32_e32 v17, 7, v15
	v_lshrrev_b32_e32 v15, 2, v15
	v_cmp_lt_i32_e32 vcc_lo, 5, v17
	v_cndmask_b32_e64 v18, 0, 1, vcc_lo
	v_cmp_eq_u32_e32 vcc_lo, 3, v17
	v_cndmask_b32_e64 v17, 0, 1, vcc_lo
	v_cmp_ne_u32_e32 vcc_lo, 0, v13
	v_or_b32_e32 v17, v17, v18
	v_mov_b32_e32 v18, 0x7e00
	v_add_nc_u32_e32 v15, v15, v17
	v_cndmask_b32_e32 v13, 0x7c00, v18, vcc_lo
	v_cmp_gt_i32_e32 vcc_lo, 31, v16
	v_cndmask_b32_e32 v15, 0x7c00, v15, vcc_lo
	v_cmp_eq_u32_e32 vcc_lo, 0x40f, v16
	v_cndmask_b32_e32 v13, v15, v13, vcc_lo
	v_and_or_b32 v13, 0x8000, v14, v13
	s_branch .LBB67_1528
.LBB67_1524:
	s_mov_b32 s1, -1
                                        ; implicit-def: $vgpr13
	s_branch .LBB67_1546
.LBB67_1525:
	s_mov_b32 s1, -1
                                        ; implicit-def: $vgpr13
	s_branch .LBB67_1534
.LBB67_1526:
	s_mov_b32 s1, -1
                                        ; implicit-def: $vgpr13
	s_branch .LBB67_1531
.LBB67_1527:
	s_mov_b32 s1, -1
                                        ; implicit-def: $vgpr13
.LBB67_1528:
	s_andn2_b32 vcc_lo, exec_lo, s1
	s_cbranch_vccnz .LBB67_1530
; %bb.1529:
	global_load_dword v13, v[8:9], off
	s_waitcnt vmcnt(0)
	v_cvt_f16_f32_e32 v13, v13
.LBB67_1530:
	s_mov_b32 s1, 0
.LBB67_1531:
	s_andn2_b32 vcc_lo, exec_lo, s1
	s_cbranch_vccnz .LBB67_1533
; %bb.1532:
	global_load_dword v13, v[8:9], off
.LBB67_1533:
	s_mov_b32 s1, 0
.LBB67_1534:
	s_andn2_b32 vcc_lo, exec_lo, s1
	s_cbranch_vccnz .LBB67_1545
; %bb.1535:
	s_cmp_lt_i32 s0, 6
	s_cbranch_scc1 .LBB67_1538
; %bb.1536:
	s_cmp_gt_i32 s0, 6
	s_cbranch_scc0 .LBB67_1539
; %bb.1537:
	global_load_dwordx2 v[13:14], v[8:9], off
	s_mov_b32 s1, 0
	s_waitcnt vmcnt(0)
	v_and_or_b32 v13, 0x1ff, v14, v13
	v_lshrrev_b32_e32 v15, 8, v14
	v_bfe_u32 v16, v14, 20, 11
	v_lshrrev_b32_e32 v14, 16, v14
	v_cmp_ne_u32_e32 vcc_lo, 0, v13
	v_sub_nc_u32_e32 v17, 0x3f1, v16
	v_add_nc_u32_e32 v16, 0xfffffc10, v16
	v_cndmask_b32_e64 v13, 0, 1, vcc_lo
	v_and_or_b32 v13, 0xffe, v15, v13
	v_med3_i32 v15, v17, 0, 13
	v_or_b32_e32 v17, 0x1000, v13
	v_lshrrev_b32_e32 v18, v15, v17
	v_lshlrev_b32_e32 v15, v15, v18
	v_cmp_ne_u32_e32 vcc_lo, v15, v17
	v_lshl_or_b32 v17, v16, 12, v13
	v_cndmask_b32_e64 v15, 0, 1, vcc_lo
	v_cmp_gt_i32_e32 vcc_lo, 1, v16
	v_or_b32_e32 v15, v18, v15
	v_cndmask_b32_e32 v15, v17, v15, vcc_lo
	v_and_b32_e32 v17, 7, v15
	v_lshrrev_b32_e32 v15, 2, v15
	v_cmp_lt_i32_e32 vcc_lo, 5, v17
	v_cndmask_b32_e64 v18, 0, 1, vcc_lo
	v_cmp_eq_u32_e32 vcc_lo, 3, v17
	v_cndmask_b32_e64 v17, 0, 1, vcc_lo
	v_cmp_ne_u32_e32 vcc_lo, 0, v13
	v_or_b32_e32 v17, v17, v18
	v_mov_b32_e32 v18, 0x7e00
	v_add_nc_u32_e32 v15, v15, v17
	v_cndmask_b32_e32 v13, 0x7c00, v18, vcc_lo
	v_cmp_gt_i32_e32 vcc_lo, 31, v16
	v_cndmask_b32_e32 v15, 0x7c00, v15, vcc_lo
	v_cmp_eq_u32_e32 vcc_lo, 0x40f, v16
	v_cndmask_b32_e32 v13, v15, v13, vcc_lo
	v_and_or_b32 v13, 0x8000, v14, v13
	s_branch .LBB67_1540
.LBB67_1538:
	s_mov_b32 s1, -1
                                        ; implicit-def: $vgpr13
	s_branch .LBB67_1543
.LBB67_1539:
	s_mov_b32 s1, -1
                                        ; implicit-def: $vgpr13
.LBB67_1540:
	s_andn2_b32 vcc_lo, exec_lo, s1
	s_cbranch_vccnz .LBB67_1542
; %bb.1541:
	global_load_dword v13, v[8:9], off
	s_waitcnt vmcnt(0)
	v_cvt_f16_f32_e32 v13, v13
.LBB67_1542:
	s_mov_b32 s1, 0
.LBB67_1543:
	s_andn2_b32 vcc_lo, exec_lo, s1
	s_cbranch_vccnz .LBB67_1545
; %bb.1544:
	global_load_ushort v13, v[8:9], off
.LBB67_1545:
	s_mov_b32 s1, 0
.LBB67_1546:
	s_andn2_b32 vcc_lo, exec_lo, s1
	s_cbranch_vccnz .LBB67_1566
; %bb.1547:
	s_cmp_lt_i32 s0, 2
	s_cbranch_scc1 .LBB67_1551
; %bb.1548:
	s_cmp_lt_i32 s0, 3
	s_cbranch_scc1 .LBB67_1552
; %bb.1549:
	s_cmp_gt_i32 s0, 3
	s_cbranch_scc0 .LBB67_1553
; %bb.1550:
	global_load_dwordx2 v[13:14], v[8:9], off
	s_mov_b32 s1, 0
	s_waitcnt vmcnt(0)
	v_xor_b32_e32 v15, v13, v14
	v_ffbh_i32_e32 v16, v14
	v_ashrrev_i32_e32 v15, 31, v15
	v_add_nc_u32_e32 v16, -1, v16
	v_add_nc_u32_e32 v15, 32, v15
	v_min_u32_e32 v15, v16, v15
	v_lshlrev_b64 v[13:14], v15, v[13:14]
	v_min_u32_e32 v13, 1, v13
	v_or_b32_e32 v13, v14, v13
	v_sub_nc_u32_e32 v14, 32, v15
	v_cvt_f32_i32_e32 v13, v13
	v_ldexp_f32 v13, v13, v14
	v_cvt_f16_f32_e32 v13, v13
	s_branch .LBB67_1554
.LBB67_1551:
	s_mov_b32 s1, -1
                                        ; implicit-def: $vgpr13
	s_branch .LBB67_1560
.LBB67_1552:
	s_mov_b32 s1, -1
                                        ; implicit-def: $vgpr13
	s_branch .LBB67_1557
.LBB67_1553:
	s_mov_b32 s1, -1
                                        ; implicit-def: $vgpr13
.LBB67_1554:
	s_andn2_b32 vcc_lo, exec_lo, s1
	s_cbranch_vccnz .LBB67_1556
; %bb.1555:
	global_load_dword v13, v[8:9], off
	s_waitcnt vmcnt(0)
	v_cvt_f32_i32_e32 v13, v13
	v_cvt_f16_f32_e32 v13, v13
.LBB67_1556:
	s_mov_b32 s1, 0
.LBB67_1557:
	s_andn2_b32 vcc_lo, exec_lo, s1
	s_cbranch_vccnz .LBB67_1559
; %bb.1558:
	global_load_ushort v13, v[8:9], off
	s_waitcnt vmcnt(0)
	v_cvt_f16_i16_e32 v13, v13
.LBB67_1559:
	s_mov_b32 s1, 0
.LBB67_1560:
	s_andn2_b32 vcc_lo, exec_lo, s1
	s_cbranch_vccnz .LBB67_1566
; %bb.1561:
	s_cmp_gt_i32 s0, 0
	s_mov_b32 s0, 0
	s_cbranch_scc0 .LBB67_1563
; %bb.1562:
	global_load_sbyte v13, v[8:9], off
	s_waitcnt vmcnt(0)
	v_cvt_f16_i16_e32 v13, v13
	s_branch .LBB67_1564
.LBB67_1563:
	s_mov_b32 s0, -1
                                        ; implicit-def: $vgpr13
.LBB67_1564:
	s_andn2_b32 vcc_lo, exec_lo, s0
	s_cbranch_vccnz .LBB67_1566
; %bb.1565:
	global_load_ubyte v8, v[8:9], off
	s_waitcnt vmcnt(0)
	v_cvt_f16_u16_e32 v13, v8
.LBB67_1566:
.LBB67_1567:
	s_waitcnt vmcnt(0)
	v_cvt_f32_f16_e32 v9, v13
	v_cmp_gt_f16_e32 vcc_lo, 0.5, v13
	v_mov_b32_e32 v14, 0
	v_mov_b32_e32 v13, 1.0
	s_and_saveexec_b32 s3, vcc_lo
	s_cbranch_execz .LBB67_1573
; %bb.1568:
	v_mul_f32_e32 v8, 0x40490fdb, v9
                                        ; implicit-def: $vgpr15
                                        ; implicit-def: $vgpr14
	s_mov_b32 s1, exec_lo
	v_and_b32_e32 v13, 0x7fffffff, v8
	v_cmpx_ngt_f32_e64 0x48000000, |v8|
	s_xor_b32 s6, exec_lo, s1
	s_cbranch_execz .LBB67_1570
; %bb.1569:
	s_mov_b32 s0, 0x7fffff
	v_mov_b32_e32 v16, 0
	v_and_or_b32 v23, v13, s0, 0x800000
	v_lshrrev_b32_e32 v21, 23, v13
	v_mad_u64_u32 v[14:15], null, 0xfe5163ab, v23, 0
	v_add_nc_u32_e32 v22, 0xffffff88, v21
	v_cmp_lt_u32_e32 vcc_lo, 63, v22
	v_mad_u64_u32 v[17:18], null, 0x3c439041, v23, v[15:16]
	v_cndmask_b32_e64 v24, 0, 0xffffffc0, vcc_lo
	v_mov_b32_e32 v15, v18
	v_add_nc_u32_e32 v24, v24, v22
	v_mad_u64_u32 v[18:19], null, 0xdb629599, v23, v[15:16]
	v_cmp_lt_u32_e64 s0, 31, v24
	v_cndmask_b32_e64 v25, 0, 0xffffffe0, s0
	v_mov_b32_e32 v15, v19
	v_cndmask_b32_e32 v14, v18, v14, vcc_lo
	v_mad_u64_u32 v[19:20], null, 0xf534ddc0, v23, v[15:16]
	v_mov_b32_e32 v15, v20
	v_cndmask_b32_e32 v17, v19, v17, vcc_lo
	v_mad_u64_u32 v[20:21], null, 0xfc2757d1, v23, v[15:16]
	v_cndmask_b32_e64 v14, v17, v14, s0
	v_mov_b32_e32 v15, v21
	v_mad_u64_u32 v[21:22], null, 0x4e441529, v23, v[15:16]
	v_mov_b32_e32 v15, v22
	v_add_nc_u32_e32 v22, v25, v24
	v_cndmask_b32_e32 v24, v21, v19, vcc_lo
	v_mad_u64_u32 v[15:16], null, 0xa2f9836e, v23, v[15:16]
	v_cmp_lt_u32_e64 s1, 31, v22
	v_cndmask_b32_e64 v23, 0, 0xffffffe0, s1
	v_cndmask_b32_e32 v15, v15, v20, vcc_lo
	v_cndmask_b32_e32 v16, v16, v21, vcc_lo
	;; [unrolled: 1-line block ×3, first 2 shown]
	v_add_nc_u32_e32 v21, v23, v22
	v_cndmask_b32_e64 v19, v15, v24, s0
	v_cndmask_b32_e64 v15, v16, v15, s0
	;; [unrolled: 1-line block ×4, first 2 shown]
	v_sub_nc_u32_e32 v22, 32, v21
	v_cmp_eq_u32_e32 vcc_lo, 0, v21
	v_cndmask_b32_e64 v15, v15, v19, s1
	v_cndmask_b32_e64 v19, v19, v16, s1
	;; [unrolled: 1-line block ×4, first 2 shown]
	v_alignbit_b32 v23, v15, v19, v22
	v_alignbit_b32 v18, v19, v16, v22
	;; [unrolled: 1-line block ×3, first 2 shown]
	v_cndmask_b32_e32 v15, v23, v15, vcc_lo
	v_cndmask_b32_e32 v17, v18, v19, vcc_lo
	;; [unrolled: 1-line block ×3, first 2 shown]
	v_bfe_u32 v18, v15, 29, 1
	v_alignbit_b32 v19, v15, v17, 30
	v_alignbit_b32 v17, v17, v16, 30
	v_alignbit_b32 v14, v16, v14, 30
	v_sub_nc_u32_e32 v20, 0, v18
	v_xor_b32_e32 v19, v19, v20
	v_xor_b32_e32 v16, v17, v20
	v_xor_b32_e32 v14, v14, v20
	v_lshrrev_b32_e32 v20, 29, v15
	v_lshrrev_b32_e32 v15, 30, v15
	v_ffbh_u32_e32 v21, v19
	v_add_nc_u32_e32 v15, v18, v15
	v_min_u32_e32 v21, 32, v21
	v_sub_nc_u32_e32 v17, 31, v21
	v_lshlrev_b32_e32 v22, 23, v21
	v_alignbit_b32 v19, v19, v16, v17
	v_alignbit_b32 v14, v16, v14, v17
	v_lshlrev_b32_e32 v16, 31, v20
	v_alignbit_b32 v17, v19, v14, 9
	v_or_b32_e32 v20, 0.5, v16
	v_lshrrev_b32_e32 v19, 9, v19
	v_or_b32_e32 v16, 0x33000000, v16
	v_ffbh_u32_e32 v23, v17
	v_sub_nc_u32_e32 v20, v20, v22
	v_min_u32_e32 v22, 32, v23
	v_or_b32_e32 v19, v19, v20
	v_not_b32_e32 v20, v22
	v_mul_f32_e32 v23, 0x3fc90fda, v19
	v_add_lshl_u32 v21, v22, v21, 23
	v_alignbit_b32 v14, v17, v14, v20
	v_fma_f32 v17, 0x3fc90fda, v19, -v23
	v_sub_nc_u32_e32 v16, v16, v21
	v_lshrrev_b32_e32 v14, 9, v14
	v_fmamk_f32 v17, v19, 0x33a22168, v17
	v_or_b32_e32 v14, v16, v14
	v_fmac_f32_e32 v17, 0x3fc90fda, v14
	v_add_f32_e32 v14, v23, v17
.LBB67_1570:
	s_andn2_saveexec_b32 s0, s6
; %bb.1571:
	v_mul_f32_e64 v14, 0x3f22f983, |v8|
	v_rndne_f32_e32 v15, v14
	v_fma_f32 v14, 0xbfc90fda, v15, |v8|
	v_fmamk_f32 v14, v15, 0xb3a22168, v14
	v_fmamk_f32 v14, v15, 0xa7c234c4, v14
	v_cvt_i32_f32_e32 v15, v15
; %bb.1572:
	s_or_b32 exec_lo, exec_lo, s0
	v_mul_f32_e32 v16, v14, v14
	s_mov_b32 s0, 0xb94c1982
	s_mov_b32 s1, 0x37d75334
	v_and_b32_e32 v19, 1, v15
	v_lshlrev_b32_e32 v15, 30, v15
	v_fmaak_f32 v17, s0, v16, 0x3c0881c4
	v_fmaak_f32 v18, s1, v16, 0xbab64f3b
	v_xor_b32_e32 v13, v13, v8
	v_cmp_eq_u32_e32 vcc_lo, 0, v19
	v_and_b32_e32 v15, 0x80000000, v15
	v_fmaak_f32 v17, v16, v17, 0xbe2aaa9d
	v_fmaak_f32 v18, v16, v18, 0x3d2aabf7
	v_sub_f32_e32 v9, 1.0, v9
	v_mul_f32_e32 v17, v16, v17
	v_fmaak_f32 v18, v16, v18, 0xbf000004
	v_fmac_f32_e32 v14, v14, v17
	v_fma_f32 v16, v16, v18, 1.0
	v_cndmask_b32_e32 v14, v16, v14, vcc_lo
	v_cmp_class_f32_e64 vcc_lo, v8, 0x1f8
	v_xor3_b32 v13, v13, v15, v14
	v_cndmask_b32_e32 v8, 0x7fc00000, v13, vcc_lo
	v_mul_f32_e32 v8, v8, v8
	v_div_scale_f32 v13, null, v8, v8, 0xc11de9e7
	v_div_scale_f32 v16, vcc_lo, 0xc11de9e7, v8, 0xc11de9e7
	v_rcp_f32_e32 v14, v13
	v_fma_f32 v15, -v13, v14, 1.0
	v_fmac_f32_e32 v14, v15, v14
	v_mul_f32_e32 v15, v16, v14
	v_fma_f32 v17, -v13, v15, v16
	v_fmac_f32_e32 v15, v17, v14
	v_fma_f32 v13, -v13, v15, v16
	v_div_fmas_f32 v13, v13, v14, v15
	v_div_fixup_f32 v8, v13, v8, 0xc11de9e7
	v_mov_b32_e32 v13, -1.0
	v_add_f32_e32 v14, 0, v8
.LBB67_1573:
	s_or_b32 exec_lo, exec_lo, s3
	v_add_co_u32 v7, s0, s10, v7
	v_add_co_ci_u32_e64 v8, null, s11, 0, s0
	s_cmp_lt_i32 s2, 11
	s_cbranch_scc1 .LBB67_1580
; %bb.1574:
	s_and_b32 s0, 0xffff, s2
	s_mov_b32 s3, 0
	s_cmp_gt_i32 s0, 25
	s_cbranch_scc0 .LBB67_1581
; %bb.1575:
	s_cmp_gt_i32 s0, 28
	s_cbranch_scc0 .LBB67_1582
; %bb.1576:
	s_cmp_gt_i32 s0, 43
	s_cbranch_scc0 .LBB67_1583
; %bb.1577:
	s_cmp_gt_i32 s0, 45
	s_cbranch_scc0 .LBB67_1585
; %bb.1578:
	s_cmp_eq_u32 s0, 46
	s_mov_b32 s7, 0
	s_cbranch_scc0 .LBB67_1586
; %bb.1579:
	global_load_dword v15, v[7:8], off
	s_mov_b32 s1, 0
	s_mov_b32 s6, -1
	s_waitcnt vmcnt(0)
	v_lshlrev_b32_e32 v15, 16, v15
	v_cvt_f16_f32_e32 v15, v15
	s_branch .LBB67_1588
.LBB67_1580:
	s_mov_b32 s0, -1
	s_mov_b32 s6, 0
                                        ; implicit-def: $vgpr15
	s_branch .LBB67_1654
.LBB67_1581:
	s_mov_b32 s7, -1
	s_mov_b32 s6, 0
	s_mov_b32 s1, 0
                                        ; implicit-def: $vgpr15
	s_branch .LBB67_1617
.LBB67_1582:
	s_mov_b32 s7, -1
	s_mov_b32 s6, 0
	s_mov_b32 s1, 0
                                        ; implicit-def: $vgpr15
	s_branch .LBB67_1598
.LBB67_1583:
	s_mov_b32 s7, -1
	s_mov_b32 s6, 0
	s_mov_b32 s1, 0
                                        ; implicit-def: $vgpr15
	s_branch .LBB67_1593
.LBB67_1584:
	s_or_b32 s4, s4, exec_lo
	s_trap 2
	s_cbranch_execz .LBB67_1517
	s_branch .LBB67_1518
.LBB67_1585:
	s_mov_b32 s7, -1
	s_mov_b32 s6, 0
	s_mov_b32 s1, 0
	s_branch .LBB67_1587
.LBB67_1586:
	s_mov_b32 s1, -1
	s_mov_b32 s6, 0
.LBB67_1587:
                                        ; implicit-def: $vgpr15
.LBB67_1588:
	s_and_b32 vcc_lo, exec_lo, s7
	s_cbranch_vccz .LBB67_1592
; %bb.1589:
	s_cmp_eq_u32 s0, 44
	s_cbranch_scc0 .LBB67_1591
; %bb.1590:
	global_load_ubyte v15, v[7:8], off
	s_mov_b32 s1, 0
	s_mov_b32 s6, -1
	s_waitcnt vmcnt(0)
	v_lshlrev_b32_e32 v16, 23, v15
	v_cmp_ne_u32_e32 vcc_lo, 0xff, v15
	v_cvt_f16_f32_e32 v16, v16
	v_cndmask_b32_e32 v16, 0x7e00, v16, vcc_lo
	v_cmp_ne_u32_e32 vcc_lo, 0, v15
	v_cndmask_b32_e32 v15, 0, v16, vcc_lo
	s_branch .LBB67_1592
.LBB67_1591:
	s_mov_b32 s1, -1
                                        ; implicit-def: $vgpr15
.LBB67_1592:
	s_mov_b32 s7, 0
.LBB67_1593:
	s_and_b32 vcc_lo, exec_lo, s7
	s_cbranch_vccz .LBB67_1597
; %bb.1594:
	s_cmp_eq_u32 s0, 29
	s_cbranch_scc0 .LBB67_1596
; %bb.1595:
	global_load_dwordx2 v[15:16], v[7:8], off
	s_mov_b32 s1, 0
	s_mov_b32 s6, -1
	s_mov_b32 s7, 0
	s_waitcnt vmcnt(0)
	v_ffbh_u32_e32 v17, v16
	v_min_u32_e32 v17, 32, v17
	v_lshlrev_b64 v[15:16], v17, v[15:16]
	v_min_u32_e32 v15, 1, v15
	v_or_b32_e32 v15, v16, v15
	v_sub_nc_u32_e32 v16, 32, v17
	v_cvt_f32_u32_e32 v15, v15
	v_ldexp_f32 v15, v15, v16
	v_cvt_f16_f32_e32 v15, v15
	s_branch .LBB67_1598
.LBB67_1596:
	s_mov_b32 s1, -1
                                        ; implicit-def: $vgpr15
.LBB67_1597:
	s_mov_b32 s7, 0
.LBB67_1598:
	s_and_b32 vcc_lo, exec_lo, s7
	s_cbranch_vccz .LBB67_1616
; %bb.1599:
	s_cmp_lt_i32 s0, 27
	s_cbranch_scc1 .LBB67_1602
; %bb.1600:
	s_cmp_gt_i32 s0, 27
	s_cbranch_scc0 .LBB67_1603
; %bb.1601:
	global_load_dword v15, v[7:8], off
	s_mov_b32 s6, 0
	s_waitcnt vmcnt(0)
	v_cvt_f32_u32_e32 v15, v15
	v_cvt_f16_f32_e32 v15, v15
	s_branch .LBB67_1604
.LBB67_1602:
	s_mov_b32 s6, -1
                                        ; implicit-def: $vgpr15
	s_branch .LBB67_1607
.LBB67_1603:
	s_mov_b32 s6, -1
                                        ; implicit-def: $vgpr15
.LBB67_1604:
	s_andn2_b32 vcc_lo, exec_lo, s6
	s_cbranch_vccnz .LBB67_1606
; %bb.1605:
	global_load_ushort v15, v[7:8], off
	s_waitcnt vmcnt(0)
	v_cvt_f16_u16_e32 v15, v15
.LBB67_1606:
	s_mov_b32 s6, 0
.LBB67_1607:
	s_andn2_b32 vcc_lo, exec_lo, s6
	s_cbranch_vccnz .LBB67_1615
; %bb.1608:
	global_load_ubyte v16, v[7:8], off
	s_mov_b32 s6, 0
	s_mov_b32 s7, exec_lo
	s_waitcnt vmcnt(0)
	v_cmpx_lt_i16_e32 0x7f, v16
	s_xor_b32 s7, exec_lo, s7
	s_cbranch_execz .LBB67_1629
; %bb.1609:
	s_mov_b32 s6, -1
	s_mov_b32 s10, exec_lo
	v_cmpx_eq_u16_e32 0x80, v16
; %bb.1610:
	s_xor_b32 s6, exec_lo, -1
; %bb.1611:
	s_or_b32 exec_lo, exec_lo, s10
	s_and_b32 s6, s6, exec_lo
	s_or_saveexec_b32 s7, s7
	v_mov_b32_e32 v15, 0x7e00
	s_xor_b32 exec_lo, exec_lo, s7
	s_cbranch_execnz .LBB67_1630
.LBB67_1612:
	s_or_b32 exec_lo, exec_lo, s7
	s_and_saveexec_b32 s7, s6
	s_cbranch_execz .LBB67_1614
.LBB67_1613:
	v_and_b32_e32 v15, 0xffff, v16
	v_lshlrev_b32_e32 v16, 24, v16
	v_and_b32_e32 v17, 7, v15
	v_bfe_u32 v20, v15, 3, 4
	v_and_b32_e32 v16, 0x80000000, v16
	v_ffbh_u32_e32 v18, v17
	v_cmp_eq_u32_e32 vcc_lo, 0, v20
	v_min_u32_e32 v18, 32, v18
	v_subrev_nc_u32_e32 v19, 28, v18
	v_sub_nc_u32_e32 v18, 29, v18
	v_lshlrev_b32_e32 v15, v19, v15
	v_cndmask_b32_e32 v18, v20, v18, vcc_lo
	v_and_b32_e32 v15, 7, v15
	v_cndmask_b32_e32 v15, v17, v15, vcc_lo
	v_lshl_add_u32 v17, v18, 23, 0x3b800000
	v_lshlrev_b32_e32 v15, 20, v15
	v_or3_b32 v15, v16, v17, v15
	v_cvt_f16_f32_e32 v15, v15
.LBB67_1614:
	s_or_b32 exec_lo, exec_lo, s7
.LBB67_1615:
	s_mov_b32 s6, -1
.LBB67_1616:
	s_mov_b32 s7, 0
.LBB67_1617:
	s_and_b32 vcc_lo, exec_lo, s7
	s_cbranch_vccz .LBB67_1650
; %bb.1618:
	s_cmp_gt_i32 s0, 22
	s_cbranch_scc0 .LBB67_1628
; %bb.1619:
	s_cmp_lt_i32 s0, 24
	s_cbranch_scc1 .LBB67_1631
; %bb.1620:
	s_cmp_gt_i32 s0, 24
	s_cbranch_scc0 .LBB67_1632
; %bb.1621:
	global_load_ubyte v16, v[7:8], off
	s_mov_b32 s6, exec_lo
	s_waitcnt vmcnt(0)
	v_cmpx_lt_i16_e32 0x7f, v16
	s_xor_b32 s6, exec_lo, s6
	s_cbranch_execz .LBB67_1644
; %bb.1622:
	s_mov_b32 s3, -1
	s_mov_b32 s7, exec_lo
	v_cmpx_eq_u16_e32 0x80, v16
; %bb.1623:
	s_xor_b32 s3, exec_lo, -1
; %bb.1624:
	s_or_b32 exec_lo, exec_lo, s7
	s_and_b32 s3, s3, exec_lo
	s_or_saveexec_b32 s6, s6
	v_mov_b32_e32 v15, 0x7e00
	s_xor_b32 exec_lo, exec_lo, s6
	s_cbranch_execnz .LBB67_1645
.LBB67_1625:
	s_or_b32 exec_lo, exec_lo, s6
	s_and_saveexec_b32 s6, s3
	s_cbranch_execz .LBB67_1627
.LBB67_1626:
	v_and_b32_e32 v15, 0xffff, v16
	v_lshlrev_b32_e32 v16, 24, v16
	v_and_b32_e32 v17, 3, v15
	v_bfe_u32 v20, v15, 2, 5
	v_and_b32_e32 v16, 0x80000000, v16
	v_ffbh_u32_e32 v18, v17
	v_cmp_eq_u32_e32 vcc_lo, 0, v20
	v_min_u32_e32 v18, 32, v18
	v_subrev_nc_u32_e32 v19, 29, v18
	v_sub_nc_u32_e32 v18, 30, v18
	v_lshlrev_b32_e32 v15, v19, v15
	v_cndmask_b32_e32 v18, v20, v18, vcc_lo
	v_and_b32_e32 v15, 3, v15
	v_cndmask_b32_e32 v15, v17, v15, vcc_lo
	v_lshl_add_u32 v17, v18, 23, 0x37800000
	v_lshlrev_b32_e32 v15, 21, v15
	v_or3_b32 v15, v16, v17, v15
	v_cvt_f16_f32_e32 v15, v15
.LBB67_1627:
	s_or_b32 exec_lo, exec_lo, s6
	s_mov_b32 s3, 0
	s_branch .LBB67_1633
.LBB67_1628:
	s_mov_b32 s3, -1
                                        ; implicit-def: $vgpr15
	s_branch .LBB67_1639
.LBB67_1629:
	s_or_saveexec_b32 s7, s7
	v_mov_b32_e32 v15, 0x7e00
	s_xor_b32 exec_lo, exec_lo, s7
	s_cbranch_execz .LBB67_1612
.LBB67_1630:
	v_cmp_ne_u16_e32 vcc_lo, 0, v16
	v_mov_b32_e32 v15, v16
	s_andn2_b32 s6, s6, exec_lo
	s_and_b32 s10, vcc_lo, exec_lo
	s_or_b32 s6, s6, s10
	s_or_b32 exec_lo, exec_lo, s7
	s_and_saveexec_b32 s7, s6
	s_cbranch_execnz .LBB67_1613
	s_branch .LBB67_1614
.LBB67_1631:
	s_mov_b32 s3, -1
                                        ; implicit-def: $vgpr15
	s_branch .LBB67_1636
.LBB67_1632:
	s_mov_b32 s3, -1
                                        ; implicit-def: $vgpr15
.LBB67_1633:
	s_and_b32 vcc_lo, exec_lo, s3
	s_cbranch_vccz .LBB67_1635
; %bb.1634:
	global_load_ubyte v15, v[7:8], off
	s_waitcnt vmcnt(0)
	v_lshlrev_b32_e32 v15, 24, v15
	v_and_b32_e32 v16, 0x7f000000, v15
	v_ffbh_u32_e32 v17, v16
	v_add_nc_u32_e32 v19, 0x1000000, v16
	v_cmp_ne_u32_e32 vcc_lo, 0, v16
	v_min_u32_e32 v17, 32, v17
	v_sub_nc_u32_e64 v17, v17, 4 clamp
	v_lshlrev_b32_e32 v18, v17, v16
	v_lshlrev_b32_e32 v17, 23, v17
	v_lshrrev_b32_e32 v18, 4, v18
	v_sub_nc_u32_e32 v17, v18, v17
	v_ashrrev_i32_e32 v18, 8, v19
	v_add_nc_u32_e32 v17, 0x3c000000, v17
	v_and_or_b32 v17, 0x7f800000, v18, v17
	v_cndmask_b32_e32 v16, 0, v17, vcc_lo
	v_and_or_b32 v15, 0x80000000, v15, v16
	v_cvt_f16_f32_e32 v15, v15
.LBB67_1635:
	s_mov_b32 s3, 0
.LBB67_1636:
	s_andn2_b32 vcc_lo, exec_lo, s3
	s_cbranch_vccnz .LBB67_1638
; %bb.1637:
	global_load_ubyte v15, v[7:8], off
	s_waitcnt vmcnt(0)
	v_lshlrev_b32_e32 v16, 25, v15
	v_lshlrev_b16 v15, 8, v15
	v_lshrrev_b32_e32 v17, 4, v16
	v_and_or_b32 v18, 0x7f00, v15, 0.5
	v_cmp_gt_u32_e32 vcc_lo, 0x8000000, v16
	v_bfe_i32 v15, v15, 0, 16
	v_or_b32_e32 v17, 0x70000000, v17
	v_add_f32_e32 v18, -0.5, v18
	v_mul_f32_e32 v17, 0x7800000, v17
	v_cndmask_b32_e32 v16, v17, v18, vcc_lo
	v_and_or_b32 v15, 0x80000000, v15, v16
	v_cvt_f16_f32_e32 v15, v15
.LBB67_1638:
	s_mov_b32 s3, 0
	s_mov_b32 s6, -1
.LBB67_1639:
	s_andn2_b32 vcc_lo, exec_lo, s3
	s_mov_b32 s3, 0
	s_cbranch_vccnz .LBB67_1650
; %bb.1640:
	s_cmp_gt_i32 s0, 14
	s_cbranch_scc0 .LBB67_1643
; %bb.1641:
	s_cmp_eq_u32 s0, 15
	s_cbranch_scc0 .LBB67_1646
; %bb.1642:
	global_load_ushort v15, v[7:8], off
	s_mov_b32 s1, 0
	s_mov_b32 s6, -1
	s_waitcnt vmcnt(0)
	v_lshlrev_b32_e32 v15, 16, v15
	v_cvt_f16_f32_e32 v15, v15
	s_branch .LBB67_1648
.LBB67_1643:
	s_mov_b32 s3, -1
	s_branch .LBB67_1647
.LBB67_1644:
	s_or_saveexec_b32 s6, s6
	v_mov_b32_e32 v15, 0x7e00
	s_xor_b32 exec_lo, exec_lo, s6
	s_cbranch_execz .LBB67_1625
.LBB67_1645:
	v_cmp_ne_u16_e32 vcc_lo, 0, v16
	v_mov_b32_e32 v15, v16
	s_andn2_b32 s3, s3, exec_lo
	s_and_b32 s7, vcc_lo, exec_lo
	s_or_b32 s3, s3, s7
	s_or_b32 exec_lo, exec_lo, s6
	s_and_saveexec_b32 s6, s3
	s_cbranch_execnz .LBB67_1626
	s_branch .LBB67_1627
.LBB67_1646:
	s_mov_b32 s1, -1
.LBB67_1647:
                                        ; implicit-def: $vgpr15
.LBB67_1648:
	s_and_b32 vcc_lo, exec_lo, s3
	s_mov_b32 s3, 0
	s_cbranch_vccz .LBB67_1650
; %bb.1649:
	s_cmp_lg_u32 s0, 11
	s_mov_b32 s3, -1
	s_cselect_b32 s1, -1, 0
.LBB67_1650:
	s_and_b32 vcc_lo, exec_lo, s1
	s_cbranch_vccnz .LBB67_2189
; %bb.1651:
	s_andn2_b32 vcc_lo, exec_lo, s3
	s_cbranch_vccnz .LBB67_1653
.LBB67_1652:
	global_load_ubyte v15, v[7:8], off
	s_mov_b32 s6, -1
	s_waitcnt vmcnt(0)
	v_cmp_ne_u16_e32 vcc_lo, 0, v15
	v_cndmask_b32_e64 v15, 0, 0x3c00, vcc_lo
.LBB67_1653:
	s_mov_b32 s0, 0
.LBB67_1654:
	s_and_b32 vcc_lo, exec_lo, s0
	s_cbranch_vccz .LBB67_1703
; %bb.1655:
	s_and_b32 s0, 0xffff, s2
	s_cmp_lt_i32 s0, 5
	s_cbranch_scc1 .LBB67_1660
; %bb.1656:
	s_cmp_lt_i32 s0, 8
	s_cbranch_scc1 .LBB67_1661
; %bb.1657:
	;; [unrolled: 3-line block ×3, first 2 shown]
	s_cmp_gt_i32 s0, 9
	s_cbranch_scc0 .LBB67_1663
; %bb.1659:
	global_load_dwordx2 v[15:16], v[7:8], off
	s_mov_b32 s1, 0
	s_waitcnt vmcnt(0)
	v_and_or_b32 v15, 0x1ff, v16, v15
	v_lshrrev_b32_e32 v17, 8, v16
	v_bfe_u32 v18, v16, 20, 11
	v_lshrrev_b32_e32 v16, 16, v16
	v_cmp_ne_u32_e32 vcc_lo, 0, v15
	v_sub_nc_u32_e32 v19, 0x3f1, v18
	v_add_nc_u32_e32 v18, 0xfffffc10, v18
	v_cndmask_b32_e64 v15, 0, 1, vcc_lo
	v_and_or_b32 v15, 0xffe, v17, v15
	v_med3_i32 v17, v19, 0, 13
	v_or_b32_e32 v19, 0x1000, v15
	v_lshrrev_b32_e32 v20, v17, v19
	v_lshlrev_b32_e32 v17, v17, v20
	v_cmp_ne_u32_e32 vcc_lo, v17, v19
	v_lshl_or_b32 v19, v18, 12, v15
	v_cndmask_b32_e64 v17, 0, 1, vcc_lo
	v_cmp_gt_i32_e32 vcc_lo, 1, v18
	v_or_b32_e32 v17, v20, v17
	v_cndmask_b32_e32 v17, v19, v17, vcc_lo
	v_and_b32_e32 v19, 7, v17
	v_lshrrev_b32_e32 v17, 2, v17
	v_cmp_lt_i32_e32 vcc_lo, 5, v19
	v_cndmask_b32_e64 v20, 0, 1, vcc_lo
	v_cmp_eq_u32_e32 vcc_lo, 3, v19
	v_cndmask_b32_e64 v19, 0, 1, vcc_lo
	v_cmp_ne_u32_e32 vcc_lo, 0, v15
	v_or_b32_e32 v19, v19, v20
	v_mov_b32_e32 v20, 0x7e00
	v_add_nc_u32_e32 v17, v17, v19
	v_cndmask_b32_e32 v15, 0x7c00, v20, vcc_lo
	v_cmp_gt_i32_e32 vcc_lo, 31, v18
	v_cndmask_b32_e32 v17, 0x7c00, v17, vcc_lo
	v_cmp_eq_u32_e32 vcc_lo, 0x40f, v18
	v_cndmask_b32_e32 v15, v17, v15, vcc_lo
	v_and_or_b32 v15, 0x8000, v16, v15
	s_branch .LBB67_1664
.LBB67_1660:
	s_mov_b32 s1, -1
                                        ; implicit-def: $vgpr15
	s_branch .LBB67_1682
.LBB67_1661:
	s_mov_b32 s1, -1
                                        ; implicit-def: $vgpr15
	s_branch .LBB67_1670
.LBB67_1662:
	s_mov_b32 s1, -1
                                        ; implicit-def: $vgpr15
	s_branch .LBB67_1667
.LBB67_1663:
	s_mov_b32 s1, -1
                                        ; implicit-def: $vgpr15
.LBB67_1664:
	s_andn2_b32 vcc_lo, exec_lo, s1
	s_cbranch_vccnz .LBB67_1666
; %bb.1665:
	global_load_dword v15, v[7:8], off
	s_waitcnt vmcnt(0)
	v_cvt_f16_f32_e32 v15, v15
.LBB67_1666:
	s_mov_b32 s1, 0
.LBB67_1667:
	s_andn2_b32 vcc_lo, exec_lo, s1
	s_cbranch_vccnz .LBB67_1669
; %bb.1668:
	global_load_dword v15, v[7:8], off
.LBB67_1669:
	s_mov_b32 s1, 0
.LBB67_1670:
	s_andn2_b32 vcc_lo, exec_lo, s1
	s_cbranch_vccnz .LBB67_1681
; %bb.1671:
	s_cmp_lt_i32 s0, 6
	s_cbranch_scc1 .LBB67_1674
; %bb.1672:
	s_cmp_gt_i32 s0, 6
	s_cbranch_scc0 .LBB67_1675
; %bb.1673:
	global_load_dwordx2 v[15:16], v[7:8], off
	s_mov_b32 s1, 0
	s_waitcnt vmcnt(0)
	v_and_or_b32 v15, 0x1ff, v16, v15
	v_lshrrev_b32_e32 v17, 8, v16
	v_bfe_u32 v18, v16, 20, 11
	v_lshrrev_b32_e32 v16, 16, v16
	v_cmp_ne_u32_e32 vcc_lo, 0, v15
	v_sub_nc_u32_e32 v19, 0x3f1, v18
	v_add_nc_u32_e32 v18, 0xfffffc10, v18
	v_cndmask_b32_e64 v15, 0, 1, vcc_lo
	v_and_or_b32 v15, 0xffe, v17, v15
	v_med3_i32 v17, v19, 0, 13
	v_or_b32_e32 v19, 0x1000, v15
	v_lshrrev_b32_e32 v20, v17, v19
	v_lshlrev_b32_e32 v17, v17, v20
	v_cmp_ne_u32_e32 vcc_lo, v17, v19
	v_lshl_or_b32 v19, v18, 12, v15
	v_cndmask_b32_e64 v17, 0, 1, vcc_lo
	v_cmp_gt_i32_e32 vcc_lo, 1, v18
	v_or_b32_e32 v17, v20, v17
	v_cndmask_b32_e32 v17, v19, v17, vcc_lo
	v_and_b32_e32 v19, 7, v17
	v_lshrrev_b32_e32 v17, 2, v17
	v_cmp_lt_i32_e32 vcc_lo, 5, v19
	v_cndmask_b32_e64 v20, 0, 1, vcc_lo
	v_cmp_eq_u32_e32 vcc_lo, 3, v19
	v_cndmask_b32_e64 v19, 0, 1, vcc_lo
	v_cmp_ne_u32_e32 vcc_lo, 0, v15
	v_or_b32_e32 v19, v19, v20
	v_mov_b32_e32 v20, 0x7e00
	v_add_nc_u32_e32 v17, v17, v19
	v_cndmask_b32_e32 v15, 0x7c00, v20, vcc_lo
	v_cmp_gt_i32_e32 vcc_lo, 31, v18
	v_cndmask_b32_e32 v17, 0x7c00, v17, vcc_lo
	v_cmp_eq_u32_e32 vcc_lo, 0x40f, v18
	v_cndmask_b32_e32 v15, v17, v15, vcc_lo
	v_and_or_b32 v15, 0x8000, v16, v15
	s_branch .LBB67_1676
.LBB67_1674:
	s_mov_b32 s1, -1
                                        ; implicit-def: $vgpr15
	s_branch .LBB67_1679
.LBB67_1675:
	s_mov_b32 s1, -1
                                        ; implicit-def: $vgpr15
.LBB67_1676:
	s_andn2_b32 vcc_lo, exec_lo, s1
	s_cbranch_vccnz .LBB67_1678
; %bb.1677:
	global_load_dword v15, v[7:8], off
	s_waitcnt vmcnt(0)
	v_cvt_f16_f32_e32 v15, v15
.LBB67_1678:
	s_mov_b32 s1, 0
.LBB67_1679:
	s_andn2_b32 vcc_lo, exec_lo, s1
	s_cbranch_vccnz .LBB67_1681
; %bb.1680:
	global_load_ushort v15, v[7:8], off
.LBB67_1681:
	s_mov_b32 s1, 0
.LBB67_1682:
	s_andn2_b32 vcc_lo, exec_lo, s1
	s_cbranch_vccnz .LBB67_1702
; %bb.1683:
	s_cmp_lt_i32 s0, 2
	s_cbranch_scc1 .LBB67_1687
; %bb.1684:
	s_cmp_lt_i32 s0, 3
	s_cbranch_scc1 .LBB67_1688
; %bb.1685:
	s_cmp_gt_i32 s0, 3
	s_cbranch_scc0 .LBB67_1689
; %bb.1686:
	global_load_dwordx2 v[15:16], v[7:8], off
	s_mov_b32 s1, 0
	s_waitcnt vmcnt(0)
	v_xor_b32_e32 v17, v15, v16
	v_ffbh_i32_e32 v18, v16
	v_ashrrev_i32_e32 v17, 31, v17
	v_add_nc_u32_e32 v18, -1, v18
	v_add_nc_u32_e32 v17, 32, v17
	v_min_u32_e32 v17, v18, v17
	v_lshlrev_b64 v[15:16], v17, v[15:16]
	v_min_u32_e32 v15, 1, v15
	v_or_b32_e32 v15, v16, v15
	v_sub_nc_u32_e32 v16, 32, v17
	v_cvt_f32_i32_e32 v15, v15
	v_ldexp_f32 v15, v15, v16
	v_cvt_f16_f32_e32 v15, v15
	s_branch .LBB67_1690
.LBB67_1687:
	s_mov_b32 s1, -1
                                        ; implicit-def: $vgpr15
	s_branch .LBB67_1696
.LBB67_1688:
	s_mov_b32 s1, -1
                                        ; implicit-def: $vgpr15
	s_branch .LBB67_1693
.LBB67_1689:
	s_mov_b32 s1, -1
                                        ; implicit-def: $vgpr15
.LBB67_1690:
	s_andn2_b32 vcc_lo, exec_lo, s1
	s_cbranch_vccnz .LBB67_1692
; %bb.1691:
	global_load_dword v15, v[7:8], off
	s_waitcnt vmcnt(0)
	v_cvt_f32_i32_e32 v15, v15
	v_cvt_f16_f32_e32 v15, v15
.LBB67_1692:
	s_mov_b32 s1, 0
.LBB67_1693:
	s_andn2_b32 vcc_lo, exec_lo, s1
	s_cbranch_vccnz .LBB67_1695
; %bb.1694:
	global_load_ushort v15, v[7:8], off
	s_waitcnt vmcnt(0)
	v_cvt_f16_i16_e32 v15, v15
.LBB67_1695:
	s_mov_b32 s1, 0
.LBB67_1696:
	s_andn2_b32 vcc_lo, exec_lo, s1
	s_cbranch_vccnz .LBB67_1702
; %bb.1697:
	s_cmp_gt_i32 s0, 0
	s_mov_b32 s0, 0
	s_cbranch_scc0 .LBB67_1699
; %bb.1698:
	global_load_sbyte v15, v[7:8], off
	s_waitcnt vmcnt(0)
	v_cvt_f16_i16_e32 v15, v15
	s_branch .LBB67_1700
.LBB67_1699:
	s_mov_b32 s0, -1
                                        ; implicit-def: $vgpr15
.LBB67_1700:
	s_andn2_b32 vcc_lo, exec_lo, s0
	s_cbranch_vccnz .LBB67_1702
; %bb.1701:
	global_load_ubyte v7, v[7:8], off
	s_waitcnt vmcnt(0)
	v_cvt_f16_u16_e32 v15, v7
.LBB67_1702:
	s_mov_b32 s6, -1
.LBB67_1703:
	s_andn2_b32 vcc_lo, exec_lo, s6
	s_cbranch_vccnz .LBB67_2143
; %bb.1704:
	s_waitcnt vmcnt(0)
	v_cvt_f32_f16_e32 v7, v15
	v_cmp_gt_f16_e32 vcc_lo, 0.5, v15
	v_mov_b32_e32 v15, 0
	v_mov_b32_e32 v8, 1.0
	s_and_saveexec_b32 s2, vcc_lo
	s_cbranch_execz .LBB67_1710
; %bb.1705:
	v_mul_f32_e32 v8, 0x40490fdb, v7
                                        ; implicit-def: $vgpr17
                                        ; implicit-def: $vgpr16
	s_mov_b32 s1, exec_lo
	v_and_b32_e32 v15, 0x7fffffff, v8
	v_cmpx_ngt_f32_e64 0x48000000, |v8|
	s_xor_b32 s3, exec_lo, s1
	s_cbranch_execz .LBB67_1707
; %bb.1706:
	s_mov_b32 s0, 0x7fffff
	v_mov_b32_e32 v18, 0
	v_and_or_b32 v25, v15, s0, 0x800000
	v_lshrrev_b32_e32 v23, 23, v15
	v_mad_u64_u32 v[16:17], null, 0xfe5163ab, v25, 0
	v_add_nc_u32_e32 v24, 0xffffff88, v23
	v_cmp_lt_u32_e32 vcc_lo, 63, v24
	v_mad_u64_u32 v[19:20], null, 0x3c439041, v25, v[17:18]
	v_cndmask_b32_e64 v26, 0, 0xffffffc0, vcc_lo
	v_mov_b32_e32 v17, v20
	v_add_nc_u32_e32 v26, v26, v24
	v_mad_u64_u32 v[20:21], null, 0xdb629599, v25, v[17:18]
	v_cmp_lt_u32_e64 s0, 31, v26
	v_cndmask_b32_e64 v27, 0, 0xffffffe0, s0
	v_mov_b32_e32 v17, v21
	v_cndmask_b32_e32 v16, v20, v16, vcc_lo
	v_mad_u64_u32 v[21:22], null, 0xf534ddc0, v25, v[17:18]
	v_mov_b32_e32 v17, v22
	v_cndmask_b32_e32 v19, v21, v19, vcc_lo
	v_mad_u64_u32 v[22:23], null, 0xfc2757d1, v25, v[17:18]
	v_cndmask_b32_e64 v16, v19, v16, s0
	v_mov_b32_e32 v17, v23
	v_mad_u64_u32 v[23:24], null, 0x4e441529, v25, v[17:18]
	v_mov_b32_e32 v17, v24
	v_add_nc_u32_e32 v24, v27, v26
	v_cndmask_b32_e32 v26, v23, v21, vcc_lo
	v_mad_u64_u32 v[17:18], null, 0xa2f9836e, v25, v[17:18]
	v_cmp_lt_u32_e64 s1, 31, v24
	v_cndmask_b32_e64 v25, 0, 0xffffffe0, s1
	v_cndmask_b32_e32 v17, v17, v22, vcc_lo
	v_cndmask_b32_e32 v18, v18, v23, vcc_lo
	;; [unrolled: 1-line block ×3, first 2 shown]
	v_add_nc_u32_e32 v23, v25, v24
	v_cndmask_b32_e64 v21, v17, v26, s0
	v_cndmask_b32_e64 v17, v18, v17, s0
	;; [unrolled: 1-line block ×4, first 2 shown]
	v_sub_nc_u32_e32 v24, 32, v23
	v_cmp_eq_u32_e32 vcc_lo, 0, v23
	v_cndmask_b32_e64 v17, v17, v21, s1
	v_cndmask_b32_e64 v21, v21, v18, s1
	;; [unrolled: 1-line block ×4, first 2 shown]
	v_alignbit_b32 v25, v17, v21, v24
	v_alignbit_b32 v20, v21, v18, v24
	;; [unrolled: 1-line block ×3, first 2 shown]
	v_cndmask_b32_e32 v17, v25, v17, vcc_lo
	v_cndmask_b32_e32 v19, v20, v21, vcc_lo
	;; [unrolled: 1-line block ×3, first 2 shown]
	v_bfe_u32 v20, v17, 29, 1
	v_alignbit_b32 v21, v17, v19, 30
	v_alignbit_b32 v19, v19, v18, 30
	;; [unrolled: 1-line block ×3, first 2 shown]
	v_sub_nc_u32_e32 v22, 0, v20
	v_xor_b32_e32 v21, v21, v22
	v_xor_b32_e32 v18, v19, v22
	;; [unrolled: 1-line block ×3, first 2 shown]
	v_lshrrev_b32_e32 v22, 29, v17
	v_lshrrev_b32_e32 v17, 30, v17
	v_ffbh_u32_e32 v23, v21
	v_add_nc_u32_e32 v17, v20, v17
	v_min_u32_e32 v23, 32, v23
	v_sub_nc_u32_e32 v19, 31, v23
	v_lshlrev_b32_e32 v24, 23, v23
	v_alignbit_b32 v21, v21, v18, v19
	v_alignbit_b32 v16, v18, v16, v19
	v_lshlrev_b32_e32 v18, 31, v22
	v_alignbit_b32 v19, v21, v16, 9
	v_or_b32_e32 v22, 0.5, v18
	v_lshrrev_b32_e32 v21, 9, v21
	v_or_b32_e32 v18, 0x33000000, v18
	v_ffbh_u32_e32 v25, v19
	v_sub_nc_u32_e32 v22, v22, v24
	v_min_u32_e32 v24, 32, v25
	v_or_b32_e32 v21, v21, v22
	v_not_b32_e32 v22, v24
	v_mul_f32_e32 v25, 0x3fc90fda, v21
	v_add_lshl_u32 v23, v24, v23, 23
	v_alignbit_b32 v16, v19, v16, v22
	v_fma_f32 v19, 0x3fc90fda, v21, -v25
	v_sub_nc_u32_e32 v18, v18, v23
	v_lshrrev_b32_e32 v16, 9, v16
	v_fmamk_f32 v19, v21, 0x33a22168, v19
	v_or_b32_e32 v16, v18, v16
	v_fmac_f32_e32 v19, 0x3fc90fda, v16
	v_add_f32_e32 v16, v25, v19
.LBB67_1707:
	s_andn2_saveexec_b32 s0, s3
; %bb.1708:
	v_mul_f32_e64 v16, 0x3f22f983, |v8|
	v_rndne_f32_e32 v17, v16
	v_fma_f32 v16, 0xbfc90fda, v17, |v8|
	v_fmamk_f32 v16, v17, 0xb3a22168, v16
	v_fmamk_f32 v16, v17, 0xa7c234c4, v16
	v_cvt_i32_f32_e32 v17, v17
; %bb.1709:
	s_or_b32 exec_lo, exec_lo, s0
	v_mul_f32_e32 v18, v16, v16
	s_mov_b32 s0, 0xb94c1982
	s_mov_b32 s1, 0x37d75334
	v_and_b32_e32 v21, 1, v17
	v_lshlrev_b32_e32 v17, 30, v17
	v_fmaak_f32 v19, s0, v18, 0x3c0881c4
	v_fmaak_f32 v20, s1, v18, 0xbab64f3b
	v_xor_b32_e32 v15, v15, v8
	v_cmp_eq_u32_e32 vcc_lo, 0, v21
	v_and_b32_e32 v17, 0x80000000, v17
	v_fmaak_f32 v19, v18, v19, 0xbe2aaa9d
	v_fmaak_f32 v20, v18, v20, 0x3d2aabf7
	v_sub_f32_e32 v7, 1.0, v7
	v_mul_f32_e32 v19, v18, v19
	v_fmaak_f32 v20, v18, v20, 0xbf000004
	v_fmac_f32_e32 v16, v16, v19
	v_fma_f32 v18, v18, v20, 1.0
	v_cndmask_b32_e32 v16, v18, v16, vcc_lo
	v_cmp_class_f32_e64 vcc_lo, v8, 0x1f8
	v_xor3_b32 v15, v15, v17, v16
	v_cndmask_b32_e32 v8, 0x7fc00000, v15, vcc_lo
	v_mul_f32_e32 v8, v8, v8
	v_div_scale_f32 v15, null, v8, v8, 0xc11de9e7
	v_div_scale_f32 v18, vcc_lo, 0xc11de9e7, v8, 0xc11de9e7
	v_rcp_f32_e32 v16, v15
	v_fma_f32 v17, -v15, v16, 1.0
	v_fmac_f32_e32 v16, v17, v16
	v_mul_f32_e32 v17, v18, v16
	v_fma_f32 v19, -v15, v17, v18
	v_fmac_f32_e32 v17, v19, v16
	v_fma_f32 v15, -v15, v17, v18
	v_div_fmas_f32 v15, v15, v16, v17
	v_div_fixup_f32 v8, v15, v8, 0xc11de9e7
	v_add_f32_e32 v15, 0, v8
	v_mov_b32_e32 v8, -1.0
.LBB67_1710:
	s_or_b32 exec_lo, exec_lo, s2
	v_add_f32_e32 v16, 1.0, v1
	v_mul_f32_e32 v1, v1, v1
	v_mul_f32_e32 v17, v16, v16
	v_add_f32_e32 v16, 1.0, v16
	v_div_scale_f32 v18, null, v1, v1, 1.0
	v_div_scale_f32 v20, vcc_lo, 1.0, v1, 1.0
	v_mul_f32_e32 v21, v16, v16
	v_div_scale_f32 v19, null, v17, v17, 1.0
	v_rcp_f32_e32 v22, v18
	v_div_scale_f32 v25, s0, 1.0, v17, 1.0
	v_div_scale_f32 v24, null, v21, v21, 1.0
	v_rcp_f32_e32 v23, v19
	v_add_f32_e32 v16, 1.0, v16
	v_div_scale_f32 v26, s1, 1.0, v21, 1.0
	v_rcp_f32_e32 v27, v24
	v_fma_f32 v29, -v18, v22, 1.0
	v_mul_f32_e32 v28, v16, v16
	v_add_f32_e32 v16, 1.0, v16
	v_fma_f32 v30, -v19, v23, 1.0
	v_fmac_f32_e32 v22, v29, v22
	v_mul_f32_e32 v32, v16, v16
	v_add_f32_e32 v16, 1.0, v16
	v_fma_f32 v29, -v24, v27, 1.0
	v_fmac_f32_e32 v23, v30, v23
	v_mul_f32_e32 v33, v20, v22
	v_div_scale_f32 v31, null, v28, v28, 1.0
	v_fmac_f32_e32 v27, v29, v27
	v_mul_f32_e32 v34, v25, v23
	v_fma_f32 v35, -v18, v33, v20
	v_add_f32_e32 v38, 1.0, v16
	v_rcp_f32_e32 v30, v31
	v_mul_f32_e32 v37, v26, v27
	v_fma_f32 v36, -v19, v34, v25
	v_fmac_f32_e32 v33, v35, v22
	v_mul_f32_e32 v16, v16, v16
	v_div_scale_f32 v29, null, v32, v32, 1.0
	v_fma_f32 v35, -v24, v37, v26
	v_fmac_f32_e32 v34, v36, v23
	v_fma_f32 v18, -v18, v33, v20
	v_mul_f32_e32 v20, v38, v38
	v_rcp_f32_e32 v36, v29
	v_fmac_f32_e32 v37, v35, v27
	v_fma_f32 v19, -v19, v34, v25
	v_div_fmas_f32 v18, v18, v22, v33
	s_mov_b32 vcc_lo, s0
	v_fma_f32 v39, -v31, v30, 1.0
	v_fma_f32 v22, -v24, v37, v26
	v_div_fmas_f32 v19, v19, v23, v34
	s_mov_b32 vcc_lo, s1
	v_div_scale_f32 v23, null, v16, v16, 1.0
	v_div_fmas_f32 v22, v22, v27, v37
	v_div_scale_f32 v24, null, v20, v20, 1.0
	v_add_f32_e32 v27, v38, v38
	v_rcp_f32_e32 v26, v23
	v_fmac_f32_e32 v30, v39, v30
	v_rcp_f32_e32 v34, v24
	v_div_scale_f32 v25, vcc_lo, 1.0, v28, 1.0
	v_div_scale_f32 v37, null, v27, v27, 1.0
	v_fma_f32 v33, -v29, v36, 1.0
	v_mul_f32_e32 v35, v25, v30
	v_div_fixup_f32 v1, v18, v1, 1.0
	v_rcp_f32_e32 v40, v37
	v_fma_f32 v39, -v23, v26, 1.0
	v_fmac_f32_e32 v36, v33, v36
	v_div_scale_f32 v33, s0, 1.0, v32, 1.0
	v_fma_f32 v42, -v24, v34, 1.0
	v_fma_f32 v41, -v31, v35, v25
	v_fmac_f32_e32 v26, v39, v26
	v_div_scale_f32 v39, s1, 1.0, v16, 1.0
	v_mul_f32_e32 v43, v33, v36
	v_fmac_f32_e32 v34, v42, v34
	v_div_scale_f32 v42, s2, 1.0, v20, 1.0
	v_fma_f32 v44, -v37, v40, 1.0
	v_fmac_f32_e32 v35, v41, v30
	v_mul_f32_e32 v45, v39, v26
	v_fma_f32 v41, -v29, v43, v33
	v_mul_f32_e32 v46, v42, v34
	v_fmac_f32_e32 v40, v44, v40
	v_div_scale_f32 v44, s3, 1.0, v27, 1.0
	v_fma_f32 v25, -v31, v35, v25
	v_fma_f32 v31, -v23, v45, v39
	v_fmac_f32_e32 v43, v41, v36
	v_fma_f32 v41, -v24, v46, v42
	v_mul_f32_e32 v47, v44, v40
	v_div_fmas_f32 v25, v25, v30, v35
	v_fmac_f32_e32 v45, v31, v26
	v_fma_f32 v29, -v29, v43, v33
	v_fmac_f32_e32 v46, v41, v34
	v_fma_f32 v30, -v37, v47, v44
	s_mov_b32 vcc_lo, s0
	v_fma_f32 v23, -v23, v45, v39
	v_div_fmas_f32 v29, v29, v36, v43
	v_fma_f32 v24, -v24, v46, v42
	v_fmac_f32_e32 v47, v30, v40
	s_mov_b32 vcc_lo, s1
	s_mov_b32 s0, 0xbcc30c31
	v_div_fmas_f32 v23, v23, v26, v45
	s_mov_b32 vcc_lo, s2
	v_fma_f32 v26, -v37, v47, v44
	v_div_fmas_f32 v24, v24, v34, v46
	s_mov_b32 vcc_lo, s3
	v_add_f32_e32 v1, v5, v1
	v_div_fixup_f32 v5, v19, v17, 1.0
	v_div_fmas_f32 v26, v26, v40, v47
	v_div_fixup_f32 v20, v24, v20, 1.0
	s_bfe_u32 s1, s5, 0x80008
	v_add_f32_e32 v1, v1, v5
	v_div_fixup_f32 v24, v26, v27, 1.0
	v_fmaak_f32 v26, s0, v20, 0x3d088889
	v_div_fixup_f32 v5, v22, v21, 1.0
	s_cmp_lt_i32 s1, 11
	v_add_f32_e32 v24, 1.0, v24
	v_fma_f32 v26, -v20, v26, 0x3e2aaaab
	v_add_f32_e32 v1, v1, v5
	v_div_fixup_f32 v5, v25, v28, 1.0
	v_fmac_f32_e32 v24, v20, v26
	v_add_f32_e32 v1, v1, v5
	v_div_fixup_f32 v5, v29, v32, 1.0
	v_div_scale_f32 v20, null, v38, v38, v24
	v_div_scale_f32 v17, vcc_lo, v24, v38, v24
	v_add_f32_e32 v1, v1, v5
	v_rcp_f32_e32 v26, v20
	v_div_fixup_f32 v5, v23, v16, 1.0
	v_add_f32_e32 v1, v1, v5
	v_fma_f32 v18, -v20, v26, 1.0
	v_fmac_f32_e32 v26, v18, v26
	v_mul_f32_e32 v18, v17, v26
	v_fma_f32 v19, -v20, v18, v17
	v_fmac_f32_e32 v18, v19, v26
	v_fma_f32 v17, -v20, v18, v17
	v_div_fmas_f32 v16, v17, v26, v18
	v_div_fixup_f32 v5, v16, v38, v24
	v_add_f32_e32 v1, v1, v5
	v_add_co_u32 v5, s0, s8, v6
	v_add_co_ci_u32_e64 v6, null, s9, 0, s0
	v_fma_mixlo_f16 v1, v3, v1, 0
	s_cbranch_scc1 .LBB67_1788
; %bb.1711:
	s_and_b32 s2, 0xffff, s1
	s_mov_b32 s7, -1
	s_mov_b32 s3, 0
	s_cmp_gt_i32 s2, 25
	s_mov_b32 s6, 0
	s_mov_b32 s0, 0
	s_cbranch_scc0 .LBB67_1744
; %bb.1712:
	s_cmp_gt_i32 s2, 28
	s_cbranch_scc0 .LBB67_1727
; %bb.1713:
	s_cmp_gt_i32 s2, 43
	;; [unrolled: 3-line block ×3, first 2 shown]
	s_cbranch_scc0 .LBB67_1717
; %bb.1715:
	s_mov_b32 s0, -1
	s_mov_b32 s7, 0
	s_cmp_eq_u32 s2, 46
	s_cbranch_scc0 .LBB67_1717
; %bb.1716:
	v_cvt_f32_f16_e32 v3, v1
	v_cmp_o_f16_e32 vcc_lo, v1, v1
	s_mov_b32 s0, 0
	s_mov_b32 s6, -1
	v_bfe_u32 v16, v3, 16, 1
	v_add3_u32 v3, v3, v16, 0x7fff
	v_mov_b32_e32 v16, 0x7fc0
	v_cndmask_b32_sdwa v3, v16, v3, vcc_lo dst_sel:DWORD dst_unused:UNUSED_PAD src0_sel:DWORD src1_sel:WORD_1
	global_store_dword v[5:6], v3, off
.LBB67_1717:
	s_and_b32 vcc_lo, exec_lo, s7
	s_cbranch_vccz .LBB67_1722
; %bb.1718:
	s_cmp_eq_u32 s2, 44
	s_mov_b32 s0, -1
	s_cbranch_scc0 .LBB67_1722
; %bb.1719:
	v_cvt_f32_f16_e32 v3, v1
	v_mov_b32_e32 v16, 0xff
	s_mov_b32 s6, exec_lo
	v_bfe_u32 v17, v3, 23, 8
	v_cmpx_ne_u32_e32 0xff, v17
	s_cbranch_execz .LBB67_1721
; %bb.1720:
	v_and_b32_e32 v16, 0x400000, v3
	v_and_or_b32 v17, 0x3fffff, v3, v17
	v_lshrrev_b32_e32 v3, 23, v3
	v_cmp_ne_u32_e32 vcc_lo, 0, v16
	v_cmp_ne_u32_e64 s0, 0, v17
	s_and_b32 s0, vcc_lo, s0
	v_cndmask_b32_e64 v16, 0, 1, s0
	v_add_nc_u32_e32 v16, v3, v16
.LBB67_1721:
	s_or_b32 exec_lo, exec_lo, s6
	s_mov_b32 s0, 0
	s_mov_b32 s6, -1
	global_store_byte v[5:6], v16, off
.LBB67_1722:
	s_mov_b32 s7, 0
.LBB67_1723:
	s_and_b32 vcc_lo, exec_lo, s7
	s_cbranch_vccz .LBB67_1726
; %bb.1724:
	s_cmp_eq_u32 s2, 29
	s_mov_b32 s0, -1
	s_cbranch_scc0 .LBB67_1726
; %bb.1725:
	v_cvt_f32_f16_e32 v3, v1
	v_mov_b32_e32 v17, 0
	s_mov_b32 s0, 0
	s_mov_b32 s6, -1
	v_cvt_u32_f32_e32 v16, v3
	global_store_dwordx2 v[5:6], v[16:17], off
.LBB67_1726:
	s_mov_b32 s7, 0
.LBB67_1727:
	s_and_b32 vcc_lo, exec_lo, s7
	s_cbranch_vccz .LBB67_1743
; %bb.1728:
	s_cmp_lt_i32 s2, 27
	s_mov_b32 s6, -1
	s_cbranch_scc1 .LBB67_1734
; %bb.1729:
	s_cmp_gt_i32 s2, 27
	s_cbranch_scc0 .LBB67_1731
; %bb.1730:
	v_cvt_f32_f16_e32 v3, v1
	s_mov_b32 s6, 0
	v_cvt_u32_f32_e32 v3, v3
	global_store_dword v[5:6], v3, off
.LBB67_1731:
	s_andn2_b32 vcc_lo, exec_lo, s6
	s_cbranch_vccnz .LBB67_1733
; %bb.1732:
	v_cvt_u16_f16_e32 v3, v1
	global_store_short v[5:6], v3, off
.LBB67_1733:
	s_mov_b32 s6, 0
.LBB67_1734:
	s_andn2_b32 vcc_lo, exec_lo, s6
	s_cbranch_vccnz .LBB67_1742
; %bb.1735:
	v_cvt_f32_f16_e32 v3, v1
	v_mov_b32_e32 v17, 0x80
	s_mov_b32 s6, exec_lo
	v_and_b32_e32 v16, 0x7fffffff, v3
	v_cmpx_gt_u32_e32 0x43800000, v16
	s_cbranch_execz .LBB67_1741
; %bb.1736:
	v_cmp_lt_u32_e32 vcc_lo, 0x3bffffff, v16
	s_mov_b32 s7, 0
                                        ; implicit-def: $vgpr16
	s_and_saveexec_b32 s10, vcc_lo
	s_xor_b32 s10, exec_lo, s10
	s_cbranch_execz .LBB67_2190
; %bb.1737:
	v_bfe_u32 v16, v3, 20, 1
	s_mov_b32 s7, exec_lo
	v_add3_u32 v16, v3, v16, 0x487ffff
	v_lshrrev_b32_e32 v16, 20, v16
	s_andn2_saveexec_b32 s10, s10
	s_cbranch_execnz .LBB67_2191
.LBB67_1738:
	s_or_b32 exec_lo, exec_lo, s10
	v_mov_b32_e32 v17, 0
	s_and_saveexec_b32 s10, s7
.LBB67_1739:
	v_lshrrev_b32_e32 v3, 24, v3
	v_and_or_b32 v17, 0x80, v3, v16
.LBB67_1740:
	s_or_b32 exec_lo, exec_lo, s10
.LBB67_1741:
	s_or_b32 exec_lo, exec_lo, s6
	global_store_byte v[5:6], v17, off
.LBB67_1742:
	s_mov_b32 s6, -1
.LBB67_1743:
	s_mov_b32 s7, 0
.LBB67_1744:
	s_and_b32 vcc_lo, exec_lo, s7
	s_cbranch_vccz .LBB67_1784
; %bb.1745:
	s_cmp_gt_i32 s2, 22
	s_mov_b32 s3, -1
	s_cbranch_scc0 .LBB67_1777
; %bb.1746:
	s_cmp_lt_i32 s2, 24
	s_cbranch_scc1 .LBB67_1766
; %bb.1747:
	s_cmp_gt_i32 s2, 24
	s_cbranch_scc0 .LBB67_1755
; %bb.1748:
	v_cvt_f32_f16_e32 v3, v1
	v_mov_b32_e32 v17, 0x80
	s_mov_b32 s3, exec_lo
	v_and_b32_e32 v16, 0x7fffffff, v3
	v_cmpx_gt_u32_e32 0x47800000, v16
	s_cbranch_execz .LBB67_1754
; %bb.1749:
	v_cmp_lt_u32_e32 vcc_lo, 0x37ffffff, v16
	s_mov_b32 s6, 0
                                        ; implicit-def: $vgpr16
	s_and_saveexec_b32 s7, vcc_lo
	s_xor_b32 s7, exec_lo, s7
	s_cbranch_execz .LBB67_2193
; %bb.1750:
	v_bfe_u32 v16, v3, 21, 1
	s_mov_b32 s6, exec_lo
	v_add3_u32 v16, v3, v16, 0x88fffff
	v_lshrrev_b32_e32 v16, 21, v16
	s_andn2_saveexec_b32 s7, s7
	s_cbranch_execnz .LBB67_2194
.LBB67_1751:
	s_or_b32 exec_lo, exec_lo, s7
	v_mov_b32_e32 v17, 0
	s_and_saveexec_b32 s7, s6
.LBB67_1752:
	v_lshrrev_b32_e32 v3, 24, v3
	v_and_or_b32 v17, 0x80, v3, v16
.LBB67_1753:
	s_or_b32 exec_lo, exec_lo, s7
.LBB67_1754:
	s_or_b32 exec_lo, exec_lo, s3
	s_mov_b32 s3, 0
	global_store_byte v[5:6], v17, off
.LBB67_1755:
	s_and_b32 vcc_lo, exec_lo, s3
	s_cbranch_vccz .LBB67_1765
; %bb.1756:
	v_cvt_f32_f16_e32 v3, v1
	s_mov_b32 s3, exec_lo
                                        ; implicit-def: $vgpr16
	v_and_b32_e32 v17, 0x7fffffff, v3
	v_cmpx_gt_u32_e32 0x43f00000, v17
	s_xor_b32 s3, exec_lo, s3
	s_cbranch_execz .LBB67_1762
; %bb.1757:
	s_mov_b32 s6, exec_lo
                                        ; implicit-def: $vgpr16
	v_cmpx_lt_u32_e32 0x3c7fffff, v17
	s_xor_b32 s6, exec_lo, s6
; %bb.1758:
	v_bfe_u32 v16, v3, 20, 1
	v_add3_u32 v16, v3, v16, 0x407ffff
	v_and_b32_e32 v17, 0xff00000, v16
	v_lshrrev_b32_e32 v16, 20, v16
	v_cmp_ne_u32_e32 vcc_lo, 0x7f00000, v17
	v_cndmask_b32_e32 v16, 0x7e, v16, vcc_lo
; %bb.1759:
	s_andn2_saveexec_b32 s6, s6
; %bb.1760:
	v_add_f32_e64 v16, 0x46800000, |v3|
; %bb.1761:
	s_or_b32 exec_lo, exec_lo, s6
                                        ; implicit-def: $vgpr17
.LBB67_1762:
	s_andn2_saveexec_b32 s3, s3
; %bb.1763:
	v_mov_b32_e32 v16, 0x7f
	v_cmp_lt_u32_e32 vcc_lo, 0x7f800000, v17
	v_cndmask_b32_e32 v16, 0x7e, v16, vcc_lo
; %bb.1764:
	s_or_b32 exec_lo, exec_lo, s3
	v_lshrrev_b32_e32 v3, 24, v3
	v_and_or_b32 v3, 0x80, v3, v16
	global_store_byte v[5:6], v3, off
.LBB67_1765:
	s_mov_b32 s3, 0
.LBB67_1766:
	s_andn2_b32 vcc_lo, exec_lo, s3
	s_cbranch_vccnz .LBB67_1776
; %bb.1767:
	v_cvt_f32_f16_e32 v3, v1
	s_mov_b32 s3, exec_lo
                                        ; implicit-def: $vgpr16
	v_and_b32_e32 v17, 0x7fffffff, v3
	v_cmpx_gt_u32_e32 0x47800000, v17
	s_xor_b32 s3, exec_lo, s3
	s_cbranch_execz .LBB67_1773
; %bb.1768:
	s_mov_b32 s6, exec_lo
                                        ; implicit-def: $vgpr16
	v_cmpx_lt_u32_e32 0x387fffff, v17
	s_xor_b32 s6, exec_lo, s6
; %bb.1769:
	v_bfe_u32 v16, v3, 21, 1
	v_add3_u32 v16, v3, v16, 0x80fffff
	v_lshrrev_b32_e32 v16, 21, v16
; %bb.1770:
	s_andn2_saveexec_b32 s6, s6
; %bb.1771:
	v_add_f32_e64 v16, 0x43000000, |v3|
; %bb.1772:
	s_or_b32 exec_lo, exec_lo, s6
                                        ; implicit-def: $vgpr17
.LBB67_1773:
	s_andn2_saveexec_b32 s3, s3
; %bb.1774:
	v_mov_b32_e32 v16, 0x7f
	v_cmp_lt_u32_e32 vcc_lo, 0x7f800000, v17
	v_cndmask_b32_e32 v16, 0x7c, v16, vcc_lo
; %bb.1775:
	s_or_b32 exec_lo, exec_lo, s3
	v_lshrrev_b32_e32 v3, 24, v3
	v_and_or_b32 v3, 0x80, v3, v16
	global_store_byte v[5:6], v3, off
.LBB67_1776:
	s_mov_b32 s3, 0
	s_mov_b32 s6, -1
.LBB67_1777:
	s_andn2_b32 vcc_lo, exec_lo, s3
	s_mov_b32 s3, 0
	s_cbranch_vccnz .LBB67_1784
; %bb.1778:
	s_cmp_gt_i32 s2, 14
	s_mov_b32 s3, -1
	s_cbranch_scc0 .LBB67_1782
; %bb.1779:
	s_cmp_eq_u32 s2, 15
	s_mov_b32 s0, -1
	s_cbranch_scc0 .LBB67_1781
; %bb.1780:
	v_cvt_f32_f16_e32 v3, v1
	v_cmp_o_f16_e32 vcc_lo, v1, v1
	s_mov_b32 s0, 0
	s_mov_b32 s6, -1
	v_bfe_u32 v16, v3, 16, 1
	v_add3_u32 v3, v3, v16, 0x7fff
	v_mov_b32_e32 v16, 0x7fc0
	v_cndmask_b32_sdwa v3, v16, v3, vcc_lo dst_sel:DWORD dst_unused:UNUSED_PAD src0_sel:DWORD src1_sel:WORD_1
	global_store_short v[5:6], v3, off
.LBB67_1781:
	s_mov_b32 s3, 0
.LBB67_1782:
	s_and_b32 vcc_lo, exec_lo, s3
	s_mov_b32 s3, 0
	s_cbranch_vccz .LBB67_1784
; %bb.1783:
	s_cmp_lg_u32 s2, 11
	s_mov_b32 s3, -1
	s_cselect_b32 s0, -1, 0
.LBB67_1784:
	s_and_b32 vcc_lo, exec_lo, s0
	s_cbranch_vccnz .LBB67_2192
; %bb.1785:
	s_andn2_b32 vcc_lo, exec_lo, s3
	s_cbranch_vccnz .LBB67_1787
.LBB67_1786:
	v_cmp_neq_f16_e32 vcc_lo, 0, v1
	s_mov_b32 s6, -1
	v_cndmask_b32_e64 v3, 0, 1, vcc_lo
	global_store_byte v[5:6], v3, off
.LBB67_1787:
	s_mov_b32 s0, 0
	s_branch .LBB67_1789
.LBB67_1788:
	s_mov_b32 s0, -1
	s_mov_b32 s6, 0
.LBB67_1789:
	s_and_b32 vcc_lo, exec_lo, s0
	s_cbranch_vccz .LBB67_1828
; %bb.1790:
	s_and_b32 s0, 0xffff, s1
	s_mov_b32 s1, -1
	s_cmp_lt_i32 s0, 5
	s_cbranch_scc1 .LBB67_1811
; %bb.1791:
	s_cmp_lt_i32 s0, 8
	s_cbranch_scc1 .LBB67_1801
; %bb.1792:
	;; [unrolled: 3-line block ×3, first 2 shown]
	s_cmp_gt_i32 s0, 9
	s_cbranch_scc0 .LBB67_1795
; %bb.1794:
	v_cvt_f32_f16_e32 v3, v1
	v_mov_b32_e32 v18, 0
	s_mov_b32 s1, 0
	v_cvt_f64_f32_e32 v[16:17], v3
	v_mov_b32_e32 v19, v18
	global_store_dwordx4 v[5:6], v[16:19], off
.LBB67_1795:
	s_andn2_b32 vcc_lo, exec_lo, s1
	s_cbranch_vccnz .LBB67_1797
; %bb.1796:
	v_cvt_f32_f16_e32 v16, v1
	v_mov_b32_e32 v17, 0
	global_store_dwordx2 v[5:6], v[16:17], off
.LBB67_1797:
	s_mov_b32 s1, 0
.LBB67_1798:
	s_andn2_b32 vcc_lo, exec_lo, s1
	s_cbranch_vccnz .LBB67_1800
; %bb.1799:
	v_and_b32_e32 v3, 0xffff, v1
	global_store_dword v[5:6], v3, off
.LBB67_1800:
	s_mov_b32 s1, 0
.LBB67_1801:
	s_andn2_b32 vcc_lo, exec_lo, s1
	s_cbranch_vccnz .LBB67_1810
; %bb.1802:
	s_cmp_lt_i32 s0, 6
	s_mov_b32 s1, -1
	s_cbranch_scc1 .LBB67_1808
; %bb.1803:
	s_cmp_gt_i32 s0, 6
	s_cbranch_scc0 .LBB67_1805
; %bb.1804:
	v_cvt_f32_f16_e32 v3, v1
	s_mov_b32 s1, 0
	v_cvt_f64_f32_e32 v[16:17], v3
	global_store_dwordx2 v[5:6], v[16:17], off
.LBB67_1805:
	s_andn2_b32 vcc_lo, exec_lo, s1
	s_cbranch_vccnz .LBB67_1807
; %bb.1806:
	v_cvt_f32_f16_e32 v3, v1
	global_store_dword v[5:6], v3, off
.LBB67_1807:
	s_mov_b32 s1, 0
.LBB67_1808:
	s_andn2_b32 vcc_lo, exec_lo, s1
	s_cbranch_vccnz .LBB67_1810
; %bb.1809:
	global_store_short v[5:6], v1, off
.LBB67_1810:
	s_mov_b32 s1, 0
.LBB67_1811:
	s_andn2_b32 vcc_lo, exec_lo, s1
	s_cbranch_vccnz .LBB67_1827
; %bb.1812:
	s_cmp_lt_i32 s0, 2
	s_mov_b32 s1, -1
	s_cbranch_scc1 .LBB67_1822
; %bb.1813:
	s_cmp_lt_i32 s0, 3
	s_cbranch_scc1 .LBB67_1819
; %bb.1814:
	s_cmp_gt_i32 s0, 3
	s_cbranch_scc0 .LBB67_1816
; %bb.1815:
	v_cvt_f32_f16_e32 v3, v1
	s_mov_b32 s1, 0
	v_cvt_i32_f32_e32 v16, v3
	v_ashrrev_i32_e32 v17, 31, v16
	global_store_dwordx2 v[5:6], v[16:17], off
.LBB67_1816:
	s_andn2_b32 vcc_lo, exec_lo, s1
	s_cbranch_vccnz .LBB67_1818
; %bb.1817:
	v_cvt_f32_f16_e32 v3, v1
	v_cvt_i32_f32_e32 v3, v3
	global_store_dword v[5:6], v3, off
.LBB67_1818:
	s_mov_b32 s1, 0
.LBB67_1819:
	s_andn2_b32 vcc_lo, exec_lo, s1
	s_cbranch_vccnz .LBB67_1821
; %bb.1820:
	v_cvt_i16_f16_e32 v3, v1
	global_store_short v[5:6], v3, off
.LBB67_1821:
	s_mov_b32 s1, 0
.LBB67_1822:
	s_andn2_b32 vcc_lo, exec_lo, s1
	s_cbranch_vccnz .LBB67_1827
; %bb.1823:
	s_cmp_gt_i32 s0, 0
	s_mov_b32 s0, -1
	s_cbranch_scc0 .LBB67_1825
; %bb.1824:
	v_cvt_i16_f16_e32 v3, v1
	s_mov_b32 s0, 0
	global_store_byte v[5:6], v3, off
.LBB67_1825:
	s_andn2_b32 vcc_lo, exec_lo, s0
	s_cbranch_vccnz .LBB67_1827
; %bb.1826:
	v_cvt_f32_f16_e32 v1, v1
	v_cvt_i32_f32_e32 v1, v1
	global_store_byte v[5:6], v1, off
.LBB67_1827:
	s_mov_b32 s6, -1
.LBB67_1828:
	s_andn2_b32 vcc_lo, exec_lo, s6
	s_cbranch_vccnz .LBB67_2143
; %bb.1829:
	v_add_f32_e32 v1, 1.0, v10
	v_mul_f32_e32 v3, v10, v10
	v_mul_f32_e32 v5, v1, v1
	v_add_f32_e32 v1, 1.0, v1
	v_div_scale_f32 v6, null, v3, v3, 1.0
	v_div_scale_f32 v16, vcc_lo, 1.0, v3, 1.0
	v_mul_f32_e32 v17, v1, v1
	v_div_scale_f32 v10, null, v5, v5, 1.0
	v_rcp_f32_e32 v18, v6
	v_div_scale_f32 v21, s0, 1.0, v5, 1.0
	v_div_scale_f32 v20, null, v17, v17, 1.0
	v_rcp_f32_e32 v19, v10
	v_add_f32_e32 v1, 1.0, v1
	v_div_scale_f32 v22, s1, 1.0, v17, 1.0
	v_rcp_f32_e32 v23, v20
	v_fma_f32 v25, -v6, v18, 1.0
	v_mul_f32_e32 v24, v1, v1
	v_add_f32_e32 v1, 1.0, v1
	v_fma_f32 v26, -v10, v19, 1.0
	v_fmac_f32_e32 v18, v25, v18
	v_mul_f32_e32 v28, v1, v1
	v_add_f32_e32 v1, 1.0, v1
	v_fma_f32 v25, -v20, v23, 1.0
	v_fmac_f32_e32 v19, v26, v19
	v_mul_f32_e32 v29, v16, v18
	v_div_scale_f32 v27, null, v24, v24, 1.0
	v_fmac_f32_e32 v23, v25, v23
	v_mul_f32_e32 v30, v21, v19
	v_fma_f32 v31, -v6, v29, v16
	v_add_f32_e32 v34, 1.0, v1
	v_rcp_f32_e32 v26, v27
	v_mul_f32_e32 v33, v22, v23
	v_fma_f32 v32, -v10, v30, v21
	v_fmac_f32_e32 v29, v31, v18
	v_mul_f32_e32 v1, v1, v1
	v_div_scale_f32 v25, null, v28, v28, 1.0
	v_fma_f32 v31, -v20, v33, v22
	v_fmac_f32_e32 v30, v32, v19
	v_fma_f32 v6, -v6, v29, v16
	v_mul_f32_e32 v16, v34, v34
	v_rcp_f32_e32 v32, v25
	v_fmac_f32_e32 v33, v31, v23
	v_fma_f32 v10, -v10, v30, v21
	v_div_fmas_f32 v6, v6, v18, v29
	s_mov_b32 vcc_lo, s0
	v_fma_f32 v35, -v27, v26, 1.0
	v_fma_f32 v18, -v20, v33, v22
	v_div_fmas_f32 v10, v10, v19, v30
	s_mov_b32 vcc_lo, s1
	v_div_scale_f32 v19, null, v1, v1, 1.0
	v_div_fmas_f32 v18, v18, v23, v33
	v_div_scale_f32 v20, null, v16, v16, 1.0
	v_add_f32_e32 v23, v34, v34
	v_rcp_f32_e32 v22, v19
	v_fmac_f32_e32 v26, v35, v26
	v_rcp_f32_e32 v30, v20
	v_div_scale_f32 v21, vcc_lo, 1.0, v24, 1.0
	v_div_scale_f32 v33, null, v23, v23, 1.0
	v_fma_f32 v29, -v25, v32, 1.0
	v_mul_f32_e32 v31, v21, v26
	v_div_fixup_f32 v3, v6, v3, 1.0
	v_rcp_f32_e32 v36, v33
	v_fma_f32 v35, -v19, v22, 1.0
	v_fmac_f32_e32 v32, v29, v32
	v_div_scale_f32 v29, s0, 1.0, v28, 1.0
	v_fma_f32 v38, -v20, v30, 1.0
	v_fma_f32 v37, -v27, v31, v21
	v_fmac_f32_e32 v22, v35, v22
	v_div_scale_f32 v35, s1, 1.0, v1, 1.0
	v_mul_f32_e32 v39, v29, v32
	v_fmac_f32_e32 v30, v38, v30
	v_div_scale_f32 v38, s2, 1.0, v16, 1.0
	v_fma_f32 v40, -v33, v36, 1.0
	v_fmac_f32_e32 v31, v37, v26
	v_mul_f32_e32 v41, v35, v22
	v_fma_f32 v37, -v25, v39, v29
	v_mul_f32_e32 v42, v38, v30
	v_fmac_f32_e32 v36, v40, v36
	v_div_scale_f32 v40, s3, 1.0, v23, 1.0
	v_fma_f32 v21, -v27, v31, v21
	v_fma_f32 v27, -v19, v41, v35
	v_fmac_f32_e32 v39, v37, v32
	v_fma_f32 v37, -v20, v42, v38
	v_mul_f32_e32 v43, v40, v36
	v_div_fmas_f32 v21, v21, v26, v31
	v_fmac_f32_e32 v41, v27, v22
	v_fma_f32 v25, -v25, v39, v29
	v_fmac_f32_e32 v42, v37, v30
	v_fma_f32 v26, -v33, v43, v40
	s_mov_b32 vcc_lo, s0
	v_fma_f32 v19, -v19, v41, v35
	v_div_fmas_f32 v25, v25, v32, v39
	v_fma_f32 v20, -v20, v42, v38
	v_fmac_f32_e32 v43, v26, v36
	s_mov_b32 vcc_lo, s1
	s_mov_b32 s0, 0xbcc30c31
	v_div_fmas_f32 v19, v19, v22, v41
	s_mov_b32 vcc_lo, s2
	v_fma_f32 v22, -v33, v43, v40
	v_div_fmas_f32 v20, v20, v30, v42
	s_mov_b32 vcc_lo, s3
	v_add_f32_e32 v3, v12, v3
	v_div_fixup_f32 v5, v10, v5, 1.0
	v_div_fmas_f32 v22, v22, v36, v43
	v_div_fixup_f32 v16, v20, v16, 1.0
	v_div_fixup_f32 v1, v19, v1, 1.0
	v_add_f32_e32 v3, v3, v5
	v_div_fixup_f32 v20, v22, v23, 1.0
	v_fmaak_f32 v22, s0, v16, 0x3d088889
	v_div_fixup_f32 v5, v18, v17, 1.0
	s_lshr_b32 s0, s5, 8
	v_add_f32_e32 v20, 1.0, v20
	v_fma_f32 v22, -v16, v22, 0x3e2aaaab
	v_add_f32_e32 v3, v3, v5
	v_div_fixup_f32 v5, v21, v24, 1.0
	s_and_b32 s10, s0, 0xff
	v_fmac_f32_e32 v20, v16, v22
	s_cmp_lt_i32 s10, 11
	v_add_f32_e32 v3, v3, v5
	v_div_fixup_f32 v5, v25, v28, 1.0
	v_div_scale_f32 v16, null, v34, v34, v20
	v_add_f32_e32 v3, v3, v5
	v_rcp_f32_e32 v22, v16
	v_add_f32_e32 v1, v3, v1
	v_fma_f32 v6, -v16, v22, 1.0
	v_fmac_f32_e32 v22, v6, v22
	v_div_scale_f32 v6, vcc_lo, v20, v34, v20
	v_mul_f32_e32 v10, v6, v22
	v_fma_f32 v12, -v16, v10, v6
	v_fmac_f32_e32 v10, v12, v22
	v_fma_f32 v6, -v16, v10, v6
	v_div_fmas_f32 v5, v6, v22, v10
	v_div_fixup_f32 v3, v5, v34, v20
	v_add_f32_e32 v1, v1, v3
	v_add_co_u32 v3, s0, s8, v4
	v_add_co_ci_u32_e64 v4, null, s9, 0, s0
	v_fma_mixlo_f16 v1, v11, v1, 0
	s_cbranch_scc1 .LBB67_1907
; %bb.1830:
	s_and_b32 s1, 0xffff, s10
	s_mov_b32 s5, -1
	s_mov_b32 s2, 0
	s_cmp_gt_i32 s1, 25
	s_mov_b32 s3, 0
	s_mov_b32 s0, 0
	s_cbranch_scc0 .LBB67_1863
; %bb.1831:
	s_cmp_gt_i32 s1, 28
	s_cbranch_scc0 .LBB67_1846
; %bb.1832:
	s_cmp_gt_i32 s1, 43
	;; [unrolled: 3-line block ×3, first 2 shown]
	s_cbranch_scc0 .LBB67_1836
; %bb.1834:
	s_mov_b32 s0, -1
	s_mov_b32 s5, 0
	s_cmp_eq_u32 s1, 46
	s_cbranch_scc0 .LBB67_1836
; %bb.1835:
	v_cvt_f32_f16_e32 v5, v1
	v_cmp_o_f16_e32 vcc_lo, v1, v1
	s_mov_b32 s0, 0
	s_mov_b32 s3, -1
	v_bfe_u32 v6, v5, 16, 1
	v_add3_u32 v5, v5, v6, 0x7fff
	v_mov_b32_e32 v6, 0x7fc0
	v_cndmask_b32_sdwa v5, v6, v5, vcc_lo dst_sel:DWORD dst_unused:UNUSED_PAD src0_sel:DWORD src1_sel:WORD_1
	global_store_dword v[3:4], v5, off
.LBB67_1836:
	s_and_b32 vcc_lo, exec_lo, s5
	s_cbranch_vccz .LBB67_1841
; %bb.1837:
	s_cmp_eq_u32 s1, 44
	s_mov_b32 s0, -1
	s_cbranch_scc0 .LBB67_1841
; %bb.1838:
	v_cvt_f32_f16_e32 v5, v1
	v_mov_b32_e32 v6, 0xff
	s_mov_b32 s3, exec_lo
	v_bfe_u32 v10, v5, 23, 8
	v_cmpx_ne_u32_e32 0xff, v10
	s_cbranch_execz .LBB67_1840
; %bb.1839:
	v_and_b32_e32 v6, 0x400000, v5
	v_and_or_b32 v10, 0x3fffff, v5, v10
	v_lshrrev_b32_e32 v5, 23, v5
	v_cmp_ne_u32_e32 vcc_lo, 0, v6
	v_cmp_ne_u32_e64 s0, 0, v10
	s_and_b32 s0, vcc_lo, s0
	v_cndmask_b32_e64 v6, 0, 1, s0
	v_add_nc_u32_e32 v6, v5, v6
.LBB67_1840:
	s_or_b32 exec_lo, exec_lo, s3
	s_mov_b32 s0, 0
	s_mov_b32 s3, -1
	global_store_byte v[3:4], v6, off
.LBB67_1841:
	s_mov_b32 s5, 0
.LBB67_1842:
	s_and_b32 vcc_lo, exec_lo, s5
	s_cbranch_vccz .LBB67_1845
; %bb.1843:
	s_cmp_eq_u32 s1, 29
	s_mov_b32 s0, -1
	s_cbranch_scc0 .LBB67_1845
; %bb.1844:
	v_cvt_f32_f16_e32 v5, v1
	v_mov_b32_e32 v6, 0
	s_mov_b32 s0, 0
	s_mov_b32 s3, -1
	v_cvt_u32_f32_e32 v5, v5
	global_store_dwordx2 v[3:4], v[5:6], off
.LBB67_1845:
	s_mov_b32 s5, 0
.LBB67_1846:
	s_and_b32 vcc_lo, exec_lo, s5
	s_cbranch_vccz .LBB67_1862
; %bb.1847:
	s_cmp_lt_i32 s1, 27
	s_mov_b32 s3, -1
	s_cbranch_scc1 .LBB67_1853
; %bb.1848:
	s_cmp_gt_i32 s1, 27
	s_cbranch_scc0 .LBB67_1850
; %bb.1849:
	v_cvt_f32_f16_e32 v5, v1
	s_mov_b32 s3, 0
	v_cvt_u32_f32_e32 v5, v5
	global_store_dword v[3:4], v5, off
.LBB67_1850:
	s_andn2_b32 vcc_lo, exec_lo, s3
	s_cbranch_vccnz .LBB67_1852
; %bb.1851:
	v_cvt_u16_f16_e32 v5, v1
	global_store_short v[3:4], v5, off
.LBB67_1852:
	s_mov_b32 s3, 0
.LBB67_1853:
	s_andn2_b32 vcc_lo, exec_lo, s3
	s_cbranch_vccnz .LBB67_1861
; %bb.1854:
	v_cvt_f32_f16_e32 v5, v1
	v_mov_b32_e32 v10, 0x80
	s_mov_b32 s3, exec_lo
	v_and_b32_e32 v6, 0x7fffffff, v5
	v_cmpx_gt_u32_e32 0x43800000, v6
	s_cbranch_execz .LBB67_1860
; %bb.1855:
	v_cmp_lt_u32_e32 vcc_lo, 0x3bffffff, v6
	s_mov_b32 s5, 0
                                        ; implicit-def: $vgpr6
	s_and_saveexec_b32 s6, vcc_lo
	s_xor_b32 s6, exec_lo, s6
	s_cbranch_execz .LBB67_2195
; %bb.1856:
	v_bfe_u32 v6, v5, 20, 1
	s_mov_b32 s5, exec_lo
	v_add3_u32 v6, v5, v6, 0x487ffff
	v_lshrrev_b32_e32 v6, 20, v6
	s_andn2_saveexec_b32 s6, s6
	s_cbranch_execnz .LBB67_2196
.LBB67_1857:
	s_or_b32 exec_lo, exec_lo, s6
	v_mov_b32_e32 v10, 0
	s_and_saveexec_b32 s6, s5
.LBB67_1858:
	v_lshrrev_b32_e32 v5, 24, v5
	v_and_or_b32 v10, 0x80, v5, v6
.LBB67_1859:
	s_or_b32 exec_lo, exec_lo, s6
.LBB67_1860:
	s_or_b32 exec_lo, exec_lo, s3
	global_store_byte v[3:4], v10, off
.LBB67_1861:
	s_mov_b32 s3, -1
.LBB67_1862:
	s_mov_b32 s5, 0
.LBB67_1863:
	s_and_b32 vcc_lo, exec_lo, s5
	s_cbranch_vccz .LBB67_1903
; %bb.1864:
	s_cmp_gt_i32 s1, 22
	s_mov_b32 s2, -1
	s_cbranch_scc0 .LBB67_1896
; %bb.1865:
	s_cmp_lt_i32 s1, 24
	s_cbranch_scc1 .LBB67_1885
; %bb.1866:
	s_cmp_gt_i32 s1, 24
	s_cbranch_scc0 .LBB67_1874
; %bb.1867:
	v_cvt_f32_f16_e32 v5, v1
	v_mov_b32_e32 v10, 0x80
	s_mov_b32 s2, exec_lo
	v_and_b32_e32 v6, 0x7fffffff, v5
	v_cmpx_gt_u32_e32 0x47800000, v6
	s_cbranch_execz .LBB67_1873
; %bb.1868:
	v_cmp_lt_u32_e32 vcc_lo, 0x37ffffff, v6
	s_mov_b32 s3, 0
                                        ; implicit-def: $vgpr6
	s_and_saveexec_b32 s5, vcc_lo
	s_xor_b32 s5, exec_lo, s5
	s_cbranch_execz .LBB67_2198
; %bb.1869:
	v_bfe_u32 v6, v5, 21, 1
	s_mov_b32 s3, exec_lo
	v_add3_u32 v6, v5, v6, 0x88fffff
	v_lshrrev_b32_e32 v6, 21, v6
	s_andn2_saveexec_b32 s5, s5
	s_cbranch_execnz .LBB67_2199
.LBB67_1870:
	s_or_b32 exec_lo, exec_lo, s5
	v_mov_b32_e32 v10, 0
	s_and_saveexec_b32 s5, s3
.LBB67_1871:
	v_lshrrev_b32_e32 v5, 24, v5
	v_and_or_b32 v10, 0x80, v5, v6
.LBB67_1872:
	s_or_b32 exec_lo, exec_lo, s5
.LBB67_1873:
	s_or_b32 exec_lo, exec_lo, s2
	s_mov_b32 s2, 0
	global_store_byte v[3:4], v10, off
.LBB67_1874:
	s_and_b32 vcc_lo, exec_lo, s2
	s_cbranch_vccz .LBB67_1884
; %bb.1875:
	v_cvt_f32_f16_e32 v5, v1
	s_mov_b32 s2, exec_lo
                                        ; implicit-def: $vgpr6
	v_and_b32_e32 v10, 0x7fffffff, v5
	v_cmpx_gt_u32_e32 0x43f00000, v10
	s_xor_b32 s2, exec_lo, s2
	s_cbranch_execz .LBB67_1881
; %bb.1876:
	s_mov_b32 s3, exec_lo
                                        ; implicit-def: $vgpr6
	v_cmpx_lt_u32_e32 0x3c7fffff, v10
	s_xor_b32 s3, exec_lo, s3
; %bb.1877:
	v_bfe_u32 v6, v5, 20, 1
	v_add3_u32 v6, v5, v6, 0x407ffff
	v_and_b32_e32 v10, 0xff00000, v6
	v_lshrrev_b32_e32 v6, 20, v6
	v_cmp_ne_u32_e32 vcc_lo, 0x7f00000, v10
	v_cndmask_b32_e32 v6, 0x7e, v6, vcc_lo
; %bb.1878:
	s_andn2_saveexec_b32 s3, s3
; %bb.1879:
	v_add_f32_e64 v6, 0x46800000, |v5|
; %bb.1880:
	s_or_b32 exec_lo, exec_lo, s3
                                        ; implicit-def: $vgpr10
.LBB67_1881:
	s_andn2_saveexec_b32 s2, s2
; %bb.1882:
	v_mov_b32_e32 v6, 0x7f
	v_cmp_lt_u32_e32 vcc_lo, 0x7f800000, v10
	v_cndmask_b32_e32 v6, 0x7e, v6, vcc_lo
; %bb.1883:
	s_or_b32 exec_lo, exec_lo, s2
	v_lshrrev_b32_e32 v5, 24, v5
	v_and_or_b32 v5, 0x80, v5, v6
	global_store_byte v[3:4], v5, off
.LBB67_1884:
	s_mov_b32 s2, 0
.LBB67_1885:
	s_andn2_b32 vcc_lo, exec_lo, s2
	s_cbranch_vccnz .LBB67_1895
; %bb.1886:
	v_cvt_f32_f16_e32 v5, v1
	s_mov_b32 s2, exec_lo
                                        ; implicit-def: $vgpr6
	v_and_b32_e32 v10, 0x7fffffff, v5
	v_cmpx_gt_u32_e32 0x47800000, v10
	s_xor_b32 s2, exec_lo, s2
	s_cbranch_execz .LBB67_1892
; %bb.1887:
	s_mov_b32 s3, exec_lo
                                        ; implicit-def: $vgpr6
	v_cmpx_lt_u32_e32 0x387fffff, v10
	s_xor_b32 s3, exec_lo, s3
; %bb.1888:
	v_bfe_u32 v6, v5, 21, 1
	v_add3_u32 v6, v5, v6, 0x80fffff
	v_lshrrev_b32_e32 v6, 21, v6
; %bb.1889:
	s_andn2_saveexec_b32 s3, s3
; %bb.1890:
	v_add_f32_e64 v6, 0x43000000, |v5|
; %bb.1891:
	s_or_b32 exec_lo, exec_lo, s3
                                        ; implicit-def: $vgpr10
.LBB67_1892:
	s_andn2_saveexec_b32 s2, s2
; %bb.1893:
	v_mov_b32_e32 v6, 0x7f
	v_cmp_lt_u32_e32 vcc_lo, 0x7f800000, v10
	v_cndmask_b32_e32 v6, 0x7c, v6, vcc_lo
; %bb.1894:
	s_or_b32 exec_lo, exec_lo, s2
	v_lshrrev_b32_e32 v5, 24, v5
	v_and_or_b32 v5, 0x80, v5, v6
	global_store_byte v[3:4], v5, off
.LBB67_1895:
	s_mov_b32 s2, 0
	s_mov_b32 s3, -1
.LBB67_1896:
	s_andn2_b32 vcc_lo, exec_lo, s2
	s_mov_b32 s2, 0
	s_cbranch_vccnz .LBB67_1903
; %bb.1897:
	s_cmp_gt_i32 s1, 14
	s_mov_b32 s2, -1
	s_cbranch_scc0 .LBB67_1901
; %bb.1898:
	s_cmp_eq_u32 s1, 15
	s_mov_b32 s0, -1
	s_cbranch_scc0 .LBB67_1900
; %bb.1899:
	v_cvt_f32_f16_e32 v5, v1
	v_cmp_o_f16_e32 vcc_lo, v1, v1
	s_mov_b32 s0, 0
	s_mov_b32 s3, -1
	v_bfe_u32 v6, v5, 16, 1
	v_add3_u32 v5, v5, v6, 0x7fff
	v_mov_b32_e32 v6, 0x7fc0
	v_cndmask_b32_sdwa v5, v6, v5, vcc_lo dst_sel:DWORD dst_unused:UNUSED_PAD src0_sel:DWORD src1_sel:WORD_1
	global_store_short v[3:4], v5, off
.LBB67_1900:
	s_mov_b32 s2, 0
.LBB67_1901:
	s_and_b32 vcc_lo, exec_lo, s2
	s_mov_b32 s2, 0
	s_cbranch_vccz .LBB67_1903
; %bb.1902:
	s_cmp_lg_u32 s1, 11
	s_mov_b32 s2, -1
	s_cselect_b32 s0, -1, 0
.LBB67_1903:
	s_and_b32 vcc_lo, exec_lo, s0
	s_cbranch_vccnz .LBB67_2197
; %bb.1904:
	s_andn2_b32 vcc_lo, exec_lo, s2
	s_cbranch_vccnz .LBB67_1906
.LBB67_1905:
	v_cmp_neq_f16_e32 vcc_lo, 0, v1
	s_mov_b32 s3, -1
	v_cndmask_b32_e64 v5, 0, 1, vcc_lo
	global_store_byte v[3:4], v5, off
.LBB67_1906:
	s_mov_b32 s0, 0
	s_branch .LBB67_1908
.LBB67_1907:
	s_mov_b32 s0, -1
	s_mov_b32 s3, 0
.LBB67_1908:
	s_and_b32 vcc_lo, exec_lo, s0
	s_cbranch_vccz .LBB67_1947
; %bb.1909:
	s_and_b32 s0, 0xffff, s10
	s_mov_b32 s1, -1
	s_cmp_lt_i32 s0, 5
	s_cbranch_scc1 .LBB67_1930
; %bb.1910:
	s_cmp_lt_i32 s0, 8
	s_cbranch_scc1 .LBB67_1920
; %bb.1911:
	;; [unrolled: 3-line block ×3, first 2 shown]
	s_cmp_gt_i32 s0, 9
	s_cbranch_scc0 .LBB67_1914
; %bb.1913:
	v_cvt_f32_f16_e32 v5, v1
	v_mov_b32_e32 v18, 0
	s_mov_b32 s1, 0
	v_cvt_f64_f32_e32 v[16:17], v5
	v_mov_b32_e32 v19, v18
	global_store_dwordx4 v[3:4], v[16:19], off
.LBB67_1914:
	s_andn2_b32 vcc_lo, exec_lo, s1
	s_cbranch_vccnz .LBB67_1916
; %bb.1915:
	v_cvt_f32_f16_e32 v5, v1
	v_mov_b32_e32 v6, 0
	global_store_dwordx2 v[3:4], v[5:6], off
.LBB67_1916:
	s_mov_b32 s1, 0
.LBB67_1917:
	s_andn2_b32 vcc_lo, exec_lo, s1
	s_cbranch_vccnz .LBB67_1919
; %bb.1918:
	v_and_b32_e32 v5, 0xffff, v1
	global_store_dword v[3:4], v5, off
.LBB67_1919:
	s_mov_b32 s1, 0
.LBB67_1920:
	s_andn2_b32 vcc_lo, exec_lo, s1
	s_cbranch_vccnz .LBB67_1929
; %bb.1921:
	s_cmp_lt_i32 s0, 6
	s_mov_b32 s1, -1
	s_cbranch_scc1 .LBB67_1927
; %bb.1922:
	s_cmp_gt_i32 s0, 6
	s_cbranch_scc0 .LBB67_1924
; %bb.1923:
	v_cvt_f32_f16_e32 v5, v1
	s_mov_b32 s1, 0
	v_cvt_f64_f32_e32 v[5:6], v5
	global_store_dwordx2 v[3:4], v[5:6], off
.LBB67_1924:
	s_andn2_b32 vcc_lo, exec_lo, s1
	s_cbranch_vccnz .LBB67_1926
; %bb.1925:
	v_cvt_f32_f16_e32 v5, v1
	global_store_dword v[3:4], v5, off
.LBB67_1926:
	s_mov_b32 s1, 0
.LBB67_1927:
	s_andn2_b32 vcc_lo, exec_lo, s1
	s_cbranch_vccnz .LBB67_1929
; %bb.1928:
	global_store_short v[3:4], v1, off
.LBB67_1929:
	s_mov_b32 s1, 0
.LBB67_1930:
	s_andn2_b32 vcc_lo, exec_lo, s1
	s_cbranch_vccnz .LBB67_1946
; %bb.1931:
	s_cmp_lt_i32 s0, 2
	s_mov_b32 s1, -1
	s_cbranch_scc1 .LBB67_1941
; %bb.1932:
	s_cmp_lt_i32 s0, 3
	s_cbranch_scc1 .LBB67_1938
; %bb.1933:
	s_cmp_gt_i32 s0, 3
	s_cbranch_scc0 .LBB67_1935
; %bb.1934:
	v_cvt_f32_f16_e32 v5, v1
	s_mov_b32 s1, 0
	v_cvt_i32_f32_e32 v5, v5
	v_ashrrev_i32_e32 v6, 31, v5
	global_store_dwordx2 v[3:4], v[5:6], off
.LBB67_1935:
	s_andn2_b32 vcc_lo, exec_lo, s1
	s_cbranch_vccnz .LBB67_1937
; %bb.1936:
	v_cvt_f32_f16_e32 v5, v1
	v_cvt_i32_f32_e32 v5, v5
	global_store_dword v[3:4], v5, off
.LBB67_1937:
	s_mov_b32 s1, 0
.LBB67_1938:
	s_andn2_b32 vcc_lo, exec_lo, s1
	s_cbranch_vccnz .LBB67_1940
; %bb.1939:
	v_cvt_i16_f16_e32 v5, v1
	global_store_short v[3:4], v5, off
.LBB67_1940:
	s_mov_b32 s1, 0
.LBB67_1941:
	s_andn2_b32 vcc_lo, exec_lo, s1
	s_cbranch_vccnz .LBB67_1946
; %bb.1942:
	s_cmp_gt_i32 s0, 0
	s_mov_b32 s0, -1
	s_cbranch_scc0 .LBB67_1944
; %bb.1943:
	v_cvt_i16_f16_e32 v5, v1
	s_mov_b32 s0, 0
	global_store_byte v[3:4], v5, off
.LBB67_1944:
	s_andn2_b32 vcc_lo, exec_lo, s0
	s_cbranch_vccnz .LBB67_1946
; %bb.1945:
	v_cvt_f32_f16_e32 v1, v1
	v_cvt_i32_f32_e32 v1, v1
	global_store_byte v[3:4], v1, off
.LBB67_1946:
	s_mov_b32 s3, -1
.LBB67_1947:
	s_andn2_b32 vcc_lo, exec_lo, s3
	s_cbranch_vccnz .LBB67_2143
; %bb.1948:
	v_add_f32_e32 v1, 1.0, v9
	v_mul_f32_e32 v3, v9, v9
	s_cmp_lt_i32 s10, 11
	v_mul_f32_e32 v4, v1, v1
	v_add_f32_e32 v1, 1.0, v1
	v_div_scale_f32 v5, null, v3, v3, 1.0
	v_div_scale_f32 v9, vcc_lo, 1.0, v3, 1.0
	v_mul_f32_e32 v10, v1, v1
	v_div_scale_f32 v6, null, v4, v4, 1.0
	v_rcp_f32_e32 v11, v5
	v_div_scale_f32 v17, s0, 1.0, v4, 1.0
	v_div_scale_f32 v16, null, v10, v10, 1.0
	v_rcp_f32_e32 v12, v6
	v_add_f32_e32 v1, 1.0, v1
	v_div_scale_f32 v18, s1, 1.0, v10, 1.0
	v_rcp_f32_e32 v19, v16
	v_fma_f32 v21, -v5, v11, 1.0
	v_mul_f32_e32 v20, v1, v1
	v_add_f32_e32 v1, 1.0, v1
	v_fma_f32 v22, -v6, v12, 1.0
	v_fmac_f32_e32 v11, v21, v11
	v_mul_f32_e32 v24, v1, v1
	v_add_f32_e32 v1, 1.0, v1
	v_fma_f32 v21, -v16, v19, 1.0
	v_fmac_f32_e32 v12, v22, v12
	v_mul_f32_e32 v25, v9, v11
	v_div_scale_f32 v23, null, v20, v20, 1.0
	v_fmac_f32_e32 v19, v21, v19
	v_mul_f32_e32 v26, v17, v12
	v_fma_f32 v27, -v5, v25, v9
	v_add_f32_e32 v30, 1.0, v1
	v_rcp_f32_e32 v22, v23
	v_mul_f32_e32 v29, v18, v19
	v_fma_f32 v28, -v6, v26, v17
	v_fmac_f32_e32 v25, v27, v11
	v_mul_f32_e32 v1, v1, v1
	v_div_scale_f32 v21, null, v24, v24, 1.0
	v_fma_f32 v27, -v16, v29, v18
	v_fmac_f32_e32 v26, v28, v12
	v_fma_f32 v5, -v5, v25, v9
	v_mul_f32_e32 v9, v30, v30
	v_rcp_f32_e32 v28, v21
	v_fmac_f32_e32 v29, v27, v19
	v_fma_f32 v6, -v6, v26, v17
	v_div_fmas_f32 v5, v5, v11, v25
	s_mov_b32 vcc_lo, s0
	v_fma_f32 v31, -v23, v22, 1.0
	v_fma_f32 v11, -v16, v29, v18
	v_div_fmas_f32 v6, v6, v12, v26
	s_mov_b32 vcc_lo, s1
	v_div_scale_f32 v12, null, v1, v1, 1.0
	v_div_fmas_f32 v11, v11, v19, v29
	v_div_scale_f32 v16, null, v9, v9, 1.0
	v_add_f32_e32 v19, v30, v30
	v_rcp_f32_e32 v18, v12
	v_fmac_f32_e32 v22, v31, v22
	v_rcp_f32_e32 v26, v16
	v_div_scale_f32 v17, vcc_lo, 1.0, v20, 1.0
	v_div_scale_f32 v29, null, v19, v19, 1.0
	v_fma_f32 v25, -v21, v28, 1.0
	v_mul_f32_e32 v27, v17, v22
	v_div_fixup_f32 v3, v5, v3, 1.0
	v_rcp_f32_e32 v32, v29
	v_fma_f32 v31, -v12, v18, 1.0
	v_fmac_f32_e32 v28, v25, v28
	v_div_scale_f32 v25, s0, 1.0, v24, 1.0
	v_fma_f32 v34, -v16, v26, 1.0
	v_fma_f32 v33, -v23, v27, v17
	v_fmac_f32_e32 v18, v31, v18
	v_div_scale_f32 v31, s1, 1.0, v1, 1.0
	v_mul_f32_e32 v35, v25, v28
	v_fmac_f32_e32 v26, v34, v26
	v_div_scale_f32 v34, s2, 1.0, v9, 1.0
	v_fma_f32 v36, -v29, v32, 1.0
	v_fmac_f32_e32 v27, v33, v22
	v_mul_f32_e32 v37, v31, v18
	v_fma_f32 v33, -v21, v35, v25
	v_mul_f32_e32 v38, v34, v26
	v_fmac_f32_e32 v32, v36, v32
	v_div_scale_f32 v36, s3, 1.0, v19, 1.0
	v_fma_f32 v17, -v23, v27, v17
	v_fma_f32 v23, -v12, v37, v31
	v_fmac_f32_e32 v35, v33, v28
	v_fma_f32 v33, -v16, v38, v34
	v_mul_f32_e32 v39, v36, v32
	v_div_fmas_f32 v17, v17, v22, v27
	v_fmac_f32_e32 v37, v23, v18
	v_fma_f32 v21, -v21, v35, v25
	v_fmac_f32_e32 v38, v33, v26
	v_fma_f32 v22, -v29, v39, v36
	s_mov_b32 vcc_lo, s0
	v_fma_f32 v12, -v12, v37, v31
	v_div_fmas_f32 v21, v21, v28, v35
	v_fma_f32 v16, -v16, v38, v34
	v_fmac_f32_e32 v39, v22, v32
	s_mov_b32 vcc_lo, s1
	s_mov_b32 s0, 0xbcc30c31
	v_div_fmas_f32 v12, v12, v18, v37
	s_mov_b32 vcc_lo, s2
	v_fma_f32 v18, -v29, v39, v36
	v_div_fmas_f32 v16, v16, v26, v38
	s_mov_b32 vcc_lo, s3
	v_add_f32_e32 v3, v14, v3
	v_div_fixup_f32 v4, v6, v4, 1.0
	v_div_fmas_f32 v18, v18, v32, v39
	v_div_fixup_f32 v9, v16, v9, 1.0
	v_div_fixup_f32 v1, v12, v1, 1.0
	v_add_f32_e32 v3, v3, v4
	v_div_fixup_f32 v16, v18, v19, 1.0
	v_fmaak_f32 v18, s0, v9, 0x3d088889
	v_div_fixup_f32 v4, v11, v10, 1.0
	v_add_f32_e32 v16, 1.0, v16
	v_fma_f32 v18, -v9, v18, 0x3e2aaaab
	v_add_f32_e32 v3, v3, v4
	v_div_fixup_f32 v4, v17, v20, 1.0
	v_fmac_f32_e32 v16, v9, v18
	v_add_f32_e32 v3, v3, v4
	v_div_fixup_f32 v4, v21, v24, 1.0
	v_div_scale_f32 v9, null, v30, v30, v16
	v_add_f32_e32 v3, v3, v4
	v_rcp_f32_e32 v18, v9
	v_add_f32_e32 v1, v3, v1
	v_fma_f32 v5, -v9, v18, 1.0
	v_fmac_f32_e32 v18, v5, v18
	v_div_scale_f32 v5, vcc_lo, v16, v30, v16
	v_mul_f32_e32 v6, v5, v18
	v_fma_f32 v10, -v9, v6, v5
	v_fmac_f32_e32 v6, v10, v18
	v_fma_f32 v5, -v9, v6, v5
	v_div_fmas_f32 v4, v5, v18, v6
	v_div_fixup_f32 v3, v4, v30, v16
	v_add_f32_e32 v1, v1, v3
	v_fma_mixlo_f16 v3, v13, v1, 0
	v_add_co_u32 v1, s0, s8, v2
	v_add_co_ci_u32_e64 v2, null, s9, 0, s0
	s_cbranch_scc1 .LBB67_2026
; %bb.1949:
	s_and_b32 s1, 0xffff, s10
	s_mov_b32 s5, -1
	s_mov_b32 s2, 0
	s_cmp_gt_i32 s1, 25
	s_mov_b32 s3, 0
	s_mov_b32 s0, 0
	s_cbranch_scc0 .LBB67_1982
; %bb.1950:
	s_cmp_gt_i32 s1, 28
	s_cbranch_scc0 .LBB67_1965
; %bb.1951:
	s_cmp_gt_i32 s1, 43
	;; [unrolled: 3-line block ×3, first 2 shown]
	s_cbranch_scc0 .LBB67_1955
; %bb.1953:
	s_mov_b32 s0, -1
	s_mov_b32 s5, 0
	s_cmp_eq_u32 s1, 46
	s_cbranch_scc0 .LBB67_1955
; %bb.1954:
	v_cvt_f32_f16_e32 v4, v3
	v_cmp_o_f16_e32 vcc_lo, v3, v3
	s_mov_b32 s0, 0
	s_mov_b32 s3, -1
	v_bfe_u32 v5, v4, 16, 1
	v_add3_u32 v4, v4, v5, 0x7fff
	v_mov_b32_e32 v5, 0x7fc0
	v_cndmask_b32_sdwa v4, v5, v4, vcc_lo dst_sel:DWORD dst_unused:UNUSED_PAD src0_sel:DWORD src1_sel:WORD_1
	global_store_dword v[1:2], v4, off
.LBB67_1955:
	s_and_b32 vcc_lo, exec_lo, s5
	s_cbranch_vccz .LBB67_1960
; %bb.1956:
	s_cmp_eq_u32 s1, 44
	s_mov_b32 s0, -1
	s_cbranch_scc0 .LBB67_1960
; %bb.1957:
	v_cvt_f32_f16_e32 v4, v3
	v_mov_b32_e32 v5, 0xff
	s_mov_b32 s3, exec_lo
	v_bfe_u32 v6, v4, 23, 8
	v_cmpx_ne_u32_e32 0xff, v6
	s_cbranch_execz .LBB67_1959
; %bb.1958:
	v_and_b32_e32 v5, 0x400000, v4
	v_and_or_b32 v6, 0x3fffff, v4, v6
	v_lshrrev_b32_e32 v4, 23, v4
	v_cmp_ne_u32_e32 vcc_lo, 0, v5
	v_cmp_ne_u32_e64 s0, 0, v6
	s_and_b32 s0, vcc_lo, s0
	v_cndmask_b32_e64 v5, 0, 1, s0
	v_add_nc_u32_e32 v5, v4, v5
.LBB67_1959:
	s_or_b32 exec_lo, exec_lo, s3
	s_mov_b32 s0, 0
	s_mov_b32 s3, -1
	global_store_byte v[1:2], v5, off
.LBB67_1960:
	s_mov_b32 s5, 0
.LBB67_1961:
	s_and_b32 vcc_lo, exec_lo, s5
	s_cbranch_vccz .LBB67_1964
; %bb.1962:
	s_cmp_eq_u32 s1, 29
	s_mov_b32 s0, -1
	s_cbranch_scc0 .LBB67_1964
; %bb.1963:
	v_cvt_f32_f16_e32 v4, v3
	v_mov_b32_e32 v5, 0
	s_mov_b32 s0, 0
	s_mov_b32 s3, -1
	v_cvt_u32_f32_e32 v4, v4
	global_store_dwordx2 v[1:2], v[4:5], off
.LBB67_1964:
	s_mov_b32 s5, 0
.LBB67_1965:
	s_and_b32 vcc_lo, exec_lo, s5
	s_cbranch_vccz .LBB67_1981
; %bb.1966:
	s_cmp_lt_i32 s1, 27
	s_mov_b32 s3, -1
	s_cbranch_scc1 .LBB67_1972
; %bb.1967:
	s_cmp_gt_i32 s1, 27
	s_cbranch_scc0 .LBB67_1969
; %bb.1968:
	v_cvt_f32_f16_e32 v4, v3
	s_mov_b32 s3, 0
	v_cvt_u32_f32_e32 v4, v4
	global_store_dword v[1:2], v4, off
.LBB67_1969:
	s_andn2_b32 vcc_lo, exec_lo, s3
	s_cbranch_vccnz .LBB67_1971
; %bb.1970:
	v_cvt_u16_f16_e32 v4, v3
	global_store_short v[1:2], v4, off
.LBB67_1971:
	s_mov_b32 s3, 0
.LBB67_1972:
	s_andn2_b32 vcc_lo, exec_lo, s3
	s_cbranch_vccnz .LBB67_1980
; %bb.1973:
	v_cvt_f32_f16_e32 v4, v3
	v_mov_b32_e32 v6, 0x80
	s_mov_b32 s3, exec_lo
	v_and_b32_e32 v5, 0x7fffffff, v4
	v_cmpx_gt_u32_e32 0x43800000, v5
	s_cbranch_execz .LBB67_1979
; %bb.1974:
	v_cmp_lt_u32_e32 vcc_lo, 0x3bffffff, v5
	s_mov_b32 s5, 0
                                        ; implicit-def: $vgpr5
	s_and_saveexec_b32 s6, vcc_lo
	s_xor_b32 s6, exec_lo, s6
	s_cbranch_execz .LBB67_2200
; %bb.1975:
	v_bfe_u32 v5, v4, 20, 1
	s_mov_b32 s5, exec_lo
	v_add3_u32 v5, v4, v5, 0x487ffff
	v_lshrrev_b32_e32 v5, 20, v5
	s_andn2_saveexec_b32 s6, s6
	s_cbranch_execnz .LBB67_2201
.LBB67_1976:
	s_or_b32 exec_lo, exec_lo, s6
	v_mov_b32_e32 v6, 0
	s_and_saveexec_b32 s6, s5
.LBB67_1977:
	v_lshrrev_b32_e32 v4, 24, v4
	v_and_or_b32 v6, 0x80, v4, v5
.LBB67_1978:
	s_or_b32 exec_lo, exec_lo, s6
.LBB67_1979:
	s_or_b32 exec_lo, exec_lo, s3
	global_store_byte v[1:2], v6, off
.LBB67_1980:
	s_mov_b32 s3, -1
.LBB67_1981:
	s_mov_b32 s5, 0
.LBB67_1982:
	s_and_b32 vcc_lo, exec_lo, s5
	s_cbranch_vccz .LBB67_2022
; %bb.1983:
	s_cmp_gt_i32 s1, 22
	s_mov_b32 s2, -1
	s_cbranch_scc0 .LBB67_2015
; %bb.1984:
	s_cmp_lt_i32 s1, 24
	s_cbranch_scc1 .LBB67_2004
; %bb.1985:
	s_cmp_gt_i32 s1, 24
	s_cbranch_scc0 .LBB67_1993
; %bb.1986:
	v_cvt_f32_f16_e32 v4, v3
	v_mov_b32_e32 v6, 0x80
	s_mov_b32 s2, exec_lo
	v_and_b32_e32 v5, 0x7fffffff, v4
	v_cmpx_gt_u32_e32 0x47800000, v5
	s_cbranch_execz .LBB67_1992
; %bb.1987:
	v_cmp_lt_u32_e32 vcc_lo, 0x37ffffff, v5
	s_mov_b32 s3, 0
                                        ; implicit-def: $vgpr5
	s_and_saveexec_b32 s5, vcc_lo
	s_xor_b32 s5, exec_lo, s5
	s_cbranch_execz .LBB67_2203
; %bb.1988:
	v_bfe_u32 v5, v4, 21, 1
	s_mov_b32 s3, exec_lo
	v_add3_u32 v5, v4, v5, 0x88fffff
	v_lshrrev_b32_e32 v5, 21, v5
	s_andn2_saveexec_b32 s5, s5
	s_cbranch_execnz .LBB67_2204
.LBB67_1989:
	s_or_b32 exec_lo, exec_lo, s5
	v_mov_b32_e32 v6, 0
	s_and_saveexec_b32 s5, s3
.LBB67_1990:
	v_lshrrev_b32_e32 v4, 24, v4
	v_and_or_b32 v6, 0x80, v4, v5
.LBB67_1991:
	s_or_b32 exec_lo, exec_lo, s5
.LBB67_1992:
	s_or_b32 exec_lo, exec_lo, s2
	s_mov_b32 s2, 0
	global_store_byte v[1:2], v6, off
.LBB67_1993:
	s_and_b32 vcc_lo, exec_lo, s2
	s_cbranch_vccz .LBB67_2003
; %bb.1994:
	v_cvt_f32_f16_e32 v4, v3
	s_mov_b32 s2, exec_lo
                                        ; implicit-def: $vgpr5
	v_and_b32_e32 v6, 0x7fffffff, v4
	v_cmpx_gt_u32_e32 0x43f00000, v6
	s_xor_b32 s2, exec_lo, s2
	s_cbranch_execz .LBB67_2000
; %bb.1995:
	s_mov_b32 s3, exec_lo
                                        ; implicit-def: $vgpr5
	v_cmpx_lt_u32_e32 0x3c7fffff, v6
	s_xor_b32 s3, exec_lo, s3
; %bb.1996:
	v_bfe_u32 v5, v4, 20, 1
	v_add3_u32 v5, v4, v5, 0x407ffff
	v_and_b32_e32 v6, 0xff00000, v5
	v_lshrrev_b32_e32 v5, 20, v5
	v_cmp_ne_u32_e32 vcc_lo, 0x7f00000, v6
	v_cndmask_b32_e32 v5, 0x7e, v5, vcc_lo
; %bb.1997:
	s_andn2_saveexec_b32 s3, s3
; %bb.1998:
	v_add_f32_e64 v5, 0x46800000, |v4|
; %bb.1999:
	s_or_b32 exec_lo, exec_lo, s3
                                        ; implicit-def: $vgpr6
.LBB67_2000:
	s_andn2_saveexec_b32 s2, s2
; %bb.2001:
	v_mov_b32_e32 v5, 0x7f
	v_cmp_lt_u32_e32 vcc_lo, 0x7f800000, v6
	v_cndmask_b32_e32 v5, 0x7e, v5, vcc_lo
; %bb.2002:
	s_or_b32 exec_lo, exec_lo, s2
	v_lshrrev_b32_e32 v4, 24, v4
	v_and_or_b32 v4, 0x80, v4, v5
	global_store_byte v[1:2], v4, off
.LBB67_2003:
	s_mov_b32 s2, 0
.LBB67_2004:
	s_andn2_b32 vcc_lo, exec_lo, s2
	s_cbranch_vccnz .LBB67_2014
; %bb.2005:
	v_cvt_f32_f16_e32 v4, v3
	s_mov_b32 s2, exec_lo
                                        ; implicit-def: $vgpr5
	v_and_b32_e32 v6, 0x7fffffff, v4
	v_cmpx_gt_u32_e32 0x47800000, v6
	s_xor_b32 s2, exec_lo, s2
	s_cbranch_execz .LBB67_2011
; %bb.2006:
	s_mov_b32 s3, exec_lo
                                        ; implicit-def: $vgpr5
	v_cmpx_lt_u32_e32 0x387fffff, v6
	s_xor_b32 s3, exec_lo, s3
; %bb.2007:
	v_bfe_u32 v5, v4, 21, 1
	v_add3_u32 v5, v4, v5, 0x80fffff
	v_lshrrev_b32_e32 v5, 21, v5
; %bb.2008:
	s_andn2_saveexec_b32 s3, s3
; %bb.2009:
	v_add_f32_e64 v5, 0x43000000, |v4|
; %bb.2010:
	s_or_b32 exec_lo, exec_lo, s3
                                        ; implicit-def: $vgpr6
.LBB67_2011:
	s_andn2_saveexec_b32 s2, s2
; %bb.2012:
	v_mov_b32_e32 v5, 0x7f
	v_cmp_lt_u32_e32 vcc_lo, 0x7f800000, v6
	v_cndmask_b32_e32 v5, 0x7c, v5, vcc_lo
; %bb.2013:
	s_or_b32 exec_lo, exec_lo, s2
	v_lshrrev_b32_e32 v4, 24, v4
	v_and_or_b32 v4, 0x80, v4, v5
	global_store_byte v[1:2], v4, off
.LBB67_2014:
	s_mov_b32 s2, 0
	s_mov_b32 s3, -1
.LBB67_2015:
	s_andn2_b32 vcc_lo, exec_lo, s2
	s_mov_b32 s2, 0
	s_cbranch_vccnz .LBB67_2022
; %bb.2016:
	s_cmp_gt_i32 s1, 14
	s_mov_b32 s2, -1
	s_cbranch_scc0 .LBB67_2020
; %bb.2017:
	s_cmp_eq_u32 s1, 15
	s_mov_b32 s0, -1
	s_cbranch_scc0 .LBB67_2019
; %bb.2018:
	v_cvt_f32_f16_e32 v4, v3
	v_cmp_o_f16_e32 vcc_lo, v3, v3
	s_mov_b32 s0, 0
	s_mov_b32 s3, -1
	v_bfe_u32 v5, v4, 16, 1
	v_add3_u32 v4, v4, v5, 0x7fff
	v_mov_b32_e32 v5, 0x7fc0
	v_cndmask_b32_sdwa v4, v5, v4, vcc_lo dst_sel:DWORD dst_unused:UNUSED_PAD src0_sel:DWORD src1_sel:WORD_1
	global_store_short v[1:2], v4, off
.LBB67_2019:
	s_mov_b32 s2, 0
.LBB67_2020:
	s_and_b32 vcc_lo, exec_lo, s2
	s_mov_b32 s2, 0
	s_cbranch_vccz .LBB67_2022
; %bb.2021:
	s_cmp_lg_u32 s1, 11
	s_mov_b32 s2, -1
	s_cselect_b32 s0, -1, 0
.LBB67_2022:
	s_and_b32 vcc_lo, exec_lo, s0
	s_cbranch_vccnz .LBB67_2202
; %bb.2023:
	s_andn2_b32 vcc_lo, exec_lo, s2
	s_cbranch_vccnz .LBB67_2025
.LBB67_2024:
	v_cmp_neq_f16_e32 vcc_lo, 0, v3
	s_mov_b32 s3, -1
	v_cndmask_b32_e64 v4, 0, 1, vcc_lo
	global_store_byte v[1:2], v4, off
.LBB67_2025:
	s_mov_b32 s0, 0
	s_branch .LBB67_2027
.LBB67_2026:
	s_mov_b32 s0, -1
	s_mov_b32 s3, 0
.LBB67_2027:
	s_and_b32 vcc_lo, exec_lo, s0
	s_cbranch_vccz .LBB67_2066
; %bb.2028:
	s_and_b32 s0, 0xffff, s10
	s_mov_b32 s1, -1
	s_cmp_lt_i32 s0, 5
	s_cbranch_scc1 .LBB67_2049
; %bb.2029:
	s_cmp_lt_i32 s0, 8
	s_cbranch_scc1 .LBB67_2039
; %bb.2030:
	s_cmp_lt_i32 s0, 9
	s_cbranch_scc1 .LBB67_2036
; %bb.2031:
	s_cmp_gt_i32 s0, 9
	s_cbranch_scc0 .LBB67_2033
; %bb.2032:
	v_cvt_f32_f16_e32 v4, v3
	v_mov_b32_e32 v11, 0
	s_mov_b32 s1, 0
	v_cvt_f64_f32_e32 v[9:10], v4
	v_mov_b32_e32 v12, v11
	global_store_dwordx4 v[1:2], v[9:12], off
.LBB67_2033:
	s_andn2_b32 vcc_lo, exec_lo, s1
	s_cbranch_vccnz .LBB67_2035
; %bb.2034:
	v_cvt_f32_f16_e32 v4, v3
	v_mov_b32_e32 v5, 0
	global_store_dwordx2 v[1:2], v[4:5], off
.LBB67_2035:
	s_mov_b32 s1, 0
.LBB67_2036:
	s_andn2_b32 vcc_lo, exec_lo, s1
	s_cbranch_vccnz .LBB67_2038
; %bb.2037:
	v_and_b32_e32 v4, 0xffff, v3
	global_store_dword v[1:2], v4, off
.LBB67_2038:
	s_mov_b32 s1, 0
.LBB67_2039:
	s_andn2_b32 vcc_lo, exec_lo, s1
	s_cbranch_vccnz .LBB67_2048
; %bb.2040:
	s_cmp_lt_i32 s0, 6
	s_mov_b32 s1, -1
	s_cbranch_scc1 .LBB67_2046
; %bb.2041:
	s_cmp_gt_i32 s0, 6
	s_cbranch_scc0 .LBB67_2043
; %bb.2042:
	v_cvt_f32_f16_e32 v4, v3
	s_mov_b32 s1, 0
	v_cvt_f64_f32_e32 v[4:5], v4
	global_store_dwordx2 v[1:2], v[4:5], off
.LBB67_2043:
	s_andn2_b32 vcc_lo, exec_lo, s1
	s_cbranch_vccnz .LBB67_2045
; %bb.2044:
	v_cvt_f32_f16_e32 v4, v3
	global_store_dword v[1:2], v4, off
.LBB67_2045:
	s_mov_b32 s1, 0
.LBB67_2046:
	s_andn2_b32 vcc_lo, exec_lo, s1
	s_cbranch_vccnz .LBB67_2048
; %bb.2047:
	global_store_short v[1:2], v3, off
.LBB67_2048:
	s_mov_b32 s1, 0
.LBB67_2049:
	s_andn2_b32 vcc_lo, exec_lo, s1
	s_cbranch_vccnz .LBB67_2065
; %bb.2050:
	s_cmp_lt_i32 s0, 2
	s_mov_b32 s1, -1
	s_cbranch_scc1 .LBB67_2060
; %bb.2051:
	s_cmp_lt_i32 s0, 3
	s_cbranch_scc1 .LBB67_2057
; %bb.2052:
	s_cmp_gt_i32 s0, 3
	s_cbranch_scc0 .LBB67_2054
; %bb.2053:
	v_cvt_f32_f16_e32 v4, v3
	s_mov_b32 s1, 0
	v_cvt_i32_f32_e32 v4, v4
	v_ashrrev_i32_e32 v5, 31, v4
	global_store_dwordx2 v[1:2], v[4:5], off
.LBB67_2054:
	s_andn2_b32 vcc_lo, exec_lo, s1
	s_cbranch_vccnz .LBB67_2056
; %bb.2055:
	v_cvt_f32_f16_e32 v4, v3
	v_cvt_i32_f32_e32 v4, v4
	global_store_dword v[1:2], v4, off
.LBB67_2056:
	s_mov_b32 s1, 0
.LBB67_2057:
	s_andn2_b32 vcc_lo, exec_lo, s1
	s_cbranch_vccnz .LBB67_2059
; %bb.2058:
	v_cvt_i16_f16_e32 v4, v3
	global_store_short v[1:2], v4, off
.LBB67_2059:
	s_mov_b32 s1, 0
.LBB67_2060:
	s_andn2_b32 vcc_lo, exec_lo, s1
	s_cbranch_vccnz .LBB67_2065
; %bb.2061:
	s_cmp_gt_i32 s0, 0
	s_mov_b32 s0, -1
	s_cbranch_scc0 .LBB67_2063
; %bb.2062:
	v_cvt_i16_f16_e32 v4, v3
	s_mov_b32 s0, 0
	global_store_byte v[1:2], v4, off
.LBB67_2063:
	s_andn2_b32 vcc_lo, exec_lo, s0
	s_cbranch_vccnz .LBB67_2065
; %bb.2064:
	v_cvt_f32_f16_e32 v3, v3
	v_cvt_i32_f32_e32 v3, v3
	global_store_byte v[1:2], v3, off
.LBB67_2065:
	s_mov_b32 s3, -1
.LBB67_2066:
	s_andn2_b32 vcc_lo, exec_lo, s3
	s_cbranch_vccnz .LBB67_2143
; %bb.2067:
	v_add_f32_e32 v1, 1.0, v7
	v_mul_f32_e32 v2, v7, v7
	s_cmp_lt_i32 s10, 11
	v_mul_f32_e32 v3, v1, v1
	v_add_f32_e32 v1, 1.0, v1
	v_div_scale_f32 v4, null, v2, v2, 1.0
	v_div_scale_f32 v6, vcc_lo, 1.0, v2, 1.0
	v_mul_f32_e32 v7, v1, v1
	v_div_scale_f32 v5, null, v3, v3, 1.0
	v_rcp_f32_e32 v9, v4
	v_div_scale_f32 v12, s0, 1.0, v3, 1.0
	v_div_scale_f32 v11, null, v7, v7, 1.0
	v_rcp_f32_e32 v10, v5
	v_add_f32_e32 v1, 1.0, v1
	v_div_scale_f32 v13, s1, 1.0, v7, 1.0
	v_rcp_f32_e32 v14, v11
	v_fma_f32 v17, -v4, v9, 1.0
	v_mul_f32_e32 v16, v1, v1
	v_add_f32_e32 v1, 1.0, v1
	v_fma_f32 v18, -v5, v10, 1.0
	v_fmac_f32_e32 v9, v17, v9
	v_mul_f32_e32 v20, v1, v1
	v_add_f32_e32 v1, 1.0, v1
	v_fma_f32 v17, -v11, v14, 1.0
	v_fmac_f32_e32 v10, v18, v10
	v_mul_f32_e32 v21, v6, v9
	v_div_scale_f32 v19, null, v16, v16, 1.0
	v_fmac_f32_e32 v14, v17, v14
	v_mul_f32_e32 v22, v12, v10
	v_fma_f32 v23, -v4, v21, v6
	v_add_f32_e32 v26, 1.0, v1
	v_rcp_f32_e32 v18, v19
	v_mul_f32_e32 v25, v13, v14
	v_fma_f32 v24, -v5, v22, v12
	v_fmac_f32_e32 v21, v23, v9
	v_mul_f32_e32 v1, v1, v1
	v_div_scale_f32 v17, null, v20, v20, 1.0
	v_fma_f32 v23, -v11, v25, v13
	v_fmac_f32_e32 v22, v24, v10
	v_fma_f32 v4, -v4, v21, v6
	v_mul_f32_e32 v6, v26, v26
	v_rcp_f32_e32 v24, v17
	v_fmac_f32_e32 v25, v23, v14
	v_fma_f32 v5, -v5, v22, v12
	v_div_fmas_f32 v4, v4, v9, v21
	s_mov_b32 vcc_lo, s0
	v_fma_f32 v27, -v19, v18, 1.0
	v_fma_f32 v9, -v11, v25, v13
	v_div_fmas_f32 v5, v5, v10, v22
	s_mov_b32 vcc_lo, s1
	v_div_scale_f32 v10, null, v1, v1, 1.0
	v_div_fmas_f32 v9, v9, v14, v25
	v_div_scale_f32 v11, null, v6, v6, 1.0
	v_add_f32_e32 v14, v26, v26
	v_rcp_f32_e32 v13, v10
	v_fmac_f32_e32 v18, v27, v18
	v_rcp_f32_e32 v22, v11
	v_div_scale_f32 v12, vcc_lo, 1.0, v16, 1.0
	v_div_scale_f32 v25, null, v14, v14, 1.0
	v_fma_f32 v21, -v17, v24, 1.0
	v_mul_f32_e32 v23, v12, v18
	v_div_fixup_f32 v2, v4, v2, 1.0
	v_rcp_f32_e32 v28, v25
	v_fma_f32 v27, -v10, v13, 1.0
	v_fmac_f32_e32 v24, v21, v24
	v_div_scale_f32 v21, s0, 1.0, v20, 1.0
	v_fma_f32 v30, -v11, v22, 1.0
	v_fma_f32 v29, -v19, v23, v12
	v_fmac_f32_e32 v13, v27, v13
	v_div_scale_f32 v27, s1, 1.0, v1, 1.0
	v_mul_f32_e32 v31, v21, v24
	v_fmac_f32_e32 v22, v30, v22
	v_div_scale_f32 v30, s2, 1.0, v6, 1.0
	v_fma_f32 v32, -v25, v28, 1.0
	v_fmac_f32_e32 v23, v29, v18
	v_mul_f32_e32 v33, v27, v13
	v_fma_f32 v29, -v17, v31, v21
	v_mul_f32_e32 v34, v30, v22
	v_fmac_f32_e32 v28, v32, v28
	v_div_scale_f32 v32, s3, 1.0, v14, 1.0
	v_fma_f32 v12, -v19, v23, v12
	v_fma_f32 v19, -v10, v33, v27
	v_fmac_f32_e32 v31, v29, v24
	v_fma_f32 v29, -v11, v34, v30
	v_mul_f32_e32 v35, v32, v28
	v_div_fmas_f32 v12, v12, v18, v23
	v_fmac_f32_e32 v33, v19, v13
	v_fma_f32 v17, -v17, v31, v21
	v_fmac_f32_e32 v34, v29, v22
	v_fma_f32 v18, -v25, v35, v32
	s_mov_b32 vcc_lo, s0
	v_fma_f32 v10, -v10, v33, v27
	v_div_fmas_f32 v17, v17, v24, v31
	v_fma_f32 v11, -v11, v34, v30
	v_fmac_f32_e32 v35, v18, v28
	s_mov_b32 vcc_lo, s1
	s_mov_b32 s0, 0xbcc30c31
	v_div_fmas_f32 v10, v10, v13, v33
	s_mov_b32 vcc_lo, s2
	v_fma_f32 v13, -v25, v35, v32
	v_div_fmas_f32 v11, v11, v22, v34
	s_mov_b32 vcc_lo, s3
	v_add_f32_e32 v2, v15, v2
	v_div_fixup_f32 v3, v5, v3, 1.0
	v_div_fmas_f32 v13, v13, v28, v35
	v_div_fixup_f32 v6, v11, v6, 1.0
	v_div_fixup_f32 v1, v10, v1, 1.0
	v_add_f32_e32 v2, v2, v3
	v_div_fixup_f32 v11, v13, v14, 1.0
	v_fmaak_f32 v13, s0, v6, 0x3d088889
	v_div_fixup_f32 v3, v9, v7, 1.0
	v_add_co_u32 v0, s0, s8, v0
	v_add_f32_e32 v11, 1.0, v11
	v_fma_f32 v13, -v6, v13, 0x3e2aaaab
	v_add_f32_e32 v2, v2, v3
	v_div_fixup_f32 v3, v12, v16, 1.0
	v_fmac_f32_e32 v11, v6, v13
	v_add_f32_e32 v2, v2, v3
	v_div_fixup_f32 v3, v17, v20, 1.0
	v_div_scale_f32 v6, null, v26, v26, v11
	v_add_f32_e32 v2, v2, v3
	v_rcp_f32_e32 v13, v6
	v_add_f32_e32 v1, v2, v1
	v_fma_f32 v4, -v6, v13, 1.0
	v_fmac_f32_e32 v13, v4, v13
	v_div_scale_f32 v4, vcc_lo, v11, v26, v11
	v_mul_f32_e32 v5, v4, v13
	v_fma_f32 v7, -v6, v5, v4
	v_fmac_f32_e32 v5, v7, v13
	v_fma_f32 v4, -v6, v5, v4
	v_div_fmas_f32 v3, v4, v13, v5
	v_div_fixup_f32 v2, v3, v26, v11
	v_add_f32_e32 v1, v1, v2
	v_fma_mixlo_f16 v2, v8, v1, 0
	v_add_co_ci_u32_e64 v1, null, s9, 0, s0
	s_cbranch_scc1 .LBB67_2188
; %bb.2068:
	s_and_b32 s1, 0xffff, s10
	s_mov_b32 s3, -1
	s_mov_b32 s2, 0
	s_cmp_gt_i32 s1, 25
	s_mov_b32 s0, 0
	s_cbranch_scc0 .LBB67_2101
; %bb.2069:
	s_cmp_gt_i32 s1, 28
	s_cbranch_scc0 .LBB67_2085
; %bb.2070:
	s_cmp_gt_i32 s1, 43
	;; [unrolled: 3-line block ×3, first 2 shown]
	s_cbranch_scc0 .LBB67_2075
; %bb.2072:
	s_cmp_eq_u32 s1, 46
	s_mov_b32 s0, -1
	s_cbranch_scc0 .LBB67_2074
; %bb.2073:
	v_cvt_f32_f16_e32 v3, v2
	v_cmp_o_f16_e32 vcc_lo, v2, v2
	s_mov_b32 s0, 0
	v_bfe_u32 v4, v3, 16, 1
	v_add3_u32 v3, v3, v4, 0x7fff
	v_mov_b32_e32 v4, 0x7fc0
	v_cndmask_b32_sdwa v3, v4, v3, vcc_lo dst_sel:DWORD dst_unused:UNUSED_PAD src0_sel:DWORD src1_sel:WORD_1
	global_store_dword v[0:1], v3, off
.LBB67_2074:
	s_mov_b32 s3, 0
.LBB67_2075:
	s_and_b32 vcc_lo, exec_lo, s3
	s_cbranch_vccz .LBB67_2080
; %bb.2076:
	s_cmp_eq_u32 s1, 44
	s_mov_b32 s0, -1
	s_cbranch_scc0 .LBB67_2080
; %bb.2077:
	v_cvt_f32_f16_e32 v3, v2
	v_mov_b32_e32 v4, 0xff
	s_mov_b32 s3, exec_lo
	v_bfe_u32 v5, v3, 23, 8
	v_cmpx_ne_u32_e32 0xff, v5
	s_cbranch_execz .LBB67_2079
; %bb.2078:
	v_and_b32_e32 v4, 0x400000, v3
	v_and_or_b32 v5, 0x3fffff, v3, v5
	v_lshrrev_b32_e32 v3, 23, v3
	v_cmp_ne_u32_e32 vcc_lo, 0, v4
	v_cmp_ne_u32_e64 s0, 0, v5
	s_and_b32 s0, vcc_lo, s0
	v_cndmask_b32_e64 v4, 0, 1, s0
	v_add_nc_u32_e32 v4, v3, v4
.LBB67_2079:
	s_or_b32 exec_lo, exec_lo, s3
	s_mov_b32 s0, 0
	global_store_byte v[0:1], v4, off
.LBB67_2080:
	s_mov_b32 s3, 0
.LBB67_2081:
	s_and_b32 vcc_lo, exec_lo, s3
	s_cbranch_vccz .LBB67_2084
; %bb.2082:
	s_cmp_eq_u32 s1, 29
	s_mov_b32 s0, -1
	s_cbranch_scc0 .LBB67_2084
; %bb.2083:
	v_cvt_f32_f16_e32 v3, v2
	v_mov_b32_e32 v4, 0
	s_mov_b32 s0, 0
	v_cvt_u32_f32_e32 v3, v3
	global_store_dwordx2 v[0:1], v[3:4], off
.LBB67_2084:
	s_mov_b32 s3, 0
.LBB67_2085:
	s_and_b32 vcc_lo, exec_lo, s3
	s_cbranch_vccz .LBB67_2100
; %bb.2086:
	s_cmp_lt_i32 s1, 27
	s_mov_b32 s3, -1
	s_cbranch_scc1 .LBB67_2092
; %bb.2087:
	s_cmp_gt_i32 s1, 27
	s_cbranch_scc0 .LBB67_2089
; %bb.2088:
	v_cvt_f32_f16_e32 v3, v2
	s_mov_b32 s3, 0
	v_cvt_u32_f32_e32 v3, v3
	global_store_dword v[0:1], v3, off
.LBB67_2089:
	s_andn2_b32 vcc_lo, exec_lo, s3
	s_cbranch_vccnz .LBB67_2091
; %bb.2090:
	v_cvt_u16_f16_e32 v3, v2
	global_store_short v[0:1], v3, off
.LBB67_2091:
	s_mov_b32 s3, 0
.LBB67_2092:
	s_andn2_b32 vcc_lo, exec_lo, s3
	s_cbranch_vccnz .LBB67_2100
; %bb.2093:
	v_cvt_f32_f16_e32 v3, v2
	v_mov_b32_e32 v5, 0x80
	s_mov_b32 s3, exec_lo
	v_and_b32_e32 v4, 0x7fffffff, v3
	v_cmpx_gt_u32_e32 0x43800000, v4
	s_cbranch_execz .LBB67_2099
; %bb.2094:
	v_cmp_lt_u32_e32 vcc_lo, 0x3bffffff, v4
	s_mov_b32 s5, 0
                                        ; implicit-def: $vgpr4
	s_and_saveexec_b32 s6, vcc_lo
	s_xor_b32 s6, exec_lo, s6
	s_cbranch_execz .LBB67_2205
; %bb.2095:
	v_bfe_u32 v4, v3, 20, 1
	s_mov_b32 s5, exec_lo
	v_add3_u32 v4, v3, v4, 0x487ffff
	v_lshrrev_b32_e32 v4, 20, v4
	s_andn2_saveexec_b32 s6, s6
	s_cbranch_execnz .LBB67_2206
.LBB67_2096:
	s_or_b32 exec_lo, exec_lo, s6
	v_mov_b32_e32 v5, 0
	s_and_saveexec_b32 s6, s5
.LBB67_2097:
	v_lshrrev_b32_e32 v3, 24, v3
	v_and_or_b32 v5, 0x80, v3, v4
.LBB67_2098:
	s_or_b32 exec_lo, exec_lo, s6
.LBB67_2099:
	s_or_b32 exec_lo, exec_lo, s3
	global_store_byte v[0:1], v5, off
.LBB67_2100:
	s_mov_b32 s3, 0
.LBB67_2101:
	s_and_b32 vcc_lo, exec_lo, s3
	s_cbranch_vccz .LBB67_2141
; %bb.2102:
	s_cmp_gt_i32 s1, 22
	s_mov_b32 s2, -1
	s_cbranch_scc0 .LBB67_2134
; %bb.2103:
	s_cmp_lt_i32 s1, 24
	s_cbranch_scc1 .LBB67_2123
; %bb.2104:
	s_cmp_gt_i32 s1, 24
	s_cbranch_scc0 .LBB67_2112
; %bb.2105:
	v_cvt_f32_f16_e32 v3, v2
	v_mov_b32_e32 v5, 0x80
	s_mov_b32 s2, exec_lo
	v_and_b32_e32 v4, 0x7fffffff, v3
	v_cmpx_gt_u32_e32 0x47800000, v4
	s_cbranch_execz .LBB67_2111
; %bb.2106:
	v_cmp_lt_u32_e32 vcc_lo, 0x37ffffff, v4
	s_mov_b32 s3, 0
                                        ; implicit-def: $vgpr4
	s_and_saveexec_b32 s5, vcc_lo
	s_xor_b32 s5, exec_lo, s5
	s_cbranch_execz .LBB67_2208
; %bb.2107:
	v_bfe_u32 v4, v3, 21, 1
	s_mov_b32 s3, exec_lo
	v_add3_u32 v4, v3, v4, 0x88fffff
	v_lshrrev_b32_e32 v4, 21, v4
	s_andn2_saveexec_b32 s5, s5
	s_cbranch_execnz .LBB67_2209
.LBB67_2108:
	s_or_b32 exec_lo, exec_lo, s5
	v_mov_b32_e32 v5, 0
	s_and_saveexec_b32 s5, s3
.LBB67_2109:
	v_lshrrev_b32_e32 v3, 24, v3
	v_and_or_b32 v5, 0x80, v3, v4
.LBB67_2110:
	s_or_b32 exec_lo, exec_lo, s5
.LBB67_2111:
	s_or_b32 exec_lo, exec_lo, s2
	s_mov_b32 s2, 0
	global_store_byte v[0:1], v5, off
.LBB67_2112:
	s_and_b32 vcc_lo, exec_lo, s2
	s_cbranch_vccz .LBB67_2122
; %bb.2113:
	v_cvt_f32_f16_e32 v3, v2
	s_mov_b32 s2, exec_lo
                                        ; implicit-def: $vgpr4
	v_and_b32_e32 v5, 0x7fffffff, v3
	v_cmpx_gt_u32_e32 0x43f00000, v5
	s_xor_b32 s2, exec_lo, s2
	s_cbranch_execz .LBB67_2119
; %bb.2114:
	s_mov_b32 s3, exec_lo
                                        ; implicit-def: $vgpr4
	v_cmpx_lt_u32_e32 0x3c7fffff, v5
	s_xor_b32 s3, exec_lo, s3
; %bb.2115:
	v_bfe_u32 v4, v3, 20, 1
	v_add3_u32 v4, v3, v4, 0x407ffff
	v_and_b32_e32 v5, 0xff00000, v4
	v_lshrrev_b32_e32 v4, 20, v4
	v_cmp_ne_u32_e32 vcc_lo, 0x7f00000, v5
	v_cndmask_b32_e32 v4, 0x7e, v4, vcc_lo
; %bb.2116:
	s_andn2_saveexec_b32 s3, s3
; %bb.2117:
	v_add_f32_e64 v4, 0x46800000, |v3|
; %bb.2118:
	s_or_b32 exec_lo, exec_lo, s3
                                        ; implicit-def: $vgpr5
.LBB67_2119:
	s_andn2_saveexec_b32 s2, s2
; %bb.2120:
	v_mov_b32_e32 v4, 0x7f
	v_cmp_lt_u32_e32 vcc_lo, 0x7f800000, v5
	v_cndmask_b32_e32 v4, 0x7e, v4, vcc_lo
; %bb.2121:
	s_or_b32 exec_lo, exec_lo, s2
	v_lshrrev_b32_e32 v3, 24, v3
	v_and_or_b32 v3, 0x80, v3, v4
	global_store_byte v[0:1], v3, off
.LBB67_2122:
	s_mov_b32 s2, 0
.LBB67_2123:
	s_andn2_b32 vcc_lo, exec_lo, s2
	s_cbranch_vccnz .LBB67_2133
; %bb.2124:
	v_cvt_f32_f16_e32 v3, v2
	s_mov_b32 s2, exec_lo
                                        ; implicit-def: $vgpr4
	v_and_b32_e32 v5, 0x7fffffff, v3
	v_cmpx_gt_u32_e32 0x47800000, v5
	s_xor_b32 s2, exec_lo, s2
	s_cbranch_execz .LBB67_2130
; %bb.2125:
	s_mov_b32 s3, exec_lo
                                        ; implicit-def: $vgpr4
	v_cmpx_lt_u32_e32 0x387fffff, v5
	s_xor_b32 s3, exec_lo, s3
; %bb.2126:
	v_bfe_u32 v4, v3, 21, 1
	v_add3_u32 v4, v3, v4, 0x80fffff
	v_lshrrev_b32_e32 v4, 21, v4
; %bb.2127:
	s_andn2_saveexec_b32 s3, s3
; %bb.2128:
	v_add_f32_e64 v4, 0x43000000, |v3|
; %bb.2129:
	s_or_b32 exec_lo, exec_lo, s3
                                        ; implicit-def: $vgpr5
.LBB67_2130:
	s_andn2_saveexec_b32 s2, s2
; %bb.2131:
	v_mov_b32_e32 v4, 0x7f
	v_cmp_lt_u32_e32 vcc_lo, 0x7f800000, v5
	v_cndmask_b32_e32 v4, 0x7c, v4, vcc_lo
; %bb.2132:
	s_or_b32 exec_lo, exec_lo, s2
	v_lshrrev_b32_e32 v3, 24, v3
	v_and_or_b32 v3, 0x80, v3, v4
	global_store_byte v[0:1], v3, off
.LBB67_2133:
	s_mov_b32 s2, 0
.LBB67_2134:
	s_andn2_b32 vcc_lo, exec_lo, s2
	s_mov_b32 s2, 0
	s_cbranch_vccnz .LBB67_2141
; %bb.2135:
	s_cmp_gt_i32 s1, 14
	s_mov_b32 s2, -1
	s_cbranch_scc0 .LBB67_2139
; %bb.2136:
	s_cmp_eq_u32 s1, 15
	s_mov_b32 s0, -1
	s_cbranch_scc0 .LBB67_2138
; %bb.2137:
	v_cvt_f32_f16_e32 v3, v2
	v_cmp_o_f16_e32 vcc_lo, v2, v2
	s_mov_b32 s0, 0
	v_bfe_u32 v4, v3, 16, 1
	v_add3_u32 v3, v3, v4, 0x7fff
	v_mov_b32_e32 v4, 0x7fc0
	v_cndmask_b32_sdwa v3, v4, v3, vcc_lo dst_sel:DWORD dst_unused:UNUSED_PAD src0_sel:DWORD src1_sel:WORD_1
	global_store_short v[0:1], v3, off
.LBB67_2138:
	s_mov_b32 s2, 0
.LBB67_2139:
	s_and_b32 vcc_lo, exec_lo, s2
	s_mov_b32 s2, 0
	s_cbranch_vccz .LBB67_2141
; %bb.2140:
	s_cmp_lg_u32 s1, 11
	s_mov_b32 s2, -1
	s_cselect_b32 s0, -1, 0
.LBB67_2141:
	s_and_b32 vcc_lo, exec_lo, s0
	s_cbranch_vccnz .LBB67_2207
.LBB67_2142:
	s_mov_b32 s0, 0
	s_branch .LBB67_2144
.LBB67_2143:
	s_mov_b32 s0, 0
	s_mov_b32 s2, 0
                                        ; implicit-def: $vgpr0_vgpr1
                                        ; implicit-def: $sgpr10
                                        ; implicit-def: $vgpr2
.LBB67_2144:
	s_andn2_b32 s1, s12, exec_lo
	s_and_b32 s3, s4, exec_lo
	s_and_b32 s0, s0, exec_lo
	;; [unrolled: 1-line block ×3, first 2 shown]
	s_or_b32 s12, s1, s3
.LBB67_2145:
	s_or_b32 exec_lo, exec_lo, s13
	s_and_saveexec_b32 s1, s12
	s_cbranch_execz .LBB67_2148
; %bb.2146:
	; divergent unreachable
	s_or_b32 exec_lo, exec_lo, s1
	s_and_saveexec_b32 s1, s26
	s_xor_b32 s1, exec_lo, s1
	s_cbranch_execnz .LBB67_2149
.LBB67_2147:
	s_or_b32 exec_lo, exec_lo, s1
	s_and_saveexec_b32 s1, s0
	s_cbranch_execnz .LBB67_2150
	s_branch .LBB67_2187
.LBB67_2148:
	s_or_b32 exec_lo, exec_lo, s1
	s_and_saveexec_b32 s1, s26
	s_xor_b32 s1, exec_lo, s1
	s_cbranch_execz .LBB67_2147
.LBB67_2149:
	v_cmp_neq_f16_e32 vcc_lo, 0, v2
	s_waitcnt vmcnt(0)
	v_cndmask_b32_e64 v3, 0, 1, vcc_lo
	global_store_byte v[0:1], v3, off
	s_or_b32 exec_lo, exec_lo, s1
	s_and_saveexec_b32 s1, s0
	s_cbranch_execz .LBB67_2187
.LBB67_2150:
	s_sext_i32_i16 s1, s10
	s_mov_b32 s0, -1
	s_cmp_lt_i32 s1, 5
	s_cbranch_scc1 .LBB67_2171
; %bb.2151:
	s_cmp_lt_i32 s1, 8
	s_cbranch_scc1 .LBB67_2161
; %bb.2152:
	;; [unrolled: 3-line block ×3, first 2 shown]
	s_cmp_gt_i32 s1, 9
	s_cbranch_scc0 .LBB67_2155
; %bb.2154:
	s_waitcnt vmcnt(0)
	v_cvt_f32_f16_e32 v3, v2
	v_mov_b32_e32 v5, 0
	s_mov_b32 s0, 0
	v_cvt_f64_f32_e32 v[3:4], v3
	v_mov_b32_e32 v6, v5
	global_store_dwordx4 v[0:1], v[3:6], off
.LBB67_2155:
	s_andn2_b32 vcc_lo, exec_lo, s0
	s_cbranch_vccnz .LBB67_2157
; %bb.2156:
	s_waitcnt vmcnt(0)
	v_cvt_f32_f16_e32 v3, v2
	v_mov_b32_e32 v4, 0
	global_store_dwordx2 v[0:1], v[3:4], off
.LBB67_2157:
	s_mov_b32 s0, 0
.LBB67_2158:
	s_andn2_b32 vcc_lo, exec_lo, s0
	s_cbranch_vccnz .LBB67_2160
; %bb.2159:
	s_waitcnt vmcnt(0)
	v_and_b32_e32 v3, 0xffff, v2
	global_store_dword v[0:1], v3, off
.LBB67_2160:
	s_mov_b32 s0, 0
.LBB67_2161:
	s_andn2_b32 vcc_lo, exec_lo, s0
	s_cbranch_vccnz .LBB67_2170
; %bb.2162:
	s_sext_i32_i16 s1, s10
	s_mov_b32 s0, -1
	s_cmp_lt_i32 s1, 6
	s_cbranch_scc1 .LBB67_2168
; %bb.2163:
	s_cmp_gt_i32 s1, 6
	s_cbranch_scc0 .LBB67_2165
; %bb.2164:
	s_waitcnt vmcnt(0)
	v_cvt_f32_f16_e32 v3, v2
	s_mov_b32 s0, 0
	v_cvt_f64_f32_e32 v[3:4], v3
	global_store_dwordx2 v[0:1], v[3:4], off
.LBB67_2165:
	s_andn2_b32 vcc_lo, exec_lo, s0
	s_cbranch_vccnz .LBB67_2167
; %bb.2166:
	s_waitcnt vmcnt(0)
	v_cvt_f32_f16_e32 v3, v2
	global_store_dword v[0:1], v3, off
.LBB67_2167:
	s_mov_b32 s0, 0
.LBB67_2168:
	s_andn2_b32 vcc_lo, exec_lo, s0
	s_cbranch_vccnz .LBB67_2170
; %bb.2169:
	global_store_short v[0:1], v2, off
.LBB67_2170:
	s_mov_b32 s0, 0
.LBB67_2171:
	s_andn2_b32 vcc_lo, exec_lo, s0
	s_cbranch_vccnz .LBB67_2187
; %bb.2172:
	s_sext_i32_i16 s1, s10
	s_mov_b32 s0, -1
	s_cmp_lt_i32 s1, 2
	s_cbranch_scc1 .LBB67_2182
; %bb.2173:
	s_cmp_lt_i32 s1, 3
	s_cbranch_scc1 .LBB67_2179
; %bb.2174:
	s_cmp_gt_i32 s1, 3
	s_cbranch_scc0 .LBB67_2176
; %bb.2175:
	s_waitcnt vmcnt(0)
	v_cvt_f32_f16_e32 v3, v2
	s_mov_b32 s0, 0
	v_cvt_i32_f32_e32 v3, v3
	v_ashrrev_i32_e32 v4, 31, v3
	global_store_dwordx2 v[0:1], v[3:4], off
.LBB67_2176:
	s_andn2_b32 vcc_lo, exec_lo, s0
	s_cbranch_vccnz .LBB67_2178
; %bb.2177:
	s_waitcnt vmcnt(0)
	v_cvt_f32_f16_e32 v3, v2
	v_cvt_i32_f32_e32 v3, v3
	global_store_dword v[0:1], v3, off
.LBB67_2178:
	s_mov_b32 s0, 0
.LBB67_2179:
	s_andn2_b32 vcc_lo, exec_lo, s0
	s_cbranch_vccnz .LBB67_2181
; %bb.2180:
	s_waitcnt vmcnt(0)
	v_cvt_i16_f16_e32 v3, v2
	global_store_short v[0:1], v3, off
.LBB67_2181:
	s_mov_b32 s0, 0
.LBB67_2182:
	s_andn2_b32 vcc_lo, exec_lo, s0
	s_cbranch_vccnz .LBB67_2187
; %bb.2183:
	s_sext_i32_i16 s0, s10
	s_cmp_gt_i32 s0, 0
	s_mov_b32 s0, -1
	s_cbranch_scc0 .LBB67_2185
; %bb.2184:
	s_waitcnt vmcnt(0)
	v_cvt_i16_f16_e32 v3, v2
	s_mov_b32 s0, 0
	global_store_byte v[0:1], v3, off
.LBB67_2185:
	s_andn2_b32 vcc_lo, exec_lo, s0
	s_cbranch_vccnz .LBB67_2187
; %bb.2186:
	v_cvt_f32_f16_e32 v2, v2
	v_cvt_i32_f32_e32 v2, v2
	global_store_byte v[0:1], v2, off
	s_endpgm
.LBB67_2187:
	s_endpgm
.LBB67_2188:
	s_mov_b32 s2, 0
	s_mov_b32 s0, -1
	s_branch .LBB67_2144
.LBB67_2189:
	s_or_b32 s4, s4, exec_lo
	s_trap 2
	s_cbranch_execz .LBB67_1652
	s_branch .LBB67_1653
.LBB67_2190:
	s_andn2_saveexec_b32 s10, s10
	s_cbranch_execz .LBB67_1738
.LBB67_2191:
	v_add_f32_e64 v16, 0x46000000, |v3|
	s_andn2_b32 s7, s7, exec_lo
	v_and_b32_e32 v16, 0xff, v16
	v_cmp_ne_u32_e32 vcc_lo, 0, v16
	s_and_b32 s11, vcc_lo, exec_lo
	s_or_b32 s7, s7, s11
	s_or_b32 exec_lo, exec_lo, s10
	v_mov_b32_e32 v17, 0
	s_and_saveexec_b32 s10, s7
	s_cbranch_execnz .LBB67_1739
	s_branch .LBB67_1740
.LBB67_2192:
	s_or_b32 s4, s4, exec_lo
	s_trap 2
	s_cbranch_execz .LBB67_1786
	s_branch .LBB67_1787
.LBB67_2193:
	s_andn2_saveexec_b32 s7, s7
	s_cbranch_execz .LBB67_1751
.LBB67_2194:
	v_add_f32_e64 v16, 0x42800000, |v3|
	s_andn2_b32 s6, s6, exec_lo
	v_and_b32_e32 v16, 0xff, v16
	v_cmp_ne_u32_e32 vcc_lo, 0, v16
	s_and_b32 s10, vcc_lo, exec_lo
	s_or_b32 s6, s6, s10
	s_or_b32 exec_lo, exec_lo, s7
	v_mov_b32_e32 v17, 0
	s_and_saveexec_b32 s7, s6
	s_cbranch_execnz .LBB67_1752
	s_branch .LBB67_1753
.LBB67_2195:
	s_andn2_saveexec_b32 s6, s6
	s_cbranch_execz .LBB67_1857
.LBB67_2196:
	v_add_f32_e64 v6, 0x46000000, |v5|
	s_andn2_b32 s5, s5, exec_lo
	v_and_b32_e32 v6, 0xff, v6
	v_cmp_ne_u32_e32 vcc_lo, 0, v6
	s_and_b32 s7, vcc_lo, exec_lo
	s_or_b32 s5, s5, s7
	s_or_b32 exec_lo, exec_lo, s6
	v_mov_b32_e32 v10, 0
	s_and_saveexec_b32 s6, s5
	s_cbranch_execnz .LBB67_1858
	s_branch .LBB67_1859
.LBB67_2197:
	s_or_b32 s4, s4, exec_lo
	s_trap 2
	s_cbranch_execz .LBB67_1905
	s_branch .LBB67_1906
.LBB67_2198:
	s_andn2_saveexec_b32 s5, s5
	s_cbranch_execz .LBB67_1870
.LBB67_2199:
	v_add_f32_e64 v6, 0x42800000, |v5|
	s_andn2_b32 s3, s3, exec_lo
	v_and_b32_e32 v6, 0xff, v6
	v_cmp_ne_u32_e32 vcc_lo, 0, v6
	s_and_b32 s6, vcc_lo, exec_lo
	s_or_b32 s3, s3, s6
	s_or_b32 exec_lo, exec_lo, s5
	v_mov_b32_e32 v10, 0
	s_and_saveexec_b32 s5, s3
	s_cbranch_execnz .LBB67_1871
	s_branch .LBB67_1872
.LBB67_2200:
	s_andn2_saveexec_b32 s6, s6
	s_cbranch_execz .LBB67_1976
.LBB67_2201:
	v_add_f32_e64 v5, 0x46000000, |v4|
	s_andn2_b32 s5, s5, exec_lo
	v_and_b32_e32 v5, 0xff, v5
	v_cmp_ne_u32_e32 vcc_lo, 0, v5
	s_and_b32 s7, vcc_lo, exec_lo
	s_or_b32 s5, s5, s7
	s_or_b32 exec_lo, exec_lo, s6
	v_mov_b32_e32 v6, 0
	s_and_saveexec_b32 s6, s5
	s_cbranch_execnz .LBB67_1977
	s_branch .LBB67_1978
.LBB67_2202:
	s_or_b32 s4, s4, exec_lo
	s_trap 2
	s_cbranch_execz .LBB67_2024
	s_branch .LBB67_2025
.LBB67_2203:
	s_andn2_saveexec_b32 s5, s5
	s_cbranch_execz .LBB67_1989
.LBB67_2204:
	v_add_f32_e64 v5, 0x42800000, |v4|
	s_andn2_b32 s3, s3, exec_lo
	v_and_b32_e32 v5, 0xff, v5
	v_cmp_ne_u32_e32 vcc_lo, 0, v5
	s_and_b32 s6, vcc_lo, exec_lo
	s_or_b32 s3, s3, s6
	s_or_b32 exec_lo, exec_lo, s5
	v_mov_b32_e32 v6, 0
	s_and_saveexec_b32 s5, s3
	s_cbranch_execnz .LBB67_1990
	s_branch .LBB67_1991
.LBB67_2205:
	s_andn2_saveexec_b32 s6, s6
	s_cbranch_execz .LBB67_2096
.LBB67_2206:
	v_add_f32_e64 v4, 0x46000000, |v3|
	s_andn2_b32 s5, s5, exec_lo
	v_and_b32_e32 v4, 0xff, v4
	v_cmp_ne_u32_e32 vcc_lo, 0, v4
	s_and_b32 s7, vcc_lo, exec_lo
	s_or_b32 s5, s5, s7
	s_or_b32 exec_lo, exec_lo, s6
	v_mov_b32_e32 v5, 0
	s_and_saveexec_b32 s6, s5
	s_cbranch_execnz .LBB67_2097
	s_branch .LBB67_2098
.LBB67_2207:
	s_mov_b32 s2, 0
	s_or_b32 s4, s4, exec_lo
	s_trap 2
	s_branch .LBB67_2142
.LBB67_2208:
	s_andn2_saveexec_b32 s5, s5
	s_cbranch_execz .LBB67_2108
.LBB67_2209:
	v_add_f32_e64 v4, 0x42800000, |v3|
	s_andn2_b32 s3, s3, exec_lo
	v_and_b32_e32 v4, 0xff, v4
	v_cmp_ne_u32_e32 vcc_lo, 0, v4
	s_and_b32 s6, vcc_lo, exec_lo
	s_or_b32 s3, s3, s6
	s_or_b32 exec_lo, exec_lo, s5
	v_mov_b32_e32 v5, 0
	s_and_saveexec_b32 s5, s3
	s_cbranch_execnz .LBB67_2109
	s_branch .LBB67_2110
	.section	.rodata,"a",@progbits
	.p2align	6, 0x0
	.amdhsa_kernel _ZN2at6native32elementwise_kernel_manual_unrollILi128ELi4EZNS0_15gpu_kernel_implIZZZNS0_20trigamma_kernel_cudaERNS_18TensorIteratorBaseEENKUlvE_clEvENKUlvE1_clEvEUlN3c104HalfEE_EEvS4_RKT_EUlibE0_EEviT1_
		.amdhsa_group_segment_fixed_size 0
		.amdhsa_private_segment_fixed_size 0
		.amdhsa_kernarg_size 360
		.amdhsa_user_sgpr_count 6
		.amdhsa_user_sgpr_private_segment_buffer 1
		.amdhsa_user_sgpr_dispatch_ptr 0
		.amdhsa_user_sgpr_queue_ptr 0
		.amdhsa_user_sgpr_kernarg_segment_ptr 1
		.amdhsa_user_sgpr_dispatch_id 0
		.amdhsa_user_sgpr_flat_scratch_init 0
		.amdhsa_user_sgpr_private_segment_size 0
		.amdhsa_wavefront_size32 1
		.amdhsa_uses_dynamic_stack 0
		.amdhsa_system_sgpr_private_segment_wavefront_offset 0
		.amdhsa_system_sgpr_workgroup_id_x 1
		.amdhsa_system_sgpr_workgroup_id_y 0
		.amdhsa_system_sgpr_workgroup_id_z 0
		.amdhsa_system_sgpr_workgroup_info 0
		.amdhsa_system_vgpr_workitem_id 0
		.amdhsa_next_free_vgpr 48
		.amdhsa_next_free_sgpr 68
		.amdhsa_reserve_vcc 1
		.amdhsa_reserve_flat_scratch 0
		.amdhsa_float_round_mode_32 0
		.amdhsa_float_round_mode_16_64 0
		.amdhsa_float_denorm_mode_32 3
		.amdhsa_float_denorm_mode_16_64 3
		.amdhsa_dx10_clamp 1
		.amdhsa_ieee_mode 1
		.amdhsa_fp16_overflow 0
		.amdhsa_workgroup_processor_mode 1
		.amdhsa_memory_ordered 1
		.amdhsa_forward_progress 1
		.amdhsa_shared_vgpr_count 0
		.amdhsa_exception_fp_ieee_invalid_op 0
		.amdhsa_exception_fp_denorm_src 0
		.amdhsa_exception_fp_ieee_div_zero 0
		.amdhsa_exception_fp_ieee_overflow 0
		.amdhsa_exception_fp_ieee_underflow 0
		.amdhsa_exception_fp_ieee_inexact 0
		.amdhsa_exception_int_div_zero 0
	.end_amdhsa_kernel
	.section	.text._ZN2at6native32elementwise_kernel_manual_unrollILi128ELi4EZNS0_15gpu_kernel_implIZZZNS0_20trigamma_kernel_cudaERNS_18TensorIteratorBaseEENKUlvE_clEvENKUlvE1_clEvEUlN3c104HalfEE_EEvS4_RKT_EUlibE0_EEviT1_,"axG",@progbits,_ZN2at6native32elementwise_kernel_manual_unrollILi128ELi4EZNS0_15gpu_kernel_implIZZZNS0_20trigamma_kernel_cudaERNS_18TensorIteratorBaseEENKUlvE_clEvENKUlvE1_clEvEUlN3c104HalfEE_EEvS4_RKT_EUlibE0_EEviT1_,comdat
.Lfunc_end67:
	.size	_ZN2at6native32elementwise_kernel_manual_unrollILi128ELi4EZNS0_15gpu_kernel_implIZZZNS0_20trigamma_kernel_cudaERNS_18TensorIteratorBaseEENKUlvE_clEvENKUlvE1_clEvEUlN3c104HalfEE_EEvS4_RKT_EUlibE0_EEviT1_, .Lfunc_end67-_ZN2at6native32elementwise_kernel_manual_unrollILi128ELi4EZNS0_15gpu_kernel_implIZZZNS0_20trigamma_kernel_cudaERNS_18TensorIteratorBaseEENKUlvE_clEvENKUlvE1_clEvEUlN3c104HalfEE_EEvS4_RKT_EUlibE0_EEviT1_
                                        ; -- End function
	.set _ZN2at6native32elementwise_kernel_manual_unrollILi128ELi4EZNS0_15gpu_kernel_implIZZZNS0_20trigamma_kernel_cudaERNS_18TensorIteratorBaseEENKUlvE_clEvENKUlvE1_clEvEUlN3c104HalfEE_EEvS4_RKT_EUlibE0_EEviT1_.num_vgpr, 48
	.set _ZN2at6native32elementwise_kernel_manual_unrollILi128ELi4EZNS0_15gpu_kernel_implIZZZNS0_20trigamma_kernel_cudaERNS_18TensorIteratorBaseEENKUlvE_clEvENKUlvE1_clEvEUlN3c104HalfEE_EEvS4_RKT_EUlibE0_EEviT1_.num_agpr, 0
	.set _ZN2at6native32elementwise_kernel_manual_unrollILi128ELi4EZNS0_15gpu_kernel_implIZZZNS0_20trigamma_kernel_cudaERNS_18TensorIteratorBaseEENKUlvE_clEvENKUlvE1_clEvEUlN3c104HalfEE_EEvS4_RKT_EUlibE0_EEviT1_.numbered_sgpr, 68
	.set _ZN2at6native32elementwise_kernel_manual_unrollILi128ELi4EZNS0_15gpu_kernel_implIZZZNS0_20trigamma_kernel_cudaERNS_18TensorIteratorBaseEENKUlvE_clEvENKUlvE1_clEvEUlN3c104HalfEE_EEvS4_RKT_EUlibE0_EEviT1_.num_named_barrier, 0
	.set _ZN2at6native32elementwise_kernel_manual_unrollILi128ELi4EZNS0_15gpu_kernel_implIZZZNS0_20trigamma_kernel_cudaERNS_18TensorIteratorBaseEENKUlvE_clEvENKUlvE1_clEvEUlN3c104HalfEE_EEvS4_RKT_EUlibE0_EEviT1_.private_seg_size, 0
	.set _ZN2at6native32elementwise_kernel_manual_unrollILi128ELi4EZNS0_15gpu_kernel_implIZZZNS0_20trigamma_kernel_cudaERNS_18TensorIteratorBaseEENKUlvE_clEvENKUlvE1_clEvEUlN3c104HalfEE_EEvS4_RKT_EUlibE0_EEviT1_.uses_vcc, 1
	.set _ZN2at6native32elementwise_kernel_manual_unrollILi128ELi4EZNS0_15gpu_kernel_implIZZZNS0_20trigamma_kernel_cudaERNS_18TensorIteratorBaseEENKUlvE_clEvENKUlvE1_clEvEUlN3c104HalfEE_EEvS4_RKT_EUlibE0_EEviT1_.uses_flat_scratch, 0
	.set _ZN2at6native32elementwise_kernel_manual_unrollILi128ELi4EZNS0_15gpu_kernel_implIZZZNS0_20trigamma_kernel_cudaERNS_18TensorIteratorBaseEENKUlvE_clEvENKUlvE1_clEvEUlN3c104HalfEE_EEvS4_RKT_EUlibE0_EEviT1_.has_dyn_sized_stack, 0
	.set _ZN2at6native32elementwise_kernel_manual_unrollILi128ELi4EZNS0_15gpu_kernel_implIZZZNS0_20trigamma_kernel_cudaERNS_18TensorIteratorBaseEENKUlvE_clEvENKUlvE1_clEvEUlN3c104HalfEE_EEvS4_RKT_EUlibE0_EEviT1_.has_recursion, 0
	.set _ZN2at6native32elementwise_kernel_manual_unrollILi128ELi4EZNS0_15gpu_kernel_implIZZZNS0_20trigamma_kernel_cudaERNS_18TensorIteratorBaseEENKUlvE_clEvENKUlvE1_clEvEUlN3c104HalfEE_EEvS4_RKT_EUlibE0_EEviT1_.has_indirect_call, 0
	.section	.AMDGPU.csdata,"",@progbits
; Kernel info:
; codeLenInByte = 54064
; TotalNumSgprs: 70
; NumVgprs: 48
; ScratchSize: 0
; MemoryBound: 0
; FloatMode: 240
; IeeeMode: 1
; LDSByteSize: 0 bytes/workgroup (compile time only)
; SGPRBlocks: 0
; VGPRBlocks: 5
; NumSGPRsForWavesPerEU: 70
; NumVGPRsForWavesPerEU: 48
; Occupancy: 16
; WaveLimiterHint : 1
; COMPUTE_PGM_RSRC2:SCRATCH_EN: 0
; COMPUTE_PGM_RSRC2:USER_SGPR: 6
; COMPUTE_PGM_RSRC2:TRAP_HANDLER: 0
; COMPUTE_PGM_RSRC2:TGID_X_EN: 1
; COMPUTE_PGM_RSRC2:TGID_Y_EN: 0
; COMPUTE_PGM_RSRC2:TGID_Z_EN: 0
; COMPUTE_PGM_RSRC2:TIDIG_COMP_CNT: 0
	.text
	.p2align	2                               ; -- Begin function _ZN2at6native25elementwise_kernel_helperILb0EZZZNS0_20trigamma_kernel_cudaERNS_18TensorIteratorBaseEENKUlvE_clEvENKUlvE2_clEvEUlN3c108BFloat16EE_NS0_6memory8policies11unroll_baseILi256ESt5arrayIPcLm2EE23TrivialOffsetCalculatorILi1EjESG_NS9_15LoadWithoutCastENS9_16StoreWithoutCastELi8ELi1EEEEEvT0_T1_
	.type	_ZN2at6native25elementwise_kernel_helperILb0EZZZNS0_20trigamma_kernel_cudaERNS_18TensorIteratorBaseEENKUlvE_clEvENKUlvE2_clEvEUlN3c108BFloat16EE_NS0_6memory8policies11unroll_baseILi256ESt5arrayIPcLm2EE23TrivialOffsetCalculatorILi1EjESG_NS9_15LoadWithoutCastENS9_16StoreWithoutCastELi8ELi1EEEEEvT0_T1_,@function
_ZN2at6native25elementwise_kernel_helperILb0EZZZNS0_20trigamma_kernel_cudaERNS_18TensorIteratorBaseEENKUlvE_clEvENKUlvE2_clEvEUlN3c108BFloat16EE_NS0_6memory8policies11unroll_baseILi256ESt5arrayIPcLm2EE23TrivialOffsetCalculatorILi1EjESG_NS9_15LoadWithoutCastENS9_16StoreWithoutCastELi8ELi1EEEEEvT0_T1_: ; @_ZN2at6native25elementwise_kernel_helperILb0EZZZNS0_20trigamma_kernel_cudaERNS_18TensorIteratorBaseEENKUlvE_clEvENKUlvE2_clEvEUlN3c108BFloat16EE_NS0_6memory8policies11unroll_baseILi256ESt5arrayIPcLm2EE23TrivialOffsetCalculatorILi1EjESG_NS9_15LoadWithoutCastENS9_16StoreWithoutCastELi8ELi1EEEEEvT0_T1_
; %bb.0:
	s_waitcnt vmcnt(0) expcnt(0) lgkmcnt(0)
	v_and_b32_e32 v7, 0x3ff, v31
	s_lshl_b32 s9, s12, 11
	v_mov_b32_e32 v11, 0
	v_mov_b32_e32 v15, 0
	v_cmp_lt_i32_e64 s4, v7, v4
	v_or_b32_e32 v5, s9, v7
	v_add_nc_u32_e32 v8, 0x100, v7
	v_mov_b32_e32 v16, v7
	s_and_saveexec_b32 s5, s4
	s_cbranch_execz .LBB68_2
; %bb.1:
	v_mov_b32_e32 v6, 0
	v_add_nc_u32_e32 v16, 0x100, v7
	v_lshlrev_b64 v[9:10], 1, v[5:6]
	v_add_co_u32 v9, vcc_lo, v2, v9
	v_add_co_ci_u32_e64 v10, null, v3, v10, vcc_lo
	flat_load_ushort v6, v[9:10]
	s_waitcnt vmcnt(0) lgkmcnt(0)
	v_lshlrev_b32_e32 v15, 16, v6
.LBB68_2:
	s_or_b32 exec_lo, exec_lo, s5
	s_mov_b32 s5, exec_lo
	v_cmpx_lt_i32_e64 v16, v4
	s_cbranch_execz .LBB68_4
; %bb.3:
	v_add_nc_u32_e32 v9, s9, v16
	v_mov_b32_e32 v10, 0
	v_add_nc_u32_e32 v16, 0x100, v16
	v_lshlrev_b64 v[9:10], 1, v[9:10]
	v_add_co_u32 v9, vcc_lo, v2, v9
	v_add_co_ci_u32_e64 v10, null, v3, v10, vcc_lo
	flat_load_ushort v6, v[9:10]
	s_waitcnt vmcnt(0) lgkmcnt(0)
	v_lshlrev_b32_e32 v11, 16, v6
.LBB68_4:
	s_or_b32 exec_lo, exec_lo, s5
	v_mov_b32_e32 v14, 0
	v_mov_b32_e32 v13, 0
	s_mov_b32 s5, exec_lo
	v_cmpx_lt_i32_e64 v16, v4
	s_cbranch_execz .LBB68_6
; %bb.5:
	v_add_nc_u32_e32 v9, s9, v16
	v_mov_b32_e32 v10, 0
	v_add_nc_u32_e32 v16, 0x100, v16
	v_lshlrev_b64 v[9:10], 1, v[9:10]
	v_add_co_u32 v9, vcc_lo, v2, v9
	v_add_co_ci_u32_e64 v10, null, v3, v10, vcc_lo
	flat_load_ushort v6, v[9:10]
	s_waitcnt vmcnt(0) lgkmcnt(0)
	v_lshlrev_b32_e32 v13, 16, v6
.LBB68_6:
	s_or_b32 exec_lo, exec_lo, s5
	s_mov_b32 s5, exec_lo
	v_cmpx_lt_i32_e64 v16, v4
	s_cbranch_execz .LBB68_8
; %bb.7:
	v_add_nc_u32_e32 v9, s9, v16
	v_mov_b32_e32 v10, 0
	v_add_nc_u32_e32 v16, 0x100, v16
	v_lshlrev_b64 v[9:10], 1, v[9:10]
	v_add_co_u32 v9, vcc_lo, v2, v9
	v_add_co_ci_u32_e64 v10, null, v3, v10, vcc_lo
	flat_load_ushort v6, v[9:10]
	s_waitcnt vmcnt(0) lgkmcnt(0)
	v_lshlrev_b32_e32 v14, 16, v6
.LBB68_8:
	s_or_b32 exec_lo, exec_lo, s5
	v_mov_b32_e32 v10, 0
	v_mov_b32_e32 v12, 0
	s_mov_b32 s5, exec_lo
	v_cmpx_lt_i32_e64 v16, v4
	s_cbranch_execz .LBB68_10
; %bb.9:
	v_add_nc_u32_e32 v17, s9, v16
	v_mov_b32_e32 v18, 0
	v_add_nc_u32_e32 v16, 0x100, v16
	v_lshlrev_b64 v[17:18], 1, v[17:18]
	v_add_co_u32 v17, vcc_lo, v2, v17
	v_add_co_ci_u32_e64 v18, null, v3, v18, vcc_lo
	flat_load_ushort v6, v[17:18]
	s_waitcnt vmcnt(0) lgkmcnt(0)
	v_lshlrev_b32_e32 v12, 16, v6
.LBB68_10:
	s_or_b32 exec_lo, exec_lo, s5
	s_mov_b32 s5, exec_lo
	v_cmpx_lt_i32_e64 v16, v4
	s_cbranch_execz .LBB68_12
; %bb.11:
	v_add_nc_u32_e32 v9, s9, v16
	v_mov_b32_e32 v10, 0
	v_add_nc_u32_e32 v16, 0x100, v16
	v_lshlrev_b64 v[9:10], 1, v[9:10]
	v_add_co_u32 v9, vcc_lo, v2, v9
	v_add_co_ci_u32_e64 v10, null, v3, v10, vcc_lo
	flat_load_ushort v6, v[9:10]
	s_waitcnt vmcnt(0) lgkmcnt(0)
	v_lshlrev_b32_e32 v10, 16, v6
.LBB68_12:
	s_or_b32 exec_lo, exec_lo, s5
	v_mov_b32_e32 v6, 0
	v_mov_b32_e32 v9, 0
	s_mov_b32 s5, exec_lo
	v_cmpx_lt_i32_e64 v16, v4
	s_cbranch_execz .LBB68_16
; %bb.13:
	v_add_nc_u32_e32 v17, s9, v16
	v_mov_b32_e32 v18, 0
	v_add_nc_u32_e32 v16, 0x100, v16
	v_lshlrev_b64 v[17:18], 1, v[17:18]
	v_add_co_u32 v17, vcc_lo, v2, v17
	v_add_co_ci_u32_e64 v18, null, v3, v18, vcc_lo
	flat_load_ushort v9, v[17:18]
	s_waitcnt vmcnt(0) lgkmcnt(0)
	v_lshlrev_b32_e32 v9, 16, v9
	s_or_b32 exec_lo, exec_lo, s5
	s_mov_b32 s5, exec_lo
	v_cmpx_lt_i32_e64 v16, v4
	s_cbranch_execnz .LBB68_17
.LBB68_14:
	s_or_b32 exec_lo, exec_lo, s5
                                        ; implicit-def: $vgpr2
	s_and_saveexec_b32 s10, s4
	s_cbranch_execnz .LBB68_18
.LBB68_15:
	s_or_b32 exec_lo, exec_lo, s10
	s_mov_b32 s10, exec_lo
                                        ; implicit-def: $vgpr3
	v_cmpx_lt_i32_e64 v8, v4
	s_cbranch_execz .LBB68_32
	s_branch .LBB68_25
.LBB68_16:
	s_or_b32 exec_lo, exec_lo, s5
	s_mov_b32 s5, exec_lo
	v_cmpx_lt_i32_e64 v16, v4
	s_cbranch_execz .LBB68_14
.LBB68_17:
	v_add_nc_u32_e32 v16, s9, v16
	v_mov_b32_e32 v17, 0
	v_lshlrev_b64 v[16:17], 1, v[16:17]
	v_add_co_u32 v2, vcc_lo, v2, v16
	v_add_co_ci_u32_e64 v3, null, v3, v17, vcc_lo
	flat_load_ushort v2, v[2:3]
	s_waitcnt vmcnt(0) lgkmcnt(0)
	v_lshlrev_b32_e32 v6, 16, v2
	s_or_b32 exec_lo, exec_lo, s5
                                        ; implicit-def: $vgpr2
	s_and_saveexec_b32 s10, s4
	s_cbranch_execz .LBB68_15
.LBB68_18:
	v_mov_b32_e32 v3, 0
	v_mov_b32_e32 v2, 1.0
	s_mov_b32 s7, exec_lo
	v_cmpx_gt_f32_e32 0.5, v15
	s_cbranch_execz .LBB68_24
; %bb.19:
	v_mul_f32_e32 v2, 0x40490fdb, v15
                                        ; implicit-def: $vgpr17
                                        ; implicit-def: $vgpr16
	s_mov_b32 s6, exec_lo
	v_and_b32_e32 v3, 0x7fffffff, v2
	v_cmpx_ngt_f32_e64 0x48000000, |v2|
	s_xor_b32 s8, exec_lo, s6
	s_cbranch_execz .LBB68_21
; %bb.20:
	s_mov_b32 s5, 0x7fffff
	v_mov_b32_e32 v18, 0
	v_and_or_b32 v25, v3, s5, 0x800000
	v_lshrrev_b32_e32 v23, 23, v3
	v_mad_u64_u32 v[16:17], null, 0xfe5163ab, v25, 0
	v_add_nc_u32_e32 v24, 0xffffff88, v23
	v_cmp_lt_u32_e32 vcc_lo, 63, v24
	v_mad_u64_u32 v[19:20], null, 0x3c439041, v25, v[17:18]
	v_cndmask_b32_e64 v26, 0, 0xffffffc0, vcc_lo
	v_mov_b32_e32 v17, v20
	v_add_nc_u32_e32 v26, v26, v24
	v_mad_u64_u32 v[20:21], null, 0xdb629599, v25, v[17:18]
	v_cmp_lt_u32_e64 s5, 31, v26
	v_cndmask_b32_e64 v27, 0, 0xffffffe0, s5
	v_mov_b32_e32 v17, v21
	v_cndmask_b32_e32 v16, v20, v16, vcc_lo
	v_mad_u64_u32 v[21:22], null, 0xf534ddc0, v25, v[17:18]
	v_mov_b32_e32 v17, v22
	v_cndmask_b32_e32 v19, v21, v19, vcc_lo
	v_mad_u64_u32 v[22:23], null, 0xfc2757d1, v25, v[17:18]
	v_cndmask_b32_e64 v16, v19, v16, s5
	v_mov_b32_e32 v17, v23
	v_mad_u64_u32 v[23:24], null, 0x4e441529, v25, v[17:18]
	v_mov_b32_e32 v17, v24
	v_add_nc_u32_e32 v24, v27, v26
	v_cndmask_b32_e32 v26, v23, v21, vcc_lo
	v_mad_u64_u32 v[17:18], null, 0xa2f9836e, v25, v[17:18]
	v_cmp_lt_u32_e64 s6, 31, v24
	v_cndmask_b32_e64 v25, 0, 0xffffffe0, s6
	v_cndmask_b32_e32 v17, v17, v22, vcc_lo
	v_cndmask_b32_e32 v18, v18, v23, vcc_lo
	v_cndmask_b32_e32 v22, v22, v20, vcc_lo
	v_add_nc_u32_e32 v23, v25, v24
	v_cndmask_b32_e64 v21, v17, v26, s5
	v_cndmask_b32_e64 v17, v18, v17, s5
	v_cndmask_b32_e64 v18, v26, v22, s5
	v_cndmask_b32_e64 v22, v22, v19, s5
	v_sub_nc_u32_e32 v24, 32, v23
	v_cmp_eq_u32_e32 vcc_lo, 0, v23
	v_cndmask_b32_e64 v17, v17, v21, s6
	v_cndmask_b32_e64 v21, v21, v18, s6
	v_cndmask_b32_e64 v18, v18, v22, s6
	v_cndmask_b32_e64 v16, v22, v16, s6
	v_alignbit_b32 v25, v17, v21, v24
	v_alignbit_b32 v20, v21, v18, v24
	;; [unrolled: 1-line block ×3, first 2 shown]
	v_cndmask_b32_e32 v17, v25, v17, vcc_lo
	v_cndmask_b32_e32 v19, v20, v21, vcc_lo
	;; [unrolled: 1-line block ×3, first 2 shown]
	v_bfe_u32 v20, v17, 29, 1
	v_alignbit_b32 v21, v17, v19, 30
	v_alignbit_b32 v19, v19, v18, 30
	;; [unrolled: 1-line block ×3, first 2 shown]
	v_sub_nc_u32_e32 v22, 0, v20
	v_xor_b32_e32 v21, v21, v22
	v_xor_b32_e32 v18, v19, v22
	;; [unrolled: 1-line block ×3, first 2 shown]
	v_lshrrev_b32_e32 v22, 29, v17
	v_lshrrev_b32_e32 v17, 30, v17
	v_ffbh_u32_e32 v23, v21
	v_add_nc_u32_e32 v17, v20, v17
	v_min_u32_e32 v23, 32, v23
	v_sub_nc_u32_e32 v19, 31, v23
	v_lshlrev_b32_e32 v24, 23, v23
	v_alignbit_b32 v21, v21, v18, v19
	v_alignbit_b32 v16, v18, v16, v19
	v_lshlrev_b32_e32 v18, 31, v22
	v_alignbit_b32 v19, v21, v16, 9
	v_or_b32_e32 v22, 0.5, v18
	v_lshrrev_b32_e32 v21, 9, v21
	v_or_b32_e32 v18, 0x33000000, v18
	v_ffbh_u32_e32 v25, v19
	v_sub_nc_u32_e32 v22, v22, v24
	v_min_u32_e32 v24, 32, v25
	v_or_b32_e32 v21, v21, v22
	v_not_b32_e32 v22, v24
	v_mul_f32_e32 v25, 0x3fc90fda, v21
	v_add_lshl_u32 v23, v24, v23, 23
	v_alignbit_b32 v16, v19, v16, v22
	v_fma_f32 v19, 0x3fc90fda, v21, -v25
	v_sub_nc_u32_e32 v18, v18, v23
	v_lshrrev_b32_e32 v16, 9, v16
	v_fmamk_f32 v19, v21, 0x33a22168, v19
	v_or_b32_e32 v16, v18, v16
	v_fmac_f32_e32 v19, 0x3fc90fda, v16
	v_add_f32_e32 v16, v25, v19
.LBB68_21:
	s_andn2_saveexec_b32 s5, s8
; %bb.22:
	v_mul_f32_e64 v16, 0x3f22f983, |v2|
	v_rndne_f32_e32 v17, v16
	v_fma_f32 v16, 0xbfc90fda, v17, |v2|
	v_fmamk_f32 v16, v17, 0xb3a22168, v16
	v_fmamk_f32 v16, v17, 0xa7c234c4, v16
	v_cvt_i32_f32_e32 v17, v17
; %bb.23:
	s_or_b32 exec_lo, exec_lo, s5
	v_mul_f32_e32 v18, v16, v16
	s_mov_b32 s5, 0xb94c1982
	s_mov_b32 s6, 0x37d75334
	v_and_b32_e32 v21, 1, v17
	v_lshlrev_b32_e32 v17, 30, v17
	v_fmaak_f32 v19, s5, v18, 0x3c0881c4
	v_fmaak_f32 v20, s6, v18, 0xbab64f3b
	v_xor_b32_e32 v3, v3, v2
	v_cmp_eq_u32_e32 vcc_lo, 0, v21
	v_and_b32_e32 v17, 0x80000000, v17
	v_fmaak_f32 v19, v18, v19, 0xbe2aaa9d
	v_fmaak_f32 v20, v18, v20, 0x3d2aabf7
	v_sub_f32_e32 v15, 1.0, v15
	v_mul_f32_e32 v19, v18, v19
	v_fmaak_f32 v20, v18, v20, 0xbf000004
	v_fmac_f32_e32 v16, v16, v19
	v_fma_f32 v18, v18, v20, 1.0
	v_cndmask_b32_e32 v16, v18, v16, vcc_lo
	v_cmp_class_f32_e64 vcc_lo, v2, 0x1f8
	v_xor3_b32 v3, v3, v17, v16
	v_cndmask_b32_e32 v2, 0x7fc00000, v3, vcc_lo
	v_mul_f32_e32 v2, v2, v2
	v_div_scale_f32 v3, null, v2, v2, 0xc11de9e7
	v_div_scale_f32 v18, vcc_lo, 0xc11de9e7, v2, 0xc11de9e7
	v_rcp_f32_e32 v16, v3
	v_fma_f32 v17, -v3, v16, 1.0
	v_fmac_f32_e32 v16, v17, v16
	v_mul_f32_e32 v17, v18, v16
	v_fma_f32 v19, -v3, v17, v18
	v_fmac_f32_e32 v17, v19, v16
	v_fma_f32 v3, -v3, v17, v18
	v_div_fmas_f32 v3, v3, v16, v17
	v_div_fixup_f32 v2, v3, v2, 0xc11de9e7
	v_add_f32_e32 v3, 0, v2
	v_mov_b32_e32 v2, -1.0
.LBB68_24:
	s_or_b32 exec_lo, exec_lo, s7
	v_add_f32_e32 v16, 1.0, v15
	v_mul_f32_e32 v15, v15, v15
	v_mul_f32_e32 v17, v16, v16
	v_add_f32_e32 v16, 1.0, v16
	v_div_scale_f32 v18, null, v15, v15, 1.0
	v_div_scale_f32 v20, vcc_lo, 1.0, v15, 1.0
	v_mul_f32_e32 v21, v16, v16
	v_div_scale_f32 v19, null, v17, v17, 1.0
	v_rcp_f32_e32 v22, v18
	v_div_scale_f32 v25, s5, 1.0, v17, 1.0
	v_div_scale_f32 v24, null, v21, v21, 1.0
	v_rcp_f32_e32 v23, v19
	v_add_f32_e32 v16, 1.0, v16
	v_div_scale_f32 v26, s6, 1.0, v21, 1.0
	v_rcp_f32_e32 v27, v24
	v_fma_f32 v29, -v18, v22, 1.0
	v_mul_f32_e32 v28, v16, v16
	v_add_f32_e32 v16, 1.0, v16
	v_fma_f32 v30, -v19, v23, 1.0
	v_fmac_f32_e32 v22, v29, v22
	v_mul_f32_e32 v32, v16, v16
	v_add_f32_e32 v16, 1.0, v16
	v_fma_f32 v29, -v24, v27, 1.0
	v_fmac_f32_e32 v23, v30, v23
	v_mul_f32_e32 v33, v20, v22
	v_div_scale_f32 v31, null, v28, v28, 1.0
	v_fmac_f32_e32 v27, v29, v27
	v_mul_f32_e32 v34, v25, v23
	v_fma_f32 v35, -v18, v33, v20
	v_add_f32_e32 v38, 1.0, v16
	v_rcp_f32_e32 v30, v31
	v_mul_f32_e32 v37, v26, v27
	v_fma_f32 v36, -v19, v34, v25
	v_fmac_f32_e32 v33, v35, v22
	v_mul_f32_e32 v16, v16, v16
	v_div_scale_f32 v29, null, v32, v32, 1.0
	v_fma_f32 v35, -v24, v37, v26
	v_fmac_f32_e32 v34, v36, v23
	v_fma_f32 v18, -v18, v33, v20
	v_mul_f32_e32 v20, v38, v38
	v_rcp_f32_e32 v36, v29
	v_fmac_f32_e32 v37, v35, v27
	v_fma_f32 v19, -v19, v34, v25
	v_div_fmas_f32 v18, v18, v22, v33
	s_mov_b32 vcc_lo, s5
	v_fma_f32 v39, -v31, v30, 1.0
	v_fma_f32 v22, -v24, v37, v26
	v_div_fmas_f32 v19, v19, v23, v34
	s_mov_b32 vcc_lo, s6
	v_div_scale_f32 v23, null, v16, v16, 1.0
	v_div_fmas_f32 v22, v22, v27, v37
	v_div_scale_f32 v24, null, v20, v20, 1.0
	v_add_f32_e32 v27, v38, v38
	v_rcp_f32_e32 v26, v23
	v_fmac_f32_e32 v30, v39, v30
	v_rcp_f32_e32 v34, v24
	v_div_scale_f32 v25, vcc_lo, 1.0, v28, 1.0
	v_div_scale_f32 v37, null, v27, v27, 1.0
	v_fma_f32 v33, -v29, v36, 1.0
	v_mul_f32_e32 v35, v25, v30
	v_div_fixup_f32 v15, v18, v15, 1.0
	v_rcp_f32_e32 v48, v37
	v_fma_f32 v39, -v23, v26, 1.0
	v_fmac_f32_e32 v36, v33, v36
	v_div_scale_f32 v33, s5, 1.0, v32, 1.0
	v_fma_f32 v50, -v24, v34, 1.0
	v_fma_f32 v49, -v31, v35, v25
	v_fmac_f32_e32 v26, v39, v26
	v_div_scale_f32 v39, s6, 1.0, v16, 1.0
	v_mul_f32_e32 v51, v33, v36
	v_fmac_f32_e32 v34, v50, v34
	v_div_scale_f32 v50, s7, 1.0, v20, 1.0
	v_fma_f32 v52, -v37, v48, 1.0
	v_fmac_f32_e32 v35, v49, v30
	v_mul_f32_e32 v53, v39, v26
	v_fma_f32 v49, -v29, v51, v33
	v_mul_f32_e32 v54, v50, v34
	v_fmac_f32_e32 v48, v52, v48
	v_div_scale_f32 v52, s8, 1.0, v27, 1.0
	v_fma_f32 v25, -v31, v35, v25
	v_fma_f32 v31, -v23, v53, v39
	v_fmac_f32_e32 v51, v49, v36
	v_fma_f32 v49, -v24, v54, v50
	v_mul_f32_e32 v55, v52, v48
	v_div_fmas_f32 v25, v25, v30, v35
	v_fmac_f32_e32 v53, v31, v26
	v_fma_f32 v29, -v29, v51, v33
	v_fmac_f32_e32 v54, v49, v34
	v_fma_f32 v30, -v37, v55, v52
	s_mov_b32 vcc_lo, s5
	v_fma_f32 v23, -v23, v53, v39
	v_div_fmas_f32 v29, v29, v36, v51
	v_fma_f32 v24, -v24, v54, v50
	v_fmac_f32_e32 v55, v30, v48
	s_mov_b32 vcc_lo, s6
	s_mov_b32 s5, 0xbcc30c31
	v_div_fmas_f32 v23, v23, v26, v53
	s_mov_b32 vcc_lo, s7
	v_fma_f32 v26, -v37, v55, v52
	v_div_fmas_f32 v24, v24, v34, v54
	s_mov_b32 vcc_lo, s8
	v_add_f32_e32 v3, v3, v15
	v_div_fixup_f32 v15, v19, v17, 1.0
	v_div_fmas_f32 v26, v26, v48, v55
	v_div_fixup_f32 v20, v24, v20, 1.0
	v_add_f32_e32 v3, v3, v15
	v_div_fixup_f32 v24, v26, v27, 1.0
	v_fmaak_f32 v26, s5, v20, 0x3d088889
	v_div_fixup_f32 v15, v22, v21, 1.0
	v_add_f32_e32 v24, 1.0, v24
	v_fma_f32 v26, -v20, v26, 0x3e2aaaab
	v_add_f32_e32 v3, v3, v15
	v_div_fixup_f32 v15, v25, v28, 1.0
	v_fmac_f32_e32 v24, v20, v26
	v_add_f32_e32 v3, v3, v15
	v_div_fixup_f32 v15, v29, v32, 1.0
	v_div_scale_f32 v20, null, v38, v38, v24
	v_div_scale_f32 v17, vcc_lo, v24, v38, v24
	v_add_f32_e32 v3, v3, v15
	v_rcp_f32_e32 v26, v20
	v_div_fixup_f32 v15, v23, v16, 1.0
	v_add_f32_e32 v3, v3, v15
	v_fma_f32 v18, -v20, v26, 1.0
	v_fmac_f32_e32 v26, v18, v26
	v_mul_f32_e32 v18, v17, v26
	v_fma_f32 v19, -v20, v18, v17
	v_fmac_f32_e32 v18, v19, v26
	v_fma_f32 v17, -v20, v18, v17
	v_div_fmas_f32 v16, v17, v26, v18
	v_div_fixup_f32 v15, v16, v38, v24
	v_add_f32_e32 v3, v3, v15
	v_mul_f32_e32 v2, v2, v3
	v_bfe_u32 v3, v2, 16, 1
	v_cmp_o_f32_e32 vcc_lo, v2, v2
	v_add3_u32 v2, v2, v3, 0x7fff
	v_mov_b32_e32 v3, 0x7fc0
	v_cndmask_b32_sdwa v2, v3, v2, vcc_lo dst_sel:DWORD dst_unused:UNUSED_PAD src0_sel:DWORD src1_sel:WORD_1
	s_or_b32 exec_lo, exec_lo, s10
	s_mov_b32 s10, exec_lo
                                        ; implicit-def: $vgpr3
	v_cmpx_lt_i32_e64 v8, v4
	s_cbranch_execz .LBB68_32
.LBB68_25:
	v_mov_b32_e32 v15, 0
	v_mov_b32_e32 v3, 1.0
	s_mov_b32 s7, exec_lo
	v_cmpx_gt_f32_e32 0.5, v11
	s_cbranch_execz .LBB68_31
; %bb.26:
	v_mul_f32_e32 v3, 0x40490fdb, v11
                                        ; implicit-def: $vgpr17
                                        ; implicit-def: $vgpr16
	s_mov_b32 s6, exec_lo
	v_and_b32_e32 v15, 0x7fffffff, v3
	v_cmpx_ngt_f32_e64 0x48000000, |v3|
	s_xor_b32 s8, exec_lo, s6
	s_cbranch_execz .LBB68_28
; %bb.27:
	s_mov_b32 s5, 0x7fffff
	v_mov_b32_e32 v18, 0
	v_and_or_b32 v25, v15, s5, 0x800000
	v_lshrrev_b32_e32 v23, 23, v15
	v_mad_u64_u32 v[16:17], null, 0xfe5163ab, v25, 0
	v_add_nc_u32_e32 v24, 0xffffff88, v23
	v_cmp_lt_u32_e32 vcc_lo, 63, v24
	v_mad_u64_u32 v[19:20], null, 0x3c439041, v25, v[17:18]
	v_cndmask_b32_e64 v26, 0, 0xffffffc0, vcc_lo
	v_mov_b32_e32 v17, v20
	v_add_nc_u32_e32 v26, v26, v24
	v_mad_u64_u32 v[20:21], null, 0xdb629599, v25, v[17:18]
	v_cmp_lt_u32_e64 s5, 31, v26
	v_cndmask_b32_e64 v27, 0, 0xffffffe0, s5
	v_mov_b32_e32 v17, v21
	v_cndmask_b32_e32 v16, v20, v16, vcc_lo
	v_mad_u64_u32 v[21:22], null, 0xf534ddc0, v25, v[17:18]
	v_mov_b32_e32 v17, v22
	v_cndmask_b32_e32 v19, v21, v19, vcc_lo
	v_mad_u64_u32 v[22:23], null, 0xfc2757d1, v25, v[17:18]
	v_cndmask_b32_e64 v16, v19, v16, s5
	v_mov_b32_e32 v17, v23
	v_mad_u64_u32 v[23:24], null, 0x4e441529, v25, v[17:18]
	v_mov_b32_e32 v17, v24
	v_add_nc_u32_e32 v24, v27, v26
	v_cndmask_b32_e32 v26, v23, v21, vcc_lo
	v_mad_u64_u32 v[17:18], null, 0xa2f9836e, v25, v[17:18]
	v_cmp_lt_u32_e64 s6, 31, v24
	v_cndmask_b32_e64 v25, 0, 0xffffffe0, s6
	v_cndmask_b32_e32 v17, v17, v22, vcc_lo
	v_cndmask_b32_e32 v18, v18, v23, vcc_lo
	;; [unrolled: 1-line block ×3, first 2 shown]
	v_add_nc_u32_e32 v23, v25, v24
	v_cndmask_b32_e64 v21, v17, v26, s5
	v_cndmask_b32_e64 v17, v18, v17, s5
	;; [unrolled: 1-line block ×4, first 2 shown]
	v_sub_nc_u32_e32 v24, 32, v23
	v_cmp_eq_u32_e32 vcc_lo, 0, v23
	v_cndmask_b32_e64 v17, v17, v21, s6
	v_cndmask_b32_e64 v21, v21, v18, s6
	v_cndmask_b32_e64 v18, v18, v22, s6
	v_cndmask_b32_e64 v16, v22, v16, s6
	v_alignbit_b32 v25, v17, v21, v24
	v_alignbit_b32 v20, v21, v18, v24
	;; [unrolled: 1-line block ×3, first 2 shown]
	v_cndmask_b32_e32 v17, v25, v17, vcc_lo
	v_cndmask_b32_e32 v19, v20, v21, vcc_lo
	;; [unrolled: 1-line block ×3, first 2 shown]
	v_bfe_u32 v20, v17, 29, 1
	v_alignbit_b32 v21, v17, v19, 30
	v_alignbit_b32 v19, v19, v18, 30
	;; [unrolled: 1-line block ×3, first 2 shown]
	v_sub_nc_u32_e32 v22, 0, v20
	v_xor_b32_e32 v21, v21, v22
	v_xor_b32_e32 v18, v19, v22
	;; [unrolled: 1-line block ×3, first 2 shown]
	v_lshrrev_b32_e32 v22, 29, v17
	v_lshrrev_b32_e32 v17, 30, v17
	v_ffbh_u32_e32 v23, v21
	v_add_nc_u32_e32 v17, v20, v17
	v_min_u32_e32 v23, 32, v23
	v_sub_nc_u32_e32 v19, 31, v23
	v_lshlrev_b32_e32 v24, 23, v23
	v_alignbit_b32 v21, v21, v18, v19
	v_alignbit_b32 v16, v18, v16, v19
	v_lshlrev_b32_e32 v18, 31, v22
	v_alignbit_b32 v19, v21, v16, 9
	v_or_b32_e32 v22, 0.5, v18
	v_lshrrev_b32_e32 v21, 9, v21
	v_or_b32_e32 v18, 0x33000000, v18
	v_ffbh_u32_e32 v25, v19
	v_sub_nc_u32_e32 v22, v22, v24
	v_min_u32_e32 v24, 32, v25
	v_or_b32_e32 v21, v21, v22
	v_not_b32_e32 v22, v24
	v_mul_f32_e32 v25, 0x3fc90fda, v21
	v_add_lshl_u32 v23, v24, v23, 23
	v_alignbit_b32 v16, v19, v16, v22
	v_fma_f32 v19, 0x3fc90fda, v21, -v25
	v_sub_nc_u32_e32 v18, v18, v23
	v_lshrrev_b32_e32 v16, 9, v16
	v_fmamk_f32 v19, v21, 0x33a22168, v19
	v_or_b32_e32 v16, v18, v16
	v_fmac_f32_e32 v19, 0x3fc90fda, v16
	v_add_f32_e32 v16, v25, v19
.LBB68_28:
	s_andn2_saveexec_b32 s5, s8
; %bb.29:
	v_mul_f32_e64 v16, 0x3f22f983, |v3|
	v_rndne_f32_e32 v17, v16
	v_fma_f32 v16, 0xbfc90fda, v17, |v3|
	v_fmamk_f32 v16, v17, 0xb3a22168, v16
	v_fmamk_f32 v16, v17, 0xa7c234c4, v16
	v_cvt_i32_f32_e32 v17, v17
; %bb.30:
	s_or_b32 exec_lo, exec_lo, s5
	v_mul_f32_e32 v18, v16, v16
	s_mov_b32 s5, 0xb94c1982
	s_mov_b32 s6, 0x37d75334
	v_and_b32_e32 v21, 1, v17
	v_lshlrev_b32_e32 v17, 30, v17
	v_fmaak_f32 v19, s5, v18, 0x3c0881c4
	v_fmaak_f32 v20, s6, v18, 0xbab64f3b
	v_xor_b32_e32 v15, v15, v3
	v_cmp_eq_u32_e32 vcc_lo, 0, v21
	v_and_b32_e32 v17, 0x80000000, v17
	v_fmaak_f32 v19, v18, v19, 0xbe2aaa9d
	v_fmaak_f32 v20, v18, v20, 0x3d2aabf7
	v_sub_f32_e32 v11, 1.0, v11
	v_mul_f32_e32 v19, v18, v19
	v_fmaak_f32 v20, v18, v20, 0xbf000004
	v_fmac_f32_e32 v16, v16, v19
	v_fma_f32 v18, v18, v20, 1.0
	v_cndmask_b32_e32 v16, v18, v16, vcc_lo
	v_cmp_class_f32_e64 vcc_lo, v3, 0x1f8
	v_xor3_b32 v15, v15, v17, v16
	v_cndmask_b32_e32 v3, 0x7fc00000, v15, vcc_lo
	v_mul_f32_e32 v3, v3, v3
	v_div_scale_f32 v15, null, v3, v3, 0xc11de9e7
	v_div_scale_f32 v18, vcc_lo, 0xc11de9e7, v3, 0xc11de9e7
	v_rcp_f32_e32 v16, v15
	v_fma_f32 v17, -v15, v16, 1.0
	v_fmac_f32_e32 v16, v17, v16
	v_mul_f32_e32 v17, v18, v16
	v_fma_f32 v19, -v15, v17, v18
	v_fmac_f32_e32 v17, v19, v16
	v_fma_f32 v15, -v15, v17, v18
	v_div_fmas_f32 v15, v15, v16, v17
	v_div_fixup_f32 v3, v15, v3, 0xc11de9e7
	v_add_f32_e32 v15, 0, v3
	v_mov_b32_e32 v3, -1.0
.LBB68_31:
	s_or_b32 exec_lo, exec_lo, s7
	v_add_f32_e32 v16, 1.0, v11
	v_mul_f32_e32 v11, v11, v11
	v_mul_f32_e32 v17, v16, v16
	v_add_f32_e32 v16, 1.0, v16
	v_div_scale_f32 v18, null, v11, v11, 1.0
	v_div_scale_f32 v20, vcc_lo, 1.0, v11, 1.0
	v_mul_f32_e32 v21, v16, v16
	v_div_scale_f32 v19, null, v17, v17, 1.0
	v_rcp_f32_e32 v22, v18
	v_div_scale_f32 v25, s5, 1.0, v17, 1.0
	v_div_scale_f32 v24, null, v21, v21, 1.0
	v_rcp_f32_e32 v23, v19
	v_add_f32_e32 v16, 1.0, v16
	v_div_scale_f32 v26, s6, 1.0, v21, 1.0
	v_rcp_f32_e32 v27, v24
	v_fma_f32 v29, -v18, v22, 1.0
	v_mul_f32_e32 v28, v16, v16
	v_add_f32_e32 v16, 1.0, v16
	v_fma_f32 v30, -v19, v23, 1.0
	v_fmac_f32_e32 v22, v29, v22
	v_mul_f32_e32 v32, v16, v16
	v_add_f32_e32 v16, 1.0, v16
	v_fma_f32 v29, -v24, v27, 1.0
	v_fmac_f32_e32 v23, v30, v23
	v_mul_f32_e32 v33, v20, v22
	v_div_scale_f32 v31, null, v28, v28, 1.0
	v_fmac_f32_e32 v27, v29, v27
	v_mul_f32_e32 v34, v25, v23
	v_fma_f32 v35, -v18, v33, v20
	v_add_f32_e32 v38, 1.0, v16
	v_rcp_f32_e32 v30, v31
	v_mul_f32_e32 v37, v26, v27
	v_fma_f32 v36, -v19, v34, v25
	v_fmac_f32_e32 v33, v35, v22
	v_mul_f32_e32 v16, v16, v16
	v_div_scale_f32 v29, null, v32, v32, 1.0
	v_fma_f32 v35, -v24, v37, v26
	v_fmac_f32_e32 v34, v36, v23
	v_fma_f32 v18, -v18, v33, v20
	v_mul_f32_e32 v20, v38, v38
	v_rcp_f32_e32 v36, v29
	v_fmac_f32_e32 v37, v35, v27
	v_fma_f32 v19, -v19, v34, v25
	v_div_fmas_f32 v18, v18, v22, v33
	s_mov_b32 vcc_lo, s5
	v_fma_f32 v39, -v31, v30, 1.0
	v_fma_f32 v22, -v24, v37, v26
	v_div_fmas_f32 v19, v19, v23, v34
	s_mov_b32 vcc_lo, s6
	v_div_scale_f32 v23, null, v16, v16, 1.0
	v_div_fmas_f32 v22, v22, v27, v37
	v_div_scale_f32 v24, null, v20, v20, 1.0
	v_add_f32_e32 v27, v38, v38
	v_rcp_f32_e32 v26, v23
	v_fmac_f32_e32 v30, v39, v30
	v_rcp_f32_e32 v34, v24
	v_div_scale_f32 v25, vcc_lo, 1.0, v28, 1.0
	v_div_scale_f32 v37, null, v27, v27, 1.0
	v_fma_f32 v33, -v29, v36, 1.0
	v_mul_f32_e32 v35, v25, v30
	v_div_fixup_f32 v11, v18, v11, 1.0
	v_rcp_f32_e32 v48, v37
	v_fma_f32 v39, -v23, v26, 1.0
	v_fmac_f32_e32 v36, v33, v36
	v_div_scale_f32 v33, s5, 1.0, v32, 1.0
	v_fma_f32 v50, -v24, v34, 1.0
	v_fma_f32 v49, -v31, v35, v25
	v_fmac_f32_e32 v26, v39, v26
	v_div_scale_f32 v39, s6, 1.0, v16, 1.0
	v_mul_f32_e32 v51, v33, v36
	v_fmac_f32_e32 v34, v50, v34
	v_div_scale_f32 v50, s7, 1.0, v20, 1.0
	v_fma_f32 v52, -v37, v48, 1.0
	v_fmac_f32_e32 v35, v49, v30
	v_mul_f32_e32 v53, v39, v26
	v_fma_f32 v49, -v29, v51, v33
	v_mul_f32_e32 v54, v50, v34
	v_fmac_f32_e32 v48, v52, v48
	v_div_scale_f32 v52, s8, 1.0, v27, 1.0
	v_fma_f32 v25, -v31, v35, v25
	v_fma_f32 v31, -v23, v53, v39
	v_fmac_f32_e32 v51, v49, v36
	v_fma_f32 v49, -v24, v54, v50
	v_mul_f32_e32 v55, v52, v48
	v_div_fmas_f32 v25, v25, v30, v35
	v_fmac_f32_e32 v53, v31, v26
	v_fma_f32 v29, -v29, v51, v33
	v_fmac_f32_e32 v54, v49, v34
	v_fma_f32 v30, -v37, v55, v52
	s_mov_b32 vcc_lo, s5
	v_fma_f32 v23, -v23, v53, v39
	v_div_fmas_f32 v29, v29, v36, v51
	v_fma_f32 v24, -v24, v54, v50
	v_fmac_f32_e32 v55, v30, v48
	s_mov_b32 vcc_lo, s6
	s_mov_b32 s5, 0xbcc30c31
	v_div_fmas_f32 v23, v23, v26, v53
	s_mov_b32 vcc_lo, s7
	v_fma_f32 v26, -v37, v55, v52
	v_div_fmas_f32 v24, v24, v34, v54
	s_mov_b32 vcc_lo, s8
	v_add_f32_e32 v11, v15, v11
	v_div_fixup_f32 v15, v19, v17, 1.0
	v_div_fmas_f32 v26, v26, v48, v55
	v_div_fixup_f32 v20, v24, v20, 1.0
	v_add_f32_e32 v11, v11, v15
	v_div_fixup_f32 v24, v26, v27, 1.0
	v_fmaak_f32 v26, s5, v20, 0x3d088889
	v_div_fixup_f32 v15, v22, v21, 1.0
	v_add_f32_e32 v24, 1.0, v24
	v_fma_f32 v26, -v20, v26, 0x3e2aaaab
	v_add_f32_e32 v11, v11, v15
	v_div_fixup_f32 v15, v25, v28, 1.0
	v_fmac_f32_e32 v24, v20, v26
	v_add_f32_e32 v11, v11, v15
	v_div_fixup_f32 v15, v29, v32, 1.0
	v_div_scale_f32 v20, null, v38, v38, v24
	v_div_scale_f32 v17, vcc_lo, v24, v38, v24
	v_add_f32_e32 v11, v11, v15
	v_rcp_f32_e32 v26, v20
	v_div_fixup_f32 v15, v23, v16, 1.0
	v_add_f32_e32 v11, v11, v15
	v_fma_f32 v18, -v20, v26, 1.0
	v_fmac_f32_e32 v26, v18, v26
	v_mul_f32_e32 v18, v17, v26
	v_fma_f32 v19, -v20, v18, v17
	v_fmac_f32_e32 v18, v19, v26
	v_fma_f32 v17, -v20, v18, v17
	v_div_fmas_f32 v16, v17, v26, v18
	v_div_fixup_f32 v15, v16, v38, v24
	v_add_f32_e32 v11, v11, v15
	v_mul_f32_e32 v3, v3, v11
	v_bfe_u32 v11, v3, 16, 1
	v_cmp_o_f32_e32 vcc_lo, v3, v3
	v_add3_u32 v3, v3, v11, 0x7fff
	v_mov_b32_e32 v11, 0x7fc0
	v_cndmask_b32_sdwa v3, v11, v3, vcc_lo dst_sel:DWORD dst_unused:UNUSED_PAD src0_sel:DWORD src1_sel:WORD_1
.LBB68_32:
	s_or_b32 exec_lo, exec_lo, s10
	v_add_nc_u32_e32 v11, 0x200, v7
	v_cmp_lt_i32_e32 vcc_lo, v11, v4
                                        ; implicit-def: $vgpr11
	s_and_saveexec_b32 s10, vcc_lo
	s_cbranch_execz .LBB68_40
; %bb.33:
	v_mov_b32_e32 v15, 0
	v_mov_b32_e32 v11, 1.0
	s_mov_b32 s7, exec_lo
	v_cmpx_gt_f32_e32 0.5, v13
	s_cbranch_execz .LBB68_39
; %bb.34:
	v_mul_f32_e32 v11, 0x40490fdb, v13
                                        ; implicit-def: $vgpr17
                                        ; implicit-def: $vgpr16
	s_mov_b32 s6, exec_lo
	v_and_b32_e32 v15, 0x7fffffff, v11
	v_cmpx_ngt_f32_e64 0x48000000, |v11|
	s_xor_b32 s8, exec_lo, s6
	s_cbranch_execz .LBB68_36
; %bb.35:
	s_mov_b32 s5, 0x7fffff
	v_mov_b32_e32 v18, 0
	v_and_or_b32 v25, v15, s5, 0x800000
	v_lshrrev_b32_e32 v23, 23, v15
	v_mad_u64_u32 v[16:17], null, 0xfe5163ab, v25, 0
	v_add_nc_u32_e32 v24, 0xffffff88, v23
	v_cmp_lt_u32_e32 vcc_lo, 63, v24
	v_mad_u64_u32 v[19:20], null, 0x3c439041, v25, v[17:18]
	v_cndmask_b32_e64 v26, 0, 0xffffffc0, vcc_lo
	v_mov_b32_e32 v17, v20
	v_add_nc_u32_e32 v26, v26, v24
	v_mad_u64_u32 v[20:21], null, 0xdb629599, v25, v[17:18]
	v_cmp_lt_u32_e64 s5, 31, v26
	v_cndmask_b32_e64 v27, 0, 0xffffffe0, s5
	v_mov_b32_e32 v17, v21
	v_cndmask_b32_e32 v16, v20, v16, vcc_lo
	v_mad_u64_u32 v[21:22], null, 0xf534ddc0, v25, v[17:18]
	v_mov_b32_e32 v17, v22
	v_cndmask_b32_e32 v19, v21, v19, vcc_lo
	v_mad_u64_u32 v[22:23], null, 0xfc2757d1, v25, v[17:18]
	v_cndmask_b32_e64 v16, v19, v16, s5
	v_mov_b32_e32 v17, v23
	v_mad_u64_u32 v[23:24], null, 0x4e441529, v25, v[17:18]
	v_mov_b32_e32 v17, v24
	v_add_nc_u32_e32 v24, v27, v26
	v_cndmask_b32_e32 v26, v23, v21, vcc_lo
	v_mad_u64_u32 v[17:18], null, 0xa2f9836e, v25, v[17:18]
	v_cmp_lt_u32_e64 s6, 31, v24
	v_cndmask_b32_e64 v25, 0, 0xffffffe0, s6
	v_cndmask_b32_e32 v17, v17, v22, vcc_lo
	v_cndmask_b32_e32 v18, v18, v23, vcc_lo
	v_cndmask_b32_e32 v22, v22, v20, vcc_lo
	v_add_nc_u32_e32 v23, v25, v24
	v_cndmask_b32_e64 v21, v17, v26, s5
	v_cndmask_b32_e64 v17, v18, v17, s5
	;; [unrolled: 1-line block ×4, first 2 shown]
	v_sub_nc_u32_e32 v24, 32, v23
	v_cmp_eq_u32_e32 vcc_lo, 0, v23
	v_cndmask_b32_e64 v17, v17, v21, s6
	v_cndmask_b32_e64 v21, v21, v18, s6
	;; [unrolled: 1-line block ×4, first 2 shown]
	v_alignbit_b32 v25, v17, v21, v24
	v_alignbit_b32 v20, v21, v18, v24
	v_alignbit_b32 v23, v18, v16, v24
	v_cndmask_b32_e32 v17, v25, v17, vcc_lo
	v_cndmask_b32_e32 v19, v20, v21, vcc_lo
	;; [unrolled: 1-line block ×3, first 2 shown]
	v_bfe_u32 v20, v17, 29, 1
	v_alignbit_b32 v21, v17, v19, 30
	v_alignbit_b32 v19, v19, v18, 30
	;; [unrolled: 1-line block ×3, first 2 shown]
	v_sub_nc_u32_e32 v22, 0, v20
	v_xor_b32_e32 v21, v21, v22
	v_xor_b32_e32 v18, v19, v22
	;; [unrolled: 1-line block ×3, first 2 shown]
	v_lshrrev_b32_e32 v22, 29, v17
	v_lshrrev_b32_e32 v17, 30, v17
	v_ffbh_u32_e32 v23, v21
	v_add_nc_u32_e32 v17, v20, v17
	v_min_u32_e32 v23, 32, v23
	v_sub_nc_u32_e32 v19, 31, v23
	v_lshlrev_b32_e32 v24, 23, v23
	v_alignbit_b32 v21, v21, v18, v19
	v_alignbit_b32 v16, v18, v16, v19
	v_lshlrev_b32_e32 v18, 31, v22
	v_alignbit_b32 v19, v21, v16, 9
	v_or_b32_e32 v22, 0.5, v18
	v_lshrrev_b32_e32 v21, 9, v21
	v_or_b32_e32 v18, 0x33000000, v18
	v_ffbh_u32_e32 v25, v19
	v_sub_nc_u32_e32 v22, v22, v24
	v_min_u32_e32 v24, 32, v25
	v_or_b32_e32 v21, v21, v22
	v_not_b32_e32 v22, v24
	v_mul_f32_e32 v25, 0x3fc90fda, v21
	v_add_lshl_u32 v23, v24, v23, 23
	v_alignbit_b32 v16, v19, v16, v22
	v_fma_f32 v19, 0x3fc90fda, v21, -v25
	v_sub_nc_u32_e32 v18, v18, v23
	v_lshrrev_b32_e32 v16, 9, v16
	v_fmamk_f32 v19, v21, 0x33a22168, v19
	v_or_b32_e32 v16, v18, v16
	v_fmac_f32_e32 v19, 0x3fc90fda, v16
	v_add_f32_e32 v16, v25, v19
.LBB68_36:
	s_andn2_saveexec_b32 s5, s8
; %bb.37:
	v_mul_f32_e64 v16, 0x3f22f983, |v11|
	v_rndne_f32_e32 v17, v16
	v_fma_f32 v16, 0xbfc90fda, v17, |v11|
	v_fmamk_f32 v16, v17, 0xb3a22168, v16
	v_fmamk_f32 v16, v17, 0xa7c234c4, v16
	v_cvt_i32_f32_e32 v17, v17
; %bb.38:
	s_or_b32 exec_lo, exec_lo, s5
	v_mul_f32_e32 v18, v16, v16
	s_mov_b32 s5, 0xb94c1982
	s_mov_b32 s6, 0x37d75334
	v_and_b32_e32 v21, 1, v17
	v_lshlrev_b32_e32 v17, 30, v17
	v_fmaak_f32 v19, s5, v18, 0x3c0881c4
	v_fmaak_f32 v20, s6, v18, 0xbab64f3b
	v_xor_b32_e32 v15, v15, v11
	v_cmp_eq_u32_e32 vcc_lo, 0, v21
	v_and_b32_e32 v17, 0x80000000, v17
	v_fmaak_f32 v19, v18, v19, 0xbe2aaa9d
	v_fmaak_f32 v20, v18, v20, 0x3d2aabf7
	v_sub_f32_e32 v13, 1.0, v13
	v_mul_f32_e32 v19, v18, v19
	v_fmaak_f32 v20, v18, v20, 0xbf000004
	v_fmac_f32_e32 v16, v16, v19
	v_fma_f32 v18, v18, v20, 1.0
	v_cndmask_b32_e32 v16, v18, v16, vcc_lo
	v_cmp_class_f32_e64 vcc_lo, v11, 0x1f8
	v_xor3_b32 v15, v15, v17, v16
	v_cndmask_b32_e32 v11, 0x7fc00000, v15, vcc_lo
	v_mul_f32_e32 v11, v11, v11
	v_div_scale_f32 v15, null, v11, v11, 0xc11de9e7
	v_div_scale_f32 v18, vcc_lo, 0xc11de9e7, v11, 0xc11de9e7
	v_rcp_f32_e32 v16, v15
	v_fma_f32 v17, -v15, v16, 1.0
	v_fmac_f32_e32 v16, v17, v16
	v_mul_f32_e32 v17, v18, v16
	v_fma_f32 v19, -v15, v17, v18
	v_fmac_f32_e32 v17, v19, v16
	v_fma_f32 v15, -v15, v17, v18
	v_div_fmas_f32 v15, v15, v16, v17
	v_div_fixup_f32 v11, v15, v11, 0xc11de9e7
	v_add_f32_e32 v15, 0, v11
	v_mov_b32_e32 v11, -1.0
.LBB68_39:
	s_or_b32 exec_lo, exec_lo, s7
	v_add_f32_e32 v16, 1.0, v13
	v_mul_f32_e32 v13, v13, v13
	v_mul_f32_e32 v17, v16, v16
	v_add_f32_e32 v16, 1.0, v16
	v_div_scale_f32 v18, null, v13, v13, 1.0
	v_div_scale_f32 v20, vcc_lo, 1.0, v13, 1.0
	v_mul_f32_e32 v21, v16, v16
	v_div_scale_f32 v19, null, v17, v17, 1.0
	v_rcp_f32_e32 v22, v18
	v_div_scale_f32 v25, s5, 1.0, v17, 1.0
	v_div_scale_f32 v24, null, v21, v21, 1.0
	v_rcp_f32_e32 v23, v19
	v_add_f32_e32 v16, 1.0, v16
	v_div_scale_f32 v26, s6, 1.0, v21, 1.0
	v_rcp_f32_e32 v27, v24
	v_fma_f32 v29, -v18, v22, 1.0
	v_mul_f32_e32 v28, v16, v16
	v_add_f32_e32 v16, 1.0, v16
	v_fma_f32 v30, -v19, v23, 1.0
	v_fmac_f32_e32 v22, v29, v22
	v_mul_f32_e32 v32, v16, v16
	v_add_f32_e32 v16, 1.0, v16
	v_fma_f32 v29, -v24, v27, 1.0
	v_fmac_f32_e32 v23, v30, v23
	v_mul_f32_e32 v33, v20, v22
	v_div_scale_f32 v31, null, v28, v28, 1.0
	v_fmac_f32_e32 v27, v29, v27
	v_mul_f32_e32 v34, v25, v23
	v_fma_f32 v35, -v18, v33, v20
	v_add_f32_e32 v38, 1.0, v16
	v_rcp_f32_e32 v30, v31
	v_mul_f32_e32 v37, v26, v27
	v_fma_f32 v36, -v19, v34, v25
	v_fmac_f32_e32 v33, v35, v22
	v_mul_f32_e32 v16, v16, v16
	v_div_scale_f32 v29, null, v32, v32, 1.0
	v_fma_f32 v35, -v24, v37, v26
	v_fmac_f32_e32 v34, v36, v23
	v_fma_f32 v18, -v18, v33, v20
	v_mul_f32_e32 v20, v38, v38
	v_rcp_f32_e32 v36, v29
	v_fmac_f32_e32 v37, v35, v27
	v_fma_f32 v19, -v19, v34, v25
	v_div_fmas_f32 v18, v18, v22, v33
	s_mov_b32 vcc_lo, s5
	v_fma_f32 v39, -v31, v30, 1.0
	v_fma_f32 v22, -v24, v37, v26
	v_div_fmas_f32 v19, v19, v23, v34
	s_mov_b32 vcc_lo, s6
	v_div_scale_f32 v23, null, v16, v16, 1.0
	v_div_fmas_f32 v22, v22, v27, v37
	v_div_scale_f32 v24, null, v20, v20, 1.0
	v_add_f32_e32 v27, v38, v38
	v_rcp_f32_e32 v26, v23
	v_fmac_f32_e32 v30, v39, v30
	v_rcp_f32_e32 v34, v24
	v_div_scale_f32 v25, vcc_lo, 1.0, v28, 1.0
	v_div_scale_f32 v37, null, v27, v27, 1.0
	v_fma_f32 v33, -v29, v36, 1.0
	v_mul_f32_e32 v35, v25, v30
	v_div_fixup_f32 v13, v18, v13, 1.0
	v_rcp_f32_e32 v48, v37
	v_fma_f32 v39, -v23, v26, 1.0
	v_fmac_f32_e32 v36, v33, v36
	v_div_scale_f32 v33, s5, 1.0, v32, 1.0
	v_fma_f32 v50, -v24, v34, 1.0
	v_fma_f32 v49, -v31, v35, v25
	v_fmac_f32_e32 v26, v39, v26
	v_div_scale_f32 v39, s6, 1.0, v16, 1.0
	v_mul_f32_e32 v51, v33, v36
	v_fmac_f32_e32 v34, v50, v34
	v_div_scale_f32 v50, s7, 1.0, v20, 1.0
	v_fma_f32 v52, -v37, v48, 1.0
	v_fmac_f32_e32 v35, v49, v30
	v_mul_f32_e32 v53, v39, v26
	v_fma_f32 v49, -v29, v51, v33
	v_mul_f32_e32 v54, v50, v34
	v_fmac_f32_e32 v48, v52, v48
	v_div_scale_f32 v52, s8, 1.0, v27, 1.0
	v_fma_f32 v25, -v31, v35, v25
	v_fma_f32 v31, -v23, v53, v39
	v_fmac_f32_e32 v51, v49, v36
	v_fma_f32 v49, -v24, v54, v50
	v_mul_f32_e32 v55, v52, v48
	v_div_fmas_f32 v25, v25, v30, v35
	v_fmac_f32_e32 v53, v31, v26
	v_fma_f32 v29, -v29, v51, v33
	v_fmac_f32_e32 v54, v49, v34
	v_fma_f32 v30, -v37, v55, v52
	s_mov_b32 vcc_lo, s5
	v_fma_f32 v23, -v23, v53, v39
	v_div_fmas_f32 v29, v29, v36, v51
	v_fma_f32 v24, -v24, v54, v50
	v_fmac_f32_e32 v55, v30, v48
	s_mov_b32 vcc_lo, s6
	s_mov_b32 s5, 0xbcc30c31
	v_div_fmas_f32 v23, v23, v26, v53
	s_mov_b32 vcc_lo, s7
	v_fma_f32 v26, -v37, v55, v52
	v_div_fmas_f32 v24, v24, v34, v54
	s_mov_b32 vcc_lo, s8
	v_add_f32_e32 v13, v15, v13
	v_div_fixup_f32 v15, v19, v17, 1.0
	v_div_fmas_f32 v26, v26, v48, v55
	v_div_fixup_f32 v20, v24, v20, 1.0
	v_add_f32_e32 v13, v13, v15
	v_div_fixup_f32 v24, v26, v27, 1.0
	v_fmaak_f32 v26, s5, v20, 0x3d088889
	v_div_fixup_f32 v15, v22, v21, 1.0
	v_add_f32_e32 v24, 1.0, v24
	v_fma_f32 v26, -v20, v26, 0x3e2aaaab
	v_add_f32_e32 v13, v13, v15
	v_div_fixup_f32 v15, v25, v28, 1.0
	v_fmac_f32_e32 v24, v20, v26
	v_add_f32_e32 v13, v13, v15
	v_div_fixup_f32 v15, v29, v32, 1.0
	v_div_scale_f32 v20, null, v38, v38, v24
	v_div_scale_f32 v17, vcc_lo, v24, v38, v24
	v_add_f32_e32 v13, v13, v15
	v_rcp_f32_e32 v26, v20
	v_div_fixup_f32 v15, v23, v16, 1.0
	v_add_f32_e32 v13, v13, v15
	v_fma_f32 v18, -v20, v26, 1.0
	v_fmac_f32_e32 v26, v18, v26
	v_mul_f32_e32 v18, v17, v26
	v_fma_f32 v19, -v20, v18, v17
	v_fmac_f32_e32 v18, v19, v26
	v_fma_f32 v17, -v20, v18, v17
	v_div_fmas_f32 v16, v17, v26, v18
	v_div_fixup_f32 v15, v16, v38, v24
	v_add_f32_e32 v13, v13, v15
	v_mul_f32_e32 v11, v11, v13
	v_bfe_u32 v13, v11, 16, 1
	v_cmp_o_f32_e32 vcc_lo, v11, v11
	v_add3_u32 v11, v11, v13, 0x7fff
	v_mov_b32_e32 v13, 0x7fc0
	v_cndmask_b32_sdwa v11, v13, v11, vcc_lo dst_sel:DWORD dst_unused:UNUSED_PAD src0_sel:DWORD src1_sel:WORD_1
.LBB68_40:
	s_or_b32 exec_lo, exec_lo, s10
	v_add_nc_u32_e32 v13, 0x300, v7
	v_cmp_lt_i32_e32 vcc_lo, v13, v4
                                        ; implicit-def: $vgpr13
	s_and_saveexec_b32 s10, vcc_lo
	s_cbranch_execz .LBB68_48
; %bb.41:
	v_mov_b32_e32 v15, 0
	v_mov_b32_e32 v13, 1.0
	s_mov_b32 s7, exec_lo
	v_cmpx_gt_f32_e32 0.5, v14
	s_cbranch_execz .LBB68_47
; %bb.42:
	v_mul_f32_e32 v13, 0x40490fdb, v14
                                        ; implicit-def: $vgpr17
                                        ; implicit-def: $vgpr16
	s_mov_b32 s6, exec_lo
	v_and_b32_e32 v15, 0x7fffffff, v13
	v_cmpx_ngt_f32_e64 0x48000000, |v13|
	s_xor_b32 s8, exec_lo, s6
	s_cbranch_execz .LBB68_44
; %bb.43:
	s_mov_b32 s5, 0x7fffff
	v_mov_b32_e32 v18, 0
	v_and_or_b32 v25, v15, s5, 0x800000
	v_lshrrev_b32_e32 v23, 23, v15
	v_mad_u64_u32 v[16:17], null, 0xfe5163ab, v25, 0
	v_add_nc_u32_e32 v24, 0xffffff88, v23
	v_cmp_lt_u32_e32 vcc_lo, 63, v24
	v_mad_u64_u32 v[19:20], null, 0x3c439041, v25, v[17:18]
	v_cndmask_b32_e64 v26, 0, 0xffffffc0, vcc_lo
	v_mov_b32_e32 v17, v20
	v_add_nc_u32_e32 v26, v26, v24
	v_mad_u64_u32 v[20:21], null, 0xdb629599, v25, v[17:18]
	v_cmp_lt_u32_e64 s5, 31, v26
	v_cndmask_b32_e64 v27, 0, 0xffffffe0, s5
	v_mov_b32_e32 v17, v21
	v_cndmask_b32_e32 v16, v20, v16, vcc_lo
	v_mad_u64_u32 v[21:22], null, 0xf534ddc0, v25, v[17:18]
	v_mov_b32_e32 v17, v22
	v_cndmask_b32_e32 v19, v21, v19, vcc_lo
	v_mad_u64_u32 v[22:23], null, 0xfc2757d1, v25, v[17:18]
	v_cndmask_b32_e64 v16, v19, v16, s5
	v_mov_b32_e32 v17, v23
	v_mad_u64_u32 v[23:24], null, 0x4e441529, v25, v[17:18]
	v_mov_b32_e32 v17, v24
	v_add_nc_u32_e32 v24, v27, v26
	v_cndmask_b32_e32 v26, v23, v21, vcc_lo
	v_mad_u64_u32 v[17:18], null, 0xa2f9836e, v25, v[17:18]
	v_cmp_lt_u32_e64 s6, 31, v24
	v_cndmask_b32_e64 v25, 0, 0xffffffe0, s6
	v_cndmask_b32_e32 v17, v17, v22, vcc_lo
	v_cndmask_b32_e32 v18, v18, v23, vcc_lo
	;; [unrolled: 1-line block ×3, first 2 shown]
	v_add_nc_u32_e32 v23, v25, v24
	v_cndmask_b32_e64 v21, v17, v26, s5
	v_cndmask_b32_e64 v17, v18, v17, s5
	;; [unrolled: 1-line block ×4, first 2 shown]
	v_sub_nc_u32_e32 v24, 32, v23
	v_cmp_eq_u32_e32 vcc_lo, 0, v23
	v_cndmask_b32_e64 v17, v17, v21, s6
	v_cndmask_b32_e64 v21, v21, v18, s6
	v_cndmask_b32_e64 v18, v18, v22, s6
	v_cndmask_b32_e64 v16, v22, v16, s6
	v_alignbit_b32 v25, v17, v21, v24
	v_alignbit_b32 v20, v21, v18, v24
	;; [unrolled: 1-line block ×3, first 2 shown]
	v_cndmask_b32_e32 v17, v25, v17, vcc_lo
	v_cndmask_b32_e32 v19, v20, v21, vcc_lo
	;; [unrolled: 1-line block ×3, first 2 shown]
	v_bfe_u32 v20, v17, 29, 1
	v_alignbit_b32 v21, v17, v19, 30
	v_alignbit_b32 v19, v19, v18, 30
	;; [unrolled: 1-line block ×3, first 2 shown]
	v_sub_nc_u32_e32 v22, 0, v20
	v_xor_b32_e32 v21, v21, v22
	v_xor_b32_e32 v18, v19, v22
	;; [unrolled: 1-line block ×3, first 2 shown]
	v_lshrrev_b32_e32 v22, 29, v17
	v_lshrrev_b32_e32 v17, 30, v17
	v_ffbh_u32_e32 v23, v21
	v_add_nc_u32_e32 v17, v20, v17
	v_min_u32_e32 v23, 32, v23
	v_sub_nc_u32_e32 v19, 31, v23
	v_lshlrev_b32_e32 v24, 23, v23
	v_alignbit_b32 v21, v21, v18, v19
	v_alignbit_b32 v16, v18, v16, v19
	v_lshlrev_b32_e32 v18, 31, v22
	v_alignbit_b32 v19, v21, v16, 9
	v_or_b32_e32 v22, 0.5, v18
	v_lshrrev_b32_e32 v21, 9, v21
	v_or_b32_e32 v18, 0x33000000, v18
	v_ffbh_u32_e32 v25, v19
	v_sub_nc_u32_e32 v22, v22, v24
	v_min_u32_e32 v24, 32, v25
	v_or_b32_e32 v21, v21, v22
	v_not_b32_e32 v22, v24
	v_mul_f32_e32 v25, 0x3fc90fda, v21
	v_add_lshl_u32 v23, v24, v23, 23
	v_alignbit_b32 v16, v19, v16, v22
	v_fma_f32 v19, 0x3fc90fda, v21, -v25
	v_sub_nc_u32_e32 v18, v18, v23
	v_lshrrev_b32_e32 v16, 9, v16
	v_fmamk_f32 v19, v21, 0x33a22168, v19
	v_or_b32_e32 v16, v18, v16
	v_fmac_f32_e32 v19, 0x3fc90fda, v16
	v_add_f32_e32 v16, v25, v19
.LBB68_44:
	s_andn2_saveexec_b32 s5, s8
; %bb.45:
	v_mul_f32_e64 v16, 0x3f22f983, |v13|
	v_rndne_f32_e32 v17, v16
	v_fma_f32 v16, 0xbfc90fda, v17, |v13|
	v_fmamk_f32 v16, v17, 0xb3a22168, v16
	v_fmamk_f32 v16, v17, 0xa7c234c4, v16
	v_cvt_i32_f32_e32 v17, v17
; %bb.46:
	s_or_b32 exec_lo, exec_lo, s5
	v_mul_f32_e32 v18, v16, v16
	s_mov_b32 s5, 0xb94c1982
	s_mov_b32 s6, 0x37d75334
	v_and_b32_e32 v21, 1, v17
	v_lshlrev_b32_e32 v17, 30, v17
	v_fmaak_f32 v19, s5, v18, 0x3c0881c4
	v_fmaak_f32 v20, s6, v18, 0xbab64f3b
	v_xor_b32_e32 v15, v15, v13
	v_cmp_eq_u32_e32 vcc_lo, 0, v21
	v_and_b32_e32 v17, 0x80000000, v17
	v_fmaak_f32 v19, v18, v19, 0xbe2aaa9d
	v_fmaak_f32 v20, v18, v20, 0x3d2aabf7
	v_sub_f32_e32 v14, 1.0, v14
	v_mul_f32_e32 v19, v18, v19
	v_fmaak_f32 v20, v18, v20, 0xbf000004
	v_fmac_f32_e32 v16, v16, v19
	v_fma_f32 v18, v18, v20, 1.0
	v_cndmask_b32_e32 v16, v18, v16, vcc_lo
	v_cmp_class_f32_e64 vcc_lo, v13, 0x1f8
	v_xor3_b32 v15, v15, v17, v16
	v_cndmask_b32_e32 v13, 0x7fc00000, v15, vcc_lo
	v_mul_f32_e32 v13, v13, v13
	v_div_scale_f32 v15, null, v13, v13, 0xc11de9e7
	v_div_scale_f32 v18, vcc_lo, 0xc11de9e7, v13, 0xc11de9e7
	v_rcp_f32_e32 v16, v15
	v_fma_f32 v17, -v15, v16, 1.0
	v_fmac_f32_e32 v16, v17, v16
	v_mul_f32_e32 v17, v18, v16
	v_fma_f32 v19, -v15, v17, v18
	v_fmac_f32_e32 v17, v19, v16
	v_fma_f32 v15, -v15, v17, v18
	v_div_fmas_f32 v15, v15, v16, v17
	v_div_fixup_f32 v13, v15, v13, 0xc11de9e7
	v_add_f32_e32 v15, 0, v13
	v_mov_b32_e32 v13, -1.0
.LBB68_47:
	s_or_b32 exec_lo, exec_lo, s7
	v_add_f32_e32 v16, 1.0, v14
	v_mul_f32_e32 v14, v14, v14
	v_mul_f32_e32 v17, v16, v16
	v_add_f32_e32 v16, 1.0, v16
	v_div_scale_f32 v18, null, v14, v14, 1.0
	v_div_scale_f32 v20, vcc_lo, 1.0, v14, 1.0
	v_mul_f32_e32 v21, v16, v16
	v_div_scale_f32 v19, null, v17, v17, 1.0
	v_rcp_f32_e32 v22, v18
	v_div_scale_f32 v25, s5, 1.0, v17, 1.0
	v_div_scale_f32 v24, null, v21, v21, 1.0
	v_rcp_f32_e32 v23, v19
	v_add_f32_e32 v16, 1.0, v16
	v_div_scale_f32 v26, s6, 1.0, v21, 1.0
	v_rcp_f32_e32 v27, v24
	v_fma_f32 v29, -v18, v22, 1.0
	v_mul_f32_e32 v28, v16, v16
	v_add_f32_e32 v16, 1.0, v16
	v_fma_f32 v30, -v19, v23, 1.0
	v_fmac_f32_e32 v22, v29, v22
	v_mul_f32_e32 v32, v16, v16
	v_add_f32_e32 v16, 1.0, v16
	v_fma_f32 v29, -v24, v27, 1.0
	v_fmac_f32_e32 v23, v30, v23
	v_mul_f32_e32 v33, v20, v22
	v_div_scale_f32 v31, null, v28, v28, 1.0
	v_fmac_f32_e32 v27, v29, v27
	v_mul_f32_e32 v34, v25, v23
	v_fma_f32 v35, -v18, v33, v20
	v_add_f32_e32 v38, 1.0, v16
	v_rcp_f32_e32 v30, v31
	v_mul_f32_e32 v37, v26, v27
	v_fma_f32 v36, -v19, v34, v25
	v_fmac_f32_e32 v33, v35, v22
	v_mul_f32_e32 v16, v16, v16
	v_div_scale_f32 v29, null, v32, v32, 1.0
	v_fma_f32 v35, -v24, v37, v26
	v_fmac_f32_e32 v34, v36, v23
	v_fma_f32 v18, -v18, v33, v20
	v_mul_f32_e32 v20, v38, v38
	v_rcp_f32_e32 v36, v29
	v_fmac_f32_e32 v37, v35, v27
	v_fma_f32 v19, -v19, v34, v25
	v_div_fmas_f32 v18, v18, v22, v33
	s_mov_b32 vcc_lo, s5
	v_fma_f32 v39, -v31, v30, 1.0
	v_fma_f32 v22, -v24, v37, v26
	v_div_fmas_f32 v19, v19, v23, v34
	s_mov_b32 vcc_lo, s6
	v_div_scale_f32 v23, null, v16, v16, 1.0
	v_div_fmas_f32 v22, v22, v27, v37
	v_div_scale_f32 v24, null, v20, v20, 1.0
	v_add_f32_e32 v27, v38, v38
	v_rcp_f32_e32 v26, v23
	v_fmac_f32_e32 v30, v39, v30
	v_rcp_f32_e32 v34, v24
	v_div_scale_f32 v25, vcc_lo, 1.0, v28, 1.0
	v_div_scale_f32 v37, null, v27, v27, 1.0
	v_fma_f32 v33, -v29, v36, 1.0
	v_mul_f32_e32 v35, v25, v30
	v_div_fixup_f32 v14, v18, v14, 1.0
	v_rcp_f32_e32 v48, v37
	v_fma_f32 v39, -v23, v26, 1.0
	v_fmac_f32_e32 v36, v33, v36
	v_div_scale_f32 v33, s5, 1.0, v32, 1.0
	v_fma_f32 v50, -v24, v34, 1.0
	v_fma_f32 v49, -v31, v35, v25
	v_fmac_f32_e32 v26, v39, v26
	v_div_scale_f32 v39, s6, 1.0, v16, 1.0
	v_mul_f32_e32 v51, v33, v36
	v_fmac_f32_e32 v34, v50, v34
	v_div_scale_f32 v50, s7, 1.0, v20, 1.0
	v_fma_f32 v52, -v37, v48, 1.0
	v_fmac_f32_e32 v35, v49, v30
	v_mul_f32_e32 v53, v39, v26
	v_fma_f32 v49, -v29, v51, v33
	v_mul_f32_e32 v54, v50, v34
	v_fmac_f32_e32 v48, v52, v48
	v_div_scale_f32 v52, s8, 1.0, v27, 1.0
	v_fma_f32 v25, -v31, v35, v25
	v_fma_f32 v31, -v23, v53, v39
	v_fmac_f32_e32 v51, v49, v36
	v_fma_f32 v49, -v24, v54, v50
	v_mul_f32_e32 v55, v52, v48
	v_div_fmas_f32 v25, v25, v30, v35
	v_fmac_f32_e32 v53, v31, v26
	v_fma_f32 v29, -v29, v51, v33
	v_fmac_f32_e32 v54, v49, v34
	v_fma_f32 v30, -v37, v55, v52
	s_mov_b32 vcc_lo, s5
	v_fma_f32 v23, -v23, v53, v39
	v_div_fmas_f32 v29, v29, v36, v51
	v_fma_f32 v24, -v24, v54, v50
	v_fmac_f32_e32 v55, v30, v48
	s_mov_b32 vcc_lo, s6
	s_mov_b32 s5, 0xbcc30c31
	v_div_fmas_f32 v23, v23, v26, v53
	s_mov_b32 vcc_lo, s7
	v_fma_f32 v26, -v37, v55, v52
	v_div_fmas_f32 v24, v24, v34, v54
	s_mov_b32 vcc_lo, s8
	v_add_f32_e32 v14, v15, v14
	v_div_fixup_f32 v15, v19, v17, 1.0
	v_div_fmas_f32 v26, v26, v48, v55
	v_div_fixup_f32 v20, v24, v20, 1.0
	v_add_f32_e32 v14, v14, v15
	v_div_fixup_f32 v24, v26, v27, 1.0
	v_fmaak_f32 v26, s5, v20, 0x3d088889
	v_div_fixup_f32 v15, v22, v21, 1.0
	v_add_f32_e32 v24, 1.0, v24
	v_fma_f32 v26, -v20, v26, 0x3e2aaaab
	v_add_f32_e32 v14, v14, v15
	v_div_fixup_f32 v15, v25, v28, 1.0
	v_fmac_f32_e32 v24, v20, v26
	v_add_f32_e32 v14, v14, v15
	v_div_fixup_f32 v15, v29, v32, 1.0
	v_div_scale_f32 v20, null, v38, v38, v24
	v_div_scale_f32 v17, vcc_lo, v24, v38, v24
	v_add_f32_e32 v14, v14, v15
	v_rcp_f32_e32 v26, v20
	v_div_fixup_f32 v15, v23, v16, 1.0
	v_add_f32_e32 v14, v14, v15
	v_fma_f32 v18, -v20, v26, 1.0
	v_fmac_f32_e32 v26, v18, v26
	v_mul_f32_e32 v18, v17, v26
	v_fma_f32 v19, -v20, v18, v17
	v_fmac_f32_e32 v18, v19, v26
	v_fma_f32 v17, -v20, v18, v17
	v_div_fmas_f32 v16, v17, v26, v18
	v_div_fixup_f32 v15, v16, v38, v24
	v_add_f32_e32 v14, v14, v15
	v_mul_f32_e32 v13, v13, v14
	v_bfe_u32 v14, v13, 16, 1
	v_cmp_o_f32_e32 vcc_lo, v13, v13
	v_add3_u32 v13, v13, v14, 0x7fff
	v_mov_b32_e32 v14, 0x7fc0
	v_cndmask_b32_sdwa v13, v14, v13, vcc_lo dst_sel:DWORD dst_unused:UNUSED_PAD src0_sel:DWORD src1_sel:WORD_1
.LBB68_48:
	s_or_b32 exec_lo, exec_lo, s10
	v_or_b32_e32 v14, 0x400, v7
	v_cmp_lt_i32_e32 vcc_lo, v14, v4
                                        ; implicit-def: $vgpr14
	s_and_saveexec_b32 s10, vcc_lo
	s_cbranch_execz .LBB68_56
; %bb.49:
	v_mov_b32_e32 v15, 0
	v_mov_b32_e32 v14, 1.0
	s_mov_b32 s7, exec_lo
	v_cmpx_gt_f32_e32 0.5, v12
	s_cbranch_execz .LBB68_55
; %bb.50:
	v_mul_f32_e32 v14, 0x40490fdb, v12
                                        ; implicit-def: $vgpr17
                                        ; implicit-def: $vgpr16
	s_mov_b32 s6, exec_lo
	v_and_b32_e32 v15, 0x7fffffff, v14
	v_cmpx_ngt_f32_e64 0x48000000, |v14|
	s_xor_b32 s8, exec_lo, s6
	s_cbranch_execz .LBB68_52
; %bb.51:
	s_mov_b32 s5, 0x7fffff
	v_mov_b32_e32 v18, 0
	v_and_or_b32 v25, v15, s5, 0x800000
	v_lshrrev_b32_e32 v23, 23, v15
	v_mad_u64_u32 v[16:17], null, 0xfe5163ab, v25, 0
	v_add_nc_u32_e32 v24, 0xffffff88, v23
	v_cmp_lt_u32_e32 vcc_lo, 63, v24
	v_mad_u64_u32 v[19:20], null, 0x3c439041, v25, v[17:18]
	v_cndmask_b32_e64 v26, 0, 0xffffffc0, vcc_lo
	v_mov_b32_e32 v17, v20
	v_add_nc_u32_e32 v26, v26, v24
	v_mad_u64_u32 v[20:21], null, 0xdb629599, v25, v[17:18]
	v_cmp_lt_u32_e64 s5, 31, v26
	v_cndmask_b32_e64 v27, 0, 0xffffffe0, s5
	v_mov_b32_e32 v17, v21
	v_cndmask_b32_e32 v16, v20, v16, vcc_lo
	v_mad_u64_u32 v[21:22], null, 0xf534ddc0, v25, v[17:18]
	v_mov_b32_e32 v17, v22
	v_cndmask_b32_e32 v19, v21, v19, vcc_lo
	v_mad_u64_u32 v[22:23], null, 0xfc2757d1, v25, v[17:18]
	v_cndmask_b32_e64 v16, v19, v16, s5
	v_mov_b32_e32 v17, v23
	v_mad_u64_u32 v[23:24], null, 0x4e441529, v25, v[17:18]
	v_mov_b32_e32 v17, v24
	v_add_nc_u32_e32 v24, v27, v26
	v_cndmask_b32_e32 v26, v23, v21, vcc_lo
	v_mad_u64_u32 v[17:18], null, 0xa2f9836e, v25, v[17:18]
	v_cmp_lt_u32_e64 s6, 31, v24
	v_cndmask_b32_e64 v25, 0, 0xffffffe0, s6
	v_cndmask_b32_e32 v17, v17, v22, vcc_lo
	v_cndmask_b32_e32 v18, v18, v23, vcc_lo
	;; [unrolled: 1-line block ×3, first 2 shown]
	v_add_nc_u32_e32 v23, v25, v24
	v_cndmask_b32_e64 v21, v17, v26, s5
	v_cndmask_b32_e64 v17, v18, v17, s5
	;; [unrolled: 1-line block ×4, first 2 shown]
	v_sub_nc_u32_e32 v24, 32, v23
	v_cmp_eq_u32_e32 vcc_lo, 0, v23
	v_cndmask_b32_e64 v17, v17, v21, s6
	v_cndmask_b32_e64 v21, v21, v18, s6
	;; [unrolled: 1-line block ×4, first 2 shown]
	v_alignbit_b32 v25, v17, v21, v24
	v_alignbit_b32 v20, v21, v18, v24
	;; [unrolled: 1-line block ×3, first 2 shown]
	v_cndmask_b32_e32 v17, v25, v17, vcc_lo
	v_cndmask_b32_e32 v19, v20, v21, vcc_lo
	;; [unrolled: 1-line block ×3, first 2 shown]
	v_bfe_u32 v20, v17, 29, 1
	v_alignbit_b32 v21, v17, v19, 30
	v_alignbit_b32 v19, v19, v18, 30
	;; [unrolled: 1-line block ×3, first 2 shown]
	v_sub_nc_u32_e32 v22, 0, v20
	v_xor_b32_e32 v21, v21, v22
	v_xor_b32_e32 v18, v19, v22
	;; [unrolled: 1-line block ×3, first 2 shown]
	v_lshrrev_b32_e32 v22, 29, v17
	v_lshrrev_b32_e32 v17, 30, v17
	v_ffbh_u32_e32 v23, v21
	v_add_nc_u32_e32 v17, v20, v17
	v_min_u32_e32 v23, 32, v23
	v_sub_nc_u32_e32 v19, 31, v23
	v_lshlrev_b32_e32 v24, 23, v23
	v_alignbit_b32 v21, v21, v18, v19
	v_alignbit_b32 v16, v18, v16, v19
	v_lshlrev_b32_e32 v18, 31, v22
	v_alignbit_b32 v19, v21, v16, 9
	v_or_b32_e32 v22, 0.5, v18
	v_lshrrev_b32_e32 v21, 9, v21
	v_or_b32_e32 v18, 0x33000000, v18
	v_ffbh_u32_e32 v25, v19
	v_sub_nc_u32_e32 v22, v22, v24
	v_min_u32_e32 v24, 32, v25
	v_or_b32_e32 v21, v21, v22
	v_not_b32_e32 v22, v24
	v_mul_f32_e32 v25, 0x3fc90fda, v21
	v_add_lshl_u32 v23, v24, v23, 23
	v_alignbit_b32 v16, v19, v16, v22
	v_fma_f32 v19, 0x3fc90fda, v21, -v25
	v_sub_nc_u32_e32 v18, v18, v23
	v_lshrrev_b32_e32 v16, 9, v16
	v_fmamk_f32 v19, v21, 0x33a22168, v19
	v_or_b32_e32 v16, v18, v16
	v_fmac_f32_e32 v19, 0x3fc90fda, v16
	v_add_f32_e32 v16, v25, v19
.LBB68_52:
	s_andn2_saveexec_b32 s5, s8
; %bb.53:
	v_mul_f32_e64 v16, 0x3f22f983, |v14|
	v_rndne_f32_e32 v17, v16
	v_fma_f32 v16, 0xbfc90fda, v17, |v14|
	v_fmamk_f32 v16, v17, 0xb3a22168, v16
	v_fmamk_f32 v16, v17, 0xa7c234c4, v16
	v_cvt_i32_f32_e32 v17, v17
; %bb.54:
	s_or_b32 exec_lo, exec_lo, s5
	v_mul_f32_e32 v18, v16, v16
	s_mov_b32 s5, 0xb94c1982
	s_mov_b32 s6, 0x37d75334
	v_and_b32_e32 v21, 1, v17
	v_lshlrev_b32_e32 v17, 30, v17
	v_fmaak_f32 v19, s5, v18, 0x3c0881c4
	v_fmaak_f32 v20, s6, v18, 0xbab64f3b
	v_xor_b32_e32 v15, v15, v14
	v_cmp_eq_u32_e32 vcc_lo, 0, v21
	v_and_b32_e32 v17, 0x80000000, v17
	v_fmaak_f32 v19, v18, v19, 0xbe2aaa9d
	v_fmaak_f32 v20, v18, v20, 0x3d2aabf7
	v_sub_f32_e32 v12, 1.0, v12
	v_mul_f32_e32 v19, v18, v19
	v_fmaak_f32 v20, v18, v20, 0xbf000004
	v_fmac_f32_e32 v16, v16, v19
	v_fma_f32 v18, v18, v20, 1.0
	v_cndmask_b32_e32 v16, v18, v16, vcc_lo
	v_cmp_class_f32_e64 vcc_lo, v14, 0x1f8
	v_xor3_b32 v15, v15, v17, v16
	v_cndmask_b32_e32 v14, 0x7fc00000, v15, vcc_lo
	v_mul_f32_e32 v14, v14, v14
	v_div_scale_f32 v15, null, v14, v14, 0xc11de9e7
	v_div_scale_f32 v18, vcc_lo, 0xc11de9e7, v14, 0xc11de9e7
	v_rcp_f32_e32 v16, v15
	v_fma_f32 v17, -v15, v16, 1.0
	v_fmac_f32_e32 v16, v17, v16
	v_mul_f32_e32 v17, v18, v16
	v_fma_f32 v19, -v15, v17, v18
	v_fmac_f32_e32 v17, v19, v16
	v_fma_f32 v15, -v15, v17, v18
	v_div_fmas_f32 v15, v15, v16, v17
	v_div_fixup_f32 v14, v15, v14, 0xc11de9e7
	v_add_f32_e32 v15, 0, v14
	v_mov_b32_e32 v14, -1.0
.LBB68_55:
	s_or_b32 exec_lo, exec_lo, s7
	v_add_f32_e32 v16, 1.0, v12
	v_mul_f32_e32 v12, v12, v12
	v_mul_f32_e32 v17, v16, v16
	v_add_f32_e32 v16, 1.0, v16
	v_div_scale_f32 v18, null, v12, v12, 1.0
	v_div_scale_f32 v20, vcc_lo, 1.0, v12, 1.0
	v_mul_f32_e32 v21, v16, v16
	v_div_scale_f32 v19, null, v17, v17, 1.0
	v_rcp_f32_e32 v22, v18
	v_div_scale_f32 v25, s5, 1.0, v17, 1.0
	v_div_scale_f32 v24, null, v21, v21, 1.0
	v_rcp_f32_e32 v23, v19
	v_add_f32_e32 v16, 1.0, v16
	v_div_scale_f32 v26, s6, 1.0, v21, 1.0
	v_rcp_f32_e32 v27, v24
	v_fma_f32 v29, -v18, v22, 1.0
	v_mul_f32_e32 v28, v16, v16
	v_add_f32_e32 v16, 1.0, v16
	v_fma_f32 v30, -v19, v23, 1.0
	v_fmac_f32_e32 v22, v29, v22
	v_mul_f32_e32 v32, v16, v16
	v_add_f32_e32 v16, 1.0, v16
	v_fma_f32 v29, -v24, v27, 1.0
	v_fmac_f32_e32 v23, v30, v23
	v_mul_f32_e32 v33, v20, v22
	v_div_scale_f32 v31, null, v28, v28, 1.0
	v_fmac_f32_e32 v27, v29, v27
	v_mul_f32_e32 v34, v25, v23
	v_fma_f32 v35, -v18, v33, v20
	v_add_f32_e32 v38, 1.0, v16
	v_rcp_f32_e32 v30, v31
	v_mul_f32_e32 v37, v26, v27
	v_fma_f32 v36, -v19, v34, v25
	v_fmac_f32_e32 v33, v35, v22
	v_mul_f32_e32 v16, v16, v16
	v_div_scale_f32 v29, null, v32, v32, 1.0
	v_fma_f32 v35, -v24, v37, v26
	v_fmac_f32_e32 v34, v36, v23
	v_fma_f32 v18, -v18, v33, v20
	v_mul_f32_e32 v20, v38, v38
	v_rcp_f32_e32 v36, v29
	v_fmac_f32_e32 v37, v35, v27
	v_fma_f32 v19, -v19, v34, v25
	v_div_fmas_f32 v18, v18, v22, v33
	s_mov_b32 vcc_lo, s5
	v_fma_f32 v39, -v31, v30, 1.0
	v_fma_f32 v22, -v24, v37, v26
	v_div_fmas_f32 v19, v19, v23, v34
	s_mov_b32 vcc_lo, s6
	v_div_scale_f32 v23, null, v16, v16, 1.0
	v_div_fmas_f32 v22, v22, v27, v37
	v_div_scale_f32 v24, null, v20, v20, 1.0
	v_add_f32_e32 v27, v38, v38
	v_rcp_f32_e32 v26, v23
	v_fmac_f32_e32 v30, v39, v30
	v_rcp_f32_e32 v34, v24
	v_div_scale_f32 v25, vcc_lo, 1.0, v28, 1.0
	v_div_scale_f32 v37, null, v27, v27, 1.0
	v_fma_f32 v33, -v29, v36, 1.0
	v_mul_f32_e32 v35, v25, v30
	v_div_fixup_f32 v12, v18, v12, 1.0
	v_rcp_f32_e32 v48, v37
	v_fma_f32 v39, -v23, v26, 1.0
	v_fmac_f32_e32 v36, v33, v36
	v_div_scale_f32 v33, s5, 1.0, v32, 1.0
	v_fma_f32 v50, -v24, v34, 1.0
	v_fma_f32 v49, -v31, v35, v25
	v_fmac_f32_e32 v26, v39, v26
	v_div_scale_f32 v39, s6, 1.0, v16, 1.0
	v_mul_f32_e32 v51, v33, v36
	v_fmac_f32_e32 v34, v50, v34
	v_div_scale_f32 v50, s7, 1.0, v20, 1.0
	v_fma_f32 v52, -v37, v48, 1.0
	v_fmac_f32_e32 v35, v49, v30
	v_mul_f32_e32 v53, v39, v26
	v_fma_f32 v49, -v29, v51, v33
	v_mul_f32_e32 v54, v50, v34
	v_fmac_f32_e32 v48, v52, v48
	v_div_scale_f32 v52, s8, 1.0, v27, 1.0
	v_fma_f32 v25, -v31, v35, v25
	v_fma_f32 v31, -v23, v53, v39
	v_fmac_f32_e32 v51, v49, v36
	v_fma_f32 v49, -v24, v54, v50
	v_mul_f32_e32 v55, v52, v48
	v_div_fmas_f32 v25, v25, v30, v35
	v_fmac_f32_e32 v53, v31, v26
	v_fma_f32 v29, -v29, v51, v33
	v_fmac_f32_e32 v54, v49, v34
	v_fma_f32 v30, -v37, v55, v52
	s_mov_b32 vcc_lo, s5
	v_fma_f32 v23, -v23, v53, v39
	v_div_fmas_f32 v29, v29, v36, v51
	v_fma_f32 v24, -v24, v54, v50
	v_fmac_f32_e32 v55, v30, v48
	s_mov_b32 vcc_lo, s6
	s_mov_b32 s5, 0xbcc30c31
	v_div_fmas_f32 v23, v23, v26, v53
	s_mov_b32 vcc_lo, s7
	v_fma_f32 v26, -v37, v55, v52
	v_div_fmas_f32 v24, v24, v34, v54
	s_mov_b32 vcc_lo, s8
	v_add_f32_e32 v12, v15, v12
	v_div_fixup_f32 v15, v19, v17, 1.0
	v_div_fmas_f32 v26, v26, v48, v55
	v_div_fixup_f32 v20, v24, v20, 1.0
	v_add_f32_e32 v12, v12, v15
	v_div_fixup_f32 v24, v26, v27, 1.0
	v_fmaak_f32 v26, s5, v20, 0x3d088889
	v_div_fixup_f32 v15, v22, v21, 1.0
	v_add_f32_e32 v24, 1.0, v24
	v_fma_f32 v26, -v20, v26, 0x3e2aaaab
	v_add_f32_e32 v12, v12, v15
	v_div_fixup_f32 v15, v25, v28, 1.0
	v_fmac_f32_e32 v24, v20, v26
	v_add_f32_e32 v12, v12, v15
	v_div_fixup_f32 v15, v29, v32, 1.0
	v_div_scale_f32 v20, null, v38, v38, v24
	v_div_scale_f32 v17, vcc_lo, v24, v38, v24
	v_add_f32_e32 v12, v12, v15
	v_rcp_f32_e32 v26, v20
	v_div_fixup_f32 v15, v23, v16, 1.0
	v_add_f32_e32 v12, v12, v15
	v_fma_f32 v18, -v20, v26, 1.0
	v_fmac_f32_e32 v26, v18, v26
	v_mul_f32_e32 v18, v17, v26
	v_fma_f32 v19, -v20, v18, v17
	v_fmac_f32_e32 v18, v19, v26
	v_fma_f32 v17, -v20, v18, v17
	v_div_fmas_f32 v16, v17, v26, v18
	v_div_fixup_f32 v15, v16, v38, v24
	v_add_f32_e32 v12, v12, v15
	v_mul_f32_e32 v12, v14, v12
	v_bfe_u32 v14, v12, 16, 1
	v_cmp_o_f32_e32 vcc_lo, v12, v12
	v_add3_u32 v12, v12, v14, 0x7fff
	v_mov_b32_e32 v14, 0x7fc0
	v_cndmask_b32_sdwa v14, v14, v12, vcc_lo dst_sel:DWORD dst_unused:UNUSED_PAD src0_sel:DWORD src1_sel:WORD_1
.LBB68_56:
	s_or_b32 exec_lo, exec_lo, s10
	v_add_nc_u32_e32 v12, 0x500, v7
	v_cmp_lt_i32_e32 vcc_lo, v12, v4
                                        ; implicit-def: $vgpr12
	s_and_saveexec_b32 s10, vcc_lo
	s_cbranch_execz .LBB68_64
; %bb.57:
	v_mov_b32_e32 v15, 0
	v_mov_b32_e32 v12, 1.0
	s_mov_b32 s7, exec_lo
	v_cmpx_gt_f32_e32 0.5, v10
	s_cbranch_execz .LBB68_63
; %bb.58:
	v_mul_f32_e32 v12, 0x40490fdb, v10
                                        ; implicit-def: $vgpr17
                                        ; implicit-def: $vgpr16
	s_mov_b32 s6, exec_lo
	v_and_b32_e32 v15, 0x7fffffff, v12
	v_cmpx_ngt_f32_e64 0x48000000, |v12|
	s_xor_b32 s8, exec_lo, s6
	s_cbranch_execz .LBB68_60
; %bb.59:
	s_mov_b32 s5, 0x7fffff
	v_mov_b32_e32 v18, 0
	v_and_or_b32 v25, v15, s5, 0x800000
	v_lshrrev_b32_e32 v23, 23, v15
	v_mad_u64_u32 v[16:17], null, 0xfe5163ab, v25, 0
	v_add_nc_u32_e32 v24, 0xffffff88, v23
	v_cmp_lt_u32_e32 vcc_lo, 63, v24
	v_mad_u64_u32 v[19:20], null, 0x3c439041, v25, v[17:18]
	v_cndmask_b32_e64 v26, 0, 0xffffffc0, vcc_lo
	v_mov_b32_e32 v17, v20
	v_add_nc_u32_e32 v26, v26, v24
	v_mad_u64_u32 v[20:21], null, 0xdb629599, v25, v[17:18]
	v_cmp_lt_u32_e64 s5, 31, v26
	v_cndmask_b32_e64 v27, 0, 0xffffffe0, s5
	v_mov_b32_e32 v17, v21
	v_cndmask_b32_e32 v16, v20, v16, vcc_lo
	v_mad_u64_u32 v[21:22], null, 0xf534ddc0, v25, v[17:18]
	v_mov_b32_e32 v17, v22
	v_cndmask_b32_e32 v19, v21, v19, vcc_lo
	v_mad_u64_u32 v[22:23], null, 0xfc2757d1, v25, v[17:18]
	v_cndmask_b32_e64 v16, v19, v16, s5
	v_mov_b32_e32 v17, v23
	v_mad_u64_u32 v[23:24], null, 0x4e441529, v25, v[17:18]
	v_mov_b32_e32 v17, v24
	v_add_nc_u32_e32 v24, v27, v26
	v_cndmask_b32_e32 v26, v23, v21, vcc_lo
	v_mad_u64_u32 v[17:18], null, 0xa2f9836e, v25, v[17:18]
	v_cmp_lt_u32_e64 s6, 31, v24
	v_cndmask_b32_e64 v25, 0, 0xffffffe0, s6
	v_cndmask_b32_e32 v17, v17, v22, vcc_lo
	v_cndmask_b32_e32 v18, v18, v23, vcc_lo
	;; [unrolled: 1-line block ×3, first 2 shown]
	v_add_nc_u32_e32 v23, v25, v24
	v_cndmask_b32_e64 v21, v17, v26, s5
	v_cndmask_b32_e64 v17, v18, v17, s5
	;; [unrolled: 1-line block ×4, first 2 shown]
	v_sub_nc_u32_e32 v24, 32, v23
	v_cmp_eq_u32_e32 vcc_lo, 0, v23
	v_cndmask_b32_e64 v17, v17, v21, s6
	v_cndmask_b32_e64 v21, v21, v18, s6
	;; [unrolled: 1-line block ×4, first 2 shown]
	v_alignbit_b32 v25, v17, v21, v24
	v_alignbit_b32 v20, v21, v18, v24
	;; [unrolled: 1-line block ×3, first 2 shown]
	v_cndmask_b32_e32 v17, v25, v17, vcc_lo
	v_cndmask_b32_e32 v19, v20, v21, vcc_lo
	v_cndmask_b32_e32 v18, v23, v18, vcc_lo
	v_bfe_u32 v20, v17, 29, 1
	v_alignbit_b32 v21, v17, v19, 30
	v_alignbit_b32 v19, v19, v18, 30
	;; [unrolled: 1-line block ×3, first 2 shown]
	v_sub_nc_u32_e32 v22, 0, v20
	v_xor_b32_e32 v21, v21, v22
	v_xor_b32_e32 v18, v19, v22
	;; [unrolled: 1-line block ×3, first 2 shown]
	v_lshrrev_b32_e32 v22, 29, v17
	v_lshrrev_b32_e32 v17, 30, v17
	v_ffbh_u32_e32 v23, v21
	v_add_nc_u32_e32 v17, v20, v17
	v_min_u32_e32 v23, 32, v23
	v_sub_nc_u32_e32 v19, 31, v23
	v_lshlrev_b32_e32 v24, 23, v23
	v_alignbit_b32 v21, v21, v18, v19
	v_alignbit_b32 v16, v18, v16, v19
	v_lshlrev_b32_e32 v18, 31, v22
	v_alignbit_b32 v19, v21, v16, 9
	v_or_b32_e32 v22, 0.5, v18
	v_lshrrev_b32_e32 v21, 9, v21
	v_or_b32_e32 v18, 0x33000000, v18
	v_ffbh_u32_e32 v25, v19
	v_sub_nc_u32_e32 v22, v22, v24
	v_min_u32_e32 v24, 32, v25
	v_or_b32_e32 v21, v21, v22
	v_not_b32_e32 v22, v24
	v_mul_f32_e32 v25, 0x3fc90fda, v21
	v_add_lshl_u32 v23, v24, v23, 23
	v_alignbit_b32 v16, v19, v16, v22
	v_fma_f32 v19, 0x3fc90fda, v21, -v25
	v_sub_nc_u32_e32 v18, v18, v23
	v_lshrrev_b32_e32 v16, 9, v16
	v_fmamk_f32 v19, v21, 0x33a22168, v19
	v_or_b32_e32 v16, v18, v16
	v_fmac_f32_e32 v19, 0x3fc90fda, v16
	v_add_f32_e32 v16, v25, v19
.LBB68_60:
	s_andn2_saveexec_b32 s5, s8
; %bb.61:
	v_mul_f32_e64 v16, 0x3f22f983, |v12|
	v_rndne_f32_e32 v17, v16
	v_fma_f32 v16, 0xbfc90fda, v17, |v12|
	v_fmamk_f32 v16, v17, 0xb3a22168, v16
	v_fmamk_f32 v16, v17, 0xa7c234c4, v16
	v_cvt_i32_f32_e32 v17, v17
; %bb.62:
	s_or_b32 exec_lo, exec_lo, s5
	v_mul_f32_e32 v18, v16, v16
	s_mov_b32 s5, 0xb94c1982
	s_mov_b32 s6, 0x37d75334
	v_and_b32_e32 v21, 1, v17
	v_lshlrev_b32_e32 v17, 30, v17
	v_fmaak_f32 v19, s5, v18, 0x3c0881c4
	v_fmaak_f32 v20, s6, v18, 0xbab64f3b
	v_xor_b32_e32 v15, v15, v12
	v_cmp_eq_u32_e32 vcc_lo, 0, v21
	v_and_b32_e32 v17, 0x80000000, v17
	v_fmaak_f32 v19, v18, v19, 0xbe2aaa9d
	v_fmaak_f32 v20, v18, v20, 0x3d2aabf7
	v_sub_f32_e32 v10, 1.0, v10
	v_mul_f32_e32 v19, v18, v19
	v_fmaak_f32 v20, v18, v20, 0xbf000004
	v_fmac_f32_e32 v16, v16, v19
	v_fma_f32 v18, v18, v20, 1.0
	v_cndmask_b32_e32 v16, v18, v16, vcc_lo
	v_cmp_class_f32_e64 vcc_lo, v12, 0x1f8
	v_xor3_b32 v15, v15, v17, v16
	v_cndmask_b32_e32 v12, 0x7fc00000, v15, vcc_lo
	v_mul_f32_e32 v12, v12, v12
	v_div_scale_f32 v15, null, v12, v12, 0xc11de9e7
	v_div_scale_f32 v18, vcc_lo, 0xc11de9e7, v12, 0xc11de9e7
	v_rcp_f32_e32 v16, v15
	v_fma_f32 v17, -v15, v16, 1.0
	v_fmac_f32_e32 v16, v17, v16
	v_mul_f32_e32 v17, v18, v16
	v_fma_f32 v19, -v15, v17, v18
	v_fmac_f32_e32 v17, v19, v16
	v_fma_f32 v15, -v15, v17, v18
	v_div_fmas_f32 v15, v15, v16, v17
	v_div_fixup_f32 v12, v15, v12, 0xc11de9e7
	v_add_f32_e32 v15, 0, v12
	v_mov_b32_e32 v12, -1.0
.LBB68_63:
	s_or_b32 exec_lo, exec_lo, s7
	v_add_f32_e32 v16, 1.0, v10
	v_mul_f32_e32 v10, v10, v10
	v_mul_f32_e32 v17, v16, v16
	v_add_f32_e32 v16, 1.0, v16
	v_div_scale_f32 v18, null, v10, v10, 1.0
	v_div_scale_f32 v20, vcc_lo, 1.0, v10, 1.0
	v_mul_f32_e32 v21, v16, v16
	v_div_scale_f32 v19, null, v17, v17, 1.0
	v_rcp_f32_e32 v22, v18
	v_div_scale_f32 v25, s5, 1.0, v17, 1.0
	v_div_scale_f32 v24, null, v21, v21, 1.0
	v_rcp_f32_e32 v23, v19
	v_add_f32_e32 v16, 1.0, v16
	v_div_scale_f32 v26, s6, 1.0, v21, 1.0
	v_rcp_f32_e32 v27, v24
	v_fma_f32 v29, -v18, v22, 1.0
	v_mul_f32_e32 v28, v16, v16
	v_add_f32_e32 v16, 1.0, v16
	v_fma_f32 v30, -v19, v23, 1.0
	v_fmac_f32_e32 v22, v29, v22
	v_mul_f32_e32 v32, v16, v16
	v_add_f32_e32 v16, 1.0, v16
	v_fma_f32 v29, -v24, v27, 1.0
	v_fmac_f32_e32 v23, v30, v23
	v_mul_f32_e32 v33, v20, v22
	v_div_scale_f32 v31, null, v28, v28, 1.0
	v_fmac_f32_e32 v27, v29, v27
	v_mul_f32_e32 v34, v25, v23
	v_fma_f32 v35, -v18, v33, v20
	v_add_f32_e32 v38, 1.0, v16
	v_rcp_f32_e32 v30, v31
	v_mul_f32_e32 v37, v26, v27
	v_fma_f32 v36, -v19, v34, v25
	v_fmac_f32_e32 v33, v35, v22
	v_mul_f32_e32 v16, v16, v16
	v_div_scale_f32 v29, null, v32, v32, 1.0
	v_fma_f32 v35, -v24, v37, v26
	v_fmac_f32_e32 v34, v36, v23
	v_fma_f32 v18, -v18, v33, v20
	v_mul_f32_e32 v20, v38, v38
	v_rcp_f32_e32 v36, v29
	v_fmac_f32_e32 v37, v35, v27
	v_fma_f32 v19, -v19, v34, v25
	v_div_fmas_f32 v18, v18, v22, v33
	s_mov_b32 vcc_lo, s5
	v_fma_f32 v39, -v31, v30, 1.0
	v_fma_f32 v22, -v24, v37, v26
	v_div_fmas_f32 v19, v19, v23, v34
	s_mov_b32 vcc_lo, s6
	v_div_scale_f32 v23, null, v16, v16, 1.0
	v_div_fmas_f32 v22, v22, v27, v37
	v_div_scale_f32 v24, null, v20, v20, 1.0
	v_add_f32_e32 v27, v38, v38
	v_rcp_f32_e32 v26, v23
	v_fmac_f32_e32 v30, v39, v30
	v_rcp_f32_e32 v34, v24
	v_div_scale_f32 v25, vcc_lo, 1.0, v28, 1.0
	v_div_scale_f32 v37, null, v27, v27, 1.0
	v_fma_f32 v33, -v29, v36, 1.0
	v_mul_f32_e32 v35, v25, v30
	v_div_fixup_f32 v10, v18, v10, 1.0
	v_rcp_f32_e32 v48, v37
	v_fma_f32 v39, -v23, v26, 1.0
	v_fmac_f32_e32 v36, v33, v36
	v_div_scale_f32 v33, s5, 1.0, v32, 1.0
	v_fma_f32 v50, -v24, v34, 1.0
	v_fma_f32 v49, -v31, v35, v25
	v_fmac_f32_e32 v26, v39, v26
	v_div_scale_f32 v39, s6, 1.0, v16, 1.0
	v_mul_f32_e32 v51, v33, v36
	v_fmac_f32_e32 v34, v50, v34
	v_div_scale_f32 v50, s7, 1.0, v20, 1.0
	v_fma_f32 v52, -v37, v48, 1.0
	v_fmac_f32_e32 v35, v49, v30
	v_mul_f32_e32 v53, v39, v26
	v_fma_f32 v49, -v29, v51, v33
	v_mul_f32_e32 v54, v50, v34
	v_fmac_f32_e32 v48, v52, v48
	v_div_scale_f32 v52, s8, 1.0, v27, 1.0
	v_fma_f32 v25, -v31, v35, v25
	v_fma_f32 v31, -v23, v53, v39
	v_fmac_f32_e32 v51, v49, v36
	v_fma_f32 v49, -v24, v54, v50
	v_mul_f32_e32 v55, v52, v48
	v_div_fmas_f32 v25, v25, v30, v35
	v_fmac_f32_e32 v53, v31, v26
	v_fma_f32 v29, -v29, v51, v33
	v_fmac_f32_e32 v54, v49, v34
	v_fma_f32 v30, -v37, v55, v52
	s_mov_b32 vcc_lo, s5
	v_fma_f32 v23, -v23, v53, v39
	v_div_fmas_f32 v29, v29, v36, v51
	v_fma_f32 v24, -v24, v54, v50
	v_fmac_f32_e32 v55, v30, v48
	s_mov_b32 vcc_lo, s6
	s_mov_b32 s5, 0xbcc30c31
	v_div_fmas_f32 v23, v23, v26, v53
	s_mov_b32 vcc_lo, s7
	v_fma_f32 v26, -v37, v55, v52
	v_div_fmas_f32 v24, v24, v34, v54
	s_mov_b32 vcc_lo, s8
	v_add_f32_e32 v10, v15, v10
	v_div_fixup_f32 v15, v19, v17, 1.0
	v_div_fmas_f32 v26, v26, v48, v55
	v_div_fixup_f32 v20, v24, v20, 1.0
	v_add_f32_e32 v10, v10, v15
	v_div_fixup_f32 v24, v26, v27, 1.0
	v_fmaak_f32 v26, s5, v20, 0x3d088889
	v_div_fixup_f32 v15, v22, v21, 1.0
	v_add_f32_e32 v24, 1.0, v24
	v_fma_f32 v26, -v20, v26, 0x3e2aaaab
	v_add_f32_e32 v10, v10, v15
	v_div_fixup_f32 v15, v25, v28, 1.0
	v_fmac_f32_e32 v24, v20, v26
	v_add_f32_e32 v10, v10, v15
	v_div_fixup_f32 v15, v29, v32, 1.0
	v_div_scale_f32 v20, null, v38, v38, v24
	v_div_scale_f32 v17, vcc_lo, v24, v38, v24
	v_add_f32_e32 v10, v10, v15
	v_rcp_f32_e32 v26, v20
	v_div_fixup_f32 v15, v23, v16, 1.0
	v_add_f32_e32 v10, v10, v15
	v_fma_f32 v18, -v20, v26, 1.0
	v_fmac_f32_e32 v26, v18, v26
	v_mul_f32_e32 v18, v17, v26
	v_fma_f32 v19, -v20, v18, v17
	v_fmac_f32_e32 v18, v19, v26
	v_fma_f32 v17, -v20, v18, v17
	v_div_fmas_f32 v16, v17, v26, v18
	v_div_fixup_f32 v15, v16, v38, v24
	v_add_f32_e32 v10, v10, v15
	v_mul_f32_e32 v10, v12, v10
	v_bfe_u32 v12, v10, 16, 1
	v_cmp_o_f32_e32 vcc_lo, v10, v10
	v_add3_u32 v10, v10, v12, 0x7fff
	v_mov_b32_e32 v12, 0x7fc0
	v_cndmask_b32_sdwa v12, v12, v10, vcc_lo dst_sel:DWORD dst_unused:UNUSED_PAD src0_sel:DWORD src1_sel:WORD_1
.LBB68_64:
	s_or_b32 exec_lo, exec_lo, s10
	v_add_nc_u32_e32 v10, 0x600, v7
	v_cmp_lt_i32_e32 vcc_lo, v10, v4
                                        ; implicit-def: $vgpr10
	s_and_saveexec_b32 s10, vcc_lo
	s_cbranch_execz .LBB68_72
; %bb.65:
	v_mov_b32_e32 v15, 0
	v_mov_b32_e32 v10, 1.0
	s_mov_b32 s7, exec_lo
	v_cmpx_gt_f32_e32 0.5, v9
	s_cbranch_execz .LBB68_71
; %bb.66:
	v_mul_f32_e32 v10, 0x40490fdb, v9
                                        ; implicit-def: $vgpr17
                                        ; implicit-def: $vgpr16
	s_mov_b32 s6, exec_lo
	v_and_b32_e32 v15, 0x7fffffff, v10
	v_cmpx_ngt_f32_e64 0x48000000, |v10|
	s_xor_b32 s8, exec_lo, s6
	s_cbranch_execz .LBB68_68
; %bb.67:
	s_mov_b32 s5, 0x7fffff
	v_mov_b32_e32 v18, 0
	v_and_or_b32 v25, v15, s5, 0x800000
	v_lshrrev_b32_e32 v23, 23, v15
	v_mad_u64_u32 v[16:17], null, 0xfe5163ab, v25, 0
	v_add_nc_u32_e32 v24, 0xffffff88, v23
	v_cmp_lt_u32_e32 vcc_lo, 63, v24
	v_mad_u64_u32 v[19:20], null, 0x3c439041, v25, v[17:18]
	v_cndmask_b32_e64 v26, 0, 0xffffffc0, vcc_lo
	v_mov_b32_e32 v17, v20
	v_add_nc_u32_e32 v26, v26, v24
	v_mad_u64_u32 v[20:21], null, 0xdb629599, v25, v[17:18]
	v_cmp_lt_u32_e64 s5, 31, v26
	v_cndmask_b32_e64 v27, 0, 0xffffffe0, s5
	v_mov_b32_e32 v17, v21
	v_cndmask_b32_e32 v16, v20, v16, vcc_lo
	v_mad_u64_u32 v[21:22], null, 0xf534ddc0, v25, v[17:18]
	v_mov_b32_e32 v17, v22
	v_cndmask_b32_e32 v19, v21, v19, vcc_lo
	v_mad_u64_u32 v[22:23], null, 0xfc2757d1, v25, v[17:18]
	v_cndmask_b32_e64 v16, v19, v16, s5
	v_mov_b32_e32 v17, v23
	v_mad_u64_u32 v[23:24], null, 0x4e441529, v25, v[17:18]
	v_mov_b32_e32 v17, v24
	v_add_nc_u32_e32 v24, v27, v26
	v_cndmask_b32_e32 v26, v23, v21, vcc_lo
	v_mad_u64_u32 v[17:18], null, 0xa2f9836e, v25, v[17:18]
	v_cmp_lt_u32_e64 s6, 31, v24
	v_cndmask_b32_e64 v25, 0, 0xffffffe0, s6
	v_cndmask_b32_e32 v17, v17, v22, vcc_lo
	v_cndmask_b32_e32 v18, v18, v23, vcc_lo
	;; [unrolled: 1-line block ×3, first 2 shown]
	v_add_nc_u32_e32 v23, v25, v24
	v_cndmask_b32_e64 v21, v17, v26, s5
	v_cndmask_b32_e64 v17, v18, v17, s5
	;; [unrolled: 1-line block ×4, first 2 shown]
	v_sub_nc_u32_e32 v24, 32, v23
	v_cmp_eq_u32_e32 vcc_lo, 0, v23
	v_cndmask_b32_e64 v17, v17, v21, s6
	v_cndmask_b32_e64 v21, v21, v18, s6
	;; [unrolled: 1-line block ×4, first 2 shown]
	v_alignbit_b32 v25, v17, v21, v24
	v_alignbit_b32 v20, v21, v18, v24
	;; [unrolled: 1-line block ×3, first 2 shown]
	v_cndmask_b32_e32 v17, v25, v17, vcc_lo
	v_cndmask_b32_e32 v19, v20, v21, vcc_lo
	;; [unrolled: 1-line block ×3, first 2 shown]
	v_bfe_u32 v20, v17, 29, 1
	v_alignbit_b32 v21, v17, v19, 30
	v_alignbit_b32 v19, v19, v18, 30
	;; [unrolled: 1-line block ×3, first 2 shown]
	v_sub_nc_u32_e32 v22, 0, v20
	v_xor_b32_e32 v21, v21, v22
	v_xor_b32_e32 v18, v19, v22
	;; [unrolled: 1-line block ×3, first 2 shown]
	v_lshrrev_b32_e32 v22, 29, v17
	v_lshrrev_b32_e32 v17, 30, v17
	v_ffbh_u32_e32 v23, v21
	v_add_nc_u32_e32 v17, v20, v17
	v_min_u32_e32 v23, 32, v23
	v_sub_nc_u32_e32 v19, 31, v23
	v_lshlrev_b32_e32 v24, 23, v23
	v_alignbit_b32 v21, v21, v18, v19
	v_alignbit_b32 v16, v18, v16, v19
	v_lshlrev_b32_e32 v18, 31, v22
	v_alignbit_b32 v19, v21, v16, 9
	v_or_b32_e32 v22, 0.5, v18
	v_lshrrev_b32_e32 v21, 9, v21
	v_or_b32_e32 v18, 0x33000000, v18
	v_ffbh_u32_e32 v25, v19
	v_sub_nc_u32_e32 v22, v22, v24
	v_min_u32_e32 v24, 32, v25
	v_or_b32_e32 v21, v21, v22
	v_not_b32_e32 v22, v24
	v_mul_f32_e32 v25, 0x3fc90fda, v21
	v_add_lshl_u32 v23, v24, v23, 23
	v_alignbit_b32 v16, v19, v16, v22
	v_fma_f32 v19, 0x3fc90fda, v21, -v25
	v_sub_nc_u32_e32 v18, v18, v23
	v_lshrrev_b32_e32 v16, 9, v16
	v_fmamk_f32 v19, v21, 0x33a22168, v19
	v_or_b32_e32 v16, v18, v16
	v_fmac_f32_e32 v19, 0x3fc90fda, v16
	v_add_f32_e32 v16, v25, v19
.LBB68_68:
	s_andn2_saveexec_b32 s5, s8
; %bb.69:
	v_mul_f32_e64 v16, 0x3f22f983, |v10|
	v_rndne_f32_e32 v17, v16
	v_fma_f32 v16, 0xbfc90fda, v17, |v10|
	v_fmamk_f32 v16, v17, 0xb3a22168, v16
	v_fmamk_f32 v16, v17, 0xa7c234c4, v16
	v_cvt_i32_f32_e32 v17, v17
; %bb.70:
	s_or_b32 exec_lo, exec_lo, s5
	v_mul_f32_e32 v18, v16, v16
	s_mov_b32 s5, 0xb94c1982
	s_mov_b32 s6, 0x37d75334
	v_and_b32_e32 v21, 1, v17
	v_lshlrev_b32_e32 v17, 30, v17
	v_fmaak_f32 v19, s5, v18, 0x3c0881c4
	v_fmaak_f32 v20, s6, v18, 0xbab64f3b
	v_xor_b32_e32 v15, v15, v10
	v_cmp_eq_u32_e32 vcc_lo, 0, v21
	v_and_b32_e32 v17, 0x80000000, v17
	v_fmaak_f32 v19, v18, v19, 0xbe2aaa9d
	v_fmaak_f32 v20, v18, v20, 0x3d2aabf7
	v_sub_f32_e32 v9, 1.0, v9
	v_mul_f32_e32 v19, v18, v19
	v_fmaak_f32 v20, v18, v20, 0xbf000004
	v_fmac_f32_e32 v16, v16, v19
	v_fma_f32 v18, v18, v20, 1.0
	v_cndmask_b32_e32 v16, v18, v16, vcc_lo
	v_cmp_class_f32_e64 vcc_lo, v10, 0x1f8
	v_xor3_b32 v15, v15, v17, v16
	v_cndmask_b32_e32 v10, 0x7fc00000, v15, vcc_lo
	v_mul_f32_e32 v10, v10, v10
	v_div_scale_f32 v15, null, v10, v10, 0xc11de9e7
	v_div_scale_f32 v18, vcc_lo, 0xc11de9e7, v10, 0xc11de9e7
	v_rcp_f32_e32 v16, v15
	v_fma_f32 v17, -v15, v16, 1.0
	v_fmac_f32_e32 v16, v17, v16
	v_mul_f32_e32 v17, v18, v16
	v_fma_f32 v19, -v15, v17, v18
	v_fmac_f32_e32 v17, v19, v16
	v_fma_f32 v15, -v15, v17, v18
	v_div_fmas_f32 v15, v15, v16, v17
	v_div_fixup_f32 v10, v15, v10, 0xc11de9e7
	v_add_f32_e32 v15, 0, v10
	v_mov_b32_e32 v10, -1.0
.LBB68_71:
	s_or_b32 exec_lo, exec_lo, s7
	v_add_f32_e32 v16, 1.0, v9
	v_mul_f32_e32 v9, v9, v9
	v_mul_f32_e32 v17, v16, v16
	v_add_f32_e32 v16, 1.0, v16
	v_div_scale_f32 v18, null, v9, v9, 1.0
	v_div_scale_f32 v20, vcc_lo, 1.0, v9, 1.0
	v_mul_f32_e32 v21, v16, v16
	v_div_scale_f32 v19, null, v17, v17, 1.0
	v_rcp_f32_e32 v22, v18
	v_div_scale_f32 v25, s5, 1.0, v17, 1.0
	v_div_scale_f32 v24, null, v21, v21, 1.0
	v_rcp_f32_e32 v23, v19
	v_add_f32_e32 v16, 1.0, v16
	v_div_scale_f32 v26, s6, 1.0, v21, 1.0
	v_rcp_f32_e32 v27, v24
	v_fma_f32 v29, -v18, v22, 1.0
	v_mul_f32_e32 v28, v16, v16
	v_add_f32_e32 v16, 1.0, v16
	v_fma_f32 v30, -v19, v23, 1.0
	v_fmac_f32_e32 v22, v29, v22
	v_mul_f32_e32 v32, v16, v16
	v_add_f32_e32 v16, 1.0, v16
	v_fma_f32 v29, -v24, v27, 1.0
	v_fmac_f32_e32 v23, v30, v23
	v_mul_f32_e32 v33, v20, v22
	v_div_scale_f32 v31, null, v28, v28, 1.0
	v_fmac_f32_e32 v27, v29, v27
	v_mul_f32_e32 v34, v25, v23
	v_fma_f32 v35, -v18, v33, v20
	v_add_f32_e32 v38, 1.0, v16
	v_rcp_f32_e32 v30, v31
	v_mul_f32_e32 v37, v26, v27
	v_fma_f32 v36, -v19, v34, v25
	v_fmac_f32_e32 v33, v35, v22
	v_mul_f32_e32 v16, v16, v16
	v_div_scale_f32 v29, null, v32, v32, 1.0
	v_fma_f32 v35, -v24, v37, v26
	v_fmac_f32_e32 v34, v36, v23
	v_fma_f32 v18, -v18, v33, v20
	v_mul_f32_e32 v20, v38, v38
	v_rcp_f32_e32 v36, v29
	v_fmac_f32_e32 v37, v35, v27
	v_fma_f32 v19, -v19, v34, v25
	v_div_fmas_f32 v18, v18, v22, v33
	s_mov_b32 vcc_lo, s5
	v_fma_f32 v39, -v31, v30, 1.0
	v_fma_f32 v22, -v24, v37, v26
	v_div_fmas_f32 v19, v19, v23, v34
	s_mov_b32 vcc_lo, s6
	v_div_scale_f32 v23, null, v16, v16, 1.0
	v_div_fmas_f32 v22, v22, v27, v37
	v_div_scale_f32 v24, null, v20, v20, 1.0
	v_add_f32_e32 v27, v38, v38
	v_rcp_f32_e32 v26, v23
	v_fmac_f32_e32 v30, v39, v30
	v_rcp_f32_e32 v34, v24
	v_div_scale_f32 v25, vcc_lo, 1.0, v28, 1.0
	v_div_scale_f32 v37, null, v27, v27, 1.0
	v_fma_f32 v33, -v29, v36, 1.0
	v_mul_f32_e32 v35, v25, v30
	v_div_fixup_f32 v9, v18, v9, 1.0
	v_rcp_f32_e32 v48, v37
	v_fma_f32 v39, -v23, v26, 1.0
	v_fmac_f32_e32 v36, v33, v36
	v_div_scale_f32 v33, s5, 1.0, v32, 1.0
	v_fma_f32 v50, -v24, v34, 1.0
	v_fma_f32 v49, -v31, v35, v25
	v_fmac_f32_e32 v26, v39, v26
	v_div_scale_f32 v39, s6, 1.0, v16, 1.0
	v_mul_f32_e32 v51, v33, v36
	v_fmac_f32_e32 v34, v50, v34
	v_div_scale_f32 v50, s7, 1.0, v20, 1.0
	v_fma_f32 v52, -v37, v48, 1.0
	v_fmac_f32_e32 v35, v49, v30
	v_mul_f32_e32 v53, v39, v26
	v_fma_f32 v49, -v29, v51, v33
	v_mul_f32_e32 v54, v50, v34
	v_fmac_f32_e32 v48, v52, v48
	v_div_scale_f32 v52, s8, 1.0, v27, 1.0
	v_fma_f32 v25, -v31, v35, v25
	v_fma_f32 v31, -v23, v53, v39
	v_fmac_f32_e32 v51, v49, v36
	v_fma_f32 v49, -v24, v54, v50
	v_mul_f32_e32 v55, v52, v48
	v_div_fmas_f32 v25, v25, v30, v35
	v_fmac_f32_e32 v53, v31, v26
	v_fma_f32 v29, -v29, v51, v33
	v_fmac_f32_e32 v54, v49, v34
	v_fma_f32 v30, -v37, v55, v52
	s_mov_b32 vcc_lo, s5
	v_fma_f32 v23, -v23, v53, v39
	v_div_fmas_f32 v29, v29, v36, v51
	v_fma_f32 v24, -v24, v54, v50
	v_fmac_f32_e32 v55, v30, v48
	s_mov_b32 vcc_lo, s6
	s_mov_b32 s5, 0xbcc30c31
	v_div_fmas_f32 v23, v23, v26, v53
	s_mov_b32 vcc_lo, s7
	v_fma_f32 v26, -v37, v55, v52
	v_div_fmas_f32 v24, v24, v34, v54
	s_mov_b32 vcc_lo, s8
	v_add_f32_e32 v9, v15, v9
	v_div_fixup_f32 v15, v19, v17, 1.0
	v_div_fmas_f32 v26, v26, v48, v55
	v_div_fixup_f32 v20, v24, v20, 1.0
	v_add_f32_e32 v9, v9, v15
	v_div_fixup_f32 v24, v26, v27, 1.0
	v_fmaak_f32 v26, s5, v20, 0x3d088889
	v_div_fixup_f32 v15, v22, v21, 1.0
	v_add_f32_e32 v24, 1.0, v24
	v_fma_f32 v26, -v20, v26, 0x3e2aaaab
	v_add_f32_e32 v9, v9, v15
	v_div_fixup_f32 v15, v25, v28, 1.0
	v_fmac_f32_e32 v24, v20, v26
	v_add_f32_e32 v9, v9, v15
	v_div_fixup_f32 v15, v29, v32, 1.0
	v_div_scale_f32 v20, null, v38, v38, v24
	v_div_scale_f32 v17, vcc_lo, v24, v38, v24
	v_add_f32_e32 v9, v9, v15
	v_rcp_f32_e32 v26, v20
	v_div_fixup_f32 v15, v23, v16, 1.0
	v_add_f32_e32 v9, v9, v15
	v_fma_f32 v18, -v20, v26, 1.0
	v_fmac_f32_e32 v26, v18, v26
	v_mul_f32_e32 v18, v17, v26
	v_fma_f32 v19, -v20, v18, v17
	v_fmac_f32_e32 v18, v19, v26
	v_fma_f32 v17, -v20, v18, v17
	v_div_fmas_f32 v16, v17, v26, v18
	v_div_fixup_f32 v15, v16, v38, v24
	v_add_f32_e32 v9, v9, v15
	v_mul_f32_e32 v9, v10, v9
	v_bfe_u32 v10, v9, 16, 1
	v_cmp_o_f32_e32 vcc_lo, v9, v9
	v_add3_u32 v9, v9, v10, 0x7fff
	v_mov_b32_e32 v10, 0x7fc0
	v_cndmask_b32_sdwa v10, v10, v9, vcc_lo dst_sel:DWORD dst_unused:UNUSED_PAD src0_sel:DWORD src1_sel:WORD_1
.LBB68_72:
	s_or_b32 exec_lo, exec_lo, s10
	v_add_nc_u32_e32 v9, 0x700, v7
	v_cmp_lt_i32_e32 vcc_lo, v9, v4
                                        ; implicit-def: $vgpr9
	s_and_saveexec_b32 s10, vcc_lo
	s_cbranch_execz .LBB68_88
; %bb.73:
	v_mov_b32_e32 v15, 0
	v_mov_b32_e32 v9, 1.0
	s_mov_b32 s7, exec_lo
	v_cmpx_gt_f32_e32 0.5, v6
	s_cbranch_execz .LBB68_79
; %bb.74:
	v_mul_f32_e32 v9, 0x40490fdb, v6
                                        ; implicit-def: $vgpr17
                                        ; implicit-def: $vgpr16
	s_mov_b32 s6, exec_lo
	v_and_b32_e32 v15, 0x7fffffff, v9
	v_cmpx_ngt_f32_e64 0x48000000, |v9|
	s_xor_b32 s8, exec_lo, s6
	s_cbranch_execz .LBB68_76
; %bb.75:
	s_mov_b32 s5, 0x7fffff
	v_mov_b32_e32 v18, 0
	v_and_or_b32 v25, v15, s5, 0x800000
	v_lshrrev_b32_e32 v23, 23, v15
	v_mad_u64_u32 v[16:17], null, 0xfe5163ab, v25, 0
	v_add_nc_u32_e32 v24, 0xffffff88, v23
	v_cmp_lt_u32_e32 vcc_lo, 63, v24
	v_mad_u64_u32 v[19:20], null, 0x3c439041, v25, v[17:18]
	v_cndmask_b32_e64 v26, 0, 0xffffffc0, vcc_lo
	v_mov_b32_e32 v17, v20
	v_add_nc_u32_e32 v26, v26, v24
	v_mad_u64_u32 v[20:21], null, 0xdb629599, v25, v[17:18]
	v_cmp_lt_u32_e64 s5, 31, v26
	v_cndmask_b32_e64 v27, 0, 0xffffffe0, s5
	v_mov_b32_e32 v17, v21
	v_cndmask_b32_e32 v16, v20, v16, vcc_lo
	v_mad_u64_u32 v[21:22], null, 0xf534ddc0, v25, v[17:18]
	v_mov_b32_e32 v17, v22
	v_cndmask_b32_e32 v19, v21, v19, vcc_lo
	v_mad_u64_u32 v[22:23], null, 0xfc2757d1, v25, v[17:18]
	v_cndmask_b32_e64 v16, v19, v16, s5
	v_mov_b32_e32 v17, v23
	v_mad_u64_u32 v[23:24], null, 0x4e441529, v25, v[17:18]
	v_mov_b32_e32 v17, v24
	v_add_nc_u32_e32 v24, v27, v26
	v_cndmask_b32_e32 v26, v23, v21, vcc_lo
	v_mad_u64_u32 v[17:18], null, 0xa2f9836e, v25, v[17:18]
	v_cmp_lt_u32_e64 s6, 31, v24
	v_cndmask_b32_e64 v25, 0, 0xffffffe0, s6
	v_cndmask_b32_e32 v17, v17, v22, vcc_lo
	v_cndmask_b32_e32 v18, v18, v23, vcc_lo
	;; [unrolled: 1-line block ×3, first 2 shown]
	v_add_nc_u32_e32 v23, v25, v24
	v_cndmask_b32_e64 v21, v17, v26, s5
	v_cndmask_b32_e64 v17, v18, v17, s5
	;; [unrolled: 1-line block ×4, first 2 shown]
	v_sub_nc_u32_e32 v24, 32, v23
	v_cmp_eq_u32_e32 vcc_lo, 0, v23
	v_cndmask_b32_e64 v17, v17, v21, s6
	v_cndmask_b32_e64 v21, v21, v18, s6
	v_cndmask_b32_e64 v18, v18, v22, s6
	v_cndmask_b32_e64 v16, v22, v16, s6
	v_alignbit_b32 v25, v17, v21, v24
	v_alignbit_b32 v20, v21, v18, v24
	;; [unrolled: 1-line block ×3, first 2 shown]
	v_cndmask_b32_e32 v17, v25, v17, vcc_lo
	v_cndmask_b32_e32 v19, v20, v21, vcc_lo
	;; [unrolled: 1-line block ×3, first 2 shown]
	v_bfe_u32 v20, v17, 29, 1
	v_alignbit_b32 v21, v17, v19, 30
	v_alignbit_b32 v19, v19, v18, 30
	;; [unrolled: 1-line block ×3, first 2 shown]
	v_sub_nc_u32_e32 v22, 0, v20
	v_xor_b32_e32 v21, v21, v22
	v_xor_b32_e32 v18, v19, v22
	;; [unrolled: 1-line block ×3, first 2 shown]
	v_lshrrev_b32_e32 v22, 29, v17
	v_lshrrev_b32_e32 v17, 30, v17
	v_ffbh_u32_e32 v23, v21
	v_add_nc_u32_e32 v17, v20, v17
	v_min_u32_e32 v23, 32, v23
	v_sub_nc_u32_e32 v19, 31, v23
	v_lshlrev_b32_e32 v24, 23, v23
	v_alignbit_b32 v21, v21, v18, v19
	v_alignbit_b32 v16, v18, v16, v19
	v_lshlrev_b32_e32 v18, 31, v22
	v_alignbit_b32 v19, v21, v16, 9
	v_or_b32_e32 v22, 0.5, v18
	v_lshrrev_b32_e32 v21, 9, v21
	v_or_b32_e32 v18, 0x33000000, v18
	v_ffbh_u32_e32 v25, v19
	v_sub_nc_u32_e32 v22, v22, v24
	v_min_u32_e32 v24, 32, v25
	v_or_b32_e32 v21, v21, v22
	v_not_b32_e32 v22, v24
	v_mul_f32_e32 v25, 0x3fc90fda, v21
	v_add_lshl_u32 v23, v24, v23, 23
	v_alignbit_b32 v16, v19, v16, v22
	v_fma_f32 v19, 0x3fc90fda, v21, -v25
	v_sub_nc_u32_e32 v18, v18, v23
	v_lshrrev_b32_e32 v16, 9, v16
	v_fmamk_f32 v19, v21, 0x33a22168, v19
	v_or_b32_e32 v16, v18, v16
	v_fmac_f32_e32 v19, 0x3fc90fda, v16
	v_add_f32_e32 v16, v25, v19
.LBB68_76:
	s_andn2_saveexec_b32 s5, s8
; %bb.77:
	v_mul_f32_e64 v16, 0x3f22f983, |v9|
	v_rndne_f32_e32 v17, v16
	v_fma_f32 v16, 0xbfc90fda, v17, |v9|
	v_fmamk_f32 v16, v17, 0xb3a22168, v16
	v_fmamk_f32 v16, v17, 0xa7c234c4, v16
	v_cvt_i32_f32_e32 v17, v17
; %bb.78:
	s_or_b32 exec_lo, exec_lo, s5
	v_mul_f32_e32 v18, v16, v16
	s_mov_b32 s5, 0xb94c1982
	s_mov_b32 s6, 0x37d75334
	v_and_b32_e32 v21, 1, v17
	v_lshlrev_b32_e32 v17, 30, v17
	v_fmaak_f32 v19, s5, v18, 0x3c0881c4
	v_fmaak_f32 v20, s6, v18, 0xbab64f3b
	v_xor_b32_e32 v15, v15, v9
	v_cmp_eq_u32_e32 vcc_lo, 0, v21
	v_and_b32_e32 v17, 0x80000000, v17
	v_fmaak_f32 v19, v18, v19, 0xbe2aaa9d
	v_fmaak_f32 v20, v18, v20, 0x3d2aabf7
	v_sub_f32_e32 v6, 1.0, v6
	v_mul_f32_e32 v19, v18, v19
	v_fmaak_f32 v20, v18, v20, 0xbf000004
	v_fmac_f32_e32 v16, v16, v19
	v_fma_f32 v18, v18, v20, 1.0
	v_cndmask_b32_e32 v16, v18, v16, vcc_lo
	v_cmp_class_f32_e64 vcc_lo, v9, 0x1f8
	v_xor3_b32 v15, v15, v17, v16
	v_cndmask_b32_e32 v9, 0x7fc00000, v15, vcc_lo
	v_mul_f32_e32 v9, v9, v9
	v_div_scale_f32 v15, null, v9, v9, 0xc11de9e7
	v_div_scale_f32 v18, vcc_lo, 0xc11de9e7, v9, 0xc11de9e7
	v_rcp_f32_e32 v16, v15
	v_fma_f32 v17, -v15, v16, 1.0
	v_fmac_f32_e32 v16, v17, v16
	v_mul_f32_e32 v17, v18, v16
	v_fma_f32 v19, -v15, v17, v18
	v_fmac_f32_e32 v17, v19, v16
	v_fma_f32 v15, -v15, v17, v18
	v_div_fmas_f32 v15, v15, v16, v17
	v_div_fixup_f32 v9, v15, v9, 0xc11de9e7
	v_add_f32_e32 v15, 0, v9
	v_mov_b32_e32 v9, -1.0
.LBB68_79:
	s_or_b32 exec_lo, exec_lo, s7
	v_add_f32_e32 v16, 1.0, v6
	v_mul_f32_e32 v6, v6, v6
	v_mul_f32_e32 v17, v16, v16
	v_add_f32_e32 v16, 1.0, v16
	v_div_scale_f32 v18, null, v6, v6, 1.0
	v_div_scale_f32 v20, vcc_lo, 1.0, v6, 1.0
	v_mul_f32_e32 v21, v16, v16
	v_div_scale_f32 v19, null, v17, v17, 1.0
	v_rcp_f32_e32 v22, v18
	v_div_scale_f32 v25, s5, 1.0, v17, 1.0
	v_div_scale_f32 v24, null, v21, v21, 1.0
	v_rcp_f32_e32 v23, v19
	v_add_f32_e32 v16, 1.0, v16
	v_div_scale_f32 v26, s6, 1.0, v21, 1.0
	v_rcp_f32_e32 v27, v24
	v_fma_f32 v29, -v18, v22, 1.0
	v_mul_f32_e32 v28, v16, v16
	v_add_f32_e32 v16, 1.0, v16
	v_fma_f32 v30, -v19, v23, 1.0
	v_fmac_f32_e32 v22, v29, v22
	v_mul_f32_e32 v32, v16, v16
	v_add_f32_e32 v16, 1.0, v16
	v_fma_f32 v29, -v24, v27, 1.0
	v_fmac_f32_e32 v23, v30, v23
	v_mul_f32_e32 v33, v20, v22
	v_div_scale_f32 v31, null, v28, v28, 1.0
	v_fmac_f32_e32 v27, v29, v27
	v_mul_f32_e32 v34, v25, v23
	v_fma_f32 v35, -v18, v33, v20
	v_add_f32_e32 v38, 1.0, v16
	v_rcp_f32_e32 v30, v31
	v_mul_f32_e32 v37, v26, v27
	v_fma_f32 v36, -v19, v34, v25
	v_fmac_f32_e32 v33, v35, v22
	v_mul_f32_e32 v16, v16, v16
	v_div_scale_f32 v29, null, v32, v32, 1.0
	v_fma_f32 v35, -v24, v37, v26
	v_fmac_f32_e32 v34, v36, v23
	v_fma_f32 v18, -v18, v33, v20
	v_mul_f32_e32 v20, v38, v38
	v_rcp_f32_e32 v36, v29
	v_fmac_f32_e32 v37, v35, v27
	v_fma_f32 v19, -v19, v34, v25
	v_div_fmas_f32 v18, v18, v22, v33
	s_mov_b32 vcc_lo, s5
	v_fma_f32 v39, -v31, v30, 1.0
	v_fma_f32 v22, -v24, v37, v26
	v_div_fmas_f32 v19, v19, v23, v34
	s_mov_b32 vcc_lo, s6
	v_div_scale_f32 v23, null, v16, v16, 1.0
	v_div_fmas_f32 v22, v22, v27, v37
	v_div_scale_f32 v24, null, v20, v20, 1.0
	v_add_f32_e32 v27, v38, v38
	v_rcp_f32_e32 v26, v23
	v_fmac_f32_e32 v30, v39, v30
	v_rcp_f32_e32 v34, v24
	v_div_scale_f32 v25, vcc_lo, 1.0, v28, 1.0
	v_div_scale_f32 v37, null, v27, v27, 1.0
	v_fma_f32 v33, -v29, v36, 1.0
	v_mul_f32_e32 v35, v25, v30
	v_div_fixup_f32 v6, v18, v6, 1.0
	v_rcp_f32_e32 v48, v37
	v_fma_f32 v39, -v23, v26, 1.0
	v_fmac_f32_e32 v36, v33, v36
	v_div_scale_f32 v33, s5, 1.0, v32, 1.0
	v_fma_f32 v50, -v24, v34, 1.0
	v_fma_f32 v49, -v31, v35, v25
	v_fmac_f32_e32 v26, v39, v26
	v_div_scale_f32 v39, s6, 1.0, v16, 1.0
	v_mul_f32_e32 v51, v33, v36
	v_fmac_f32_e32 v34, v50, v34
	v_div_scale_f32 v50, s7, 1.0, v20, 1.0
	v_fma_f32 v52, -v37, v48, 1.0
	v_fmac_f32_e32 v35, v49, v30
	v_mul_f32_e32 v53, v39, v26
	v_fma_f32 v49, -v29, v51, v33
	v_mul_f32_e32 v54, v50, v34
	v_fmac_f32_e32 v48, v52, v48
	v_div_scale_f32 v52, s8, 1.0, v27, 1.0
	v_fma_f32 v25, -v31, v35, v25
	v_fma_f32 v31, -v23, v53, v39
	v_fmac_f32_e32 v51, v49, v36
	v_fma_f32 v49, -v24, v54, v50
	v_mul_f32_e32 v55, v52, v48
	v_div_fmas_f32 v25, v25, v30, v35
	v_fmac_f32_e32 v53, v31, v26
	v_fma_f32 v29, -v29, v51, v33
	v_fmac_f32_e32 v54, v49, v34
	v_fma_f32 v30, -v37, v55, v52
	s_mov_b32 vcc_lo, s5
	v_fma_f32 v23, -v23, v53, v39
	v_div_fmas_f32 v29, v29, v36, v51
	v_fma_f32 v24, -v24, v54, v50
	v_fmac_f32_e32 v55, v30, v48
	s_mov_b32 vcc_lo, s6
	s_mov_b32 s5, 0xbcc30c31
	v_div_fmas_f32 v23, v23, v26, v53
	s_mov_b32 vcc_lo, s7
	v_fma_f32 v26, -v37, v55, v52
	v_div_fmas_f32 v24, v24, v34, v54
	s_mov_b32 vcc_lo, s8
	v_add_f32_e32 v6, v15, v6
	v_div_fixup_f32 v15, v19, v17, 1.0
	v_div_fmas_f32 v26, v26, v48, v55
	v_div_fixup_f32 v20, v24, v20, 1.0
	v_add_f32_e32 v6, v6, v15
	v_div_fixup_f32 v24, v26, v27, 1.0
	v_fmaak_f32 v26, s5, v20, 0x3d088889
	v_div_fixup_f32 v15, v22, v21, 1.0
	v_add_f32_e32 v24, 1.0, v24
	v_fma_f32 v26, -v20, v26, 0x3e2aaaab
	v_add_f32_e32 v6, v6, v15
	v_div_fixup_f32 v15, v25, v28, 1.0
	v_fmac_f32_e32 v24, v20, v26
	v_add_f32_e32 v6, v6, v15
	v_div_fixup_f32 v15, v29, v32, 1.0
	v_div_scale_f32 v20, null, v38, v38, v24
	v_div_scale_f32 v17, vcc_lo, v24, v38, v24
	v_add_f32_e32 v6, v6, v15
	v_rcp_f32_e32 v26, v20
	v_div_fixup_f32 v15, v23, v16, 1.0
	v_add_f32_e32 v6, v6, v15
	v_fma_f32 v18, -v20, v26, 1.0
	v_fmac_f32_e32 v26, v18, v26
	v_mul_f32_e32 v18, v17, v26
	v_fma_f32 v19, -v20, v18, v17
	v_fmac_f32_e32 v18, v19, v26
	v_fma_f32 v17, -v20, v18, v17
	v_div_fmas_f32 v16, v17, v26, v18
	v_div_fixup_f32 v15, v16, v38, v24
	v_add_f32_e32 v6, v6, v15
	v_mul_f32_e32 v6, v9, v6
	v_bfe_u32 v9, v6, 16, 1
	v_cmp_o_f32_e32 vcc_lo, v6, v6
	v_add3_u32 v6, v6, v9, 0x7fff
	v_mov_b32_e32 v9, 0x7fc0
	v_cndmask_b32_sdwa v9, v9, v6, vcc_lo dst_sel:DWORD dst_unused:UNUSED_PAD src0_sel:DWORD src1_sel:WORD_1
	s_or_b32 exec_lo, exec_lo, s10
	s_and_saveexec_b32 s5, s4
	s_xor_b32 s4, exec_lo, s5
	s_cbranch_execnz .LBB68_89
.LBB68_80:
	s_or_b32 exec_lo, exec_lo, s4
	s_mov_b32 s4, exec_lo
	v_cmpx_lt_i32_e64 v7, v4
	s_cbranch_execz .LBB68_90
.LBB68_81:
	v_add_nc_u32_e32 v5, s9, v7
	v_mov_b32_e32 v6, 0
	v_add_nc_u32_e32 v7, 0x100, v7
	v_lshlrev_b64 v[5:6], 1, v[5:6]
	v_add_co_u32 v5, vcc_lo, v0, v5
	v_add_co_ci_u32_e64 v6, null, v1, v6, vcc_lo
	flat_store_short v[5:6], v3
	s_or_b32 exec_lo, exec_lo, s4
	s_mov_b32 s4, exec_lo
	v_cmpx_lt_i32_e64 v7, v4
	s_cbranch_execnz .LBB68_91
.LBB68_82:
	s_or_b32 exec_lo, exec_lo, s4
	s_mov_b32 s4, exec_lo
	v_cmpx_lt_i32_e64 v7, v4
	s_cbranch_execz .LBB68_92
.LBB68_83:
	v_add_nc_u32_e32 v2, s9, v7
	v_mov_b32_e32 v3, 0
	v_add_nc_u32_e32 v7, 0x100, v7
	v_lshlrev_b64 v[2:3], 1, v[2:3]
	v_add_co_u32 v2, vcc_lo, v0, v2
	v_add_co_ci_u32_e64 v3, null, v1, v3, vcc_lo
	flat_store_short v[2:3], v13
	s_or_b32 exec_lo, exec_lo, s4
	s_mov_b32 s4, exec_lo
	v_cmpx_lt_i32_e64 v7, v4
	s_cbranch_execnz .LBB68_93
.LBB68_84:
	s_or_b32 exec_lo, exec_lo, s4
	s_mov_b32 s4, exec_lo
	v_cmpx_lt_i32_e64 v7, v4
	s_cbranch_execz .LBB68_94
.LBB68_85:
	v_add_nc_u32_e32 v2, s9, v7
	v_mov_b32_e32 v3, 0
	v_add_nc_u32_e32 v7, 0x100, v7
	v_lshlrev_b64 v[2:3], 1, v[2:3]
	v_add_co_u32 v2, vcc_lo, v0, v2
	v_add_co_ci_u32_e64 v3, null, v1, v3, vcc_lo
	flat_store_short v[2:3], v12
	s_or_b32 exec_lo, exec_lo, s4
	s_mov_b32 s4, exec_lo
	v_cmpx_lt_i32_e64 v7, v4
	s_cbranch_execnz .LBB68_95
.LBB68_86:
	s_or_b32 exec_lo, exec_lo, s4
	s_mov_b32 s4, exec_lo
	v_cmpx_lt_i32_e64 v7, v4
	s_cbranch_execz .LBB68_96
.LBB68_87:
	v_add_nc_u32_e32 v2, s9, v7
	v_mov_b32_e32 v3, 0
	v_lshlrev_b64 v[2:3], 1, v[2:3]
	v_add_co_u32 v0, vcc_lo, v0, v2
	v_add_co_ci_u32_e64 v1, null, v1, v3, vcc_lo
	flat_store_short v[0:1], v9
	s_or_b32 exec_lo, exec_lo, s4
	s_waitcnt lgkmcnt(0)
	s_setpc_b64 s[30:31]
.LBB68_88:
	s_or_b32 exec_lo, exec_lo, s10
	s_and_saveexec_b32 s5, s4
	s_xor_b32 s4, exec_lo, s5
	s_cbranch_execz .LBB68_80
.LBB68_89:
	v_mov_b32_e32 v6, 0
	v_mov_b32_e32 v7, v8
	v_lshlrev_b64 v[5:6], 1, v[5:6]
	v_add_co_u32 v5, vcc_lo, v0, v5
	v_add_co_ci_u32_e64 v6, null, v1, v6, vcc_lo
	flat_store_short v[5:6], v2
	s_or_b32 exec_lo, exec_lo, s4
	s_mov_b32 s4, exec_lo
	v_cmpx_lt_i32_e64 v7, v4
	s_cbranch_execnz .LBB68_81
.LBB68_90:
	s_or_b32 exec_lo, exec_lo, s4
	s_mov_b32 s4, exec_lo
	v_cmpx_lt_i32_e64 v7, v4
	s_cbranch_execz .LBB68_82
.LBB68_91:
	v_add_nc_u32_e32 v2, s9, v7
	v_mov_b32_e32 v3, 0
	v_add_nc_u32_e32 v7, 0x100, v7
	v_lshlrev_b64 v[2:3], 1, v[2:3]
	v_add_co_u32 v2, vcc_lo, v0, v2
	v_add_co_ci_u32_e64 v3, null, v1, v3, vcc_lo
	flat_store_short v[2:3], v11
	s_or_b32 exec_lo, exec_lo, s4
	s_mov_b32 s4, exec_lo
	v_cmpx_lt_i32_e64 v7, v4
	s_cbranch_execnz .LBB68_83
.LBB68_92:
	s_or_b32 exec_lo, exec_lo, s4
	s_mov_b32 s4, exec_lo
	v_cmpx_lt_i32_e64 v7, v4
	s_cbranch_execz .LBB68_84
.LBB68_93:
	v_add_nc_u32_e32 v2, s9, v7
	v_mov_b32_e32 v3, 0
	v_add_nc_u32_e32 v7, 0x100, v7
	v_lshlrev_b64 v[2:3], 1, v[2:3]
	v_add_co_u32 v2, vcc_lo, v0, v2
	v_add_co_ci_u32_e64 v3, null, v1, v3, vcc_lo
	flat_store_short v[2:3], v14
	s_or_b32 exec_lo, exec_lo, s4
	s_mov_b32 s4, exec_lo
	v_cmpx_lt_i32_e64 v7, v4
	s_cbranch_execnz .LBB68_85
.LBB68_94:
	s_or_b32 exec_lo, exec_lo, s4
	s_mov_b32 s4, exec_lo
	v_cmpx_lt_i32_e64 v7, v4
	s_cbranch_execz .LBB68_86
.LBB68_95:
	v_add_nc_u32_e32 v2, s9, v7
	v_mov_b32_e32 v3, 0
	v_add_nc_u32_e32 v7, 0x100, v7
	v_lshlrev_b64 v[2:3], 1, v[2:3]
	v_add_co_u32 v2, vcc_lo, v0, v2
	v_add_co_ci_u32_e64 v3, null, v1, v3, vcc_lo
	flat_store_short v[2:3], v10
	s_or_b32 exec_lo, exec_lo, s4
	s_mov_b32 s4, exec_lo
	v_cmpx_lt_i32_e64 v7, v4
	s_cbranch_execnz .LBB68_87
.LBB68_96:
	s_or_b32 exec_lo, exec_lo, s4
	s_waitcnt lgkmcnt(0)
	s_setpc_b64 s[30:31]
.Lfunc_end68:
	.size	_ZN2at6native25elementwise_kernel_helperILb0EZZZNS0_20trigamma_kernel_cudaERNS_18TensorIteratorBaseEENKUlvE_clEvENKUlvE2_clEvEUlN3c108BFloat16EE_NS0_6memory8policies11unroll_baseILi256ESt5arrayIPcLm2EE23TrivialOffsetCalculatorILi1EjESG_NS9_15LoadWithoutCastENS9_16StoreWithoutCastELi8ELi1EEEEEvT0_T1_, .Lfunc_end68-_ZN2at6native25elementwise_kernel_helperILb0EZZZNS0_20trigamma_kernel_cudaERNS_18TensorIteratorBaseEENKUlvE_clEvENKUlvE2_clEvEUlN3c108BFloat16EE_NS0_6memory8policies11unroll_baseILi256ESt5arrayIPcLm2EE23TrivialOffsetCalculatorILi1EjESG_NS9_15LoadWithoutCastENS9_16StoreWithoutCastELi8ELi1EEEEEvT0_T1_
                                        ; -- End function
	.set .L_ZN2at6native25elementwise_kernel_helperILb0EZZZNS0_20trigamma_kernel_cudaERNS_18TensorIteratorBaseEENKUlvE_clEvENKUlvE2_clEvEUlN3c108BFloat16EE_NS0_6memory8policies11unroll_baseILi256ESt5arrayIPcLm2EE23TrivialOffsetCalculatorILi1EjESG_NS9_15LoadWithoutCastENS9_16StoreWithoutCastELi8ELi1EEEEEvT0_T1_.num_vgpr, 56
	.set .L_ZN2at6native25elementwise_kernel_helperILb0EZZZNS0_20trigamma_kernel_cudaERNS_18TensorIteratorBaseEENKUlvE_clEvENKUlvE2_clEvEUlN3c108BFloat16EE_NS0_6memory8policies11unroll_baseILi256ESt5arrayIPcLm2EE23TrivialOffsetCalculatorILi1EjESG_NS9_15LoadWithoutCastENS9_16StoreWithoutCastELi8ELi1EEEEEvT0_T1_.num_agpr, 0
	.set .L_ZN2at6native25elementwise_kernel_helperILb0EZZZNS0_20trigamma_kernel_cudaERNS_18TensorIteratorBaseEENKUlvE_clEvENKUlvE2_clEvEUlN3c108BFloat16EE_NS0_6memory8policies11unroll_baseILi256ESt5arrayIPcLm2EE23TrivialOffsetCalculatorILi1EjESG_NS9_15LoadWithoutCastENS9_16StoreWithoutCastELi8ELi1EEEEEvT0_T1_.numbered_sgpr, 32
	.set .L_ZN2at6native25elementwise_kernel_helperILb0EZZZNS0_20trigamma_kernel_cudaERNS_18TensorIteratorBaseEENKUlvE_clEvENKUlvE2_clEvEUlN3c108BFloat16EE_NS0_6memory8policies11unroll_baseILi256ESt5arrayIPcLm2EE23TrivialOffsetCalculatorILi1EjESG_NS9_15LoadWithoutCastENS9_16StoreWithoutCastELi8ELi1EEEEEvT0_T1_.num_named_barrier, 0
	.set .L_ZN2at6native25elementwise_kernel_helperILb0EZZZNS0_20trigamma_kernel_cudaERNS_18TensorIteratorBaseEENKUlvE_clEvENKUlvE2_clEvEUlN3c108BFloat16EE_NS0_6memory8policies11unroll_baseILi256ESt5arrayIPcLm2EE23TrivialOffsetCalculatorILi1EjESG_NS9_15LoadWithoutCastENS9_16StoreWithoutCastELi8ELi1EEEEEvT0_T1_.private_seg_size, 0
	.set .L_ZN2at6native25elementwise_kernel_helperILb0EZZZNS0_20trigamma_kernel_cudaERNS_18TensorIteratorBaseEENKUlvE_clEvENKUlvE2_clEvEUlN3c108BFloat16EE_NS0_6memory8policies11unroll_baseILi256ESt5arrayIPcLm2EE23TrivialOffsetCalculatorILi1EjESG_NS9_15LoadWithoutCastENS9_16StoreWithoutCastELi8ELi1EEEEEvT0_T1_.uses_vcc, 1
	.set .L_ZN2at6native25elementwise_kernel_helperILb0EZZZNS0_20trigamma_kernel_cudaERNS_18TensorIteratorBaseEENKUlvE_clEvENKUlvE2_clEvEUlN3c108BFloat16EE_NS0_6memory8policies11unroll_baseILi256ESt5arrayIPcLm2EE23TrivialOffsetCalculatorILi1EjESG_NS9_15LoadWithoutCastENS9_16StoreWithoutCastELi8ELi1EEEEEvT0_T1_.uses_flat_scratch, 0
	.set .L_ZN2at6native25elementwise_kernel_helperILb0EZZZNS0_20trigamma_kernel_cudaERNS_18TensorIteratorBaseEENKUlvE_clEvENKUlvE2_clEvEUlN3c108BFloat16EE_NS0_6memory8policies11unroll_baseILi256ESt5arrayIPcLm2EE23TrivialOffsetCalculatorILi1EjESG_NS9_15LoadWithoutCastENS9_16StoreWithoutCastELi8ELi1EEEEEvT0_T1_.has_dyn_sized_stack, 0
	.set .L_ZN2at6native25elementwise_kernel_helperILb0EZZZNS0_20trigamma_kernel_cudaERNS_18TensorIteratorBaseEENKUlvE_clEvENKUlvE2_clEvEUlN3c108BFloat16EE_NS0_6memory8policies11unroll_baseILi256ESt5arrayIPcLm2EE23TrivialOffsetCalculatorILi1EjESG_NS9_15LoadWithoutCastENS9_16StoreWithoutCastELi8ELi1EEEEEvT0_T1_.has_recursion, 0
	.set .L_ZN2at6native25elementwise_kernel_helperILb0EZZZNS0_20trigamma_kernel_cudaERNS_18TensorIteratorBaseEENKUlvE_clEvENKUlvE2_clEvEUlN3c108BFloat16EE_NS0_6memory8policies11unroll_baseILi256ESt5arrayIPcLm2EE23TrivialOffsetCalculatorILi1EjESG_NS9_15LoadWithoutCastENS9_16StoreWithoutCastELi8ELi1EEEEEvT0_T1_.has_indirect_call, 0
	.section	.AMDGPU.csdata,"",@progbits
; Function info:
; codeLenInByte = 15544
; TotalNumSgprs: 34
; NumVgprs: 56
; ScratchSize: 0
; MemoryBound: 0
	.text
	.p2align	2                               ; -- Begin function _ZN2at6native25elementwise_kernel_helperILb0EZZZNS0_20trigamma_kernel_cudaERNS_18TensorIteratorBaseEENKUlvE_clEvENKUlvE2_clEvEUlN3c108BFloat16EE_NS0_6memory8policies10vectorizedILi8ESt5arrayIPcLm2EELi8EEEEEvT0_T1_
	.type	_ZN2at6native25elementwise_kernel_helperILb0EZZZNS0_20trigamma_kernel_cudaERNS_18TensorIteratorBaseEENKUlvE_clEvENKUlvE2_clEvEUlN3c108BFloat16EE_NS0_6memory8policies10vectorizedILi8ESt5arrayIPcLm2EELi8EEEEEvT0_T1_,@function
_ZN2at6native25elementwise_kernel_helperILb0EZZZNS0_20trigamma_kernel_cudaERNS_18TensorIteratorBaseEENKUlvE_clEvENKUlvE2_clEvEUlN3c108BFloat16EE_NS0_6memory8policies10vectorizedILi8ESt5arrayIPcLm2EELi8EEEEEvT0_T1_: ; @_ZN2at6native25elementwise_kernel_helperILb0EZZZNS0_20trigamma_kernel_cudaERNS_18TensorIteratorBaseEENKUlvE_clEvENKUlvE2_clEvEUlN3c108BFloat16EE_NS0_6memory8policies10vectorizedILi8ESt5arrayIPcLm2EELi8EEEEEvT0_T1_
; %bb.0:
	s_waitcnt vmcnt(0) expcnt(0) lgkmcnt(0)
	s_lshl_b32 s4, s12, 11
	v_and_b32_e32 v4, 0x3ff, v31
	s_ashr_i32 s5, s4, 31
	v_mov_b32_e32 v14, 0
	s_lshl_b64 s[6:7], s[4:5], 1
	v_mov_b32_e32 v6, 1.0
	v_lshlrev_b32_e32 v10, 4, v4
	v_add_co_u32 v2, vcc_lo, v2, s6
	v_add_co_ci_u32_e64 v3, null, s7, v3, vcc_lo
	s_mov_b32 s8, exec_lo
	v_add_co_u32 v2, vcc_lo, v2, v10
	v_add_co_ci_u32_e64 v3, null, 0, v3, vcc_lo
	flat_load_dwordx4 v[2:5], v[2:3]
	s_waitcnt vmcnt(0) lgkmcnt(0)
	v_lshlrev_b32_e32 v11, 16, v2
	v_cmpx_gt_f32_e32 0.5, v11
	s_cbranch_execz .LBB69_6
; %bb.1:
	v_mul_f32_e32 v6, 0x40490fdb, v11
                                        ; implicit-def: $vgpr9
                                        ; implicit-def: $vgpr8
	s_mov_b32 s5, exec_lo
	v_and_b32_e32 v7, 0x7fffffff, v6
	v_cmpx_ngt_f32_e64 0x48000000, |v6|
	s_xor_b32 s9, exec_lo, s5
	s_cbranch_execz .LBB69_3
; %bb.2:
	s_mov_b32 s4, 0x7fffff
	v_mov_b32_e32 v13, 0
	v_and_or_b32 v20, v7, s4, 0x800000
	v_mad_u64_u32 v[8:9], null, 0xfe5163ab, v20, 0
	v_mov_b32_e32 v12, v9
	v_lshrrev_b32_e32 v9, 23, v7
	v_mad_u64_u32 v[14:15], null, 0x3c439041, v20, v[12:13]
	v_add_nc_u32_e32 v9, 0xffffff88, v9
	v_cmp_lt_u32_e32 vcc_lo, 63, v9
	v_mov_b32_e32 v12, v15
	v_cndmask_b32_e64 v19, 0, 0xffffffc0, vcc_lo
	v_mad_u64_u32 v[15:16], null, 0xdb629599, v20, v[12:13]
	v_add_nc_u32_e32 v9, v19, v9
	v_mov_b32_e32 v12, v16
	v_cmp_lt_u32_e64 s4, 31, v9
	v_cndmask_b32_e32 v8, v15, v8, vcc_lo
	v_mad_u64_u32 v[16:17], null, 0xf534ddc0, v20, v[12:13]
	v_cndmask_b32_e64 v21, 0, 0xffffffe0, s4
	v_add_nc_u32_e32 v9, v21, v9
	v_mov_b32_e32 v12, v17
	v_cndmask_b32_e32 v14, v16, v14, vcc_lo
	v_cmp_lt_u32_e64 s5, 31, v9
	v_mad_u64_u32 v[17:18], null, 0xfc2757d1, v20, v[12:13]
	v_cndmask_b32_e64 v8, v14, v8, s4
	v_mov_b32_e32 v12, v18
	v_mad_u64_u32 v[18:19], null, 0x4e441529, v20, v[12:13]
	v_mov_b32_e32 v12, v19
	v_cndmask_b32_e64 v19, 0, 0xffffffe0, s5
	v_mad_u64_u32 v[12:13], null, 0xa2f9836e, v20, v[12:13]
	v_cndmask_b32_e32 v20, v18, v16, vcc_lo
	v_add_nc_u32_e32 v9, v19, v9
	v_cndmask_b32_e32 v12, v12, v17, vcc_lo
	v_cndmask_b32_e32 v13, v13, v18, vcc_lo
	;; [unrolled: 1-line block ×3, first 2 shown]
	v_sub_nc_u32_e32 v18, 32, v9
	v_cmp_eq_u32_e32 vcc_lo, 0, v9
	v_cndmask_b32_e64 v16, v12, v20, s4
	v_cndmask_b32_e64 v12, v13, v12, s4
	;; [unrolled: 1-line block ×8, first 2 shown]
	v_alignbit_b32 v19, v12, v16, v18
	v_alignbit_b32 v15, v16, v13, v18
	v_alignbit_b32 v17, v13, v8, v18
	v_cndmask_b32_e32 v9, v19, v12, vcc_lo
	v_cndmask_b32_e32 v12, v15, v16, vcc_lo
	;; [unrolled: 1-line block ×3, first 2 shown]
	v_bfe_u32 v14, v9, 29, 1
	v_alignbit_b32 v15, v9, v12, 30
	v_alignbit_b32 v12, v12, v13, 30
	;; [unrolled: 1-line block ×3, first 2 shown]
	v_sub_nc_u32_e32 v16, 0, v14
	v_xor_b32_e32 v15, v15, v16
	v_xor_b32_e32 v12, v12, v16
	;; [unrolled: 1-line block ×3, first 2 shown]
	v_lshrrev_b32_e32 v16, 29, v9
	v_lshrrev_b32_e32 v9, 30, v9
	v_ffbh_u32_e32 v17, v15
	v_add_nc_u32_e32 v9, v14, v9
	v_min_u32_e32 v17, 32, v17
	v_sub_nc_u32_e32 v13, 31, v17
	v_lshlrev_b32_e32 v18, 23, v17
	v_alignbit_b32 v15, v15, v12, v13
	v_alignbit_b32 v8, v12, v8, v13
	v_lshlrev_b32_e32 v12, 31, v16
	v_alignbit_b32 v13, v15, v8, 9
	v_or_b32_e32 v16, 0.5, v12
	v_lshrrev_b32_e32 v15, 9, v15
	v_or_b32_e32 v12, 0x33000000, v12
	v_ffbh_u32_e32 v19, v13
	v_sub_nc_u32_e32 v16, v16, v18
	v_min_u32_e32 v18, 32, v19
	v_or_b32_e32 v15, v15, v16
	v_not_b32_e32 v16, v18
	v_mul_f32_e32 v19, 0x3fc90fda, v15
	v_add_lshl_u32 v17, v18, v17, 23
	v_alignbit_b32 v8, v13, v8, v16
	v_fma_f32 v13, 0x3fc90fda, v15, -v19
	v_sub_nc_u32_e32 v12, v12, v17
	v_lshrrev_b32_e32 v8, 9, v8
	v_fmamk_f32 v13, v15, 0x33a22168, v13
	v_or_b32_e32 v8, v12, v8
	v_fmac_f32_e32 v13, 0x3fc90fda, v8
	v_add_f32_e32 v8, v19, v13
.LBB69_3:
	s_andn2_saveexec_b32 s4, s9
; %bb.4:
	v_mul_f32_e64 v8, 0x3f22f983, |v6|
	v_rndne_f32_e32 v9, v8
	v_fma_f32 v8, 0xbfc90fda, v9, |v6|
	v_fmamk_f32 v8, v9, 0xb3a22168, v8
	v_fmamk_f32 v8, v9, 0xa7c234c4, v8
	v_cvt_i32_f32_e32 v9, v9
; %bb.5:
	s_or_b32 exec_lo, exec_lo, s4
	v_mul_f32_e32 v12, v8, v8
	s_mov_b32 s4, 0xb94c1982
	s_mov_b32 s5, 0x37d75334
	v_and_b32_e32 v15, 1, v9
	v_lshlrev_b32_e32 v9, 30, v9
	v_fmaak_f32 v13, s4, v12, 0x3c0881c4
	v_fmaak_f32 v14, s5, v12, 0xbab64f3b
	v_xor_b32_e32 v7, v7, v6
	v_cmp_eq_u32_e32 vcc_lo, 0, v15
	v_and_b32_e32 v9, 0x80000000, v9
	v_fmaak_f32 v13, v12, v13, 0xbe2aaa9d
	v_fmaak_f32 v14, v12, v14, 0x3d2aabf7
	v_sub_f32_e32 v11, 1.0, v11
	v_mul_f32_e32 v13, v12, v13
	v_fmaak_f32 v14, v12, v14, 0xbf000004
	v_fmac_f32_e32 v8, v8, v13
	v_fma_f32 v12, v12, v14, 1.0
	v_cndmask_b32_e32 v8, v12, v8, vcc_lo
	v_cmp_class_f32_e64 vcc_lo, v6, 0x1f8
	v_xor3_b32 v7, v7, v9, v8
	v_cndmask_b32_e32 v6, 0x7fc00000, v7, vcc_lo
	v_mul_f32_e32 v6, v6, v6
	v_div_scale_f32 v7, null, v6, v6, 0xc11de9e7
	v_div_scale_f32 v12, vcc_lo, 0xc11de9e7, v6, 0xc11de9e7
	v_rcp_f32_e32 v8, v7
	v_fma_f32 v9, -v7, v8, 1.0
	v_fmac_f32_e32 v8, v9, v8
	v_mul_f32_e32 v9, v12, v8
	v_fma_f32 v13, -v7, v9, v12
	v_fmac_f32_e32 v9, v13, v8
	v_fma_f32 v7, -v7, v9, v12
	v_div_fmas_f32 v7, v7, v8, v9
	v_div_fixup_f32 v6, v7, v6, 0xc11de9e7
	v_add_f32_e32 v14, 0, v6
	v_mov_b32_e32 v6, -1.0
.LBB69_6:
	s_or_b32 exec_lo, exec_lo, s8
	v_and_b32_e32 v16, 0xffff0000, v2
	v_mov_b32_e32 v19, 0
	v_mov_b32_e32 v8, 1.0
	s_mov_b32 s8, exec_lo
	v_cmpx_gt_f32_e32 0.5, v16
	s_cbranch_execz .LBB69_12
; %bb.7:
	v_mul_f32_e32 v2, 0x40490fdb, v16
                                        ; implicit-def: $vgpr9
                                        ; implicit-def: $vgpr8
	s_mov_b32 s5, exec_lo
	v_and_b32_e32 v7, 0x7fffffff, v2
	v_cmpx_ngt_f32_e64 0x48000000, |v2|
	s_xor_b32 s9, exec_lo, s5
	s_cbranch_execz .LBB69_9
; %bb.8:
	s_mov_b32 s4, 0x7fffff
	v_mov_b32_e32 v13, 0
	v_and_or_b32 v15, v7, s4, 0x800000
	v_mad_u64_u32 v[8:9], null, 0xfe5163ab, v15, 0
	v_mov_b32_e32 v12, v9
	v_lshrrev_b32_e32 v9, 23, v7
	v_mad_u64_u32 v[17:18], null, 0x3c439041, v15, v[12:13]
	v_add_nc_u32_e32 v9, 0xffffff88, v9
	v_cmp_lt_u32_e32 vcc_lo, 63, v9
	v_mov_b32_e32 v12, v18
	v_cndmask_b32_e64 v22, 0, 0xffffffc0, vcc_lo
	v_mad_u64_u32 v[18:19], null, 0xdb629599, v15, v[12:13]
	v_add_nc_u32_e32 v9, v22, v9
	v_mov_b32_e32 v12, v19
	v_cmp_lt_u32_e64 s4, 31, v9
	v_cndmask_b32_e32 v8, v18, v8, vcc_lo
	v_mad_u64_u32 v[19:20], null, 0xf534ddc0, v15, v[12:13]
	v_cndmask_b32_e64 v23, 0, 0xffffffe0, s4
	v_add_nc_u32_e32 v9, v23, v9
	v_mov_b32_e32 v12, v20
	v_cmp_lt_u32_e64 s5, 31, v9
	v_mad_u64_u32 v[20:21], null, 0xfc2757d1, v15, v[12:13]
	v_mov_b32_e32 v12, v21
	v_mad_u64_u32 v[21:22], null, 0x4e441529, v15, v[12:13]
	v_mov_b32_e32 v12, v22
	v_cndmask_b32_e32 v22, v21, v19, vcc_lo
	v_mad_u64_u32 v[12:13], null, 0xa2f9836e, v15, v[12:13]
	v_cndmask_b32_e64 v15, 0, 0xffffffe0, s5
	v_add_nc_u32_e32 v9, v15, v9
	v_cndmask_b32_e32 v12, v12, v20, vcc_lo
	v_cndmask_b32_e32 v13, v13, v21, vcc_lo
	;; [unrolled: 1-line block ×4, first 2 shown]
	v_sub_nc_u32_e32 v19, 32, v9
	v_cndmask_b32_e64 v17, v12, v22, s4
	v_cndmask_b32_e64 v12, v13, v12, s4
	;; [unrolled: 1-line block ×4, first 2 shown]
	v_cmp_eq_u32_e32 vcc_lo, 0, v9
	v_cndmask_b32_e64 v8, v15, v8, s4
	v_cndmask_b32_e64 v12, v12, v17, s5
	;; [unrolled: 1-line block ×5, first 2 shown]
	v_alignbit_b32 v21, v12, v17, v19
	v_alignbit_b32 v18, v17, v13, v19
	;; [unrolled: 1-line block ×3, first 2 shown]
	v_cndmask_b32_e32 v9, v21, v12, vcc_lo
	v_cndmask_b32_e32 v12, v18, v17, vcc_lo
	;; [unrolled: 1-line block ×3, first 2 shown]
	v_bfe_u32 v15, v9, 29, 1
	v_alignbit_b32 v17, v9, v12, 30
	v_alignbit_b32 v12, v12, v13, 30
	;; [unrolled: 1-line block ×3, first 2 shown]
	v_sub_nc_u32_e32 v18, 0, v15
	v_xor_b32_e32 v17, v17, v18
	v_xor_b32_e32 v12, v12, v18
	;; [unrolled: 1-line block ×3, first 2 shown]
	v_lshrrev_b32_e32 v18, 29, v9
	v_lshrrev_b32_e32 v9, 30, v9
	v_ffbh_u32_e32 v19, v17
	v_add_nc_u32_e32 v9, v15, v9
	v_min_u32_e32 v19, 32, v19
	v_sub_nc_u32_e32 v13, 31, v19
	v_lshlrev_b32_e32 v20, 23, v19
	v_alignbit_b32 v17, v17, v12, v13
	v_alignbit_b32 v8, v12, v8, v13
	v_lshlrev_b32_e32 v12, 31, v18
	v_alignbit_b32 v13, v17, v8, 9
	v_or_b32_e32 v18, 0.5, v12
	v_lshrrev_b32_e32 v17, 9, v17
	v_or_b32_e32 v12, 0x33000000, v12
	v_ffbh_u32_e32 v21, v13
	v_sub_nc_u32_e32 v18, v18, v20
	v_min_u32_e32 v20, 32, v21
	v_or_b32_e32 v17, v17, v18
	v_not_b32_e32 v18, v20
	v_mul_f32_e32 v21, 0x3fc90fda, v17
	v_add_lshl_u32 v19, v20, v19, 23
	v_alignbit_b32 v8, v13, v8, v18
	v_fma_f32 v13, 0x3fc90fda, v17, -v21
	v_sub_nc_u32_e32 v12, v12, v19
	v_lshrrev_b32_e32 v8, 9, v8
	v_fmamk_f32 v13, v17, 0x33a22168, v13
	v_or_b32_e32 v8, v12, v8
	v_fmac_f32_e32 v13, 0x3fc90fda, v8
	v_add_f32_e32 v8, v21, v13
.LBB69_9:
	s_andn2_saveexec_b32 s4, s9
; %bb.10:
	v_mul_f32_e64 v8, 0x3f22f983, |v2|
	v_rndne_f32_e32 v9, v8
	v_fma_f32 v8, 0xbfc90fda, v9, |v2|
	v_fmamk_f32 v8, v9, 0xb3a22168, v8
	v_fmamk_f32 v8, v9, 0xa7c234c4, v8
	v_cvt_i32_f32_e32 v9, v9
; %bb.11:
	s_or_b32 exec_lo, exec_lo, s4
	v_mul_f32_e32 v12, v8, v8
	s_mov_b32 s4, 0xb94c1982
	s_mov_b32 s5, 0x37d75334
	v_and_b32_e32 v17, 1, v9
	v_lshlrev_b32_e32 v9, 30, v9
	v_fmaak_f32 v13, s4, v12, 0x3c0881c4
	v_fmaak_f32 v15, s5, v12, 0xbab64f3b
	v_xor_b32_e32 v7, v7, v2
	v_cmp_eq_u32_e32 vcc_lo, 0, v17
	v_and_b32_e32 v9, 0x80000000, v9
	v_fmaak_f32 v13, v12, v13, 0xbe2aaa9d
	v_fmaak_f32 v15, v12, v15, 0x3d2aabf7
	v_sub_f32_e32 v16, 1.0, v16
	v_mul_f32_e32 v13, v12, v13
	v_fmaak_f32 v15, v12, v15, 0xbf000004
	v_fmac_f32_e32 v8, v8, v13
	v_fma_f32 v12, v12, v15, 1.0
	v_cndmask_b32_e32 v8, v12, v8, vcc_lo
	v_cmp_class_f32_e64 vcc_lo, v2, 0x1f8
	v_xor3_b32 v7, v7, v9, v8
	v_cndmask_b32_e32 v2, 0x7fc00000, v7, vcc_lo
	v_mul_f32_e32 v2, v2, v2
	v_div_scale_f32 v7, null, v2, v2, 0xc11de9e7
	v_div_scale_f32 v12, vcc_lo, 0xc11de9e7, v2, 0xc11de9e7
	v_rcp_f32_e32 v8, v7
	v_fma_f32 v9, -v7, v8, 1.0
	v_fmac_f32_e32 v8, v9, v8
	v_mul_f32_e32 v9, v12, v8
	v_fma_f32 v13, -v7, v9, v12
	v_fmac_f32_e32 v9, v13, v8
	v_fma_f32 v7, -v7, v9, v12
	v_div_fmas_f32 v7, v7, v8, v9
	v_mov_b32_e32 v8, -1.0
	v_div_fixup_f32 v2, v7, v2, 0xc11de9e7
	v_add_f32_e32 v19, 0, v2
.LBB69_12:
	s_or_b32 exec_lo, exec_lo, s8
	v_lshlrev_b32_e32 v21, 16, v3
	v_mov_b32_e32 v12, 0
	v_mov_b32_e32 v2, 1.0
	s_mov_b32 s8, exec_lo
	v_cmpx_gt_f32_e32 0.5, v21
	s_cbranch_execz .LBB69_18
; %bb.13:
	v_mul_f32_e32 v2, 0x40490fdb, v21
                                        ; implicit-def: $vgpr12
                                        ; implicit-def: $vgpr9
	s_mov_b32 s5, exec_lo
	v_and_b32_e32 v7, 0x7fffffff, v2
	v_cmpx_ngt_f32_e64 0x48000000, |v2|
	s_xor_b32 s9, exec_lo, s5
	s_cbranch_execz .LBB69_15
; %bb.14:
	s_mov_b32 s4, 0x7fffff
	v_mov_b32_e32 v18, 0
	v_and_or_b32 v9, v7, s4, 0x800000
	v_mad_u64_u32 v[12:13], null, 0xfe5163ab, v9, 0
	v_mov_b32_e32 v17, v13
	v_lshrrev_b32_e32 v13, 23, v7
	v_mad_u64_u32 v[22:23], null, 0x3c439041, v9, v[17:18]
	v_add_nc_u32_e32 v13, 0xffffff88, v13
	v_cmp_lt_u32_e32 vcc_lo, 63, v13
	v_mov_b32_e32 v17, v23
	v_cndmask_b32_e64 v15, 0, 0xffffffc0, vcc_lo
	v_mad_u64_u32 v[23:24], null, 0xdb629599, v9, v[17:18]
	v_add_nc_u32_e32 v13, v15, v13
	v_mov_b32_e32 v17, v24
	v_cmp_lt_u32_e64 s4, 31, v13
	v_cndmask_b32_e32 v12, v23, v12, vcc_lo
	v_mad_u64_u32 v[24:25], null, 0xf534ddc0, v9, v[17:18]
	v_cndmask_b32_e64 v15, 0, 0xffffffe0, s4
	v_add_nc_u32_e32 v13, v15, v13
	v_mov_b32_e32 v17, v25
	v_cmp_lt_u32_e64 s5, 31, v13
	v_mad_u64_u32 v[25:26], null, 0xfc2757d1, v9, v[17:18]
	v_mov_b32_e32 v17, v26
	v_cndmask_b32_e32 v20, v25, v23, vcc_lo
	v_mad_u64_u32 v[26:27], null, 0x4e441529, v9, v[17:18]
	v_mov_b32_e32 v17, v27
	v_cndmask_b32_e32 v15, v26, v24, vcc_lo
	v_mad_u64_u32 v[17:18], null, 0xa2f9836e, v9, v[17:18]
	v_cndmask_b32_e64 v9, 0, 0xffffffe0, s5
	v_add_nc_u32_e32 v9, v9, v13
	v_cndmask_b32_e32 v17, v17, v25, vcc_lo
	v_cndmask_b32_e32 v18, v18, v26, vcc_lo
	;; [unrolled: 1-line block ×3, first 2 shown]
	v_cmp_eq_u32_e32 vcc_lo, 0, v9
	v_cndmask_b32_e64 v22, v17, v15, s4
	v_cndmask_b32_e64 v17, v18, v17, s4
	;; [unrolled: 1-line block ×3, first 2 shown]
	v_sub_nc_u32_e32 v18, 32, v9
	v_cndmask_b32_e64 v20, v20, v13, s4
	v_cndmask_b32_e64 v12, v13, v12, s4
	;; [unrolled: 1-line block ×6, first 2 shown]
	v_alignbit_b32 v24, v17, v22, v18
	v_alignbit_b32 v23, v22, v15, v18
	v_alignbit_b32 v18, v15, v12, v18
	v_cndmask_b32_e32 v9, v24, v17, vcc_lo
	v_cndmask_b32_e32 v13, v23, v22, vcc_lo
	;; [unrolled: 1-line block ×3, first 2 shown]
	v_bfe_u32 v17, v9, 29, 1
	v_alignbit_b32 v20, v9, v13, 30
	v_alignbit_b32 v13, v13, v15, 30
	;; [unrolled: 1-line block ×3, first 2 shown]
	v_sub_nc_u32_e32 v22, 0, v17
	v_xor_b32_e32 v20, v20, v22
	v_xor_b32_e32 v13, v13, v22
	v_xor_b32_e32 v12, v12, v22
	v_lshrrev_b32_e32 v22, 29, v9
	v_ffbh_u32_e32 v18, v20
	v_min_u32_e32 v18, 32, v18
	v_sub_nc_u32_e32 v15, 31, v18
	v_lshlrev_b32_e32 v23, 23, v18
	v_alignbit_b32 v20, v20, v13, v15
	v_alignbit_b32 v12, v13, v12, v15
	v_lshlrev_b32_e32 v13, 31, v22
	v_alignbit_b32 v15, v20, v12, 9
	v_or_b32_e32 v22, 0.5, v13
	v_lshrrev_b32_e32 v20, 9, v20
	v_or_b32_e32 v13, 0x33000000, v13
	v_ffbh_u32_e32 v24, v15
	v_sub_nc_u32_e32 v22, v22, v23
	v_min_u32_e32 v23, 32, v24
	v_or_b32_e32 v20, v20, v22
	v_not_b32_e32 v22, v23
	v_mul_f32_e32 v24, 0x3fc90fda, v20
	v_add_lshl_u32 v18, v23, v18, 23
	v_alignbit_b32 v12, v15, v12, v22
	v_fma_f32 v15, 0x3fc90fda, v20, -v24
	v_sub_nc_u32_e32 v13, v13, v18
	v_lshrrev_b32_e32 v12, 9, v12
	v_fmamk_f32 v15, v20, 0x33a22168, v15
	v_or_b32_e32 v12, v13, v12
	v_fmac_f32_e32 v15, 0x3fc90fda, v12
	v_lshrrev_b32_e32 v12, 30, v9
	v_add_f32_e32 v9, v24, v15
	v_add_nc_u32_e32 v12, v17, v12
.LBB69_15:
	s_andn2_saveexec_b32 s4, s9
; %bb.16:
	v_mul_f32_e64 v9, 0x3f22f983, |v2|
	v_rndne_f32_e32 v12, v9
	v_fma_f32 v9, 0xbfc90fda, v12, |v2|
	v_fmamk_f32 v9, v12, 0xb3a22168, v9
	v_fmamk_f32 v9, v12, 0xa7c234c4, v9
	v_cvt_i32_f32_e32 v12, v12
; %bb.17:
	s_or_b32 exec_lo, exec_lo, s4
	v_mul_f32_e32 v13, v9, v9
	s_mov_b32 s4, 0xb94c1982
	s_mov_b32 s5, 0x37d75334
	v_and_b32_e32 v18, 1, v12
	v_lshlrev_b32_e32 v12, 30, v12
	v_fmaak_f32 v15, s4, v13, 0x3c0881c4
	v_fmaak_f32 v17, s5, v13, 0xbab64f3b
	v_xor_b32_e32 v7, v7, v2
	v_cmp_eq_u32_e32 vcc_lo, 0, v18
	v_and_b32_e32 v12, 0x80000000, v12
	v_fmaak_f32 v15, v13, v15, 0xbe2aaa9d
	v_fmaak_f32 v17, v13, v17, 0x3d2aabf7
	v_sub_f32_e32 v21, 1.0, v21
	v_mul_f32_e32 v15, v13, v15
	v_fmaak_f32 v17, v13, v17, 0xbf000004
	v_fmac_f32_e32 v9, v9, v15
	v_fma_f32 v13, v13, v17, 1.0
	v_cndmask_b32_e32 v9, v13, v9, vcc_lo
	v_cmp_class_f32_e64 vcc_lo, v2, 0x1f8
	v_xor3_b32 v7, v7, v12, v9
	v_cndmask_b32_e32 v2, 0x7fc00000, v7, vcc_lo
	v_mul_f32_e32 v2, v2, v2
	v_div_scale_f32 v7, null, v2, v2, 0xc11de9e7
	v_div_scale_f32 v13, vcc_lo, 0xc11de9e7, v2, 0xc11de9e7
	v_rcp_f32_e32 v9, v7
	v_fma_f32 v12, -v7, v9, 1.0
	v_fmac_f32_e32 v9, v12, v9
	v_mul_f32_e32 v12, v13, v9
	v_fma_f32 v15, -v7, v12, v13
	v_fmac_f32_e32 v12, v15, v9
	v_fma_f32 v7, -v7, v12, v13
	v_div_fmas_f32 v7, v7, v9, v12
	v_div_fixup_f32 v2, v7, v2, 0xc11de9e7
	v_add_f32_e32 v12, 0, v2
	v_mov_b32_e32 v2, -1.0
.LBB69_18:
	s_or_b32 exec_lo, exec_lo, s8
	v_and_b32_e32 v24, 0xffff0000, v3
	v_mov_b32_e32 v18, 0
	v_mov_b32_e32 v9, 1.0
	s_mov_b32 s8, exec_lo
	v_cmpx_gt_f32_e32 0.5, v24
	s_cbranch_execz .LBB69_24
; %bb.19:
	v_mul_f32_e32 v3, 0x40490fdb, v24
                                        ; implicit-def: $vgpr13
                                        ; implicit-def: $vgpr9
	s_mov_b32 s5, exec_lo
	v_and_b32_e32 v7, 0x7fffffff, v3
	v_cmpx_ngt_f32_e64 0x48000000, |v3|
	s_xor_b32 s9, exec_lo, s5
	s_cbranch_execz .LBB69_21
; %bb.20:
	s_mov_b32 s4, 0x7fffff
	v_mov_b32_e32 v23, 0
	v_and_or_b32 v9, v7, s4, 0x800000
	v_lshrrev_b32_e32 v13, 23, v7
	v_mad_u64_u32 v[17:18], null, 0xfe5163ab, v9, 0
	v_add_nc_u32_e32 v13, 0xffffff88, v13
	v_cmp_lt_u32_e32 vcc_lo, 63, v13
	v_mov_b32_e32 v22, v18
	v_cndmask_b32_e64 v15, 0, 0xffffffc0, vcc_lo
	v_mad_u64_u32 v[25:26], null, 0x3c439041, v9, v[22:23]
	v_add_nc_u32_e32 v13, v15, v13
	v_mov_b32_e32 v22, v26
	v_cmp_lt_u32_e64 s4, 31, v13
	v_mad_u64_u32 v[26:27], null, 0xdb629599, v9, v[22:23]
	v_cndmask_b32_e64 v15, 0, 0xffffffe0, s4
	v_add_nc_u32_e32 v13, v15, v13
	v_mov_b32_e32 v22, v27
	v_cndmask_b32_e32 v17, v26, v17, vcc_lo
	v_cmp_lt_u32_e64 s5, 31, v13
	v_mad_u64_u32 v[27:28], null, 0xf534ddc0, v9, v[22:23]
	v_mov_b32_e32 v22, v28
	v_mad_u64_u32 v[28:29], null, 0xfc2757d1, v9, v[22:23]
	v_mov_b32_e32 v22, v29
	;; [unrolled: 2-line block ×3, first 2 shown]
	v_cndmask_b32_e32 v15, v29, v27, vcc_lo
	v_mad_u64_u32 v[22:23], null, 0xa2f9836e, v9, v[22:23]
	v_cndmask_b32_e64 v9, 0, 0xffffffe0, s5
	v_add_nc_u32_e32 v9, v9, v13
	v_cndmask_b32_e32 v18, v22, v28, vcc_lo
	v_cndmask_b32_e32 v20, v23, v29, vcc_lo
	;; [unrolled: 1-line block ×4, first 2 shown]
	v_cmp_eq_u32_e32 vcc_lo, 0, v9
	v_cndmask_b32_e64 v23, v18, v15, s4
	v_cndmask_b32_e64 v18, v20, v18, s4
	;; [unrolled: 1-line block ×3, first 2 shown]
	v_sub_nc_u32_e32 v20, 32, v9
	v_cndmask_b32_e64 v22, v22, v13, s4
	v_cndmask_b32_e64 v13, v13, v17, s4
	;; [unrolled: 1-line block ×6, first 2 shown]
	v_alignbit_b32 v25, v18, v23, v20
	v_alignbit_b32 v26, v23, v15, v20
	;; [unrolled: 1-line block ×3, first 2 shown]
	v_cndmask_b32_e32 v9, v25, v18, vcc_lo
	v_cndmask_b32_e32 v17, v26, v23, vcc_lo
	;; [unrolled: 1-line block ×3, first 2 shown]
	v_bfe_u32 v18, v9, 29, 1
	v_alignbit_b32 v22, v9, v17, 30
	v_alignbit_b32 v17, v17, v15, 30
	;; [unrolled: 1-line block ×3, first 2 shown]
	v_sub_nc_u32_e32 v23, 0, v18
	v_xor_b32_e32 v22, v22, v23
	v_xor_b32_e32 v15, v17, v23
	;; [unrolled: 1-line block ×3, first 2 shown]
	v_lshrrev_b32_e32 v23, 29, v9
	v_ffbh_u32_e32 v20, v22
	v_min_u32_e32 v20, 32, v20
	v_sub_nc_u32_e32 v17, 31, v20
	v_lshlrev_b32_e32 v25, 23, v20
	v_alignbit_b32 v22, v22, v15, v17
	v_alignbit_b32 v13, v15, v13, v17
	v_lshlrev_b32_e32 v15, 31, v23
	v_alignbit_b32 v17, v22, v13, 9
	v_or_b32_e32 v23, 0.5, v15
	v_lshrrev_b32_e32 v22, 9, v22
	v_or_b32_e32 v15, 0x33000000, v15
	v_ffbh_u32_e32 v26, v17
	v_sub_nc_u32_e32 v23, v23, v25
	v_min_u32_e32 v25, 32, v26
	v_or_b32_e32 v22, v22, v23
	v_not_b32_e32 v23, v25
	v_mul_f32_e32 v26, 0x3fc90fda, v22
	v_add_lshl_u32 v20, v25, v20, 23
	v_alignbit_b32 v13, v17, v13, v23
	v_fma_f32 v17, 0x3fc90fda, v22, -v26
	v_sub_nc_u32_e32 v15, v15, v20
	v_lshrrev_b32_e32 v13, 9, v13
	v_fmamk_f32 v17, v22, 0x33a22168, v17
	v_or_b32_e32 v13, v15, v13
	v_fmac_f32_e32 v17, 0x3fc90fda, v13
	v_lshrrev_b32_e32 v13, 30, v9
	v_add_f32_e32 v9, v26, v17
	v_add_nc_u32_e32 v13, v18, v13
.LBB69_21:
	s_andn2_saveexec_b32 s4, s9
; %bb.22:
	v_mul_f32_e64 v9, 0x3f22f983, |v3|
	v_rndne_f32_e32 v13, v9
	v_fma_f32 v9, 0xbfc90fda, v13, |v3|
	v_fmamk_f32 v9, v13, 0xb3a22168, v9
	v_fmamk_f32 v9, v13, 0xa7c234c4, v9
	v_cvt_i32_f32_e32 v13, v13
; %bb.23:
	s_or_b32 exec_lo, exec_lo, s4
	v_mul_f32_e32 v15, v9, v9
	s_mov_b32 s4, 0xb94c1982
	s_mov_b32 s5, 0x37d75334
	v_and_b32_e32 v20, 1, v13
	v_lshlrev_b32_e32 v13, 30, v13
	v_fmaak_f32 v17, s4, v15, 0x3c0881c4
	v_fmaak_f32 v18, s5, v15, 0xbab64f3b
	v_xor_b32_e32 v7, v7, v3
	v_cmp_eq_u32_e32 vcc_lo, 0, v20
	v_and_b32_e32 v13, 0x80000000, v13
	v_fmaak_f32 v17, v15, v17, 0xbe2aaa9d
	v_fmaak_f32 v18, v15, v18, 0x3d2aabf7
	v_sub_f32_e32 v24, 1.0, v24
	v_mul_f32_e32 v17, v15, v17
	v_fmaak_f32 v18, v15, v18, 0xbf000004
	v_fmac_f32_e32 v9, v9, v17
	v_fma_f32 v15, v15, v18, 1.0
	v_cndmask_b32_e32 v9, v15, v9, vcc_lo
	v_cmp_class_f32_e64 vcc_lo, v3, 0x1f8
	v_xor3_b32 v7, v7, v13, v9
	v_cndmask_b32_e32 v3, 0x7fc00000, v7, vcc_lo
	v_mul_f32_e32 v3, v3, v3
	v_div_scale_f32 v7, null, v3, v3, 0xc11de9e7
	v_div_scale_f32 v15, vcc_lo, 0xc11de9e7, v3, 0xc11de9e7
	v_rcp_f32_e32 v9, v7
	v_fma_f32 v13, -v7, v9, 1.0
	v_fmac_f32_e32 v9, v13, v9
	v_mul_f32_e32 v13, v15, v9
	v_fma_f32 v17, -v7, v13, v15
	v_fmac_f32_e32 v13, v17, v9
	v_fma_f32 v7, -v7, v13, v15
	v_div_fmas_f32 v7, v7, v9, v13
	v_mov_b32_e32 v9, -1.0
	v_div_fixup_f32 v3, v7, v3, 0xc11de9e7
	v_add_f32_e32 v18, 0, v3
.LBB69_24:
	s_or_b32 exec_lo, exec_lo, s8
	v_lshlrev_b32_e32 v27, 16, v4
	v_mov_b32_e32 v15, 0
	v_mov_b32_e32 v7, 1.0
	s_mov_b32 s8, exec_lo
	v_cmpx_gt_f32_e32 0.5, v27
	s_cbranch_execz .LBB69_30
; %bb.25:
	v_mul_f32_e32 v3, 0x40490fdb, v27
                                        ; implicit-def: $vgpr15
                                        ; implicit-def: $vgpr13
	s_mov_b32 s5, exec_lo
	v_and_b32_e32 v7, 0x7fffffff, v3
	v_cmpx_ngt_f32_e64 0x48000000, |v3|
	s_xor_b32 s9, exec_lo, s5
	s_cbranch_execz .LBB69_27
; %bb.26:
	s_mov_b32 s4, 0x7fffff
	v_mov_b32_e32 v26, 0
	v_and_or_b32 v13, v7, s4, 0x800000
	v_lshrrev_b32_e32 v15, 23, v7
	v_mad_u64_u32 v[22:23], null, 0xfe5163ab, v13, 0
	v_add_nc_u32_e32 v15, 0xffffff88, v15
	v_cmp_lt_u32_e32 vcc_lo, 63, v15
	v_mov_b32_e32 v25, v23
	v_cndmask_b32_e64 v17, 0, 0xffffffc0, vcc_lo
	v_mad_u64_u32 v[28:29], null, 0x3c439041, v13, v[25:26]
	v_add_nc_u32_e32 v15, v17, v15
	v_mov_b32_e32 v25, v29
	v_cmp_lt_u32_e64 s4, 31, v15
	v_mad_u64_u32 v[29:30], null, 0xdb629599, v13, v[25:26]
	v_cndmask_b32_e64 v17, 0, 0xffffffe0, s4
	v_add_nc_u32_e32 v15, v17, v15
	v_mov_b32_e32 v25, v30
	v_cndmask_b32_e32 v22, v29, v22, vcc_lo
	v_cmp_lt_u32_e64 s5, 31, v15
	v_mad_u64_u32 v[30:31], null, 0xf534ddc0, v13, v[25:26]
	v_mov_b32_e32 v25, v31
	v_mad_u64_u32 v[31:32], null, 0xfc2757d1, v13, v[25:26]
	v_mov_b32_e32 v25, v32
	v_mad_u64_u32 v[32:33], null, 0x4e441529, v13, v[25:26]
	v_mov_b32_e32 v25, v33
	v_cndmask_b32_e32 v17, v32, v30, vcc_lo
	v_mad_u64_u32 v[25:26], null, 0xa2f9836e, v13, v[25:26]
	v_cndmask_b32_e64 v13, 0, 0xffffffe0, s5
	v_add_nc_u32_e32 v13, v13, v15
	v_cndmask_b32_e32 v20, v25, v31, vcc_lo
	v_cndmask_b32_e32 v23, v26, v32, vcc_lo
	;; [unrolled: 1-line block ×4, first 2 shown]
	v_cmp_eq_u32_e32 vcc_lo, 0, v13
	v_cndmask_b32_e64 v26, v20, v17, s4
	v_cndmask_b32_e64 v20, v23, v20, s4
	;; [unrolled: 1-line block ×3, first 2 shown]
	v_sub_nc_u32_e32 v23, 32, v13
	v_cndmask_b32_e64 v25, v25, v15, s4
	v_cndmask_b32_e64 v15, v15, v22, s4
	v_cndmask_b32_e64 v20, v20, v26, s5
	v_cndmask_b32_e64 v26, v26, v17, s5
	v_cndmask_b32_e64 v17, v17, v25, s5
	v_cndmask_b32_e64 v15, v25, v15, s5
	v_alignbit_b32 v28, v20, v26, v23
	v_alignbit_b32 v29, v26, v17, v23
	;; [unrolled: 1-line block ×3, first 2 shown]
	v_cndmask_b32_e32 v13, v28, v20, vcc_lo
	v_cndmask_b32_e32 v20, v29, v26, vcc_lo
	;; [unrolled: 1-line block ×3, first 2 shown]
	v_bfe_u32 v22, v13, 29, 1
	v_alignbit_b32 v25, v13, v20, 30
	v_alignbit_b32 v20, v20, v17, 30
	;; [unrolled: 1-line block ×3, first 2 shown]
	v_sub_nc_u32_e32 v26, 0, v22
	v_xor_b32_e32 v25, v25, v26
	v_xor_b32_e32 v17, v20, v26
	;; [unrolled: 1-line block ×3, first 2 shown]
	v_lshrrev_b32_e32 v26, 29, v13
	v_ffbh_u32_e32 v23, v25
	v_min_u32_e32 v23, 32, v23
	v_sub_nc_u32_e32 v20, 31, v23
	v_lshlrev_b32_e32 v28, 23, v23
	v_alignbit_b32 v25, v25, v17, v20
	v_alignbit_b32 v15, v17, v15, v20
	v_lshlrev_b32_e32 v17, 31, v26
	v_alignbit_b32 v20, v25, v15, 9
	v_or_b32_e32 v26, 0.5, v17
	v_lshrrev_b32_e32 v25, 9, v25
	v_or_b32_e32 v17, 0x33000000, v17
	v_ffbh_u32_e32 v29, v20
	v_sub_nc_u32_e32 v26, v26, v28
	v_min_u32_e32 v28, 32, v29
	v_or_b32_e32 v25, v25, v26
	v_not_b32_e32 v26, v28
	v_mul_f32_e32 v29, 0x3fc90fda, v25
	v_add_lshl_u32 v23, v28, v23, 23
	v_alignbit_b32 v15, v20, v15, v26
	v_fma_f32 v20, 0x3fc90fda, v25, -v29
	v_sub_nc_u32_e32 v17, v17, v23
	v_lshrrev_b32_e32 v15, 9, v15
	v_fmamk_f32 v20, v25, 0x33a22168, v20
	v_or_b32_e32 v15, v17, v15
	v_fmac_f32_e32 v20, 0x3fc90fda, v15
	v_lshrrev_b32_e32 v15, 30, v13
	v_add_f32_e32 v13, v29, v20
	v_add_nc_u32_e32 v15, v22, v15
.LBB69_27:
	s_andn2_saveexec_b32 s4, s9
; %bb.28:
	v_mul_f32_e64 v13, 0x3f22f983, |v3|
	v_rndne_f32_e32 v15, v13
	v_fma_f32 v13, 0xbfc90fda, v15, |v3|
	v_fmamk_f32 v13, v15, 0xb3a22168, v13
	v_fmamk_f32 v13, v15, 0xa7c234c4, v13
	v_cvt_i32_f32_e32 v15, v15
; %bb.29:
	s_or_b32 exec_lo, exec_lo, s4
	v_mul_f32_e32 v17, v13, v13
	s_mov_b32 s4, 0xb94c1982
	s_mov_b32 s5, 0x37d75334
	v_and_b32_e32 v23, 1, v15
	v_lshlrev_b32_e32 v15, 30, v15
	v_fmaak_f32 v20, s4, v17, 0x3c0881c4
	v_fmaak_f32 v22, s5, v17, 0xbab64f3b
	v_xor_b32_e32 v7, v7, v3
	v_cmp_eq_u32_e32 vcc_lo, 0, v23
	v_and_b32_e32 v15, 0x80000000, v15
	v_fmaak_f32 v20, v17, v20, 0xbe2aaa9d
	v_fmaak_f32 v22, v17, v22, 0x3d2aabf7
	v_sub_f32_e32 v27, 1.0, v27
	v_mul_f32_e32 v20, v17, v20
	v_fmaak_f32 v22, v17, v22, 0xbf000004
	v_fmac_f32_e32 v13, v13, v20
	v_fma_f32 v17, v17, v22, 1.0
	v_cndmask_b32_e32 v13, v17, v13, vcc_lo
	v_cmp_class_f32_e64 vcc_lo, v3, 0x1f8
	v_xor3_b32 v7, v7, v15, v13
	v_cndmask_b32_e32 v3, 0x7fc00000, v7, vcc_lo
	v_mul_f32_e32 v3, v3, v3
	v_div_scale_f32 v7, null, v3, v3, 0xc11de9e7
	v_div_scale_f32 v17, vcc_lo, 0xc11de9e7, v3, 0xc11de9e7
	v_rcp_f32_e32 v13, v7
	v_fma_f32 v15, -v7, v13, 1.0
	v_fmac_f32_e32 v13, v15, v13
	v_mul_f32_e32 v15, v17, v13
	v_fma_f32 v20, -v7, v15, v17
	v_fmac_f32_e32 v15, v20, v13
	v_fma_f32 v7, -v7, v15, v17
	v_div_fmas_f32 v7, v7, v13, v15
	v_div_fixup_f32 v3, v7, v3, 0xc11de9e7
	v_mov_b32_e32 v7, -1.0
	v_add_f32_e32 v15, 0, v3
.LBB69_30:
	s_or_b32 exec_lo, exec_lo, s8
	v_and_b32_e32 v25, 0xffff0000, v4
	v_mov_b32_e32 v20, 0
	v_mov_b32_e32 v13, 1.0
	s_mov_b32 s8, exec_lo
	v_cmpx_gt_f32_e32 0.5, v25
	s_cbranch_execz .LBB69_36
; %bb.31:
	v_mul_f32_e32 v3, 0x40490fdb, v25
                                        ; implicit-def: $vgpr17
                                        ; implicit-def: $vgpr13
	s_mov_b32 s5, exec_lo
	v_and_b32_e32 v4, 0x7fffffff, v3
	v_cmpx_ngt_f32_e64 0x48000000, |v3|
	s_xor_b32 s9, exec_lo, s5
	s_cbranch_execz .LBB69_33
; %bb.32:
	s_mov_b32 s4, 0x7fffff
	v_mov_b32_e32 v29, 0
	v_and_or_b32 v13, v4, s4, 0x800000
	v_lshrrev_b32_e32 v17, 23, v4
	v_mad_u64_u32 v[22:23], null, 0xfe5163ab, v13, 0
	v_add_nc_u32_e32 v17, 0xffffff88, v17
	v_cmp_lt_u32_e32 vcc_lo, 63, v17
	v_mov_b32_e32 v28, v23
	v_cndmask_b32_e64 v20, 0, 0xffffffc0, vcc_lo
	v_mad_u64_u32 v[30:31], null, 0x3c439041, v13, v[28:29]
	v_add_nc_u32_e32 v17, v20, v17
	v_mov_b32_e32 v28, v31
	v_cmp_lt_u32_e64 s4, 31, v17
	v_mad_u64_u32 v[31:32], null, 0xdb629599, v13, v[28:29]
	v_cndmask_b32_e64 v20, 0, 0xffffffe0, s4
	v_add_nc_u32_e32 v17, v20, v17
	v_mov_b32_e32 v28, v32
	v_cndmask_b32_e32 v22, v31, v22, vcc_lo
	v_cmp_lt_u32_e64 s5, 31, v17
	v_mad_u64_u32 v[32:33], null, 0xf534ddc0, v13, v[28:29]
	v_mov_b32_e32 v28, v33
	v_mad_u64_u32 v[33:34], null, 0xfc2757d1, v13, v[28:29]
	v_mov_b32_e32 v28, v34
	;; [unrolled: 2-line block ×3, first 2 shown]
	v_cndmask_b32_e32 v20, v34, v32, vcc_lo
	v_mad_u64_u32 v[28:29], null, 0xa2f9836e, v13, v[28:29]
	v_cndmask_b32_e64 v13, 0, 0xffffffe0, s5
	v_add_nc_u32_e32 v13, v13, v17
	v_cndmask_b32_e32 v23, v28, v33, vcc_lo
	v_cndmask_b32_e32 v26, v29, v34, vcc_lo
	;; [unrolled: 1-line block ×4, first 2 shown]
	v_cmp_eq_u32_e32 vcc_lo, 0, v13
	v_cndmask_b32_e64 v29, v23, v20, s4
	v_cndmask_b32_e64 v23, v26, v23, s4
	;; [unrolled: 1-line block ×3, first 2 shown]
	v_sub_nc_u32_e32 v26, 32, v13
	v_cndmask_b32_e64 v28, v28, v17, s4
	v_cndmask_b32_e64 v17, v17, v22, s4
	;; [unrolled: 1-line block ×6, first 2 shown]
	v_alignbit_b32 v30, v23, v29, v26
	v_alignbit_b32 v31, v29, v20, v26
	;; [unrolled: 1-line block ×3, first 2 shown]
	v_cndmask_b32_e32 v13, v30, v23, vcc_lo
	v_cndmask_b32_e32 v22, v31, v29, vcc_lo
	;; [unrolled: 1-line block ×3, first 2 shown]
	v_bfe_u32 v23, v13, 29, 1
	v_alignbit_b32 v28, v13, v22, 30
	v_alignbit_b32 v22, v22, v20, 30
	;; [unrolled: 1-line block ×3, first 2 shown]
	v_sub_nc_u32_e32 v29, 0, v23
	v_xor_b32_e32 v28, v28, v29
	v_xor_b32_e32 v20, v22, v29
	;; [unrolled: 1-line block ×3, first 2 shown]
	v_lshrrev_b32_e32 v29, 29, v13
	v_ffbh_u32_e32 v26, v28
	v_min_u32_e32 v26, 32, v26
	v_sub_nc_u32_e32 v22, 31, v26
	v_lshlrev_b32_e32 v30, 23, v26
	v_alignbit_b32 v28, v28, v20, v22
	v_alignbit_b32 v17, v20, v17, v22
	v_lshlrev_b32_e32 v20, 31, v29
	v_alignbit_b32 v22, v28, v17, 9
	v_or_b32_e32 v29, 0.5, v20
	v_lshrrev_b32_e32 v28, 9, v28
	v_or_b32_e32 v20, 0x33000000, v20
	v_ffbh_u32_e32 v31, v22
	v_sub_nc_u32_e32 v29, v29, v30
	v_min_u32_e32 v30, 32, v31
	v_or_b32_e32 v28, v28, v29
	v_not_b32_e32 v29, v30
	v_mul_f32_e32 v31, 0x3fc90fda, v28
	v_add_lshl_u32 v26, v30, v26, 23
	v_alignbit_b32 v17, v22, v17, v29
	v_fma_f32 v22, 0x3fc90fda, v28, -v31
	v_sub_nc_u32_e32 v20, v20, v26
	v_lshrrev_b32_e32 v17, 9, v17
	v_fmamk_f32 v22, v28, 0x33a22168, v22
	v_or_b32_e32 v17, v20, v17
	v_fmac_f32_e32 v22, 0x3fc90fda, v17
	v_lshrrev_b32_e32 v17, 30, v13
	v_add_f32_e32 v13, v31, v22
	v_add_nc_u32_e32 v17, v23, v17
.LBB69_33:
	s_andn2_saveexec_b32 s4, s9
; %bb.34:
	v_mul_f32_e64 v13, 0x3f22f983, |v3|
	v_rndne_f32_e32 v17, v13
	v_fma_f32 v13, 0xbfc90fda, v17, |v3|
	v_fmamk_f32 v13, v17, 0xb3a22168, v13
	v_fmamk_f32 v13, v17, 0xa7c234c4, v13
	v_cvt_i32_f32_e32 v17, v17
; %bb.35:
	s_or_b32 exec_lo, exec_lo, s4
	v_mul_f32_e32 v20, v13, v13
	s_mov_b32 s4, 0xb94c1982
	s_mov_b32 s5, 0x37d75334
	v_and_b32_e32 v26, 1, v17
	v_lshlrev_b32_e32 v17, 30, v17
	v_fmaak_f32 v22, s4, v20, 0x3c0881c4
	v_fmaak_f32 v23, s5, v20, 0xbab64f3b
	v_xor_b32_e32 v4, v4, v3
	v_cmp_eq_u32_e32 vcc_lo, 0, v26
	v_and_b32_e32 v17, 0x80000000, v17
	v_fmaak_f32 v22, v20, v22, 0xbe2aaa9d
	v_fmaak_f32 v23, v20, v23, 0x3d2aabf7
	v_sub_f32_e32 v25, 1.0, v25
	v_mul_f32_e32 v22, v20, v22
	v_fmaak_f32 v23, v20, v23, 0xbf000004
	v_fmac_f32_e32 v13, v13, v22
	v_fma_f32 v20, v20, v23, 1.0
	v_cndmask_b32_e32 v13, v20, v13, vcc_lo
	v_cmp_class_f32_e64 vcc_lo, v3, 0x1f8
	v_xor3_b32 v4, v4, v17, v13
	v_cndmask_b32_e32 v3, 0x7fc00000, v4, vcc_lo
	v_mul_f32_e32 v3, v3, v3
	v_div_scale_f32 v4, null, v3, v3, 0xc11de9e7
	v_div_scale_f32 v20, vcc_lo, 0xc11de9e7, v3, 0xc11de9e7
	v_rcp_f32_e32 v13, v4
	v_fma_f32 v17, -v4, v13, 1.0
	v_fmac_f32_e32 v13, v17, v13
	v_mul_f32_e32 v17, v20, v13
	v_fma_f32 v22, -v4, v17, v20
	v_fmac_f32_e32 v17, v22, v13
	v_fma_f32 v4, -v4, v17, v20
	v_div_fmas_f32 v4, v4, v13, v17
	v_mov_b32_e32 v13, -1.0
	v_div_fixup_f32 v3, v4, v3, 0xc11de9e7
	v_add_f32_e32 v20, 0, v3
.LBB69_36:
	s_or_b32 exec_lo, exec_lo, s8
	v_lshlrev_b32_e32 v22, 16, v5
	v_mov_b32_e32 v17, 0
	v_mov_b32_e32 v3, 1.0
	s_mov_b32 s8, exec_lo
	v_cmpx_gt_f32_e32 0.5, v22
	s_cbranch_execz .LBB69_42
; %bb.37:
	v_mul_f32_e32 v3, 0x40490fdb, v22
                                        ; implicit-def: $vgpr23
                                        ; implicit-def: $vgpr17
	s_mov_b32 s5, exec_lo
	v_and_b32_e32 v4, 0x7fffffff, v3
	v_cmpx_ngt_f32_e64 0x48000000, |v3|
	s_xor_b32 s9, exec_lo, s5
	s_cbranch_execz .LBB69_39
; %bb.38:
	s_mov_b32 s4, 0x7fffff
	v_mov_b32_e32 v30, 0
	v_and_or_b32 v17, v4, s4, 0x800000
	v_lshrrev_b32_e32 v23, 23, v4
	v_mad_u64_u32 v[28:29], null, 0xfe5163ab, v17, 0
	v_add_nc_u32_e32 v23, 0xffffff88, v23
	v_cmp_lt_u32_e32 vcc_lo, 63, v23
	v_mad_u64_u32 v[31:32], null, 0x3c439041, v17, v[29:30]
	v_cndmask_b32_e64 v26, 0, 0xffffffc0, vcc_lo
	v_mov_b32_e32 v29, v32
	v_add_nc_u32_e32 v23, v26, v23
	v_mad_u64_u32 v[32:33], null, 0xdb629599, v17, v[29:30]
	v_cmp_lt_u32_e64 s4, 31, v23
	v_cndmask_b32_e64 v26, 0, 0xffffffe0, s4
	v_mov_b32_e32 v29, v33
	v_cndmask_b32_e32 v28, v32, v28, vcc_lo
	v_add_nc_u32_e32 v23, v26, v23
	v_mad_u64_u32 v[33:34], null, 0xf534ddc0, v17, v[29:30]
	v_cmp_lt_u32_e64 s5, 31, v23
	v_mov_b32_e32 v29, v34
	v_mad_u64_u32 v[34:35], null, 0xfc2757d1, v17, v[29:30]
	v_mov_b32_e32 v29, v35
	v_mad_u64_u32 v[35:36], null, 0x4e441529, v17, v[29:30]
	v_mov_b32_e32 v29, v36
	v_cndmask_b32_e32 v26, v35, v33, vcc_lo
	v_mad_u64_u32 v[29:30], null, 0xa2f9836e, v17, v[29:30]
	v_cndmask_b32_e64 v17, 0, 0xffffffe0, s5
	v_add_nc_u32_e32 v17, v17, v23
	v_cndmask_b32_e32 v29, v29, v34, vcc_lo
	v_cndmask_b32_e32 v30, v30, v35, vcc_lo
	;; [unrolled: 1-line block ×4, first 2 shown]
	v_cmp_eq_u32_e32 vcc_lo, 0, v17
	v_cndmask_b32_e64 v31, v29, v26, s4
	v_cndmask_b32_e64 v29, v30, v29, s4
	;; [unrolled: 1-line block ×3, first 2 shown]
	v_sub_nc_u32_e32 v30, 32, v17
	v_cndmask_b32_e64 v33, v34, v23, s4
	v_cndmask_b32_e64 v23, v23, v28, s4
	;; [unrolled: 1-line block ×6, first 2 shown]
	v_alignbit_b32 v34, v29, v31, v30
	v_alignbit_b32 v32, v31, v26, v30
	;; [unrolled: 1-line block ×3, first 2 shown]
	v_cndmask_b32_e32 v17, v34, v29, vcc_lo
	v_cndmask_b32_e32 v28, v32, v31, vcc_lo
	;; [unrolled: 1-line block ×3, first 2 shown]
	v_bfe_u32 v29, v17, 29, 1
	v_alignbit_b32 v31, v17, v28, 30
	v_alignbit_b32 v28, v28, v26, 30
	;; [unrolled: 1-line block ×3, first 2 shown]
	v_sub_nc_u32_e32 v32, 0, v29
	v_xor_b32_e32 v31, v31, v32
	v_xor_b32_e32 v26, v28, v32
	;; [unrolled: 1-line block ×3, first 2 shown]
	v_lshrrev_b32_e32 v32, 29, v17
	v_ffbh_u32_e32 v30, v31
	v_min_u32_e32 v30, 32, v30
	v_sub_nc_u32_e32 v28, 31, v30
	v_lshlrev_b32_e32 v33, 23, v30
	v_alignbit_b32 v31, v31, v26, v28
	v_alignbit_b32 v23, v26, v23, v28
	v_lshlrev_b32_e32 v26, 31, v32
	v_alignbit_b32 v28, v31, v23, 9
	v_or_b32_e32 v32, 0.5, v26
	v_lshrrev_b32_e32 v31, 9, v31
	v_or_b32_e32 v26, 0x33000000, v26
	v_ffbh_u32_e32 v34, v28
	v_sub_nc_u32_e32 v32, v32, v33
	v_min_u32_e32 v33, 32, v34
	v_or_b32_e32 v31, v31, v32
	v_not_b32_e32 v32, v33
	v_mul_f32_e32 v34, 0x3fc90fda, v31
	v_add_lshl_u32 v30, v33, v30, 23
	v_alignbit_b32 v23, v28, v23, v32
	v_fma_f32 v28, 0x3fc90fda, v31, -v34
	v_sub_nc_u32_e32 v26, v26, v30
	v_lshrrev_b32_e32 v23, 9, v23
	v_fmamk_f32 v28, v31, 0x33a22168, v28
	v_or_b32_e32 v23, v26, v23
	v_fmac_f32_e32 v28, 0x3fc90fda, v23
	v_lshrrev_b32_e32 v23, 30, v17
	v_add_f32_e32 v17, v34, v28
	v_add_nc_u32_e32 v23, v29, v23
.LBB69_39:
	s_andn2_saveexec_b32 s4, s9
; %bb.40:
	v_mul_f32_e64 v17, 0x3f22f983, |v3|
	v_rndne_f32_e32 v23, v17
	v_fma_f32 v17, 0xbfc90fda, v23, |v3|
	v_fmamk_f32 v17, v23, 0xb3a22168, v17
	v_fmamk_f32 v17, v23, 0xa7c234c4, v17
	v_cvt_i32_f32_e32 v23, v23
; %bb.41:
	s_or_b32 exec_lo, exec_lo, s4
	v_mul_f32_e32 v26, v17, v17
	s_mov_b32 s4, 0xb94c1982
	s_mov_b32 s5, 0x37d75334
	v_and_b32_e32 v30, 1, v23
	v_lshlrev_b32_e32 v23, 30, v23
	v_fmaak_f32 v28, s4, v26, 0x3c0881c4
	v_fmaak_f32 v29, s5, v26, 0xbab64f3b
	v_xor_b32_e32 v4, v4, v3
	v_cmp_eq_u32_e32 vcc_lo, 0, v30
	v_and_b32_e32 v23, 0x80000000, v23
	v_fmaak_f32 v28, v26, v28, 0xbe2aaa9d
	v_fmaak_f32 v29, v26, v29, 0x3d2aabf7
	v_sub_f32_e32 v22, 1.0, v22
	v_mul_f32_e32 v28, v26, v28
	v_fmaak_f32 v29, v26, v29, 0xbf000004
	v_fmac_f32_e32 v17, v17, v28
	v_fma_f32 v26, v26, v29, 1.0
	v_cndmask_b32_e32 v17, v26, v17, vcc_lo
	v_cmp_class_f32_e64 vcc_lo, v3, 0x1f8
	v_xor3_b32 v4, v4, v23, v17
	v_cndmask_b32_e32 v3, 0x7fc00000, v4, vcc_lo
	v_mul_f32_e32 v3, v3, v3
	v_div_scale_f32 v4, null, v3, v3, 0xc11de9e7
	v_div_scale_f32 v26, vcc_lo, 0xc11de9e7, v3, 0xc11de9e7
	v_rcp_f32_e32 v17, v4
	v_fma_f32 v23, -v4, v17, 1.0
	v_fmac_f32_e32 v17, v23, v17
	v_mul_f32_e32 v23, v26, v17
	v_fma_f32 v28, -v4, v23, v26
	v_fmac_f32_e32 v23, v28, v17
	v_fma_f32 v4, -v4, v23, v26
	v_div_fmas_f32 v4, v4, v17, v23
	v_div_fixup_f32 v3, v4, v3, 0xc11de9e7
	v_add_f32_e32 v17, 0, v3
	v_mov_b32_e32 v3, -1.0
.LBB69_42:
	s_or_b32 exec_lo, exec_lo, s8
	v_and_b32_e32 v31, 0xffff0000, v5
	v_mov_b32_e32 v5, 0
	v_mov_b32_e32 v4, 1.0
	s_mov_b32 s8, exec_lo
	v_cmpx_gt_f32_e32 0.5, v31
	s_cbranch_execz .LBB69_48
; %bb.43:
	v_mul_f32_e32 v4, 0x40490fdb, v31
                                        ; implicit-def: $vgpr26
                                        ; implicit-def: $vgpr23
	s_mov_b32 s5, exec_lo
	v_and_b32_e32 v5, 0x7fffffff, v4
	v_cmpx_ngt_f32_e64 0x48000000, |v4|
	s_xor_b32 s9, exec_lo, s5
	s_cbranch_execz .LBB69_45
; %bb.44:
	s_mov_b32 s4, 0x7fffff
	v_mov_b32_e32 v30, 0
	v_and_or_b32 v23, v5, s4, 0x800000
	v_lshrrev_b32_e32 v26, 23, v5
	v_mad_u64_u32 v[28:29], null, 0xfe5163ab, v23, 0
	v_add_nc_u32_e32 v26, 0xffffff88, v26
	v_cmp_lt_u32_e32 vcc_lo, 63, v26
	v_mad_u64_u32 v[32:33], null, 0x3c439041, v23, v[29:30]
	v_cndmask_b32_e64 v37, 0, 0xffffffc0, vcc_lo
	v_mov_b32_e32 v29, v33
	v_add_nc_u32_e32 v26, v37, v26
	v_mad_u64_u32 v[33:34], null, 0xdb629599, v23, v[29:30]
	v_cmp_lt_u32_e64 s4, 31, v26
	v_cndmask_b32_e64 v38, 0, 0xffffffe0, s4
	v_mov_b32_e32 v29, v34
	v_cndmask_b32_e32 v28, v33, v28, vcc_lo
	v_add_nc_u32_e32 v26, v38, v26
	v_mad_u64_u32 v[34:35], null, 0xf534ddc0, v23, v[29:30]
	v_cmp_lt_u32_e64 s5, 31, v26
	v_mov_b32_e32 v29, v35
	v_mad_u64_u32 v[35:36], null, 0xfc2757d1, v23, v[29:30]
	v_mov_b32_e32 v29, v36
	v_mad_u64_u32 v[36:37], null, 0x4e441529, v23, v[29:30]
	v_mov_b32_e32 v29, v37
	v_cndmask_b32_e32 v37, v36, v34, vcc_lo
	v_mad_u64_u32 v[29:30], null, 0xa2f9836e, v23, v[29:30]
	v_cndmask_b32_e64 v23, 0, 0xffffffe0, s5
	v_add_nc_u32_e32 v23, v23, v26
	v_cndmask_b32_e32 v29, v29, v35, vcc_lo
	v_cndmask_b32_e32 v30, v30, v36, vcc_lo
	;; [unrolled: 1-line block ×4, first 2 shown]
	v_sub_nc_u32_e32 v34, 32, v23
	v_cndmask_b32_e64 v32, v29, v37, s4
	v_cndmask_b32_e64 v29, v30, v29, s4
	;; [unrolled: 1-line block ×4, first 2 shown]
	v_cmp_eq_u32_e32 vcc_lo, 0, v23
	v_cndmask_b32_e64 v26, v26, v28, s4
	v_cndmask_b32_e64 v29, v29, v32, s5
	;; [unrolled: 1-line block ×5, first 2 shown]
	v_alignbit_b32 v36, v29, v32, v34
	v_alignbit_b32 v33, v32, v30, v34
	;; [unrolled: 1-line block ×3, first 2 shown]
	v_cndmask_b32_e32 v23, v36, v29, vcc_lo
	v_cndmask_b32_e32 v28, v33, v32, vcc_lo
	;; [unrolled: 1-line block ×3, first 2 shown]
	v_bfe_u32 v29, v23, 29, 1
	v_alignbit_b32 v32, v23, v28, 30
	v_alignbit_b32 v28, v28, v30, 30
	;; [unrolled: 1-line block ×3, first 2 shown]
	v_sub_nc_u32_e32 v33, 0, v29
	v_xor_b32_e32 v32, v32, v33
	v_xor_b32_e32 v28, v28, v33
	;; [unrolled: 1-line block ×3, first 2 shown]
	v_lshrrev_b32_e32 v33, 29, v23
	v_ffbh_u32_e32 v34, v32
	v_min_u32_e32 v34, 32, v34
	v_sub_nc_u32_e32 v30, 31, v34
	v_lshlrev_b32_e32 v35, 23, v34
	v_alignbit_b32 v32, v32, v28, v30
	v_alignbit_b32 v26, v28, v26, v30
	v_lshlrev_b32_e32 v28, 31, v33
	v_alignbit_b32 v30, v32, v26, 9
	v_or_b32_e32 v33, 0.5, v28
	v_lshrrev_b32_e32 v32, 9, v32
	v_or_b32_e32 v28, 0x33000000, v28
	v_ffbh_u32_e32 v36, v30
	v_sub_nc_u32_e32 v33, v33, v35
	v_min_u32_e32 v35, 32, v36
	v_or_b32_e32 v32, v32, v33
	v_not_b32_e32 v33, v35
	v_mul_f32_e32 v36, 0x3fc90fda, v32
	v_add_lshl_u32 v34, v35, v34, 23
	v_alignbit_b32 v26, v30, v26, v33
	v_fma_f32 v30, 0x3fc90fda, v32, -v36
	v_sub_nc_u32_e32 v28, v28, v34
	v_lshrrev_b32_e32 v26, 9, v26
	v_fmamk_f32 v30, v32, 0x33a22168, v30
	v_or_b32_e32 v26, v28, v26
	v_fmac_f32_e32 v30, 0x3fc90fda, v26
	v_lshrrev_b32_e32 v26, 30, v23
	v_add_f32_e32 v23, v36, v30
	v_add_nc_u32_e32 v26, v29, v26
.LBB69_45:
	s_andn2_saveexec_b32 s4, s9
; %bb.46:
	v_mul_f32_e64 v23, 0x3f22f983, |v4|
	v_rndne_f32_e32 v26, v23
	v_fma_f32 v23, 0xbfc90fda, v26, |v4|
	v_fmamk_f32 v23, v26, 0xb3a22168, v23
	v_fmamk_f32 v23, v26, 0xa7c234c4, v23
	v_cvt_i32_f32_e32 v26, v26
; %bb.47:
	s_or_b32 exec_lo, exec_lo, s4
	v_mul_f32_e32 v28, v23, v23
	s_mov_b32 s4, 0xb94c1982
	s_mov_b32 s5, 0x37d75334
	v_and_b32_e32 v32, 1, v26
	v_lshlrev_b32_e32 v26, 30, v26
	v_fmaak_f32 v29, s4, v28, 0x3c0881c4
	v_fmaak_f32 v30, s5, v28, 0xbab64f3b
	v_xor_b32_e32 v5, v5, v4
	v_cmp_eq_u32_e32 vcc_lo, 0, v32
	v_and_b32_e32 v26, 0x80000000, v26
	v_fmaak_f32 v29, v28, v29, 0xbe2aaa9d
	v_fmaak_f32 v30, v28, v30, 0x3d2aabf7
	v_sub_f32_e32 v31, 1.0, v31
	v_mul_f32_e32 v29, v28, v29
	v_fmaak_f32 v30, v28, v30, 0xbf000004
	v_fmac_f32_e32 v23, v23, v29
	v_fma_f32 v28, v28, v30, 1.0
	v_cndmask_b32_e32 v23, v28, v23, vcc_lo
	v_cmp_class_f32_e64 vcc_lo, v4, 0x1f8
	v_xor3_b32 v5, v5, v26, v23
	v_cndmask_b32_e32 v4, 0x7fc00000, v5, vcc_lo
	v_mul_f32_e32 v4, v4, v4
	v_div_scale_f32 v5, null, v4, v4, 0xc11de9e7
	v_div_scale_f32 v28, vcc_lo, 0xc11de9e7, v4, 0xc11de9e7
	v_rcp_f32_e32 v23, v5
	v_fma_f32 v26, -v5, v23, 1.0
	v_fmac_f32_e32 v23, v26, v23
	v_mul_f32_e32 v26, v28, v23
	v_fma_f32 v29, -v5, v26, v28
	v_fmac_f32_e32 v26, v29, v23
	v_fma_f32 v5, -v5, v26, v28
	v_div_fmas_f32 v5, v5, v23, v26
	v_div_fixup_f32 v4, v5, v4, 0xc11de9e7
	v_add_f32_e32 v5, 0, v4
	v_mov_b32_e32 v4, -1.0
.LBB69_48:
	s_or_b32 exec_lo, exec_lo, s8
	v_add_f32_e32 v35, 1.0, v16
	v_add_co_u32 v0, vcc_lo, v0, s6
	v_add_co_ci_u32_e64 v1, null, s7, v1, vcc_lo
	v_add_f32_e32 v39, 1.0, v35
	v_add_co_u32 v0, vcc_lo, v0, v10
	v_add_co_ci_u32_e64 v1, null, 0, v1, vcc_lo
	v_add_f32_e32 v48, 1.0, v39
	v_mul_f32_e32 v36, v11, v11
	v_mul_f32_e32 v34, v16, v16
	;; [unrolled: 1-line block ×3, first 2 shown]
	v_add_f32_e32 v37, 1.0, v11
	v_add_f32_e32 v51, 1.0, v48
	v_mul_f32_e32 v16, v31, v31
	v_add_f32_e32 v11, 1.0, v31
	s_mov_b32 s4, 0xbcc30c31
	v_add_f32_e32 v38, 1.0, v37
	v_add_f32_e32 v52, 1.0, v51
	v_mul_f32_e32 v29, v24, v24
	v_add_f32_e32 v24, 1.0, v24
	v_mul_f32_e32 v30, v21, v21
	v_add_f32_e32 v49, 1.0, v38
	v_add_f32_e32 v10, 1.0, v52
	;; [unrolled: 1-line block ×3, first 2 shown]
	v_mul_f32_e32 v26, v25, v25
	v_add_f32_e32 v25, 1.0, v25
	v_add_f32_e32 v50, 1.0, v49
	v_mul_f32_e32 v32, v10, v10
	v_mul_f32_e32 v28, v27, v27
	v_add_f32_e32 v27, 1.0, v27
	v_mul_f32_e32 v23, v22, v22
	v_add_f32_e32 v53, 1.0, v50
	v_div_scale_f32 v33, null, v32, v32, 1.0
	v_add_f32_e32 v22, 1.0, v22
	v_add_f32_e32 v31, 1.0, v53
	v_rcp_f32_e32 v54, v33
	v_fma_f32 v55, -v33, v54, 1.0
	v_fmac_f32_e32 v54, v55, v54
	v_div_scale_f32 v55, vcc_lo, 1.0, v32, 1.0
	v_mul_f32_e32 v64, v55, v54
	v_fma_f32 v65, -v33, v64, v55
	v_fmac_f32_e32 v64, v65, v54
	v_fma_f32 v33, -v33, v64, v55
	v_div_fmas_f32 v33, v33, v54, v64
	v_div_scale_f32 v54, null, v36, v36, 1.0
	v_div_fixup_f32 v32, v33, v32, 1.0
	v_rcp_f32_e32 v55, v54
	v_fmaak_f32 v33, s4, v32, 0x3d088889
	v_fma_f32 v33, -v32, v33, 0x3e2aaaab
	v_fma_f32 v64, -v54, v55, 1.0
	v_fmac_f32_e32 v55, v64, v55
	v_div_scale_f32 v64, vcc_lo, 1.0, v36, 1.0
	v_mul_f32_e32 v65, v64, v55
	v_fma_f32 v66, -v54, v65, v64
	v_fmac_f32_e32 v65, v66, v55
	v_fma_f32 v54, -v54, v65, v64
	v_div_fmas_f32 v54, v54, v55, v65
	v_div_fixup_f32 v36, v54, v36, 1.0
	v_div_scale_f32 v54, null, v34, v34, 1.0
	v_add_f32_e32 v14, v14, v36
	v_rcp_f32_e32 v55, v54
	v_div_scale_f32 v36, null, v35, v35, 1.0
	v_fma_f32 v64, -v54, v55, 1.0
	v_fmac_f32_e32 v55, v64, v55
	v_div_scale_f32 v64, vcc_lo, 1.0, v34, 1.0
	v_mul_f32_e32 v65, v64, v55
	v_fma_f32 v66, -v54, v65, v64
	v_fmac_f32_e32 v65, v66, v55
	v_fma_f32 v54, -v54, v65, v64
	v_div_fmas_f32 v54, v54, v55, v65
	v_div_fixup_f32 v34, v54, v34, 1.0
	v_add_f32_e32 v19, v19, v34
	v_mul_f32_e32 v34, v37, v37
	v_rcp_f32_e32 v37, v36
	v_fma_f32 v54, -v36, v37, 1.0
	v_fmac_f32_e32 v37, v54, v37
	v_div_scale_f32 v54, vcc_lo, 1.0, v35, 1.0
	v_mul_f32_e32 v55, v54, v37
	v_fma_f32 v64, -v36, v55, v54
	v_fmac_f32_e32 v55, v64, v37
	v_fma_f32 v36, -v36, v55, v54
	v_div_fmas_f32 v36, v36, v37, v55
	v_div_fixup_f32 v35, v36, v35, 1.0
	v_div_scale_f32 v36, null, v34, v34, 1.0
	v_add_f32_e32 v19, v19, v35
	v_rcp_f32_e32 v37, v36
	v_mul_f32_e32 v35, v38, v38
	v_fma_f32 v54, -v36, v37, 1.0
	v_fmac_f32_e32 v37, v54, v37
	v_div_scale_f32 v54, vcc_lo, 1.0, v34, 1.0
	v_mul_f32_e32 v55, v54, v37
	v_fma_f32 v64, -v36, v55, v54
	v_fmac_f32_e32 v55, v64, v37
	v_fma_f32 v36, -v36, v55, v54
	v_div_fmas_f32 v36, v36, v37, v55
	v_div_fixup_f32 v34, v36, v34, 1.0
	v_div_scale_f32 v36, null, v35, v35, 1.0
	v_add_f32_e32 v14, v14, v34
	v_rcp_f32_e32 v37, v36
	v_mul_f32_e32 v34, v39, v39
	;; [unrolled: 13-line block ×8, first 2 shown]
	v_fma_f32 v38, -v36, v37, 1.0
	v_fmac_f32_e32 v37, v38, v37
	v_div_scale_f32 v38, vcc_lo, 1.0, v35, 1.0
	v_mul_f32_e32 v39, v38, v37
	v_fma_f32 v48, -v36, v39, v38
	v_fmac_f32_e32 v39, v48, v37
	v_fma_f32 v36, -v36, v39, v38
	v_div_fmas_f32 v36, v36, v37, v39
	v_div_fixup_f32 v35, v36, v35, 1.0
	v_div_scale_f32 v36, null, v34, v34, 1.0
	v_add_f32_e32 v19, v19, v35
	v_rcp_f32_e32 v37, v36
	v_add_f32_e32 v35, v10, v10
	v_fma_f32 v38, -v36, v37, 1.0
	v_fmac_f32_e32 v37, v38, v37
	v_div_scale_f32 v38, vcc_lo, 1.0, v34, 1.0
	v_mul_f32_e32 v39, v38, v37
	v_fma_f32 v48, -v36, v39, v38
	v_fmac_f32_e32 v39, v48, v37
	v_fma_f32 v36, -v36, v39, v38
	v_div_fmas_f32 v36, v36, v37, v39
	v_div_fixup_f32 v34, v36, v34, 1.0
	v_div_scale_f32 v36, null, v35, v35, 1.0
	v_add_f32_e32 v14, v14, v34
	v_rcp_f32_e32 v37, v36
	v_add_f32_e32 v34, v31, v31
	v_fma_f32 v38, -v36, v37, 1.0
	v_fmac_f32_e32 v37, v38, v37
	v_div_scale_f32 v38, vcc_lo, 1.0, v35, 1.0
	v_mul_f32_e32 v39, v38, v37
	v_fma_f32 v48, -v36, v39, v38
	v_fmac_f32_e32 v39, v48, v37
	v_fma_f32 v36, -v36, v39, v38
	v_div_fmas_f32 v36, v36, v37, v39
	v_div_fixup_f32 v35, v36, v35, 1.0
	v_div_scale_f32 v36, null, v34, v34, 1.0
	v_add_f32_e32 v35, 1.0, v35
	v_rcp_f32_e32 v37, v36
	v_fmac_f32_e32 v35, v32, v33
	v_fma_f32 v38, -v36, v37, 1.0
	v_fmac_f32_e32 v37, v38, v37
	v_div_scale_f32 v38, vcc_lo, 1.0, v34, 1.0
	v_mul_f32_e32 v39, v38, v37
	v_fma_f32 v48, -v36, v39, v38
	v_fmac_f32_e32 v39, v48, v37
	v_fma_f32 v36, -v36, v39, v38
	v_div_fmas_f32 v36, v36, v37, v39
	v_div_fixup_f32 v34, v36, v34, 1.0
	v_mul_f32_e32 v36, v31, v31
	v_add_f32_e32 v34, 1.0, v34
	v_div_scale_f32 v37, null, v36, v36, 1.0
	v_rcp_f32_e32 v38, v37
	v_fma_f32 v39, -v37, v38, 1.0
	v_fmac_f32_e32 v38, v39, v38
	v_div_scale_f32 v39, vcc_lo, 1.0, v36, 1.0
	v_mul_f32_e32 v48, v39, v38
	v_fma_f32 v49, -v37, v48, v39
	v_fmac_f32_e32 v48, v49, v38
	v_fma_f32 v37, -v37, v48, v39
	v_div_fmas_f32 v37, v37, v38, v48
	v_div_fixup_f32 v36, v37, v36, 1.0
	v_fmaak_f32 v37, s4, v36, 0x3d088889
	v_fma_f32 v37, -v36, v37, 0x3e2aaaab
	v_fmac_f32_e32 v34, v37, v36
	v_div_scale_f32 v32, null, v31, v31, v34
	v_rcp_f32_e32 v33, v32
	v_fma_f32 v36, -v32, v33, 1.0
	v_fmac_f32_e32 v33, v36, v33
	v_div_scale_f32 v36, vcc_lo, v34, v31, v34
	v_mul_f32_e32 v37, v36, v33
	v_fma_f32 v38, -v32, v37, v36
	v_fmac_f32_e32 v37, v38, v33
	v_fma_f32 v32, -v32, v37, v36
	v_div_fmas_f32 v32, v32, v33, v37
	v_div_fixup_f32 v31, v32, v31, v34
	v_div_scale_f32 v32, null, v10, v10, v35
	v_add_f32_e32 v14, v14, v31
	v_rcp_f32_e32 v33, v32
	v_mul_f32_e32 v6, v6, v14
	v_fma_f32 v34, -v32, v33, 1.0
	v_fmac_f32_e32 v33, v34, v33
	v_div_scale_f32 v34, vcc_lo, v35, v10, v35
	v_mul_f32_e32 v36, v34, v33
	v_fma_f32 v37, -v32, v36, v34
	v_fmac_f32_e32 v36, v37, v33
	v_fma_f32 v32, -v32, v36, v34
	v_div_fmas_f32 v32, v32, v33, v36
	v_cmp_o_f32_e32 vcc_lo, v6, v6
	v_div_fixup_f32 v10, v32, v10, v35
	v_add_f32_e32 v10, v19, v10
	v_mul_f32_e32 v8, v8, v10
	v_mov_b32_e32 v10, 1
	v_and_b32_sdwa v19, v6, v10 dst_sel:DWORD dst_unused:UNUSED_PAD src0_sel:WORD_1 src1_sel:DWORD
	v_and_b32_sdwa v14, v8, v10 dst_sel:DWORD dst_unused:UNUSED_PAD src0_sel:WORD_1 src1_sel:DWORD
	v_add3_u32 v19, v6, v19, 0x7fff
	v_add3_u32 v14, v8, v14, 0x7fff
	v_lshrrev_b32_e32 v19, 16, v19
	v_lshrrev_b32_e32 v14, 16, v14
	v_cndmask_b32_e32 v6, 0x7fc0, v19, vcc_lo
	v_add_f32_e32 v19, 1.0, v24
	v_cmp_o_f32_e32 vcc_lo, v8, v8
	v_mul_f32_e32 v24, v24, v24
	v_add_f32_e32 v31, 1.0, v19
	v_cndmask_b32_e32 v8, 0x7fc0, v14, vcc_lo
	v_add_f32_e32 v14, 1.0, v21
	v_mul_f32_e32 v21, v21, v21
	v_mul_f32_e32 v19, v19, v19
	v_add_f32_e32 v34, 1.0, v31
	v_add_f32_e32 v32, 1.0, v14
	v_mul_f32_e32 v14, v14, v14
	v_add_f32_e32 v35, 1.0, v34
	v_add_f32_e32 v33, 1.0, v32
	;; [unrolled: 1-line block ×4, first 2 shown]
	v_mul_f32_e32 v39, v38, v38
	v_add_f32_e32 v37, 1.0, v36
	v_div_scale_f32 v48, null, v39, v39, 1.0
	v_rcp_f32_e32 v49, v48
	v_fma_f32 v50, -v48, v49, 1.0
	v_fmac_f32_e32 v49, v50, v49
	v_div_scale_f32 v50, vcc_lo, 1.0, v39, 1.0
	v_mul_f32_e32 v51, v50, v49
	v_fma_f32 v52, -v48, v51, v50
	v_fmac_f32_e32 v51, v52, v49
	v_fma_f32 v48, -v48, v51, v50
	v_div_fmas_f32 v48, v48, v49, v51
	v_div_scale_f32 v49, null, v30, v30, 1.0
	v_div_fixup_f32 v39, v48, v39, 1.0
	v_rcp_f32_e32 v50, v49
	v_fmaak_f32 v48, s4, v39, 0x3d088889
	v_fma_f32 v48, -v39, v48, 0x3e2aaaab
	v_fma_f32 v51, -v49, v50, 1.0
	v_fmac_f32_e32 v50, v51, v50
	v_div_scale_f32 v51, vcc_lo, 1.0, v30, 1.0
	v_mul_f32_e32 v52, v51, v50
	v_fma_f32 v53, -v49, v52, v51
	v_fmac_f32_e32 v52, v53, v50
	v_fma_f32 v49, -v49, v52, v51
	v_div_fmas_f32 v49, v49, v50, v52
	v_div_fixup_f32 v30, v49, v30, 1.0
	v_div_scale_f32 v49, null, v29, v29, 1.0
	v_add_f32_e32 v12, v12, v30
	v_rcp_f32_e32 v50, v49
	v_fma_f32 v51, -v49, v50, 1.0
	v_fmac_f32_e32 v50, v51, v50
	v_div_scale_f32 v51, vcc_lo, 1.0, v29, 1.0
	v_mul_f32_e32 v52, v51, v50
	v_fma_f32 v53, -v49, v52, v51
	v_fmac_f32_e32 v52, v53, v50
	v_fma_f32 v49, -v49, v52, v51
	v_div_fmas_f32 v49, v49, v50, v52
	v_div_fixup_f32 v29, v49, v29, 1.0
	v_add_f32_e32 v18, v18, v29
	v_div_scale_f32 v29, null, v24, v24, 1.0
	v_rcp_f32_e32 v30, v29
	v_fma_f32 v49, -v29, v30, 1.0
	v_fmac_f32_e32 v30, v49, v30
	v_div_scale_f32 v49, vcc_lo, 1.0, v24, 1.0
	v_mul_f32_e32 v50, v49, v30
	v_fma_f32 v51, -v29, v50, v49
	v_fmac_f32_e32 v50, v51, v30
	v_fma_f32 v29, -v29, v50, v49
	v_div_fmas_f32 v29, v29, v30, v50
	v_div_fixup_f32 v24, v29, v24, 1.0
	v_div_scale_f32 v29, null, v21, v21, 1.0
	v_add_f32_e32 v18, v18, v24
	v_rcp_f32_e32 v30, v29
	v_fma_f32 v49, -v29, v30, 1.0
	v_fmac_f32_e32 v30, v49, v30
	v_div_scale_f32 v49, vcc_lo, 1.0, v21, 1.0
	v_mul_f32_e32 v50, v49, v30
	v_fma_f32 v51, -v29, v50, v49
	v_fmac_f32_e32 v50, v51, v30
	v_fma_f32 v29, -v29, v50, v49
	v_div_fmas_f32 v29, v29, v30, v50
	v_div_fixup_f32 v21, v29, v21, 1.0
	v_add_f32_e32 v12, v12, v21
	v_div_scale_f32 v21, null, v14, v14, 1.0
	v_rcp_f32_e32 v24, v21
	v_fma_f32 v29, -v21, v24, 1.0
	v_fmac_f32_e32 v24, v29, v24
	v_div_scale_f32 v29, vcc_lo, 1.0, v14, 1.0
	v_mul_f32_e32 v30, v29, v24
	v_fma_f32 v49, -v21, v30, v29
	v_fmac_f32_e32 v30, v49, v24
	v_fma_f32 v21, -v21, v30, v29
	v_div_fmas_f32 v21, v21, v24, v30
	v_div_fixup_f32 v14, v21, v14, 1.0
	v_div_scale_f32 v21, null, v19, v19, 1.0
	v_add_f32_e32 v12, v12, v14
	v_rcp_f32_e32 v24, v21
	v_mul_f32_e32 v14, v32, v32
	v_fma_f32 v29, -v21, v24, 1.0
	v_fmac_f32_e32 v24, v29, v24
	v_div_scale_f32 v29, vcc_lo, 1.0, v19, 1.0
	v_mul_f32_e32 v30, v29, v24
	v_fma_f32 v49, -v21, v30, v29
	v_fmac_f32_e32 v30, v49, v24
	v_fma_f32 v21, -v21, v30, v29
	v_div_fmas_f32 v21, v21, v24, v30
	v_div_fixup_f32 v19, v21, v19, 1.0
	v_add_f32_e32 v18, v18, v19
	v_mul_f32_e32 v19, v31, v31
	v_div_scale_f32 v21, null, v19, v19, 1.0
	v_rcp_f32_e32 v24, v21
	v_fma_f32 v29, -v21, v24, 1.0
	v_fmac_f32_e32 v24, v29, v24
	v_div_scale_f32 v29, vcc_lo, 1.0, v19, 1.0
	v_mul_f32_e32 v30, v29, v24
	v_fma_f32 v31, -v21, v30, v29
	v_fmac_f32_e32 v30, v31, v24
	v_fma_f32 v21, -v21, v30, v29
	v_div_fmas_f32 v21, v21, v24, v30
	v_div_fixup_f32 v19, v21, v19, 1.0
	v_div_scale_f32 v21, null, v14, v14, 1.0
	v_rcp_f32_e32 v24, v21
	v_fma_f32 v29, -v21, v24, 1.0
	v_fmac_f32_e32 v24, v29, v24
	v_div_scale_f32 v29, vcc_lo, 1.0, v14, 1.0
	v_mul_f32_e32 v30, v29, v24
	v_fma_f32 v31, -v21, v30, v29
	v_fmac_f32_e32 v30, v31, v24
	v_fma_f32 v21, -v21, v30, v29
	v_div_fmas_f32 v21, v21, v24, v30
	v_div_fixup_f32 v14, v21, v14, 1.0
	v_add_f32_e32 v12, v12, v14
	v_add_f32_e32 v14, v18, v19
	v_mul_f32_e32 v19, v33, v33
	v_mul_f32_e32 v18, v34, v34
	v_div_scale_f32 v21, null, v19, v19, 1.0
	v_rcp_f32_e32 v24, v21
	v_fma_f32 v29, -v21, v24, 1.0
	v_fmac_f32_e32 v24, v29, v24
	v_div_scale_f32 v29, vcc_lo, 1.0, v19, 1.0
	v_mul_f32_e32 v30, v29, v24
	v_fma_f32 v31, -v21, v30, v29
	v_fmac_f32_e32 v30, v31, v24
	v_fma_f32 v21, -v21, v30, v29
	v_div_fmas_f32 v21, v21, v24, v30
	v_div_fixup_f32 v19, v21, v19, 1.0
	v_div_scale_f32 v21, null, v18, v18, 1.0
	v_add_f32_e32 v12, v12, v19
	v_rcp_f32_e32 v24, v21
	v_mul_f32_e32 v19, v35, v35
	v_fma_f32 v29, -v21, v24, 1.0
	v_fmac_f32_e32 v24, v29, v24
	v_div_scale_f32 v29, vcc_lo, 1.0, v18, 1.0
	v_mul_f32_e32 v30, v29, v24
	v_fma_f32 v31, -v21, v30, v29
	v_fmac_f32_e32 v30, v31, v24
	v_fma_f32 v21, -v21, v30, v29
	v_div_fmas_f32 v21, v21, v24, v30
	v_div_fixup_f32 v18, v21, v18, 1.0
	v_div_scale_f32 v21, null, v19, v19, 1.0
	v_add_f32_e32 v14, v14, v18
	v_rcp_f32_e32 v24, v21
	v_mul_f32_e32 v18, v36, v36
	v_fma_f32 v29, -v21, v24, 1.0
	v_fmac_f32_e32 v24, v29, v24
	v_div_scale_f32 v29, vcc_lo, 1.0, v19, 1.0
	v_mul_f32_e32 v30, v29, v24
	v_fma_f32 v31, -v21, v30, v29
	v_fmac_f32_e32 v30, v31, v24
	v_fma_f32 v21, -v21, v30, v29
	v_div_fmas_f32 v21, v21, v24, v30
	v_div_fixup_f32 v19, v21, v19, 1.0
	v_div_scale_f32 v21, null, v18, v18, 1.0
	v_add_f32_e32 v14, v14, v19
	v_rcp_f32_e32 v24, v21
	v_add_f32_e32 v19, v38, v38
	v_fma_f32 v29, -v21, v24, 1.0
	v_fmac_f32_e32 v24, v29, v24
	v_div_scale_f32 v29, vcc_lo, 1.0, v18, 1.0
	v_mul_f32_e32 v30, v29, v24
	v_fma_f32 v31, -v21, v30, v29
	v_fmac_f32_e32 v30, v31, v24
	v_fma_f32 v21, -v21, v30, v29
	v_div_fmas_f32 v21, v21, v24, v30
	v_div_fixup_f32 v18, v21, v18, 1.0
	v_div_scale_f32 v21, null, v19, v19, 1.0
	v_add_f32_e32 v12, v12, v18
	v_rcp_f32_e32 v24, v21
	v_add_f32_e32 v18, v37, v37
	v_fma_f32 v29, -v21, v24, 1.0
	v_fmac_f32_e32 v24, v29, v24
	v_div_scale_f32 v29, vcc_lo, 1.0, v19, 1.0
	v_mul_f32_e32 v30, v29, v24
	v_fma_f32 v31, -v21, v30, v29
	v_fmac_f32_e32 v30, v31, v24
	v_fma_f32 v21, -v21, v30, v29
	v_div_fmas_f32 v21, v21, v24, v30
	v_div_fixup_f32 v19, v21, v19, 1.0
	v_div_scale_f32 v21, null, v18, v18, 1.0
	v_add_f32_e32 v19, 1.0, v19
	v_rcp_f32_e32 v24, v21
	v_fmac_f32_e32 v19, v39, v48
	v_fma_f32 v29, -v21, v24, 1.0
	v_fmac_f32_e32 v24, v29, v24
	v_div_scale_f32 v29, vcc_lo, 1.0, v18, 1.0
	v_mul_f32_e32 v30, v29, v24
	v_fma_f32 v31, -v21, v30, v29
	v_fmac_f32_e32 v30, v31, v24
	v_fma_f32 v21, -v21, v30, v29
	v_div_fmas_f32 v21, v21, v24, v30
	v_div_fixup_f32 v18, v21, v18, 1.0
	v_mul_f32_e32 v21, v37, v37
	v_add_f32_e32 v18, 1.0, v18
	v_div_scale_f32 v24, null, v21, v21, 1.0
	v_rcp_f32_e32 v29, v24
	v_fma_f32 v30, -v24, v29, 1.0
	v_fmac_f32_e32 v29, v30, v29
	v_div_scale_f32 v30, vcc_lo, 1.0, v21, 1.0
	v_mul_f32_e32 v31, v30, v29
	v_fma_f32 v32, -v24, v31, v30
	v_fmac_f32_e32 v31, v32, v29
	v_fma_f32 v24, -v24, v31, v30
	v_div_fmas_f32 v24, v24, v29, v31
	v_div_fixup_f32 v21, v24, v21, 1.0
	v_fmaak_f32 v24, s4, v21, 0x3d088889
	v_fma_f32 v24, -v21, v24, 0x3e2aaaab
	v_fmac_f32_e32 v18, v24, v21
	v_div_scale_f32 v21, null, v37, v37, v18
	v_rcp_f32_e32 v24, v21
	v_fma_f32 v29, -v21, v24, 1.0
	v_fmac_f32_e32 v24, v29, v24
	v_div_scale_f32 v29, vcc_lo, v18, v37, v18
	v_mul_f32_e32 v30, v29, v24
	v_fma_f32 v31, -v21, v30, v29
	v_fmac_f32_e32 v30, v31, v24
	v_fma_f32 v21, -v21, v30, v29
	v_div_fmas_f32 v21, v21, v24, v30
	v_div_fixup_f32 v18, v21, v37, v18
	v_div_scale_f32 v21, null, v38, v38, v19
	v_add_f32_e32 v12, v12, v18
	v_rcp_f32_e32 v24, v21
	v_mul_f32_e32 v2, v2, v12
	v_fma_f32 v29, -v21, v24, 1.0
	v_fmac_f32_e32 v24, v29, v24
	v_div_scale_f32 v29, vcc_lo, v19, v38, v19
	v_mul_f32_e32 v30, v29, v24
	v_fma_f32 v31, -v21, v30, v29
	v_fmac_f32_e32 v30, v31, v24
	v_fma_f32 v21, -v21, v30, v29
	v_div_fmas_f32 v21, v21, v24, v30
	v_cmp_o_f32_e32 vcc_lo, v2, v2
	v_div_fixup_f32 v19, v21, v38, v19
	v_add_f32_e32 v14, v14, v19
	v_mul_f32_e32 v9, v9, v14
	v_and_b32_sdwa v14, v2, v10 dst_sel:DWORD dst_unused:UNUSED_PAD src0_sel:WORD_1 src1_sel:DWORD
	v_and_b32_sdwa v12, v9, v10 dst_sel:DWORD dst_unused:UNUSED_PAD src0_sel:WORD_1 src1_sel:DWORD
	v_add3_u32 v14, v2, v14, 0x7fff
	v_add3_u32 v12, v9, v12, 0x7fff
	v_lshrrev_b32_e32 v14, 16, v14
	v_lshrrev_b32_e32 v12, 16, v12
	v_cndmask_b32_e32 v2, 0x7fc0, v14, vcc_lo
	v_add_f32_e32 v14, 1.0, v25
	v_cmp_o_f32_e32 vcc_lo, v9, v9
	v_mul_f32_e32 v25, v25, v25
	v_add_f32_e32 v18, 1.0, v14
	v_cndmask_b32_e32 v9, 0x7fc0, v12, vcc_lo
	v_add_f32_e32 v12, 1.0, v27
	v_mul_f32_e32 v14, v14, v14
	v_add_f32_e32 v24, 1.0, v18
	v_mul_f32_e32 v18, v18, v18
	;; [unrolled: 2-line block ×3, first 2 shown]
	v_add_f32_e32 v29, 1.0, v24
	v_add_f32_e32 v21, 1.0, v19
	;; [unrolled: 1-line block ×4, first 2 shown]
	v_mul_f32_e32 v33, v32, v32
	v_add_f32_e32 v31, 1.0, v30
	v_div_scale_f32 v34, null, v33, v33, 1.0
	v_rcp_f32_e32 v35, v34
	v_fma_f32 v36, -v34, v35, 1.0
	v_fmac_f32_e32 v35, v36, v35
	v_div_scale_f32 v36, vcc_lo, 1.0, v33, 1.0
	v_mul_f32_e32 v37, v36, v35
	v_fma_f32 v38, -v34, v37, v36
	v_fmac_f32_e32 v37, v38, v35
	v_fma_f32 v34, -v34, v37, v36
	v_div_fmas_f32 v34, v34, v35, v37
	v_div_scale_f32 v35, null, v28, v28, 1.0
	v_div_fixup_f32 v33, v34, v33, 1.0
	v_rcp_f32_e32 v36, v35
	v_fmaak_f32 v34, s4, v33, 0x3d088889
	v_fma_f32 v34, -v33, v34, 0x3e2aaaab
	v_fma_f32 v37, -v35, v36, 1.0
	v_fmac_f32_e32 v36, v37, v36
	v_div_scale_f32 v37, vcc_lo, 1.0, v28, 1.0
	v_mul_f32_e32 v38, v37, v36
	v_fma_f32 v39, -v35, v38, v37
	v_fmac_f32_e32 v38, v39, v36
	v_fma_f32 v35, -v35, v38, v37
	v_div_fmas_f32 v35, v35, v36, v38
	v_div_fixup_f32 v28, v35, v28, 1.0
	v_div_scale_f32 v35, null, v26, v26, 1.0
	v_add_f32_e32 v15, v15, v28
	v_rcp_f32_e32 v36, v35
	v_fma_f32 v37, -v35, v36, 1.0
	v_fmac_f32_e32 v36, v37, v36
	v_div_scale_f32 v37, vcc_lo, 1.0, v26, 1.0
	v_mul_f32_e32 v38, v37, v36
	v_fma_f32 v39, -v35, v38, v37
	v_fmac_f32_e32 v38, v39, v36
	v_fma_f32 v35, -v35, v38, v37
	v_div_fmas_f32 v35, v35, v36, v38
	v_div_fixup_f32 v26, v35, v26, 1.0
	v_add_f32_e32 v20, v20, v26
	v_mul_f32_e32 v26, v27, v27
	v_div_scale_f32 v27, null, v25, v25, 1.0
	v_rcp_f32_e32 v28, v27
	v_fma_f32 v35, -v27, v28, 1.0
	v_fmac_f32_e32 v28, v35, v28
	v_div_scale_f32 v35, vcc_lo, 1.0, v25, 1.0
	v_mul_f32_e32 v36, v35, v28
	v_fma_f32 v37, -v27, v36, v35
	v_fmac_f32_e32 v36, v37, v28
	v_fma_f32 v27, -v27, v36, v35
	v_div_fmas_f32 v27, v27, v28, v36
	v_div_fixup_f32 v25, v27, v25, 1.0
	v_div_scale_f32 v27, null, v26, v26, 1.0
	v_add_f32_e32 v20, v20, v25
	v_rcp_f32_e32 v28, v27
	v_div_scale_f32 v25, null, v12, v12, 1.0
	v_fma_f32 v35, -v27, v28, 1.0
	v_fmac_f32_e32 v28, v35, v28
	v_div_scale_f32 v35, vcc_lo, 1.0, v26, 1.0
	v_mul_f32_e32 v36, v35, v28
	v_fma_f32 v37, -v27, v36, v35
	v_fmac_f32_e32 v36, v37, v28
	v_fma_f32 v27, -v27, v36, v35
	v_div_fmas_f32 v27, v27, v28, v36
	v_div_fixup_f32 v26, v27, v26, 1.0
	v_add_f32_e32 v15, v15, v26
	v_rcp_f32_e32 v26, v25
	v_fma_f32 v27, -v25, v26, 1.0
	v_fmac_f32_e32 v26, v27, v26
	v_div_scale_f32 v27, vcc_lo, 1.0, v12, 1.0
	v_mul_f32_e32 v28, v27, v26
	v_fma_f32 v35, -v25, v28, v27
	v_fmac_f32_e32 v28, v35, v26
	v_fma_f32 v25, -v25, v28, v27
	v_div_fmas_f32 v25, v25, v26, v28
	v_div_fixup_f32 v12, v25, v12, 1.0
	v_div_scale_f32 v25, null, v14, v14, 1.0
	v_add_f32_e32 v12, v15, v12
	v_rcp_f32_e32 v26, v25
	v_mul_f32_e32 v15, v19, v19
	v_div_scale_f32 v19, null, v18, v18, 1.0
	v_fma_f32 v27, -v25, v26, 1.0
	v_fmac_f32_e32 v26, v27, v26
	v_div_scale_f32 v27, vcc_lo, 1.0, v14, 1.0
	v_mul_f32_e32 v28, v27, v26
	v_fma_f32 v35, -v25, v28, v27
	v_fmac_f32_e32 v28, v35, v26
	v_fma_f32 v25, -v25, v28, v27
	v_div_fmas_f32 v25, v25, v26, v28
	v_div_fixup_f32 v14, v25, v14, 1.0
	v_add_f32_e32 v14, v20, v14
	v_rcp_f32_e32 v20, v19
	v_fma_f32 v25, -v19, v20, 1.0
	v_fmac_f32_e32 v20, v25, v20
	v_div_scale_f32 v25, vcc_lo, 1.0, v18, 1.0
	v_mul_f32_e32 v26, v25, v20
	v_fma_f32 v27, -v19, v26, v25
	v_fmac_f32_e32 v26, v27, v20
	v_fma_f32 v19, -v19, v26, v25
	v_div_fmas_f32 v19, v19, v20, v26
	v_div_fixup_f32 v18, v19, v18, 1.0
	v_div_scale_f32 v19, null, v15, v15, 1.0
	v_add_f32_e32 v14, v14, v18
	v_rcp_f32_e32 v20, v19
	v_mul_f32_e32 v18, v21, v21
	v_fma_f32 v25, -v19, v20, 1.0
	v_fmac_f32_e32 v20, v25, v20
	v_div_scale_f32 v25, vcc_lo, 1.0, v15, 1.0
	v_mul_f32_e32 v26, v25, v20
	v_fma_f32 v27, -v19, v26, v25
	v_fmac_f32_e32 v26, v27, v20
	v_fma_f32 v19, -v19, v26, v25
	v_div_fmas_f32 v19, v19, v20, v26
	v_div_fixup_f32 v15, v19, v15, 1.0
	v_div_scale_f32 v19, null, v18, v18, 1.0
	v_add_f32_e32 v12, v12, v15
	v_rcp_f32_e32 v20, v19
	v_mul_f32_e32 v15, v24, v24
	;; [unrolled: 13-line block ×4, first 2 shown]
	v_fma_f32 v21, -v19, v20, 1.0
	v_fmac_f32_e32 v20, v21, v20
	v_div_scale_f32 v21, vcc_lo, 1.0, v18, 1.0
	v_mul_f32_e32 v24, v21, v20
	v_fma_f32 v25, -v19, v24, v21
	v_fmac_f32_e32 v24, v25, v20
	v_fma_f32 v19, -v19, v24, v21
	v_div_fmas_f32 v19, v19, v20, v24
	v_div_fixup_f32 v18, v19, v18, 1.0
	v_div_scale_f32 v19, null, v15, v15, 1.0
	v_add_f32_e32 v14, v14, v18
	v_rcp_f32_e32 v20, v19
	v_add_f32_e32 v18, v32, v32
	v_fma_f32 v21, -v19, v20, 1.0
	v_fmac_f32_e32 v20, v21, v20
	v_div_scale_f32 v21, vcc_lo, 1.0, v15, 1.0
	v_mul_f32_e32 v24, v21, v20
	v_fma_f32 v25, -v19, v24, v21
	v_fmac_f32_e32 v24, v25, v20
	v_fma_f32 v19, -v19, v24, v21
	v_div_fmas_f32 v19, v19, v20, v24
	v_div_fixup_f32 v15, v19, v15, 1.0
	v_div_scale_f32 v19, null, v18, v18, 1.0
	v_add_f32_e32 v12, v12, v15
	v_rcp_f32_e32 v20, v19
	v_add_f32_e32 v15, v31, v31
	v_fma_f32 v21, -v19, v20, 1.0
	v_fmac_f32_e32 v20, v21, v20
	v_div_scale_f32 v21, vcc_lo, 1.0, v18, 1.0
	v_mul_f32_e32 v24, v21, v20
	v_fma_f32 v25, -v19, v24, v21
	v_fmac_f32_e32 v24, v25, v20
	v_fma_f32 v19, -v19, v24, v21
	v_div_fmas_f32 v19, v19, v20, v24
	v_div_fixup_f32 v18, v19, v18, 1.0
	v_div_scale_f32 v19, null, v15, v15, 1.0
	v_add_f32_e32 v18, 1.0, v18
	v_rcp_f32_e32 v20, v19
	v_fmac_f32_e32 v18, v33, v34
	v_fma_f32 v21, -v19, v20, 1.0
	v_fmac_f32_e32 v20, v21, v20
	v_div_scale_f32 v21, vcc_lo, 1.0, v15, 1.0
	v_mul_f32_e32 v24, v21, v20
	v_fma_f32 v25, -v19, v24, v21
	v_fmac_f32_e32 v24, v25, v20
	v_fma_f32 v19, -v19, v24, v21
	v_div_fmas_f32 v19, v19, v20, v24
	v_div_fixup_f32 v15, v19, v15, 1.0
	v_mul_f32_e32 v19, v31, v31
	v_add_f32_e32 v15, 1.0, v15
	v_div_scale_f32 v20, null, v19, v19, 1.0
	v_rcp_f32_e32 v21, v20
	v_fma_f32 v24, -v20, v21, 1.0
	v_fmac_f32_e32 v21, v24, v21
	v_div_scale_f32 v24, vcc_lo, 1.0, v19, 1.0
	v_mul_f32_e32 v25, v24, v21
	v_fma_f32 v26, -v20, v25, v24
	v_fmac_f32_e32 v25, v26, v21
	v_fma_f32 v20, -v20, v25, v24
	v_div_fmas_f32 v20, v20, v21, v25
	v_div_fixup_f32 v19, v20, v19, 1.0
	v_fmaak_f32 v20, s4, v19, 0x3d088889
	v_fma_f32 v20, -v19, v20, 0x3e2aaaab
	v_fmac_f32_e32 v15, v20, v19
	v_div_scale_f32 v19, null, v31, v31, v15
	v_rcp_f32_e32 v20, v19
	v_fma_f32 v21, -v19, v20, 1.0
	v_fmac_f32_e32 v20, v21, v20
	v_div_scale_f32 v21, vcc_lo, v15, v31, v15
	v_mul_f32_e32 v24, v21, v20
	v_fma_f32 v25, -v19, v24, v21
	v_fmac_f32_e32 v24, v25, v20
	v_fma_f32 v19, -v19, v24, v21
	v_div_fmas_f32 v19, v19, v20, v24
	v_div_fixup_f32 v15, v19, v31, v15
	v_div_scale_f32 v19, null, v32, v32, v18
	v_add_f32_e32 v12, v12, v15
	v_rcp_f32_e32 v20, v19
	v_mul_f32_e32 v7, v7, v12
	v_fma_f32 v21, -v19, v20, 1.0
	v_fmac_f32_e32 v20, v21, v20
	v_div_scale_f32 v21, vcc_lo, v18, v32, v18
	v_mul_f32_e32 v24, v21, v20
	v_fma_f32 v25, -v19, v24, v21
	v_fmac_f32_e32 v24, v25, v20
	v_fma_f32 v19, -v19, v24, v21
	v_div_fmas_f32 v19, v19, v20, v24
	v_cmp_o_f32_e32 vcc_lo, v7, v7
	v_div_fixup_f32 v18, v19, v32, v18
	v_add_f32_e32 v14, v14, v18
	v_mul_f32_e32 v12, v13, v14
	v_and_b32_sdwa v14, v7, v10 dst_sel:DWORD dst_unused:UNUSED_PAD src0_sel:WORD_1 src1_sel:DWORD
	v_and_b32_sdwa v13, v12, v10 dst_sel:DWORD dst_unused:UNUSED_PAD src0_sel:WORD_1 src1_sel:DWORD
	v_add3_u32 v14, v7, v14, 0x7fff
	v_add3_u32 v13, v12, v13, 0x7fff
	v_lshrrev_b32_e32 v14, 16, v14
	v_lshrrev_b32_e32 v13, 16, v13
	v_cndmask_b32_e32 v7, 0x7fc0, v14, vcc_lo
	v_add_f32_e32 v14, 1.0, v22
	v_cmp_o_f32_e32 vcc_lo, v12, v12
	v_add_f32_e32 v15, 1.0, v14
	v_cndmask_b32_e32 v12, 0x7fc0, v13, vcc_lo
	v_add_f32_e32 v13, 1.0, v11
	v_mul_f32_e32 v11, v11, v11
	v_add_f32_e32 v20, 1.0, v15
	v_add_f32_e32 v18, 1.0, v13
	;; [unrolled: 1-line block ×6, first 2 shown]
	v_mul_f32_e32 v27, v26, v26
	v_add_f32_e32 v25, 1.0, v24
	v_div_scale_f32 v28, null, v27, v27, 1.0
	v_rcp_f32_e32 v29, v28
	v_fma_f32 v30, -v28, v29, 1.0
	v_fmac_f32_e32 v29, v30, v29
	v_div_scale_f32 v30, vcc_lo, 1.0, v27, 1.0
	v_mul_f32_e32 v31, v30, v29
	v_fma_f32 v32, -v28, v31, v30
	v_fmac_f32_e32 v31, v32, v29
	v_fma_f32 v28, -v28, v31, v30
	v_div_fmas_f32 v28, v28, v29, v31
	v_div_scale_f32 v29, null, v23, v23, 1.0
	v_div_fixup_f32 v27, v28, v27, 1.0
	v_rcp_f32_e32 v30, v29
	v_fmaak_f32 v28, s4, v27, 0x3d088889
	v_fma_f32 v28, -v27, v28, 0x3e2aaaab
	v_fma_f32 v31, -v29, v30, 1.0
	v_fmac_f32_e32 v30, v31, v30
	v_div_scale_f32 v31, vcc_lo, 1.0, v23, 1.0
	v_mul_f32_e32 v32, v31, v30
	v_fma_f32 v33, -v29, v32, v31
	v_fmac_f32_e32 v32, v33, v30
	v_fma_f32 v29, -v29, v32, v31
	v_div_fmas_f32 v29, v29, v30, v32
	v_div_fixup_f32 v23, v29, v23, 1.0
	v_div_scale_f32 v29, null, v16, v16, 1.0
	v_rcp_f32_e32 v30, v29
	v_fma_f32 v31, -v29, v30, 1.0
	v_fmac_f32_e32 v30, v31, v30
	v_div_scale_f32 v31, vcc_lo, 1.0, v16, 1.0
	v_mul_f32_e32 v32, v31, v30
	v_fma_f32 v33, -v29, v32, v31
	v_fmac_f32_e32 v32, v33, v30
	v_fma_f32 v29, -v29, v32, v31
	v_div_fmas_f32 v29, v29, v30, v32
	v_div_fixup_f32 v16, v29, v16, 1.0
	v_add_f32_e32 v5, v5, v16
	v_add_f32_e32 v16, v17, v23
	v_mul_f32_e32 v17, v22, v22
	v_div_scale_f32 v22, null, v11, v11, 1.0
	v_rcp_f32_e32 v23, v22
	v_fma_f32 v29, -v22, v23, 1.0
	v_fmac_f32_e32 v23, v29, v23
	v_div_scale_f32 v29, vcc_lo, 1.0, v11, 1.0
	v_mul_f32_e32 v30, v29, v23
	v_fma_f32 v31, -v22, v30, v29
	v_fmac_f32_e32 v30, v31, v23
	v_fma_f32 v22, -v22, v30, v29
	v_div_fmas_f32 v22, v22, v23, v30
	v_div_fixup_f32 v11, v22, v11, 1.0
	v_div_scale_f32 v22, null, v17, v17, 1.0
	v_add_f32_e32 v5, v5, v11
	v_rcp_f32_e32 v23, v22
	v_mul_f32_e32 v11, v13, v13
	v_mul_f32_e32 v13, v14, v14
	v_div_scale_f32 v14, null, v13, v13, 1.0
	v_fma_f32 v29, -v22, v23, 1.0
	v_fmac_f32_e32 v23, v29, v23
	v_div_scale_f32 v29, vcc_lo, 1.0, v17, 1.0
	v_mul_f32_e32 v30, v29, v23
	v_fma_f32 v31, -v22, v30, v29
	v_fmac_f32_e32 v30, v31, v23
	v_fma_f32 v22, -v22, v30, v29
	v_div_fmas_f32 v22, v22, v23, v30
	v_div_fixup_f32 v17, v22, v17, 1.0
	v_add_f32_e32 v16, v16, v17
	v_rcp_f32_e32 v17, v14
	v_fma_f32 v22, -v14, v17, 1.0
	v_fmac_f32_e32 v17, v22, v17
	v_div_scale_f32 v22, vcc_lo, 1.0, v13, 1.0
	v_mul_f32_e32 v23, v22, v17
	v_fma_f32 v29, -v14, v23, v22
	v_fmac_f32_e32 v23, v29, v17
	v_fma_f32 v14, -v14, v23, v22
	v_div_fmas_f32 v14, v14, v17, v23
	v_div_fixup_f32 v13, v14, v13, 1.0
	v_div_scale_f32 v14, null, v11, v11, 1.0
	v_rcp_f32_e32 v17, v14
	v_fma_f32 v22, -v14, v17, 1.0
	v_fmac_f32_e32 v17, v22, v17
	v_div_scale_f32 v22, vcc_lo, 1.0, v11, 1.0
	v_mul_f32_e32 v23, v22, v17
	v_fma_f32 v29, -v14, v23, v22
	v_fmac_f32_e32 v23, v29, v17
	v_fma_f32 v14, -v14, v23, v22
	v_div_fmas_f32 v14, v14, v17, v23
	v_div_fixup_f32 v11, v14, v11, 1.0
	v_mul_f32_e32 v14, v18, v18
	v_add_f32_e32 v5, v5, v11
	v_add_f32_e32 v11, v16, v13
	v_mul_f32_e32 v13, v15, v15
	v_div_scale_f32 v15, null, v14, v14, 1.0
	v_rcp_f32_e32 v16, v15
	v_fma_f32 v17, -v15, v16, 1.0
	v_fmac_f32_e32 v16, v17, v16
	v_div_scale_f32 v17, vcc_lo, 1.0, v14, 1.0
	v_mul_f32_e32 v18, v17, v16
	v_fma_f32 v22, -v15, v18, v17
	v_fmac_f32_e32 v18, v22, v16
	v_fma_f32 v15, -v15, v18, v17
	v_div_fmas_f32 v15, v15, v16, v18
	v_div_fixup_f32 v14, v15, v14, 1.0
	v_div_scale_f32 v15, null, v13, v13, 1.0
	v_add_f32_e32 v5, v5, v14
	v_rcp_f32_e32 v16, v15
	v_mul_f32_e32 v14, v20, v20
	v_fma_f32 v17, -v15, v16, 1.0
	v_fmac_f32_e32 v16, v17, v16
	v_div_scale_f32 v17, vcc_lo, 1.0, v13, 1.0
	v_mul_f32_e32 v18, v17, v16
	v_fma_f32 v22, -v15, v18, v17
	v_fmac_f32_e32 v18, v22, v16
	v_fma_f32 v15, -v15, v18, v17
	v_div_fmas_f32 v15, v15, v16, v18
	v_div_fixup_f32 v13, v15, v13, 1.0
	v_div_scale_f32 v15, null, v14, v14, 1.0
	v_add_f32_e32 v11, v11, v13
	v_rcp_f32_e32 v16, v15
	v_mul_f32_e32 v13, v19, v19
	;; [unrolled: 13-line block ×4, first 2 shown]
	v_fma_f32 v17, -v15, v16, 1.0
	v_fmac_f32_e32 v16, v17, v16
	v_div_scale_f32 v17, vcc_lo, 1.0, v14, 1.0
	v_mul_f32_e32 v18, v17, v16
	v_fma_f32 v19, -v15, v18, v17
	v_fmac_f32_e32 v18, v19, v16
	v_fma_f32 v15, -v15, v18, v17
	v_div_fmas_f32 v15, v15, v16, v18
	v_div_fixup_f32 v14, v15, v14, 1.0
	v_div_scale_f32 v15, null, v13, v13, 1.0
	v_add_f32_e32 v5, v5, v14
	v_rcp_f32_e32 v16, v15
	v_fma_f32 v17, -v15, v16, 1.0
	v_fmac_f32_e32 v16, v17, v16
	v_div_scale_f32 v17, vcc_lo, 1.0, v13, 1.0
	v_mul_f32_e32 v18, v17, v16
	v_fma_f32 v19, -v15, v18, v17
	v_fmac_f32_e32 v18, v19, v16
	v_fma_f32 v15, -v15, v18, v17
	v_div_fmas_f32 v15, v15, v16, v18
	v_div_fixup_f32 v13, v15, v13, 1.0
	v_add_f32_e32 v11, v11, v13
	v_mul_f32_e32 v13, v25, v25
	v_div_scale_f32 v14, null, v13, v13, 1.0
	v_rcp_f32_e32 v15, v14
	v_fma_f32 v16, -v14, v15, 1.0
	v_fmac_f32_e32 v15, v16, v15
	v_div_scale_f32 v16, vcc_lo, 1.0, v13, 1.0
	v_mul_f32_e32 v17, v16, v15
	v_fma_f32 v18, -v14, v17, v16
	v_fmac_f32_e32 v17, v18, v15
	v_fma_f32 v14, -v14, v17, v16
	v_div_fmas_f32 v14, v14, v15, v17
	v_add_f32_e32 v15, v25, v25
	v_div_fixup_f32 v13, v14, v13, 1.0
	v_div_scale_f32 v16, null, v15, v15, 1.0
	v_add_f32_e32 v14, v26, v26
	v_rcp_f32_e32 v17, v16
	v_fma_f32 v18, -v16, v17, 1.0
	v_fmac_f32_e32 v17, v18, v17
	v_div_scale_f32 v18, vcc_lo, 1.0, v15, 1.0
	v_mul_f32_e32 v19, v18, v17
	v_fma_f32 v20, -v16, v19, v18
	v_fmac_f32_e32 v19, v20, v17
	v_fma_f32 v16, -v16, v19, v18
	v_div_fmas_f32 v16, v16, v17, v19
	v_div_fixup_f32 v15, v16, v15, 1.0
	v_div_scale_f32 v16, null, v14, v14, 1.0
	v_add_f32_e32 v15, 1.0, v15
	v_rcp_f32_e32 v17, v16
	v_fma_f32 v18, -v16, v17, 1.0
	v_fmac_f32_e32 v17, v18, v17
	v_div_scale_f32 v18, vcc_lo, 1.0, v14, 1.0
	v_mul_f32_e32 v19, v18, v17
	v_fma_f32 v20, -v16, v19, v18
	v_fmac_f32_e32 v19, v20, v17
	v_fma_f32 v16, -v16, v19, v18
	v_div_fmas_f32 v16, v16, v17, v19
	v_div_fixup_f32 v14, v16, v14, 1.0
	v_fmaak_f32 v16, s4, v13, 0x3d088889
	v_add_f32_e32 v14, 1.0, v14
	v_fma_f32 v16, -v13, v16, 0x3e2aaaab
	v_fmac_f32_e32 v14, v28, v27
	v_fmac_f32_e32 v15, v13, v16
	v_div_scale_f32 v13, null, v26, v26, v14
	v_rcp_f32_e32 v16, v13
	v_fma_f32 v17, -v13, v16, 1.0
	v_fmac_f32_e32 v16, v17, v16
	v_div_scale_f32 v17, vcc_lo, v14, v26, v14
	v_mul_f32_e32 v18, v17, v16
	v_fma_f32 v19, -v13, v18, v17
	v_fmac_f32_e32 v18, v19, v16
	v_fma_f32 v13, -v13, v18, v17
	v_div_fmas_f32 v13, v13, v16, v18
	v_div_fixup_f32 v13, v13, v26, v14
	v_div_scale_f32 v14, null, v25, v25, v15
	v_add_f32_e32 v11, v11, v13
	v_rcp_f32_e32 v16, v14
	v_mul_f32_e32 v3, v3, v11
	v_fma_f32 v17, -v14, v16, 1.0
	v_fmac_f32_e32 v16, v17, v16
	v_div_scale_f32 v17, vcc_lo, v15, v25, v15
	v_mul_f32_e32 v18, v17, v16
	v_fma_f32 v19, -v14, v18, v17
	v_fmac_f32_e32 v18, v19, v16
	v_fma_f32 v14, -v14, v18, v17
	v_div_fmas_f32 v14, v14, v16, v18
	v_cmp_o_f32_e32 vcc_lo, v3, v3
	v_div_fixup_f32 v14, v14, v25, v15
	v_add_f32_e32 v5, v5, v14
	v_mul_f32_e32 v4, v4, v5
	v_and_b32_sdwa v5, v4, v10 dst_sel:DWORD dst_unused:UNUSED_PAD src0_sel:WORD_1 src1_sel:DWORD
	v_and_b32_sdwa v10, v3, v10 dst_sel:DWORD dst_unused:UNUSED_PAD src0_sel:WORD_1 src1_sel:DWORD
	v_add3_u32 v5, v4, v5, 0x7fff
	v_add3_u32 v10, v3, v10, 0x7fff
	v_mov_b32_e32 v3, 0x7fc0
	v_cndmask_b32_sdwa v10, v3, v10, vcc_lo dst_sel:DWORD dst_unused:UNUSED_PAD src0_sel:DWORD src1_sel:WORD_1
	v_cmp_o_f32_e32 vcc_lo, v4, v4
	v_perm_b32 v4, v12, v7, 0x5040100
	v_cndmask_b32_sdwa v3, v3, v5, vcc_lo dst_sel:DWORD dst_unused:UNUSED_PAD src0_sel:DWORD src1_sel:WORD_1
	v_perm_b32 v5, v3, v10, 0x5040100
	v_perm_b32 v3, v9, v2, 0x5040100
	;; [unrolled: 1-line block ×3, first 2 shown]
	flat_store_dwordx4 v[0:1], v[2:5]
	s_waitcnt lgkmcnt(0)
	s_setpc_b64 s[30:31]
.Lfunc_end69:
	.size	_ZN2at6native25elementwise_kernel_helperILb0EZZZNS0_20trigamma_kernel_cudaERNS_18TensorIteratorBaseEENKUlvE_clEvENKUlvE2_clEvEUlN3c108BFloat16EE_NS0_6memory8policies10vectorizedILi8ESt5arrayIPcLm2EELi8EEEEEvT0_T1_, .Lfunc_end69-_ZN2at6native25elementwise_kernel_helperILb0EZZZNS0_20trigamma_kernel_cudaERNS_18TensorIteratorBaseEENKUlvE_clEvENKUlvE2_clEvEUlN3c108BFloat16EE_NS0_6memory8policies10vectorizedILi8ESt5arrayIPcLm2EELi8EEEEEvT0_T1_
                                        ; -- End function
	.set .L_ZN2at6native25elementwise_kernel_helperILb0EZZZNS0_20trigamma_kernel_cudaERNS_18TensorIteratorBaseEENKUlvE_clEvENKUlvE2_clEvEUlN3c108BFloat16EE_NS0_6memory8policies10vectorizedILi8ESt5arrayIPcLm2EELi8EEEEEvT0_T1_.num_vgpr, 67
	.set .L_ZN2at6native25elementwise_kernel_helperILb0EZZZNS0_20trigamma_kernel_cudaERNS_18TensorIteratorBaseEENKUlvE_clEvENKUlvE2_clEvEUlN3c108BFloat16EE_NS0_6memory8policies10vectorizedILi8ESt5arrayIPcLm2EELi8EEEEEvT0_T1_.num_agpr, 0
	.set .L_ZN2at6native25elementwise_kernel_helperILb0EZZZNS0_20trigamma_kernel_cudaERNS_18TensorIteratorBaseEENKUlvE_clEvENKUlvE2_clEvEUlN3c108BFloat16EE_NS0_6memory8policies10vectorizedILi8ESt5arrayIPcLm2EELi8EEEEEvT0_T1_.numbered_sgpr, 32
	.set .L_ZN2at6native25elementwise_kernel_helperILb0EZZZNS0_20trigamma_kernel_cudaERNS_18TensorIteratorBaseEENKUlvE_clEvENKUlvE2_clEvEUlN3c108BFloat16EE_NS0_6memory8policies10vectorizedILi8ESt5arrayIPcLm2EELi8EEEEEvT0_T1_.num_named_barrier, 0
	.set .L_ZN2at6native25elementwise_kernel_helperILb0EZZZNS0_20trigamma_kernel_cudaERNS_18TensorIteratorBaseEENKUlvE_clEvENKUlvE2_clEvEUlN3c108BFloat16EE_NS0_6memory8policies10vectorizedILi8ESt5arrayIPcLm2EELi8EEEEEvT0_T1_.private_seg_size, 0
	.set .L_ZN2at6native25elementwise_kernel_helperILb0EZZZNS0_20trigamma_kernel_cudaERNS_18TensorIteratorBaseEENKUlvE_clEvENKUlvE2_clEvEUlN3c108BFloat16EE_NS0_6memory8policies10vectorizedILi8ESt5arrayIPcLm2EELi8EEEEEvT0_T1_.uses_vcc, 1
	.set .L_ZN2at6native25elementwise_kernel_helperILb0EZZZNS0_20trigamma_kernel_cudaERNS_18TensorIteratorBaseEENKUlvE_clEvENKUlvE2_clEvEUlN3c108BFloat16EE_NS0_6memory8policies10vectorizedILi8ESt5arrayIPcLm2EELi8EEEEEvT0_T1_.uses_flat_scratch, 0
	.set .L_ZN2at6native25elementwise_kernel_helperILb0EZZZNS0_20trigamma_kernel_cudaERNS_18TensorIteratorBaseEENKUlvE_clEvENKUlvE2_clEvEUlN3c108BFloat16EE_NS0_6memory8policies10vectorizedILi8ESt5arrayIPcLm2EELi8EEEEEvT0_T1_.has_dyn_sized_stack, 0
	.set .L_ZN2at6native25elementwise_kernel_helperILb0EZZZNS0_20trigamma_kernel_cudaERNS_18TensorIteratorBaseEENKUlvE_clEvENKUlvE2_clEvEUlN3c108BFloat16EE_NS0_6memory8policies10vectorizedILi8ESt5arrayIPcLm2EELi8EEEEEvT0_T1_.has_recursion, 0
	.set .L_ZN2at6native25elementwise_kernel_helperILb0EZZZNS0_20trigamma_kernel_cudaERNS_18TensorIteratorBaseEENKUlvE_clEvENKUlvE2_clEvEUlN3c108BFloat16EE_NS0_6memory8policies10vectorizedILi8ESt5arrayIPcLm2EELi8EEEEEvT0_T1_.has_indirect_call, 0
	.section	.AMDGPU.csdata,"",@progbits
; Function info:
; codeLenInByte = 13916
; TotalNumSgprs: 34
; NumVgprs: 67
; ScratchSize: 0
; MemoryBound: 0
	.section	.text._ZN2at6native29vectorized_elementwise_kernelILi16EZZZNS0_20trigamma_kernel_cudaERNS_18TensorIteratorBaseEENKUlvE_clEvENKUlvE2_clEvEUlN3c108BFloat16EE_St5arrayIPcLm2EEEEviT0_T1_,"axG",@progbits,_ZN2at6native29vectorized_elementwise_kernelILi16EZZZNS0_20trigamma_kernel_cudaERNS_18TensorIteratorBaseEENKUlvE_clEvENKUlvE2_clEvEUlN3c108BFloat16EE_St5arrayIPcLm2EEEEviT0_T1_,comdat
	.globl	_ZN2at6native29vectorized_elementwise_kernelILi16EZZZNS0_20trigamma_kernel_cudaERNS_18TensorIteratorBaseEENKUlvE_clEvENKUlvE2_clEvEUlN3c108BFloat16EE_St5arrayIPcLm2EEEEviT0_T1_ ; -- Begin function _ZN2at6native29vectorized_elementwise_kernelILi16EZZZNS0_20trigamma_kernel_cudaERNS_18TensorIteratorBaseEENKUlvE_clEvENKUlvE2_clEvEUlN3c108BFloat16EE_St5arrayIPcLm2EEEEviT0_T1_
	.p2align	8
	.type	_ZN2at6native29vectorized_elementwise_kernelILi16EZZZNS0_20trigamma_kernel_cudaERNS_18TensorIteratorBaseEENKUlvE_clEvENKUlvE2_clEvEUlN3c108BFloat16EE_St5arrayIPcLm2EEEEviT0_T1_,@function
_ZN2at6native29vectorized_elementwise_kernelILi16EZZZNS0_20trigamma_kernel_cudaERNS_18TensorIteratorBaseEENKUlvE_clEvENKUlvE2_clEvEUlN3c108BFloat16EE_St5arrayIPcLm2EEEEviT0_T1_: ; @_ZN2at6native29vectorized_elementwise_kernelILi16EZZZNS0_20trigamma_kernel_cudaERNS_18TensorIteratorBaseEENKUlvE_clEvENKUlvE2_clEvEUlN3c108BFloat16EE_St5arrayIPcLm2EEEEviT0_T1_
; %bb.0:
	s_mov_b32 s12, s6
	s_clause 0x1
	s_load_dword s6, s[4:5], 0x0
	s_load_dwordx4 s[16:19], s[4:5], 0x8
	s_add_u32 s0, s0, s7
	s_addc_u32 s1, s1, 0
	s_lshl_b32 s4, s12, 11
	v_mov_b32_e32 v40, v0
	s_mov_b32 s32, 0
	s_waitcnt lgkmcnt(0)
	s_sub_i32 s10, s6, s4
	s_mov_b32 s4, -1
	s_cmpk_gt_i32 s10, 0x7ff
	s_cbranch_scc1 .LBB70_3
; %bb.1:
	s_andn2_b32 vcc_lo, exec_lo, s4
	s_cbranch_vccz .LBB70_4
.LBB70_2:
	s_endpgm
.LBB70_3:
	v_mov_b32_e32 v31, v40
	v_mov_b32_e32 v0, s16
	;; [unrolled: 1-line block ×5, first 2 shown]
	s_getpc_b64 s[4:5]
	s_add_u32 s4, s4, _ZN2at6native25elementwise_kernel_helperILb0EZZZNS0_20trigamma_kernel_cudaERNS_18TensorIteratorBaseEENKUlvE_clEvENKUlvE2_clEvEUlN3c108BFloat16EE_NS0_6memory8policies10vectorizedILi8ESt5arrayIPcLm2EELi8EEEEEvT0_T1_@rel32@lo+4
	s_addc_u32 s5, s5, _ZN2at6native25elementwise_kernel_helperILb0EZZZNS0_20trigamma_kernel_cudaERNS_18TensorIteratorBaseEENKUlvE_clEvENKUlvE2_clEvEUlN3c108BFloat16EE_NS0_6memory8policies10vectorizedILi8ESt5arrayIPcLm2EELi8EEEEEvT0_T1_@rel32@hi+12
	s_swappc_b64 s[30:31], s[4:5]
	s_cbranch_execnz .LBB70_2
.LBB70_4:
	v_mov_b32_e32 v31, v40
	v_mov_b32_e32 v0, s16
	;; [unrolled: 1-line block ×6, first 2 shown]
	s_getpc_b64 s[4:5]
	s_add_u32 s4, s4, _ZN2at6native25elementwise_kernel_helperILb0EZZZNS0_20trigamma_kernel_cudaERNS_18TensorIteratorBaseEENKUlvE_clEvENKUlvE2_clEvEUlN3c108BFloat16EE_NS0_6memory8policies11unroll_baseILi256ESt5arrayIPcLm2EE23TrivialOffsetCalculatorILi1EjESG_NS9_15LoadWithoutCastENS9_16StoreWithoutCastELi8ELi1EEEEEvT0_T1_@rel32@lo+4
	s_addc_u32 s5, s5, _ZN2at6native25elementwise_kernel_helperILb0EZZZNS0_20trigamma_kernel_cudaERNS_18TensorIteratorBaseEENKUlvE_clEvENKUlvE2_clEvEUlN3c108BFloat16EE_NS0_6memory8policies11unroll_baseILi256ESt5arrayIPcLm2EE23TrivialOffsetCalculatorILi1EjESG_NS9_15LoadWithoutCastENS9_16StoreWithoutCastELi8ELi1EEEEEvT0_T1_@rel32@hi+12
	s_swappc_b64 s[30:31], s[4:5]
	s_endpgm
	.section	.rodata,"a",@progbits
	.p2align	6, 0x0
	.amdhsa_kernel _ZN2at6native29vectorized_elementwise_kernelILi16EZZZNS0_20trigamma_kernel_cudaERNS_18TensorIteratorBaseEENKUlvE_clEvENKUlvE2_clEvEUlN3c108BFloat16EE_St5arrayIPcLm2EEEEviT0_T1_
		.amdhsa_group_segment_fixed_size 0
		.amdhsa_private_segment_fixed_size 0
		.amdhsa_kernarg_size 24
		.amdhsa_user_sgpr_count 6
		.amdhsa_user_sgpr_private_segment_buffer 1
		.amdhsa_user_sgpr_dispatch_ptr 0
		.amdhsa_user_sgpr_queue_ptr 0
		.amdhsa_user_sgpr_kernarg_segment_ptr 1
		.amdhsa_user_sgpr_dispatch_id 0
		.amdhsa_user_sgpr_flat_scratch_init 0
		.amdhsa_user_sgpr_private_segment_size 0
		.amdhsa_wavefront_size32 1
		.amdhsa_uses_dynamic_stack 0
		.amdhsa_system_sgpr_private_segment_wavefront_offset 0
		.amdhsa_system_sgpr_workgroup_id_x 1
		.amdhsa_system_sgpr_workgroup_id_y 0
		.amdhsa_system_sgpr_workgroup_id_z 0
		.amdhsa_system_sgpr_workgroup_info 0
		.amdhsa_system_vgpr_workitem_id 0
		.amdhsa_next_free_vgpr 67
		.amdhsa_next_free_sgpr 33
		.amdhsa_reserve_vcc 1
		.amdhsa_reserve_flat_scratch 0
		.amdhsa_float_round_mode_32 0
		.amdhsa_float_round_mode_16_64 0
		.amdhsa_float_denorm_mode_32 3
		.amdhsa_float_denorm_mode_16_64 3
		.amdhsa_dx10_clamp 1
		.amdhsa_ieee_mode 1
		.amdhsa_fp16_overflow 0
		.amdhsa_workgroup_processor_mode 1
		.amdhsa_memory_ordered 1
		.amdhsa_forward_progress 1
		.amdhsa_shared_vgpr_count 0
		.amdhsa_exception_fp_ieee_invalid_op 0
		.amdhsa_exception_fp_denorm_src 0
		.amdhsa_exception_fp_ieee_div_zero 0
		.amdhsa_exception_fp_ieee_overflow 0
		.amdhsa_exception_fp_ieee_underflow 0
		.amdhsa_exception_fp_ieee_inexact 0
		.amdhsa_exception_int_div_zero 0
	.end_amdhsa_kernel
	.section	.text._ZN2at6native29vectorized_elementwise_kernelILi16EZZZNS0_20trigamma_kernel_cudaERNS_18TensorIteratorBaseEENKUlvE_clEvENKUlvE2_clEvEUlN3c108BFloat16EE_St5arrayIPcLm2EEEEviT0_T1_,"axG",@progbits,_ZN2at6native29vectorized_elementwise_kernelILi16EZZZNS0_20trigamma_kernel_cudaERNS_18TensorIteratorBaseEENKUlvE_clEvENKUlvE2_clEvEUlN3c108BFloat16EE_St5arrayIPcLm2EEEEviT0_T1_,comdat
.Lfunc_end70:
	.size	_ZN2at6native29vectorized_elementwise_kernelILi16EZZZNS0_20trigamma_kernel_cudaERNS_18TensorIteratorBaseEENKUlvE_clEvENKUlvE2_clEvEUlN3c108BFloat16EE_St5arrayIPcLm2EEEEviT0_T1_, .Lfunc_end70-_ZN2at6native29vectorized_elementwise_kernelILi16EZZZNS0_20trigamma_kernel_cudaERNS_18TensorIteratorBaseEENKUlvE_clEvENKUlvE2_clEvEUlN3c108BFloat16EE_St5arrayIPcLm2EEEEviT0_T1_
                                        ; -- End function
	.set _ZN2at6native29vectorized_elementwise_kernelILi16EZZZNS0_20trigamma_kernel_cudaERNS_18TensorIteratorBaseEENKUlvE_clEvENKUlvE2_clEvEUlN3c108BFloat16EE_St5arrayIPcLm2EEEEviT0_T1_.num_vgpr, max(41, .L_ZN2at6native25elementwise_kernel_helperILb0EZZZNS0_20trigamma_kernel_cudaERNS_18TensorIteratorBaseEENKUlvE_clEvENKUlvE2_clEvEUlN3c108BFloat16EE_NS0_6memory8policies10vectorizedILi8ESt5arrayIPcLm2EELi8EEEEEvT0_T1_.num_vgpr, .L_ZN2at6native25elementwise_kernel_helperILb0EZZZNS0_20trigamma_kernel_cudaERNS_18TensorIteratorBaseEENKUlvE_clEvENKUlvE2_clEvEUlN3c108BFloat16EE_NS0_6memory8policies11unroll_baseILi256ESt5arrayIPcLm2EE23TrivialOffsetCalculatorILi1EjESG_NS9_15LoadWithoutCastENS9_16StoreWithoutCastELi8ELi1EEEEEvT0_T1_.num_vgpr)
	.set _ZN2at6native29vectorized_elementwise_kernelILi16EZZZNS0_20trigamma_kernel_cudaERNS_18TensorIteratorBaseEENKUlvE_clEvENKUlvE2_clEvEUlN3c108BFloat16EE_St5arrayIPcLm2EEEEviT0_T1_.num_agpr, max(0, .L_ZN2at6native25elementwise_kernel_helperILb0EZZZNS0_20trigamma_kernel_cudaERNS_18TensorIteratorBaseEENKUlvE_clEvENKUlvE2_clEvEUlN3c108BFloat16EE_NS0_6memory8policies10vectorizedILi8ESt5arrayIPcLm2EELi8EEEEEvT0_T1_.num_agpr, .L_ZN2at6native25elementwise_kernel_helperILb0EZZZNS0_20trigamma_kernel_cudaERNS_18TensorIteratorBaseEENKUlvE_clEvENKUlvE2_clEvEUlN3c108BFloat16EE_NS0_6memory8policies11unroll_baseILi256ESt5arrayIPcLm2EE23TrivialOffsetCalculatorILi1EjESG_NS9_15LoadWithoutCastENS9_16StoreWithoutCastELi8ELi1EEEEEvT0_T1_.num_agpr)
	.set _ZN2at6native29vectorized_elementwise_kernelILi16EZZZNS0_20trigamma_kernel_cudaERNS_18TensorIteratorBaseEENKUlvE_clEvENKUlvE2_clEvEUlN3c108BFloat16EE_St5arrayIPcLm2EEEEviT0_T1_.numbered_sgpr, max(33, .L_ZN2at6native25elementwise_kernel_helperILb0EZZZNS0_20trigamma_kernel_cudaERNS_18TensorIteratorBaseEENKUlvE_clEvENKUlvE2_clEvEUlN3c108BFloat16EE_NS0_6memory8policies10vectorizedILi8ESt5arrayIPcLm2EELi8EEEEEvT0_T1_.numbered_sgpr, .L_ZN2at6native25elementwise_kernel_helperILb0EZZZNS0_20trigamma_kernel_cudaERNS_18TensorIteratorBaseEENKUlvE_clEvENKUlvE2_clEvEUlN3c108BFloat16EE_NS0_6memory8policies11unroll_baseILi256ESt5arrayIPcLm2EE23TrivialOffsetCalculatorILi1EjESG_NS9_15LoadWithoutCastENS9_16StoreWithoutCastELi8ELi1EEEEEvT0_T1_.numbered_sgpr)
	.set _ZN2at6native29vectorized_elementwise_kernelILi16EZZZNS0_20trigamma_kernel_cudaERNS_18TensorIteratorBaseEENKUlvE_clEvENKUlvE2_clEvEUlN3c108BFloat16EE_St5arrayIPcLm2EEEEviT0_T1_.num_named_barrier, max(0, .L_ZN2at6native25elementwise_kernel_helperILb0EZZZNS0_20trigamma_kernel_cudaERNS_18TensorIteratorBaseEENKUlvE_clEvENKUlvE2_clEvEUlN3c108BFloat16EE_NS0_6memory8policies10vectorizedILi8ESt5arrayIPcLm2EELi8EEEEEvT0_T1_.num_named_barrier, .L_ZN2at6native25elementwise_kernel_helperILb0EZZZNS0_20trigamma_kernel_cudaERNS_18TensorIteratorBaseEENKUlvE_clEvENKUlvE2_clEvEUlN3c108BFloat16EE_NS0_6memory8policies11unroll_baseILi256ESt5arrayIPcLm2EE23TrivialOffsetCalculatorILi1EjESG_NS9_15LoadWithoutCastENS9_16StoreWithoutCastELi8ELi1EEEEEvT0_T1_.num_named_barrier)
	.set _ZN2at6native29vectorized_elementwise_kernelILi16EZZZNS0_20trigamma_kernel_cudaERNS_18TensorIteratorBaseEENKUlvE_clEvENKUlvE2_clEvEUlN3c108BFloat16EE_St5arrayIPcLm2EEEEviT0_T1_.private_seg_size, 0+max(.L_ZN2at6native25elementwise_kernel_helperILb0EZZZNS0_20trigamma_kernel_cudaERNS_18TensorIteratorBaseEENKUlvE_clEvENKUlvE2_clEvEUlN3c108BFloat16EE_NS0_6memory8policies10vectorizedILi8ESt5arrayIPcLm2EELi8EEEEEvT0_T1_.private_seg_size, .L_ZN2at6native25elementwise_kernel_helperILb0EZZZNS0_20trigamma_kernel_cudaERNS_18TensorIteratorBaseEENKUlvE_clEvENKUlvE2_clEvEUlN3c108BFloat16EE_NS0_6memory8policies11unroll_baseILi256ESt5arrayIPcLm2EE23TrivialOffsetCalculatorILi1EjESG_NS9_15LoadWithoutCastENS9_16StoreWithoutCastELi8ELi1EEEEEvT0_T1_.private_seg_size)
	.set _ZN2at6native29vectorized_elementwise_kernelILi16EZZZNS0_20trigamma_kernel_cudaERNS_18TensorIteratorBaseEENKUlvE_clEvENKUlvE2_clEvEUlN3c108BFloat16EE_St5arrayIPcLm2EEEEviT0_T1_.uses_vcc, or(1, .L_ZN2at6native25elementwise_kernel_helperILb0EZZZNS0_20trigamma_kernel_cudaERNS_18TensorIteratorBaseEENKUlvE_clEvENKUlvE2_clEvEUlN3c108BFloat16EE_NS0_6memory8policies10vectorizedILi8ESt5arrayIPcLm2EELi8EEEEEvT0_T1_.uses_vcc, .L_ZN2at6native25elementwise_kernel_helperILb0EZZZNS0_20trigamma_kernel_cudaERNS_18TensorIteratorBaseEENKUlvE_clEvENKUlvE2_clEvEUlN3c108BFloat16EE_NS0_6memory8policies11unroll_baseILi256ESt5arrayIPcLm2EE23TrivialOffsetCalculatorILi1EjESG_NS9_15LoadWithoutCastENS9_16StoreWithoutCastELi8ELi1EEEEEvT0_T1_.uses_vcc)
	.set _ZN2at6native29vectorized_elementwise_kernelILi16EZZZNS0_20trigamma_kernel_cudaERNS_18TensorIteratorBaseEENKUlvE_clEvENKUlvE2_clEvEUlN3c108BFloat16EE_St5arrayIPcLm2EEEEviT0_T1_.uses_flat_scratch, or(0, .L_ZN2at6native25elementwise_kernel_helperILb0EZZZNS0_20trigamma_kernel_cudaERNS_18TensorIteratorBaseEENKUlvE_clEvENKUlvE2_clEvEUlN3c108BFloat16EE_NS0_6memory8policies10vectorizedILi8ESt5arrayIPcLm2EELi8EEEEEvT0_T1_.uses_flat_scratch, .L_ZN2at6native25elementwise_kernel_helperILb0EZZZNS0_20trigamma_kernel_cudaERNS_18TensorIteratorBaseEENKUlvE_clEvENKUlvE2_clEvEUlN3c108BFloat16EE_NS0_6memory8policies11unroll_baseILi256ESt5arrayIPcLm2EE23TrivialOffsetCalculatorILi1EjESG_NS9_15LoadWithoutCastENS9_16StoreWithoutCastELi8ELi1EEEEEvT0_T1_.uses_flat_scratch)
	.set _ZN2at6native29vectorized_elementwise_kernelILi16EZZZNS0_20trigamma_kernel_cudaERNS_18TensorIteratorBaseEENKUlvE_clEvENKUlvE2_clEvEUlN3c108BFloat16EE_St5arrayIPcLm2EEEEviT0_T1_.has_dyn_sized_stack, or(0, .L_ZN2at6native25elementwise_kernel_helperILb0EZZZNS0_20trigamma_kernel_cudaERNS_18TensorIteratorBaseEENKUlvE_clEvENKUlvE2_clEvEUlN3c108BFloat16EE_NS0_6memory8policies10vectorizedILi8ESt5arrayIPcLm2EELi8EEEEEvT0_T1_.has_dyn_sized_stack, .L_ZN2at6native25elementwise_kernel_helperILb0EZZZNS0_20trigamma_kernel_cudaERNS_18TensorIteratorBaseEENKUlvE_clEvENKUlvE2_clEvEUlN3c108BFloat16EE_NS0_6memory8policies11unroll_baseILi256ESt5arrayIPcLm2EE23TrivialOffsetCalculatorILi1EjESG_NS9_15LoadWithoutCastENS9_16StoreWithoutCastELi8ELi1EEEEEvT0_T1_.has_dyn_sized_stack)
	.set _ZN2at6native29vectorized_elementwise_kernelILi16EZZZNS0_20trigamma_kernel_cudaERNS_18TensorIteratorBaseEENKUlvE_clEvENKUlvE2_clEvEUlN3c108BFloat16EE_St5arrayIPcLm2EEEEviT0_T1_.has_recursion, or(0, .L_ZN2at6native25elementwise_kernel_helperILb0EZZZNS0_20trigamma_kernel_cudaERNS_18TensorIteratorBaseEENKUlvE_clEvENKUlvE2_clEvEUlN3c108BFloat16EE_NS0_6memory8policies10vectorizedILi8ESt5arrayIPcLm2EELi8EEEEEvT0_T1_.has_recursion, .L_ZN2at6native25elementwise_kernel_helperILb0EZZZNS0_20trigamma_kernel_cudaERNS_18TensorIteratorBaseEENKUlvE_clEvENKUlvE2_clEvEUlN3c108BFloat16EE_NS0_6memory8policies11unroll_baseILi256ESt5arrayIPcLm2EE23TrivialOffsetCalculatorILi1EjESG_NS9_15LoadWithoutCastENS9_16StoreWithoutCastELi8ELi1EEEEEvT0_T1_.has_recursion)
	.set _ZN2at6native29vectorized_elementwise_kernelILi16EZZZNS0_20trigamma_kernel_cudaERNS_18TensorIteratorBaseEENKUlvE_clEvENKUlvE2_clEvEUlN3c108BFloat16EE_St5arrayIPcLm2EEEEviT0_T1_.has_indirect_call, or(0, .L_ZN2at6native25elementwise_kernel_helperILb0EZZZNS0_20trigamma_kernel_cudaERNS_18TensorIteratorBaseEENKUlvE_clEvENKUlvE2_clEvEUlN3c108BFloat16EE_NS0_6memory8policies10vectorizedILi8ESt5arrayIPcLm2EELi8EEEEEvT0_T1_.has_indirect_call, .L_ZN2at6native25elementwise_kernel_helperILb0EZZZNS0_20trigamma_kernel_cudaERNS_18TensorIteratorBaseEENKUlvE_clEvENKUlvE2_clEvEUlN3c108BFloat16EE_NS0_6memory8policies11unroll_baseILi256ESt5arrayIPcLm2EE23TrivialOffsetCalculatorILi1EjESG_NS9_15LoadWithoutCastENS9_16StoreWithoutCastELi8ELi1EEEEEvT0_T1_.has_indirect_call)
	.section	.AMDGPU.csdata,"",@progbits
; Kernel info:
; codeLenInByte = 176
; TotalNumSgprs: 35
; NumVgprs: 67
; ScratchSize: 0
; MemoryBound: 0
; FloatMode: 240
; IeeeMode: 1
; LDSByteSize: 0 bytes/workgroup (compile time only)
; SGPRBlocks: 0
; VGPRBlocks: 8
; NumSGPRsForWavesPerEU: 35
; NumVGPRsForWavesPerEU: 67
; Occupancy: 12
; WaveLimiterHint : 0
; COMPUTE_PGM_RSRC2:SCRATCH_EN: 0
; COMPUTE_PGM_RSRC2:USER_SGPR: 6
; COMPUTE_PGM_RSRC2:TRAP_HANDLER: 0
; COMPUTE_PGM_RSRC2:TGID_X_EN: 1
; COMPUTE_PGM_RSRC2:TGID_Y_EN: 0
; COMPUTE_PGM_RSRC2:TGID_Z_EN: 0
; COMPUTE_PGM_RSRC2:TIDIG_COMP_CNT: 0
	.section	.text._ZN2at6native29vectorized_elementwise_kernelILi8EZZZNS0_20trigamma_kernel_cudaERNS_18TensorIteratorBaseEENKUlvE_clEvENKUlvE2_clEvEUlN3c108BFloat16EE_St5arrayIPcLm2EEEEviT0_T1_,"axG",@progbits,_ZN2at6native29vectorized_elementwise_kernelILi8EZZZNS0_20trigamma_kernel_cudaERNS_18TensorIteratorBaseEENKUlvE_clEvENKUlvE2_clEvEUlN3c108BFloat16EE_St5arrayIPcLm2EEEEviT0_T1_,comdat
	.globl	_ZN2at6native29vectorized_elementwise_kernelILi8EZZZNS0_20trigamma_kernel_cudaERNS_18TensorIteratorBaseEENKUlvE_clEvENKUlvE2_clEvEUlN3c108BFloat16EE_St5arrayIPcLm2EEEEviT0_T1_ ; -- Begin function _ZN2at6native29vectorized_elementwise_kernelILi8EZZZNS0_20trigamma_kernel_cudaERNS_18TensorIteratorBaseEENKUlvE_clEvENKUlvE2_clEvEUlN3c108BFloat16EE_St5arrayIPcLm2EEEEviT0_T1_
	.p2align	8
	.type	_ZN2at6native29vectorized_elementwise_kernelILi8EZZZNS0_20trigamma_kernel_cudaERNS_18TensorIteratorBaseEENKUlvE_clEvENKUlvE2_clEvEUlN3c108BFloat16EE_St5arrayIPcLm2EEEEviT0_T1_,@function
_ZN2at6native29vectorized_elementwise_kernelILi8EZZZNS0_20trigamma_kernel_cudaERNS_18TensorIteratorBaseEENKUlvE_clEvENKUlvE2_clEvEUlN3c108BFloat16EE_St5arrayIPcLm2EEEEviT0_T1_: ; @_ZN2at6native29vectorized_elementwise_kernelILi8EZZZNS0_20trigamma_kernel_cudaERNS_18TensorIteratorBaseEENKUlvE_clEvENKUlvE2_clEvEUlN3c108BFloat16EE_St5arrayIPcLm2EEEEviT0_T1_
; %bb.0:
	s_mov_b32 s12, s6
	s_clause 0x1
	s_load_dword s6, s[4:5], 0x0
	s_load_dwordx4 s[16:19], s[4:5], 0x8
	s_add_u32 s0, s0, s7
	s_addc_u32 s1, s1, 0
	s_lshl_b32 s4, s12, 11
	v_mov_b32_e32 v40, v0
	s_mov_b32 s32, 0
	s_waitcnt lgkmcnt(0)
	s_sub_i32 s10, s6, s4
	s_mov_b32 s4, -1
	s_cmpk_gt_i32 s10, 0x7ff
	s_cbranch_scc1 .LBB71_3
; %bb.1:
	s_andn2_b32 vcc_lo, exec_lo, s4
	s_cbranch_vccz .LBB71_4
.LBB71_2:
	s_endpgm
.LBB71_3:
	v_mov_b32_e32 v31, v40
	v_mov_b32_e32 v0, s16
	;; [unrolled: 1-line block ×5, first 2 shown]
	s_getpc_b64 s[4:5]
	s_add_u32 s4, s4, _ZN2at6native25elementwise_kernel_helperILb0EZZZNS0_20trigamma_kernel_cudaERNS_18TensorIteratorBaseEENKUlvE_clEvENKUlvE2_clEvEUlN3c108BFloat16EE_NS0_6memory8policies10vectorizedILi8ESt5arrayIPcLm2EELi8EEEEEvT0_T1_@rel32@lo+4
	s_addc_u32 s5, s5, _ZN2at6native25elementwise_kernel_helperILb0EZZZNS0_20trigamma_kernel_cudaERNS_18TensorIteratorBaseEENKUlvE_clEvENKUlvE2_clEvEUlN3c108BFloat16EE_NS0_6memory8policies10vectorizedILi8ESt5arrayIPcLm2EELi8EEEEEvT0_T1_@rel32@hi+12
	s_swappc_b64 s[30:31], s[4:5]
	s_cbranch_execnz .LBB71_2
.LBB71_4:
	v_mov_b32_e32 v31, v40
	v_mov_b32_e32 v0, s16
	;; [unrolled: 1-line block ×6, first 2 shown]
	s_getpc_b64 s[4:5]
	s_add_u32 s4, s4, _ZN2at6native25elementwise_kernel_helperILb0EZZZNS0_20trigamma_kernel_cudaERNS_18TensorIteratorBaseEENKUlvE_clEvENKUlvE2_clEvEUlN3c108BFloat16EE_NS0_6memory8policies11unroll_baseILi256ESt5arrayIPcLm2EE23TrivialOffsetCalculatorILi1EjESG_NS9_15LoadWithoutCastENS9_16StoreWithoutCastELi8ELi1EEEEEvT0_T1_@rel32@lo+4
	s_addc_u32 s5, s5, _ZN2at6native25elementwise_kernel_helperILb0EZZZNS0_20trigamma_kernel_cudaERNS_18TensorIteratorBaseEENKUlvE_clEvENKUlvE2_clEvEUlN3c108BFloat16EE_NS0_6memory8policies11unroll_baseILi256ESt5arrayIPcLm2EE23TrivialOffsetCalculatorILi1EjESG_NS9_15LoadWithoutCastENS9_16StoreWithoutCastELi8ELi1EEEEEvT0_T1_@rel32@hi+12
	s_swappc_b64 s[30:31], s[4:5]
	s_endpgm
	.section	.rodata,"a",@progbits
	.p2align	6, 0x0
	.amdhsa_kernel _ZN2at6native29vectorized_elementwise_kernelILi8EZZZNS0_20trigamma_kernel_cudaERNS_18TensorIteratorBaseEENKUlvE_clEvENKUlvE2_clEvEUlN3c108BFloat16EE_St5arrayIPcLm2EEEEviT0_T1_
		.amdhsa_group_segment_fixed_size 0
		.amdhsa_private_segment_fixed_size 0
		.amdhsa_kernarg_size 24
		.amdhsa_user_sgpr_count 6
		.amdhsa_user_sgpr_private_segment_buffer 1
		.amdhsa_user_sgpr_dispatch_ptr 0
		.amdhsa_user_sgpr_queue_ptr 0
		.amdhsa_user_sgpr_kernarg_segment_ptr 1
		.amdhsa_user_sgpr_dispatch_id 0
		.amdhsa_user_sgpr_flat_scratch_init 0
		.amdhsa_user_sgpr_private_segment_size 0
		.amdhsa_wavefront_size32 1
		.amdhsa_uses_dynamic_stack 0
		.amdhsa_system_sgpr_private_segment_wavefront_offset 0
		.amdhsa_system_sgpr_workgroup_id_x 1
		.amdhsa_system_sgpr_workgroup_id_y 0
		.amdhsa_system_sgpr_workgroup_id_z 0
		.amdhsa_system_sgpr_workgroup_info 0
		.amdhsa_system_vgpr_workitem_id 0
		.amdhsa_next_free_vgpr 67
		.amdhsa_next_free_sgpr 33
		.amdhsa_reserve_vcc 1
		.amdhsa_reserve_flat_scratch 0
		.amdhsa_float_round_mode_32 0
		.amdhsa_float_round_mode_16_64 0
		.amdhsa_float_denorm_mode_32 3
		.amdhsa_float_denorm_mode_16_64 3
		.amdhsa_dx10_clamp 1
		.amdhsa_ieee_mode 1
		.amdhsa_fp16_overflow 0
		.amdhsa_workgroup_processor_mode 1
		.amdhsa_memory_ordered 1
		.amdhsa_forward_progress 1
		.amdhsa_shared_vgpr_count 0
		.amdhsa_exception_fp_ieee_invalid_op 0
		.amdhsa_exception_fp_denorm_src 0
		.amdhsa_exception_fp_ieee_div_zero 0
		.amdhsa_exception_fp_ieee_overflow 0
		.amdhsa_exception_fp_ieee_underflow 0
		.amdhsa_exception_fp_ieee_inexact 0
		.amdhsa_exception_int_div_zero 0
	.end_amdhsa_kernel
	.section	.text._ZN2at6native29vectorized_elementwise_kernelILi8EZZZNS0_20trigamma_kernel_cudaERNS_18TensorIteratorBaseEENKUlvE_clEvENKUlvE2_clEvEUlN3c108BFloat16EE_St5arrayIPcLm2EEEEviT0_T1_,"axG",@progbits,_ZN2at6native29vectorized_elementwise_kernelILi8EZZZNS0_20trigamma_kernel_cudaERNS_18TensorIteratorBaseEENKUlvE_clEvENKUlvE2_clEvEUlN3c108BFloat16EE_St5arrayIPcLm2EEEEviT0_T1_,comdat
.Lfunc_end71:
	.size	_ZN2at6native29vectorized_elementwise_kernelILi8EZZZNS0_20trigamma_kernel_cudaERNS_18TensorIteratorBaseEENKUlvE_clEvENKUlvE2_clEvEUlN3c108BFloat16EE_St5arrayIPcLm2EEEEviT0_T1_, .Lfunc_end71-_ZN2at6native29vectorized_elementwise_kernelILi8EZZZNS0_20trigamma_kernel_cudaERNS_18TensorIteratorBaseEENKUlvE_clEvENKUlvE2_clEvEUlN3c108BFloat16EE_St5arrayIPcLm2EEEEviT0_T1_
                                        ; -- End function
	.set _ZN2at6native29vectorized_elementwise_kernelILi8EZZZNS0_20trigamma_kernel_cudaERNS_18TensorIteratorBaseEENKUlvE_clEvENKUlvE2_clEvEUlN3c108BFloat16EE_St5arrayIPcLm2EEEEviT0_T1_.num_vgpr, max(41, .L_ZN2at6native25elementwise_kernel_helperILb0EZZZNS0_20trigamma_kernel_cudaERNS_18TensorIteratorBaseEENKUlvE_clEvENKUlvE2_clEvEUlN3c108BFloat16EE_NS0_6memory8policies10vectorizedILi8ESt5arrayIPcLm2EELi8EEEEEvT0_T1_.num_vgpr, .L_ZN2at6native25elementwise_kernel_helperILb0EZZZNS0_20trigamma_kernel_cudaERNS_18TensorIteratorBaseEENKUlvE_clEvENKUlvE2_clEvEUlN3c108BFloat16EE_NS0_6memory8policies11unroll_baseILi256ESt5arrayIPcLm2EE23TrivialOffsetCalculatorILi1EjESG_NS9_15LoadWithoutCastENS9_16StoreWithoutCastELi8ELi1EEEEEvT0_T1_.num_vgpr)
	.set _ZN2at6native29vectorized_elementwise_kernelILi8EZZZNS0_20trigamma_kernel_cudaERNS_18TensorIteratorBaseEENKUlvE_clEvENKUlvE2_clEvEUlN3c108BFloat16EE_St5arrayIPcLm2EEEEviT0_T1_.num_agpr, max(0, .L_ZN2at6native25elementwise_kernel_helperILb0EZZZNS0_20trigamma_kernel_cudaERNS_18TensorIteratorBaseEENKUlvE_clEvENKUlvE2_clEvEUlN3c108BFloat16EE_NS0_6memory8policies10vectorizedILi8ESt5arrayIPcLm2EELi8EEEEEvT0_T1_.num_agpr, .L_ZN2at6native25elementwise_kernel_helperILb0EZZZNS0_20trigamma_kernel_cudaERNS_18TensorIteratorBaseEENKUlvE_clEvENKUlvE2_clEvEUlN3c108BFloat16EE_NS0_6memory8policies11unroll_baseILi256ESt5arrayIPcLm2EE23TrivialOffsetCalculatorILi1EjESG_NS9_15LoadWithoutCastENS9_16StoreWithoutCastELi8ELi1EEEEEvT0_T1_.num_agpr)
	.set _ZN2at6native29vectorized_elementwise_kernelILi8EZZZNS0_20trigamma_kernel_cudaERNS_18TensorIteratorBaseEENKUlvE_clEvENKUlvE2_clEvEUlN3c108BFloat16EE_St5arrayIPcLm2EEEEviT0_T1_.numbered_sgpr, max(33, .L_ZN2at6native25elementwise_kernel_helperILb0EZZZNS0_20trigamma_kernel_cudaERNS_18TensorIteratorBaseEENKUlvE_clEvENKUlvE2_clEvEUlN3c108BFloat16EE_NS0_6memory8policies10vectorizedILi8ESt5arrayIPcLm2EELi8EEEEEvT0_T1_.numbered_sgpr, .L_ZN2at6native25elementwise_kernel_helperILb0EZZZNS0_20trigamma_kernel_cudaERNS_18TensorIteratorBaseEENKUlvE_clEvENKUlvE2_clEvEUlN3c108BFloat16EE_NS0_6memory8policies11unroll_baseILi256ESt5arrayIPcLm2EE23TrivialOffsetCalculatorILi1EjESG_NS9_15LoadWithoutCastENS9_16StoreWithoutCastELi8ELi1EEEEEvT0_T1_.numbered_sgpr)
	.set _ZN2at6native29vectorized_elementwise_kernelILi8EZZZNS0_20trigamma_kernel_cudaERNS_18TensorIteratorBaseEENKUlvE_clEvENKUlvE2_clEvEUlN3c108BFloat16EE_St5arrayIPcLm2EEEEviT0_T1_.num_named_barrier, max(0, .L_ZN2at6native25elementwise_kernel_helperILb0EZZZNS0_20trigamma_kernel_cudaERNS_18TensorIteratorBaseEENKUlvE_clEvENKUlvE2_clEvEUlN3c108BFloat16EE_NS0_6memory8policies10vectorizedILi8ESt5arrayIPcLm2EELi8EEEEEvT0_T1_.num_named_barrier, .L_ZN2at6native25elementwise_kernel_helperILb0EZZZNS0_20trigamma_kernel_cudaERNS_18TensorIteratorBaseEENKUlvE_clEvENKUlvE2_clEvEUlN3c108BFloat16EE_NS0_6memory8policies11unroll_baseILi256ESt5arrayIPcLm2EE23TrivialOffsetCalculatorILi1EjESG_NS9_15LoadWithoutCastENS9_16StoreWithoutCastELi8ELi1EEEEEvT0_T1_.num_named_barrier)
	.set _ZN2at6native29vectorized_elementwise_kernelILi8EZZZNS0_20trigamma_kernel_cudaERNS_18TensorIteratorBaseEENKUlvE_clEvENKUlvE2_clEvEUlN3c108BFloat16EE_St5arrayIPcLm2EEEEviT0_T1_.private_seg_size, 0+max(.L_ZN2at6native25elementwise_kernel_helperILb0EZZZNS0_20trigamma_kernel_cudaERNS_18TensorIteratorBaseEENKUlvE_clEvENKUlvE2_clEvEUlN3c108BFloat16EE_NS0_6memory8policies10vectorizedILi8ESt5arrayIPcLm2EELi8EEEEEvT0_T1_.private_seg_size, .L_ZN2at6native25elementwise_kernel_helperILb0EZZZNS0_20trigamma_kernel_cudaERNS_18TensorIteratorBaseEENKUlvE_clEvENKUlvE2_clEvEUlN3c108BFloat16EE_NS0_6memory8policies11unroll_baseILi256ESt5arrayIPcLm2EE23TrivialOffsetCalculatorILi1EjESG_NS9_15LoadWithoutCastENS9_16StoreWithoutCastELi8ELi1EEEEEvT0_T1_.private_seg_size)
	.set _ZN2at6native29vectorized_elementwise_kernelILi8EZZZNS0_20trigamma_kernel_cudaERNS_18TensorIteratorBaseEENKUlvE_clEvENKUlvE2_clEvEUlN3c108BFloat16EE_St5arrayIPcLm2EEEEviT0_T1_.uses_vcc, or(1, .L_ZN2at6native25elementwise_kernel_helperILb0EZZZNS0_20trigamma_kernel_cudaERNS_18TensorIteratorBaseEENKUlvE_clEvENKUlvE2_clEvEUlN3c108BFloat16EE_NS0_6memory8policies10vectorizedILi8ESt5arrayIPcLm2EELi8EEEEEvT0_T1_.uses_vcc, .L_ZN2at6native25elementwise_kernel_helperILb0EZZZNS0_20trigamma_kernel_cudaERNS_18TensorIteratorBaseEENKUlvE_clEvENKUlvE2_clEvEUlN3c108BFloat16EE_NS0_6memory8policies11unroll_baseILi256ESt5arrayIPcLm2EE23TrivialOffsetCalculatorILi1EjESG_NS9_15LoadWithoutCastENS9_16StoreWithoutCastELi8ELi1EEEEEvT0_T1_.uses_vcc)
	.set _ZN2at6native29vectorized_elementwise_kernelILi8EZZZNS0_20trigamma_kernel_cudaERNS_18TensorIteratorBaseEENKUlvE_clEvENKUlvE2_clEvEUlN3c108BFloat16EE_St5arrayIPcLm2EEEEviT0_T1_.uses_flat_scratch, or(0, .L_ZN2at6native25elementwise_kernel_helperILb0EZZZNS0_20trigamma_kernel_cudaERNS_18TensorIteratorBaseEENKUlvE_clEvENKUlvE2_clEvEUlN3c108BFloat16EE_NS0_6memory8policies10vectorizedILi8ESt5arrayIPcLm2EELi8EEEEEvT0_T1_.uses_flat_scratch, .L_ZN2at6native25elementwise_kernel_helperILb0EZZZNS0_20trigamma_kernel_cudaERNS_18TensorIteratorBaseEENKUlvE_clEvENKUlvE2_clEvEUlN3c108BFloat16EE_NS0_6memory8policies11unroll_baseILi256ESt5arrayIPcLm2EE23TrivialOffsetCalculatorILi1EjESG_NS9_15LoadWithoutCastENS9_16StoreWithoutCastELi8ELi1EEEEEvT0_T1_.uses_flat_scratch)
	.set _ZN2at6native29vectorized_elementwise_kernelILi8EZZZNS0_20trigamma_kernel_cudaERNS_18TensorIteratorBaseEENKUlvE_clEvENKUlvE2_clEvEUlN3c108BFloat16EE_St5arrayIPcLm2EEEEviT0_T1_.has_dyn_sized_stack, or(0, .L_ZN2at6native25elementwise_kernel_helperILb0EZZZNS0_20trigamma_kernel_cudaERNS_18TensorIteratorBaseEENKUlvE_clEvENKUlvE2_clEvEUlN3c108BFloat16EE_NS0_6memory8policies10vectorizedILi8ESt5arrayIPcLm2EELi8EEEEEvT0_T1_.has_dyn_sized_stack, .L_ZN2at6native25elementwise_kernel_helperILb0EZZZNS0_20trigamma_kernel_cudaERNS_18TensorIteratorBaseEENKUlvE_clEvENKUlvE2_clEvEUlN3c108BFloat16EE_NS0_6memory8policies11unroll_baseILi256ESt5arrayIPcLm2EE23TrivialOffsetCalculatorILi1EjESG_NS9_15LoadWithoutCastENS9_16StoreWithoutCastELi8ELi1EEEEEvT0_T1_.has_dyn_sized_stack)
	.set _ZN2at6native29vectorized_elementwise_kernelILi8EZZZNS0_20trigamma_kernel_cudaERNS_18TensorIteratorBaseEENKUlvE_clEvENKUlvE2_clEvEUlN3c108BFloat16EE_St5arrayIPcLm2EEEEviT0_T1_.has_recursion, or(0, .L_ZN2at6native25elementwise_kernel_helperILb0EZZZNS0_20trigamma_kernel_cudaERNS_18TensorIteratorBaseEENKUlvE_clEvENKUlvE2_clEvEUlN3c108BFloat16EE_NS0_6memory8policies10vectorizedILi8ESt5arrayIPcLm2EELi8EEEEEvT0_T1_.has_recursion, .L_ZN2at6native25elementwise_kernel_helperILb0EZZZNS0_20trigamma_kernel_cudaERNS_18TensorIteratorBaseEENKUlvE_clEvENKUlvE2_clEvEUlN3c108BFloat16EE_NS0_6memory8policies11unroll_baseILi256ESt5arrayIPcLm2EE23TrivialOffsetCalculatorILi1EjESG_NS9_15LoadWithoutCastENS9_16StoreWithoutCastELi8ELi1EEEEEvT0_T1_.has_recursion)
	.set _ZN2at6native29vectorized_elementwise_kernelILi8EZZZNS0_20trigamma_kernel_cudaERNS_18TensorIteratorBaseEENKUlvE_clEvENKUlvE2_clEvEUlN3c108BFloat16EE_St5arrayIPcLm2EEEEviT0_T1_.has_indirect_call, or(0, .L_ZN2at6native25elementwise_kernel_helperILb0EZZZNS0_20trigamma_kernel_cudaERNS_18TensorIteratorBaseEENKUlvE_clEvENKUlvE2_clEvEUlN3c108BFloat16EE_NS0_6memory8policies10vectorizedILi8ESt5arrayIPcLm2EELi8EEEEEvT0_T1_.has_indirect_call, .L_ZN2at6native25elementwise_kernel_helperILb0EZZZNS0_20trigamma_kernel_cudaERNS_18TensorIteratorBaseEENKUlvE_clEvENKUlvE2_clEvEUlN3c108BFloat16EE_NS0_6memory8policies11unroll_baseILi256ESt5arrayIPcLm2EE23TrivialOffsetCalculatorILi1EjESG_NS9_15LoadWithoutCastENS9_16StoreWithoutCastELi8ELi1EEEEEvT0_T1_.has_indirect_call)
	.section	.AMDGPU.csdata,"",@progbits
; Kernel info:
; codeLenInByte = 176
; TotalNumSgprs: 35
; NumVgprs: 67
; ScratchSize: 0
; MemoryBound: 0
; FloatMode: 240
; IeeeMode: 1
; LDSByteSize: 0 bytes/workgroup (compile time only)
; SGPRBlocks: 0
; VGPRBlocks: 8
; NumSGPRsForWavesPerEU: 35
; NumVGPRsForWavesPerEU: 67
; Occupancy: 12
; WaveLimiterHint : 0
; COMPUTE_PGM_RSRC2:SCRATCH_EN: 0
; COMPUTE_PGM_RSRC2:USER_SGPR: 6
; COMPUTE_PGM_RSRC2:TRAP_HANDLER: 0
; COMPUTE_PGM_RSRC2:TGID_X_EN: 1
; COMPUTE_PGM_RSRC2:TGID_Y_EN: 0
; COMPUTE_PGM_RSRC2:TGID_Z_EN: 0
; COMPUTE_PGM_RSRC2:TIDIG_COMP_CNT: 0
	.section	.text._ZN2at6native29vectorized_elementwise_kernelILi4EZZZNS0_20trigamma_kernel_cudaERNS_18TensorIteratorBaseEENKUlvE_clEvENKUlvE2_clEvEUlN3c108BFloat16EE_St5arrayIPcLm2EEEEviT0_T1_,"axG",@progbits,_ZN2at6native29vectorized_elementwise_kernelILi4EZZZNS0_20trigamma_kernel_cudaERNS_18TensorIteratorBaseEENKUlvE_clEvENKUlvE2_clEvEUlN3c108BFloat16EE_St5arrayIPcLm2EEEEviT0_T1_,comdat
	.globl	_ZN2at6native29vectorized_elementwise_kernelILi4EZZZNS0_20trigamma_kernel_cudaERNS_18TensorIteratorBaseEENKUlvE_clEvENKUlvE2_clEvEUlN3c108BFloat16EE_St5arrayIPcLm2EEEEviT0_T1_ ; -- Begin function _ZN2at6native29vectorized_elementwise_kernelILi4EZZZNS0_20trigamma_kernel_cudaERNS_18TensorIteratorBaseEENKUlvE_clEvENKUlvE2_clEvEUlN3c108BFloat16EE_St5arrayIPcLm2EEEEviT0_T1_
	.p2align	8
	.type	_ZN2at6native29vectorized_elementwise_kernelILi4EZZZNS0_20trigamma_kernel_cudaERNS_18TensorIteratorBaseEENKUlvE_clEvENKUlvE2_clEvEUlN3c108BFloat16EE_St5arrayIPcLm2EEEEviT0_T1_,@function
_ZN2at6native29vectorized_elementwise_kernelILi4EZZZNS0_20trigamma_kernel_cudaERNS_18TensorIteratorBaseEENKUlvE_clEvENKUlvE2_clEvEUlN3c108BFloat16EE_St5arrayIPcLm2EEEEviT0_T1_: ; @_ZN2at6native29vectorized_elementwise_kernelILi4EZZZNS0_20trigamma_kernel_cudaERNS_18TensorIteratorBaseEENKUlvE_clEvENKUlvE2_clEvEUlN3c108BFloat16EE_St5arrayIPcLm2EEEEviT0_T1_
; %bb.0:
	s_add_u32 s0, s0, s7
	s_clause 0x1
	s_load_dword s7, s[4:5], 0x0
	s_load_dwordx4 s[12:15], s[4:5], 0x8
	s_addc_u32 s1, s1, 0
	s_lshl_b32 s4, s6, 11
	s_mov_b32 s5, -1
	s_mov_b32 s32, 0
	s_waitcnt lgkmcnt(0)
	s_sub_i32 s16, s7, s4
	s_cmpk_gt_i32 s16, 0x7ff
	s_cbranch_scc1 .LBB72_3
; %bb.1:
	s_and_b32 vcc_lo, exec_lo, s5
	s_cbranch_vccnz .LBB72_52
.LBB72_2:
	s_endpgm
.LBB72_3:
	s_ashr_i32 s5, s4, 31
	v_lshlrev_b32_e32 v5, 3, v0
	s_lshl_b64 s[10:11], s[4:5], 1
	v_mov_b32_e32 v7, 0
	s_add_u32 s4, s14, s10
	s_addc_u32 s5, s15, s11
	v_mov_b32_e32 v6, 1.0
	global_load_dwordx2 v[3:4], v5, s[4:5]
	v_add_co_u32 v1, s4, s4, v5
	v_add_co_ci_u32_e64 v2, null, s5, 0, s4
	s_mov_b32 s7, exec_lo
	v_add_co_u32 v1, vcc_lo, 0x800, v1
	v_add_co_ci_u32_e64 v2, null, 0, v2, vcc_lo
	global_load_dwordx2 v[1:2], v[1:2], off
	s_waitcnt vmcnt(1)
	v_lshlrev_b32_e32 v12, 16, v3
	v_cmpx_gt_f32_e32 0.5, v12
	s_cbranch_execz .LBB72_9
; %bb.4:
	v_mul_f32_e32 v6, 0x40490fdb, v12
                                        ; implicit-def: $vgpr9
                                        ; implicit-def: $vgpr8
	s_mov_b32 s5, exec_lo
	v_and_b32_e32 v7, 0x7fffffff, v6
	v_cmpx_ngt_f32_e64 0x48000000, |v6|
	s_xor_b32 s8, exec_lo, s5
	s_cbranch_execz .LBB72_6
; %bb.5:
	s_mov_b32 s4, 0x7fffff
	v_mov_b32_e32 v10, 0
	v_and_or_b32 v11, v7, s4, 0x800000
	v_lshrrev_b32_e32 v17, 23, v7
	v_mad_u64_u32 v[8:9], null, 0xfe5163ab, v11, 0
	v_add_nc_u32_e32 v18, 0xffffff88, v17
	v_cmp_lt_u32_e32 vcc_lo, 63, v18
	v_mad_u64_u32 v[13:14], null, 0x3c439041, v11, v[9:10]
	v_cndmask_b32_e64 v19, 0, 0xffffffc0, vcc_lo
	v_mov_b32_e32 v9, v14
	v_add_nc_u32_e32 v19, v19, v18
	v_mad_u64_u32 v[14:15], null, 0xdb629599, v11, v[9:10]
	v_cmp_lt_u32_e64 s4, 31, v19
	v_cndmask_b32_e64 v20, 0, 0xffffffe0, s4
	v_mov_b32_e32 v9, v15
	v_cndmask_b32_e32 v8, v14, v8, vcc_lo
	v_mad_u64_u32 v[15:16], null, 0xf534ddc0, v11, v[9:10]
	v_mov_b32_e32 v9, v16
	v_cndmask_b32_e32 v13, v15, v13, vcc_lo
	v_mad_u64_u32 v[16:17], null, 0xfc2757d1, v11, v[9:10]
	v_cndmask_b32_e64 v8, v13, v8, s4
	v_mov_b32_e32 v9, v17
	v_mad_u64_u32 v[17:18], null, 0x4e441529, v11, v[9:10]
	v_mov_b32_e32 v9, v18
	v_add_nc_u32_e32 v18, v20, v19
	v_cndmask_b32_e32 v19, v17, v15, vcc_lo
	v_mad_u64_u32 v[9:10], null, 0xa2f9836e, v11, v[9:10]
	v_cmp_lt_u32_e64 s5, 31, v18
	v_cndmask_b32_e64 v11, 0, 0xffffffe0, s5
	v_cndmask_b32_e32 v9, v9, v16, vcc_lo
	v_cndmask_b32_e32 v10, v10, v17, vcc_lo
	v_cndmask_b32_e32 v16, v16, v14, vcc_lo
	v_add_nc_u32_e32 v11, v11, v18
	v_cndmask_b32_e64 v15, v9, v19, s4
	v_cndmask_b32_e64 v9, v10, v9, s4
	;; [unrolled: 1-line block ×4, first 2 shown]
	v_sub_nc_u32_e32 v17, 32, v11
	v_cmp_eq_u32_e32 vcc_lo, 0, v11
	v_cndmask_b32_e64 v9, v9, v15, s5
	v_cndmask_b32_e64 v15, v15, v10, s5
	;; [unrolled: 1-line block ×4, first 2 shown]
	v_alignbit_b32 v18, v9, v15, v17
	v_alignbit_b32 v14, v15, v10, v17
	;; [unrolled: 1-line block ×3, first 2 shown]
	v_cndmask_b32_e32 v9, v18, v9, vcc_lo
	v_cndmask_b32_e32 v11, v14, v15, vcc_lo
	;; [unrolled: 1-line block ×3, first 2 shown]
	v_bfe_u32 v13, v9, 29, 1
	v_alignbit_b32 v14, v9, v11, 30
	v_alignbit_b32 v11, v11, v10, 30
	;; [unrolled: 1-line block ×3, first 2 shown]
	v_sub_nc_u32_e32 v15, 0, v13
	v_xor_b32_e32 v14, v14, v15
	v_xor_b32_e32 v10, v11, v15
	;; [unrolled: 1-line block ×3, first 2 shown]
	v_lshrrev_b32_e32 v15, 29, v9
	v_lshrrev_b32_e32 v9, 30, v9
	v_ffbh_u32_e32 v16, v14
	v_add_nc_u32_e32 v9, v13, v9
	v_min_u32_e32 v16, 32, v16
	v_sub_nc_u32_e32 v11, 31, v16
	v_lshlrev_b32_e32 v17, 23, v16
	v_alignbit_b32 v14, v14, v10, v11
	v_alignbit_b32 v8, v10, v8, v11
	v_lshlrev_b32_e32 v10, 31, v15
	v_alignbit_b32 v11, v14, v8, 9
	v_or_b32_e32 v15, 0.5, v10
	v_lshrrev_b32_e32 v14, 9, v14
	v_or_b32_e32 v10, 0x33000000, v10
	v_ffbh_u32_e32 v18, v11
	v_sub_nc_u32_e32 v15, v15, v17
	v_min_u32_e32 v17, 32, v18
	v_or_b32_e32 v14, v14, v15
	v_not_b32_e32 v15, v17
	v_mul_f32_e32 v18, 0x3fc90fda, v14
	v_add_lshl_u32 v16, v17, v16, 23
	v_alignbit_b32 v8, v11, v8, v15
	v_fma_f32 v11, 0x3fc90fda, v14, -v18
	v_sub_nc_u32_e32 v10, v10, v16
	v_lshrrev_b32_e32 v8, 9, v8
	v_fmamk_f32 v11, v14, 0x33a22168, v11
	v_or_b32_e32 v8, v10, v8
	v_fmac_f32_e32 v11, 0x3fc90fda, v8
	v_add_f32_e32 v8, v18, v11
.LBB72_6:
	s_andn2_saveexec_b32 s4, s8
; %bb.7:
	v_mul_f32_e64 v8, 0x3f22f983, |v6|
	v_rndne_f32_e32 v9, v8
	v_fma_f32 v8, 0xbfc90fda, v9, |v6|
	v_fmamk_f32 v8, v9, 0xb3a22168, v8
	v_fmamk_f32 v8, v9, 0xa7c234c4, v8
	v_cvt_i32_f32_e32 v9, v9
; %bb.8:
	s_or_b32 exec_lo, exec_lo, s4
	v_mul_f32_e32 v10, v8, v8
	s_mov_b32 s4, 0xb94c1982
	s_mov_b32 s5, 0x37d75334
	v_and_b32_e32 v14, 1, v9
	v_lshlrev_b32_e32 v9, 30, v9
	v_fmaak_f32 v11, s4, v10, 0x3c0881c4
	v_fmaak_f32 v13, s5, v10, 0xbab64f3b
	v_xor_b32_e32 v7, v7, v6
	v_cmp_eq_u32_e32 vcc_lo, 0, v14
	v_and_b32_e32 v9, 0x80000000, v9
	v_fmaak_f32 v11, v10, v11, 0xbe2aaa9d
	v_fmaak_f32 v13, v10, v13, 0x3d2aabf7
	v_sub_f32_e32 v12, 1.0, v12
	v_mul_f32_e32 v11, v10, v11
	v_fmaak_f32 v13, v10, v13, 0xbf000004
	v_fmac_f32_e32 v8, v8, v11
	v_fma_f32 v10, v10, v13, 1.0
	v_cndmask_b32_e32 v8, v10, v8, vcc_lo
	v_cmp_class_f32_e64 vcc_lo, v6, 0x1f8
	v_xor3_b32 v7, v7, v9, v8
	v_cndmask_b32_e32 v6, 0x7fc00000, v7, vcc_lo
	v_mul_f32_e32 v6, v6, v6
	v_div_scale_f32 v7, null, v6, v6, 0xc11de9e7
	v_div_scale_f32 v10, vcc_lo, 0xc11de9e7, v6, 0xc11de9e7
	v_rcp_f32_e32 v8, v7
	v_fma_f32 v9, -v7, v8, 1.0
	v_fmac_f32_e32 v8, v9, v8
	v_mul_f32_e32 v9, v10, v8
	v_fma_f32 v11, -v7, v9, v10
	v_fmac_f32_e32 v9, v11, v8
	v_fma_f32 v7, -v7, v9, v10
	v_div_fmas_f32 v7, v7, v8, v9
	v_div_fixup_f32 v6, v7, v6, 0xc11de9e7
	v_add_f32_e32 v7, 0, v6
	v_mov_b32_e32 v6, -1.0
.LBB72_9:
	s_or_b32 exec_lo, exec_lo, s7
	v_and_b32_e32 v13, 0xffff0000, v3
	v_mov_b32_e32 v8, 0
	v_mov_b32_e32 v3, 1.0
	s_mov_b32 s7, exec_lo
	v_cmpx_gt_f32_e32 0.5, v13
	s_cbranch_execz .LBB72_15
; %bb.10:
	v_mul_f32_e32 v3, 0x40490fdb, v13
                                        ; implicit-def: $vgpr10
                                        ; implicit-def: $vgpr9
	s_mov_b32 s5, exec_lo
	v_and_b32_e32 v8, 0x7fffffff, v3
	v_cmpx_ngt_f32_e64 0x48000000, |v3|
	s_xor_b32 s8, exec_lo, s5
	s_cbranch_execz .LBB72_12
; %bb.11:
	s_mov_b32 s4, 0x7fffff
	v_mov_b32_e32 v11, 0
	v_and_or_b32 v20, v8, s4, 0x800000
	v_lshrrev_b32_e32 v18, 23, v8
	v_mad_u64_u32 v[9:10], null, 0xfe5163ab, v20, 0
	v_add_nc_u32_e32 v19, 0xffffff88, v18
	v_cmp_lt_u32_e32 vcc_lo, 63, v19
	v_mad_u64_u32 v[14:15], null, 0x3c439041, v20, v[10:11]
	v_cndmask_b32_e64 v21, 0, 0xffffffc0, vcc_lo
	v_mov_b32_e32 v10, v15
	v_add_nc_u32_e32 v21, v21, v19
	v_mad_u64_u32 v[15:16], null, 0xdb629599, v20, v[10:11]
	v_cmp_lt_u32_e64 s4, 31, v21
	v_cndmask_b32_e64 v22, 0, 0xffffffe0, s4
	v_mov_b32_e32 v10, v16
	v_cndmask_b32_e32 v9, v15, v9, vcc_lo
	v_mad_u64_u32 v[16:17], null, 0xf534ddc0, v20, v[10:11]
	v_mov_b32_e32 v10, v17
	v_cndmask_b32_e32 v14, v16, v14, vcc_lo
	v_mad_u64_u32 v[17:18], null, 0xfc2757d1, v20, v[10:11]
	v_cndmask_b32_e64 v9, v14, v9, s4
	v_mov_b32_e32 v10, v18
	v_mad_u64_u32 v[18:19], null, 0x4e441529, v20, v[10:11]
	v_mov_b32_e32 v10, v19
	v_add_nc_u32_e32 v19, v22, v21
	v_cndmask_b32_e32 v21, v18, v16, vcc_lo
	v_mad_u64_u32 v[10:11], null, 0xa2f9836e, v20, v[10:11]
	v_cmp_lt_u32_e64 s5, 31, v19
	v_cndmask_b32_e64 v20, 0, 0xffffffe0, s5
	v_cndmask_b32_e32 v10, v10, v17, vcc_lo
	v_cndmask_b32_e32 v11, v11, v18, vcc_lo
	;; [unrolled: 1-line block ×3, first 2 shown]
	v_add_nc_u32_e32 v18, v20, v19
	v_cndmask_b32_e64 v16, v10, v21, s4
	v_cndmask_b32_e64 v10, v11, v10, s4
	;; [unrolled: 1-line block ×4, first 2 shown]
	v_sub_nc_u32_e32 v19, 32, v18
	v_cmp_eq_u32_e32 vcc_lo, 0, v18
	v_cndmask_b32_e64 v10, v10, v16, s5
	v_cndmask_b32_e64 v16, v16, v11, s5
	;; [unrolled: 1-line block ×4, first 2 shown]
	v_alignbit_b32 v20, v10, v16, v19
	v_alignbit_b32 v15, v16, v11, v19
	;; [unrolled: 1-line block ×3, first 2 shown]
	v_cndmask_b32_e32 v10, v20, v10, vcc_lo
	v_cndmask_b32_e32 v14, v15, v16, vcc_lo
	;; [unrolled: 1-line block ×3, first 2 shown]
	v_bfe_u32 v15, v10, 29, 1
	v_alignbit_b32 v16, v10, v14, 30
	v_alignbit_b32 v14, v14, v11, 30
	v_alignbit_b32 v9, v11, v9, 30
	v_sub_nc_u32_e32 v17, 0, v15
	v_xor_b32_e32 v16, v16, v17
	v_xor_b32_e32 v11, v14, v17
	;; [unrolled: 1-line block ×3, first 2 shown]
	v_lshrrev_b32_e32 v17, 29, v10
	v_lshrrev_b32_e32 v10, 30, v10
	v_ffbh_u32_e32 v18, v16
	v_add_nc_u32_e32 v10, v15, v10
	v_min_u32_e32 v18, 32, v18
	v_sub_nc_u32_e32 v14, 31, v18
	v_lshlrev_b32_e32 v19, 23, v18
	v_alignbit_b32 v16, v16, v11, v14
	v_alignbit_b32 v9, v11, v9, v14
	v_lshlrev_b32_e32 v11, 31, v17
	v_alignbit_b32 v14, v16, v9, 9
	v_or_b32_e32 v17, 0.5, v11
	v_lshrrev_b32_e32 v16, 9, v16
	v_or_b32_e32 v11, 0x33000000, v11
	v_ffbh_u32_e32 v20, v14
	v_sub_nc_u32_e32 v17, v17, v19
	v_min_u32_e32 v19, 32, v20
	v_or_b32_e32 v16, v16, v17
	v_not_b32_e32 v17, v19
	v_mul_f32_e32 v20, 0x3fc90fda, v16
	v_add_lshl_u32 v18, v19, v18, 23
	v_alignbit_b32 v9, v14, v9, v17
	v_fma_f32 v14, 0x3fc90fda, v16, -v20
	v_sub_nc_u32_e32 v11, v11, v18
	v_lshrrev_b32_e32 v9, 9, v9
	v_fmamk_f32 v14, v16, 0x33a22168, v14
	v_or_b32_e32 v9, v11, v9
	v_fmac_f32_e32 v14, 0x3fc90fda, v9
	v_add_f32_e32 v9, v20, v14
.LBB72_12:
	s_andn2_saveexec_b32 s4, s8
; %bb.13:
	v_mul_f32_e64 v9, 0x3f22f983, |v3|
	v_rndne_f32_e32 v10, v9
	v_fma_f32 v9, 0xbfc90fda, v10, |v3|
	v_fmamk_f32 v9, v10, 0xb3a22168, v9
	v_fmamk_f32 v9, v10, 0xa7c234c4, v9
	v_cvt_i32_f32_e32 v10, v10
; %bb.14:
	s_or_b32 exec_lo, exec_lo, s4
	v_mul_f32_e32 v11, v9, v9
	s_mov_b32 s4, 0xb94c1982
	s_mov_b32 s5, 0x37d75334
	v_and_b32_e32 v16, 1, v10
	v_lshlrev_b32_e32 v10, 30, v10
	v_fmaak_f32 v14, s4, v11, 0x3c0881c4
	v_fmaak_f32 v15, s5, v11, 0xbab64f3b
	v_xor_b32_e32 v8, v8, v3
	v_cmp_eq_u32_e32 vcc_lo, 0, v16
	v_and_b32_e32 v10, 0x80000000, v10
	v_fmaak_f32 v14, v11, v14, 0xbe2aaa9d
	v_fmaak_f32 v15, v11, v15, 0x3d2aabf7
	v_sub_f32_e32 v13, 1.0, v13
	v_mul_f32_e32 v14, v11, v14
	v_fmaak_f32 v15, v11, v15, 0xbf000004
	v_fmac_f32_e32 v9, v9, v14
	v_fma_f32 v11, v11, v15, 1.0
	v_cndmask_b32_e32 v9, v11, v9, vcc_lo
	v_cmp_class_f32_e64 vcc_lo, v3, 0x1f8
	v_xor3_b32 v8, v8, v10, v9
	v_cndmask_b32_e32 v3, 0x7fc00000, v8, vcc_lo
	v_mul_f32_e32 v3, v3, v3
	v_div_scale_f32 v8, null, v3, v3, 0xc11de9e7
	v_div_scale_f32 v11, vcc_lo, 0xc11de9e7, v3, 0xc11de9e7
	v_rcp_f32_e32 v9, v8
	v_fma_f32 v10, -v8, v9, 1.0
	v_fmac_f32_e32 v9, v10, v9
	v_mul_f32_e32 v10, v11, v9
	v_fma_f32 v14, -v8, v10, v11
	v_fmac_f32_e32 v10, v14, v9
	v_fma_f32 v8, -v8, v10, v11
	v_div_fmas_f32 v8, v8, v9, v10
	v_div_fixup_f32 v3, v8, v3, 0xc11de9e7
	v_add_f32_e32 v8, 0, v3
	v_mov_b32_e32 v3, -1.0
.LBB72_15:
	s_or_b32 exec_lo, exec_lo, s7
	v_lshlrev_b32_e32 v16, 16, v4
	v_mov_b32_e32 v10, 0
	v_mov_b32_e32 v9, 1.0
	s_mov_b32 s7, exec_lo
	v_cmpx_gt_f32_e32 0.5, v16
	s_cbranch_execz .LBB72_21
; %bb.16:
	v_mul_f32_e32 v9, 0x40490fdb, v16
                                        ; implicit-def: $vgpr14
                                        ; implicit-def: $vgpr11
	s_mov_b32 s5, exec_lo
	v_and_b32_e32 v10, 0x7fffffff, v9
	v_cmpx_ngt_f32_e64 0x48000000, |v9|
	s_xor_b32 s8, exec_lo, s5
	s_cbranch_execz .LBB72_18
; %bb.17:
	s_mov_b32 s4, 0x7fffff
	v_mov_b32_e32 v18, 0
	v_and_or_b32 v11, v10, s4, 0x800000
	v_mad_u64_u32 v[14:15], null, 0xfe5163ab, v11, 0
	v_mov_b32_e32 v17, v15
	v_lshrrev_b32_e32 v15, 23, v10
	v_mad_u64_u32 v[19:20], null, 0x3c439041, v11, v[17:18]
	v_add_nc_u32_e32 v15, 0xffffff88, v15
	v_cmp_lt_u32_e32 vcc_lo, 63, v15
	v_mov_b32_e32 v17, v20
	v_cndmask_b32_e64 v24, 0, 0xffffffc0, vcc_lo
	v_mad_u64_u32 v[20:21], null, 0xdb629599, v11, v[17:18]
	v_add_nc_u32_e32 v15, v24, v15
	v_mov_b32_e32 v17, v21
	v_cmp_lt_u32_e64 s4, 31, v15
	v_cndmask_b32_e32 v14, v20, v14, vcc_lo
	v_mad_u64_u32 v[21:22], null, 0xf534ddc0, v11, v[17:18]
	v_cndmask_b32_e64 v25, 0, 0xffffffe0, s4
	v_add_nc_u32_e32 v15, v25, v15
	v_mov_b32_e32 v17, v22
	v_cmp_lt_u32_e64 s5, 31, v15
	v_mad_u64_u32 v[22:23], null, 0xfc2757d1, v11, v[17:18]
	v_mov_b32_e32 v17, v23
	v_mad_u64_u32 v[23:24], null, 0x4e441529, v11, v[17:18]
	v_mov_b32_e32 v17, v24
	v_cndmask_b32_e32 v24, v23, v21, vcc_lo
	v_mad_u64_u32 v[17:18], null, 0xa2f9836e, v11, v[17:18]
	v_cndmask_b32_e64 v11, 0, 0xffffffe0, s5
	v_add_nc_u32_e32 v11, v11, v15
	v_cndmask_b32_e32 v17, v17, v22, vcc_lo
	v_cndmask_b32_e32 v18, v18, v23, vcc_lo
	;; [unrolled: 1-line block ×4, first 2 shown]
	v_sub_nc_u32_e32 v21, 32, v11
	v_cndmask_b32_e64 v19, v17, v24, s4
	v_cndmask_b32_e64 v17, v18, v17, s4
	;; [unrolled: 1-line block ×4, first 2 shown]
	v_cmp_eq_u32_e32 vcc_lo, 0, v11
	v_cndmask_b32_e64 v14, v15, v14, s4
	v_cndmask_b32_e64 v17, v17, v19, s5
	;; [unrolled: 1-line block ×5, first 2 shown]
	v_alignbit_b32 v23, v17, v19, v21
	v_alignbit_b32 v20, v19, v18, v21
	;; [unrolled: 1-line block ×3, first 2 shown]
	v_cndmask_b32_e32 v11, v23, v17, vcc_lo
	v_cndmask_b32_e32 v15, v20, v19, vcc_lo
	;; [unrolled: 1-line block ×3, first 2 shown]
	v_bfe_u32 v17, v11, 29, 1
	v_alignbit_b32 v19, v11, v15, 30
	v_alignbit_b32 v15, v15, v18, 30
	;; [unrolled: 1-line block ×3, first 2 shown]
	v_sub_nc_u32_e32 v20, 0, v17
	v_xor_b32_e32 v19, v19, v20
	v_xor_b32_e32 v15, v15, v20
	;; [unrolled: 1-line block ×3, first 2 shown]
	v_lshrrev_b32_e32 v20, 29, v11
	v_ffbh_u32_e32 v21, v19
	v_min_u32_e32 v21, 32, v21
	v_sub_nc_u32_e32 v18, 31, v21
	v_lshlrev_b32_e32 v22, 23, v21
	v_alignbit_b32 v19, v19, v15, v18
	v_alignbit_b32 v14, v15, v14, v18
	v_lshlrev_b32_e32 v15, 31, v20
	v_alignbit_b32 v18, v19, v14, 9
	v_or_b32_e32 v20, 0.5, v15
	v_lshrrev_b32_e32 v19, 9, v19
	v_or_b32_e32 v15, 0x33000000, v15
	v_ffbh_u32_e32 v23, v18
	v_sub_nc_u32_e32 v20, v20, v22
	v_min_u32_e32 v22, 32, v23
	v_or_b32_e32 v19, v19, v20
	v_not_b32_e32 v20, v22
	v_mul_f32_e32 v23, 0x3fc90fda, v19
	v_add_lshl_u32 v21, v22, v21, 23
	v_alignbit_b32 v14, v18, v14, v20
	v_fma_f32 v18, 0x3fc90fda, v19, -v23
	v_sub_nc_u32_e32 v15, v15, v21
	v_lshrrev_b32_e32 v14, 9, v14
	v_fmamk_f32 v18, v19, 0x33a22168, v18
	v_or_b32_e32 v14, v15, v14
	v_fmac_f32_e32 v18, 0x3fc90fda, v14
	v_lshrrev_b32_e32 v14, 30, v11
	v_add_f32_e32 v11, v23, v18
	v_add_nc_u32_e32 v14, v17, v14
.LBB72_18:
	s_andn2_saveexec_b32 s4, s8
; %bb.19:
	v_mul_f32_e64 v11, 0x3f22f983, |v9|
	v_rndne_f32_e32 v14, v11
	v_fma_f32 v11, 0xbfc90fda, v14, |v9|
	v_fmamk_f32 v11, v14, 0xb3a22168, v11
	v_fmamk_f32 v11, v14, 0xa7c234c4, v11
	v_cvt_i32_f32_e32 v14, v14
; %bb.20:
	s_or_b32 exec_lo, exec_lo, s4
	v_mul_f32_e32 v15, v11, v11
	s_mov_b32 s4, 0xb94c1982
	s_mov_b32 s5, 0x37d75334
	v_and_b32_e32 v19, 1, v14
	v_lshlrev_b32_e32 v14, 30, v14
	v_fmaak_f32 v17, s4, v15, 0x3c0881c4
	v_fmaak_f32 v18, s5, v15, 0xbab64f3b
	v_xor_b32_e32 v10, v10, v9
	v_cmp_eq_u32_e32 vcc_lo, 0, v19
	v_and_b32_e32 v14, 0x80000000, v14
	v_fmaak_f32 v17, v15, v17, 0xbe2aaa9d
	v_fmaak_f32 v18, v15, v18, 0x3d2aabf7
	v_sub_f32_e32 v16, 1.0, v16
	v_mul_f32_e32 v17, v15, v17
	v_fmaak_f32 v18, v15, v18, 0xbf000004
	v_fmac_f32_e32 v11, v11, v17
	v_fma_f32 v15, v15, v18, 1.0
	v_cndmask_b32_e32 v11, v15, v11, vcc_lo
	v_cmp_class_f32_e64 vcc_lo, v9, 0x1f8
	v_xor3_b32 v10, v10, v14, v11
	v_cndmask_b32_e32 v9, 0x7fc00000, v10, vcc_lo
	v_mul_f32_e32 v9, v9, v9
	v_div_scale_f32 v10, null, v9, v9, 0xc11de9e7
	v_div_scale_f32 v15, vcc_lo, 0xc11de9e7, v9, 0xc11de9e7
	v_rcp_f32_e32 v11, v10
	v_fma_f32 v14, -v10, v11, 1.0
	v_fmac_f32_e32 v11, v14, v11
	v_mul_f32_e32 v14, v15, v11
	v_fma_f32 v17, -v10, v14, v15
	v_fmac_f32_e32 v14, v17, v11
	v_fma_f32 v10, -v10, v14, v15
	v_div_fmas_f32 v10, v10, v11, v14
	v_div_fixup_f32 v9, v10, v9, 0xc11de9e7
	v_add_f32_e32 v10, 0, v9
	v_mov_b32_e32 v9, -1.0
.LBB72_21:
	s_or_b32 exec_lo, exec_lo, s7
	v_and_b32_e32 v14, 0xffff0000, v4
	v_mov_b32_e32 v11, 0
	v_mov_b32_e32 v4, 1.0
	s_mov_b32 s7, exec_lo
	v_cmpx_gt_f32_e32 0.5, v14
	s_cbranch_execz .LBB72_27
; %bb.22:
	v_mul_f32_e32 v4, 0x40490fdb, v14
                                        ; implicit-def: $vgpr17
                                        ; implicit-def: $vgpr15
	s_mov_b32 s5, exec_lo
	v_and_b32_e32 v11, 0x7fffffff, v4
	v_cmpx_ngt_f32_e64 0x48000000, |v4|
	s_xor_b32 s8, exec_lo, s5
	s_cbranch_execz .LBB72_24
; %bb.23:
	s_mov_b32 s4, 0x7fffff
	v_mov_b32_e32 v19, 0
	v_and_or_b32 v15, v11, s4, 0x800000
	v_lshrrev_b32_e32 v24, 23, v11
	v_mad_u64_u32 v[17:18], null, 0xfe5163ab, v15, 0
	v_add_nc_u32_e32 v25, 0xffffff88, v24
	v_cmp_lt_u32_e32 vcc_lo, 63, v25
	v_mad_u64_u32 v[20:21], null, 0x3c439041, v15, v[18:19]
	v_cndmask_b32_e64 v26, 0, 0xffffffc0, vcc_lo
	v_mov_b32_e32 v18, v21
	v_add_nc_u32_e32 v26, v26, v25
	v_mad_u64_u32 v[21:22], null, 0xdb629599, v15, v[18:19]
	v_cmp_lt_u32_e64 s4, 31, v26
	v_cndmask_b32_e64 v27, 0, 0xffffffe0, s4
	v_mov_b32_e32 v18, v22
	v_cndmask_b32_e32 v17, v21, v17, vcc_lo
	v_mad_u64_u32 v[22:23], null, 0xf534ddc0, v15, v[18:19]
	v_mov_b32_e32 v18, v23
	v_cndmask_b32_e32 v20, v22, v20, vcc_lo
	v_mad_u64_u32 v[23:24], null, 0xfc2757d1, v15, v[18:19]
	v_cndmask_b32_e64 v17, v20, v17, s4
	v_mov_b32_e32 v18, v24
	v_mad_u64_u32 v[24:25], null, 0x4e441529, v15, v[18:19]
	v_mov_b32_e32 v18, v25
	v_add_nc_u32_e32 v25, v27, v26
	v_cndmask_b32_e32 v26, v24, v22, vcc_lo
	v_mad_u64_u32 v[18:19], null, 0xa2f9836e, v15, v[18:19]
	v_cmp_lt_u32_e64 s5, 31, v25
	v_cndmask_b32_e64 v15, 0, 0xffffffe0, s5
	v_cndmask_b32_e32 v18, v18, v23, vcc_lo
	v_cndmask_b32_e32 v19, v19, v24, vcc_lo
	;; [unrolled: 1-line block ×3, first 2 shown]
	v_add_nc_u32_e32 v15, v15, v25
	v_cndmask_b32_e64 v22, v18, v26, s4
	v_cndmask_b32_e64 v18, v19, v18, s4
	;; [unrolled: 1-line block ×4, first 2 shown]
	v_sub_nc_u32_e32 v24, 32, v15
	v_cmp_eq_u32_e32 vcc_lo, 0, v15
	v_cndmask_b32_e64 v18, v18, v22, s5
	v_cndmask_b32_e64 v22, v22, v19, s5
	;; [unrolled: 1-line block ×4, first 2 shown]
	v_alignbit_b32 v25, v18, v22, v24
	v_alignbit_b32 v21, v22, v19, v24
	v_alignbit_b32 v23, v19, v17, v24
	v_cndmask_b32_e32 v15, v25, v18, vcc_lo
	v_cndmask_b32_e32 v18, v21, v22, vcc_lo
	;; [unrolled: 1-line block ×3, first 2 shown]
	v_bfe_u32 v20, v15, 29, 1
	v_alignbit_b32 v21, v15, v18, 30
	v_alignbit_b32 v18, v18, v19, 30
	;; [unrolled: 1-line block ×3, first 2 shown]
	v_sub_nc_u32_e32 v22, 0, v20
	v_xor_b32_e32 v21, v21, v22
	v_xor_b32_e32 v18, v18, v22
	;; [unrolled: 1-line block ×3, first 2 shown]
	v_lshrrev_b32_e32 v22, 29, v15
	v_ffbh_u32_e32 v23, v21
	v_min_u32_e32 v23, 32, v23
	v_sub_nc_u32_e32 v19, 31, v23
	v_lshlrev_b32_e32 v24, 23, v23
	v_alignbit_b32 v21, v21, v18, v19
	v_alignbit_b32 v17, v18, v17, v19
	v_lshlrev_b32_e32 v18, 31, v22
	v_alignbit_b32 v19, v21, v17, 9
	v_or_b32_e32 v22, 0.5, v18
	v_lshrrev_b32_e32 v21, 9, v21
	v_or_b32_e32 v18, 0x33000000, v18
	v_ffbh_u32_e32 v25, v19
	v_sub_nc_u32_e32 v22, v22, v24
	v_min_u32_e32 v24, 32, v25
	v_or_b32_e32 v21, v21, v22
	v_not_b32_e32 v22, v24
	v_mul_f32_e32 v25, 0x3fc90fda, v21
	v_add_lshl_u32 v23, v24, v23, 23
	v_alignbit_b32 v17, v19, v17, v22
	v_fma_f32 v19, 0x3fc90fda, v21, -v25
	v_sub_nc_u32_e32 v18, v18, v23
	v_lshrrev_b32_e32 v17, 9, v17
	v_fmamk_f32 v19, v21, 0x33a22168, v19
	v_or_b32_e32 v17, v18, v17
	v_fmac_f32_e32 v19, 0x3fc90fda, v17
	v_lshrrev_b32_e32 v17, 30, v15
	v_add_f32_e32 v15, v25, v19
	v_add_nc_u32_e32 v17, v20, v17
.LBB72_24:
	s_andn2_saveexec_b32 s4, s8
; %bb.25:
	v_mul_f32_e64 v15, 0x3f22f983, |v4|
	v_rndne_f32_e32 v17, v15
	v_fma_f32 v15, 0xbfc90fda, v17, |v4|
	v_fmamk_f32 v15, v17, 0xb3a22168, v15
	v_fmamk_f32 v15, v17, 0xa7c234c4, v15
	v_cvt_i32_f32_e32 v17, v17
; %bb.26:
	s_or_b32 exec_lo, exec_lo, s4
	v_mul_f32_e32 v18, v15, v15
	s_mov_b32 s4, 0xb94c1982
	s_mov_b32 s5, 0x37d75334
	v_and_b32_e32 v21, 1, v17
	v_lshlrev_b32_e32 v17, 30, v17
	v_fmaak_f32 v19, s4, v18, 0x3c0881c4
	v_fmaak_f32 v20, s5, v18, 0xbab64f3b
	v_xor_b32_e32 v11, v11, v4
	v_cmp_eq_u32_e32 vcc_lo, 0, v21
	v_and_b32_e32 v17, 0x80000000, v17
	v_fmaak_f32 v19, v18, v19, 0xbe2aaa9d
	v_fmaak_f32 v20, v18, v20, 0x3d2aabf7
	v_sub_f32_e32 v14, 1.0, v14
	v_mul_f32_e32 v19, v18, v19
	v_fmaak_f32 v20, v18, v20, 0xbf000004
	v_fmac_f32_e32 v15, v15, v19
	v_fma_f32 v18, v18, v20, 1.0
	v_cndmask_b32_e32 v15, v18, v15, vcc_lo
	v_cmp_class_f32_e64 vcc_lo, v4, 0x1f8
	v_xor3_b32 v11, v11, v17, v15
	v_cndmask_b32_e32 v4, 0x7fc00000, v11, vcc_lo
	v_mul_f32_e32 v4, v4, v4
	v_div_scale_f32 v11, null, v4, v4, 0xc11de9e7
	v_div_scale_f32 v18, vcc_lo, 0xc11de9e7, v4, 0xc11de9e7
	v_rcp_f32_e32 v15, v11
	v_fma_f32 v17, -v11, v15, 1.0
	v_fmac_f32_e32 v15, v17, v15
	v_mul_f32_e32 v17, v18, v15
	v_fma_f32 v19, -v11, v17, v18
	v_fmac_f32_e32 v17, v19, v15
	v_fma_f32 v11, -v11, v17, v18
	v_div_fmas_f32 v11, v11, v15, v17
	v_div_fixup_f32 v4, v11, v4, 0xc11de9e7
	v_add_f32_e32 v11, 0, v4
	v_mov_b32_e32 v4, -1.0
.LBB72_27:
	s_or_b32 exec_lo, exec_lo, s7
	s_waitcnt vmcnt(0)
	v_lshlrev_b32_e32 v23, 16, v1
	v_mov_b32_e32 v17, 0
	v_mov_b32_e32 v15, 1.0
	s_mov_b32 s7, exec_lo
	v_cmpx_gt_f32_e32 0.5, v23
	s_cbranch_execz .LBB72_33
; %bb.28:
	v_mul_f32_e32 v15, 0x40490fdb, v23
                                        ; implicit-def: $vgpr19
                                        ; implicit-def: $vgpr18
	s_mov_b32 s5, exec_lo
	v_and_b32_e32 v17, 0x7fffffff, v15
	v_cmpx_ngt_f32_e64 0x48000000, |v15|
	s_xor_b32 s8, exec_lo, s5
	s_cbranch_execz .LBB72_30
; %bb.29:
	s_mov_b32 s4, 0x7fffff
	v_mov_b32_e32 v20, 0
	v_and_or_b32 v29, v17, s4, 0x800000
	v_mad_u64_u32 v[18:19], null, 0xfe5163ab, v29, 0
	v_mad_u64_u32 v[21:22], null, 0x3c439041, v29, v[19:20]
	v_mov_b32_e32 v19, v22
	v_lshrrev_b32_e32 v22, 23, v17
	v_mad_u64_u32 v[24:25], null, 0xdb629599, v29, v[19:20]
	v_add_nc_u32_e32 v22, 0xffffff88, v22
	v_cmp_lt_u32_e32 vcc_lo, 63, v22
	v_mov_b32_e32 v19, v25
	v_cndmask_b32_e64 v28, 0, 0xffffffc0, vcc_lo
	v_mad_u64_u32 v[25:26], null, 0xf534ddc0, v29, v[19:20]
	v_cndmask_b32_e32 v18, v24, v18, vcc_lo
	v_add_nc_u32_e32 v22, v28, v22
	v_mov_b32_e32 v19, v26
	v_cmp_lt_u32_e64 s4, 31, v22
	v_cndmask_b32_e32 v21, v25, v21, vcc_lo
	v_mad_u64_u32 v[26:27], null, 0xfc2757d1, v29, v[19:20]
	v_cndmask_b32_e64 v30, 0, 0xffffffe0, s4
	v_cndmask_b32_e64 v18, v21, v18, s4
	v_add_nc_u32_e32 v22, v30, v22
	v_mov_b32_e32 v19, v27
	v_cmp_lt_u32_e64 s5, 31, v22
	v_mad_u64_u32 v[27:28], null, 0x4e441529, v29, v[19:20]
	v_mov_b32_e32 v19, v28
	v_cndmask_b32_e64 v28, 0, 0xffffffe0, s5
	v_mad_u64_u32 v[19:20], null, 0xa2f9836e, v29, v[19:20]
	v_cndmask_b32_e32 v29, v27, v25, vcc_lo
	v_add_nc_u32_e32 v22, v28, v22
	v_cndmask_b32_e32 v19, v19, v26, vcc_lo
	v_cndmask_b32_e32 v20, v20, v27, vcc_lo
	;; [unrolled: 1-line block ×3, first 2 shown]
	v_sub_nc_u32_e32 v27, 32, v22
	v_cmp_eq_u32_e32 vcc_lo, 0, v22
	v_cndmask_b32_e64 v25, v19, v29, s4
	v_cndmask_b32_e64 v19, v20, v19, s4
	;; [unrolled: 1-line block ×8, first 2 shown]
	v_alignbit_b32 v28, v19, v25, v27
	v_alignbit_b32 v24, v25, v20, v27
	;; [unrolled: 1-line block ×3, first 2 shown]
	v_cndmask_b32_e32 v19, v28, v19, vcc_lo
	v_cndmask_b32_e32 v21, v24, v25, vcc_lo
	v_cndmask_b32_e32 v20, v26, v20, vcc_lo
	v_bfe_u32 v22, v19, 29, 1
	v_alignbit_b32 v24, v19, v21, 30
	v_alignbit_b32 v21, v21, v20, 30
	v_alignbit_b32 v18, v20, v18, 30
	v_sub_nc_u32_e32 v25, 0, v22
	v_xor_b32_e32 v24, v24, v25
	v_xor_b32_e32 v20, v21, v25
	;; [unrolled: 1-line block ×3, first 2 shown]
	v_lshrrev_b32_e32 v25, 29, v19
	v_lshrrev_b32_e32 v19, 30, v19
	v_ffbh_u32_e32 v26, v24
	v_add_nc_u32_e32 v19, v22, v19
	v_min_u32_e32 v26, 32, v26
	v_sub_nc_u32_e32 v21, 31, v26
	v_lshlrev_b32_e32 v27, 23, v26
	v_alignbit_b32 v24, v24, v20, v21
	v_alignbit_b32 v18, v20, v18, v21
	v_lshlrev_b32_e32 v20, 31, v25
	v_alignbit_b32 v21, v24, v18, 9
	v_or_b32_e32 v25, 0.5, v20
	v_lshrrev_b32_e32 v24, 9, v24
	v_or_b32_e32 v20, 0x33000000, v20
	v_ffbh_u32_e32 v28, v21
	v_sub_nc_u32_e32 v25, v25, v27
	v_min_u32_e32 v27, 32, v28
	v_or_b32_e32 v24, v24, v25
	v_not_b32_e32 v25, v27
	v_mul_f32_e32 v28, 0x3fc90fda, v24
	v_add_lshl_u32 v26, v27, v26, 23
	v_alignbit_b32 v18, v21, v18, v25
	v_fma_f32 v21, 0x3fc90fda, v24, -v28
	v_sub_nc_u32_e32 v20, v20, v26
	v_lshrrev_b32_e32 v18, 9, v18
	v_fmamk_f32 v21, v24, 0x33a22168, v21
	v_or_b32_e32 v18, v20, v18
	v_fmac_f32_e32 v21, 0x3fc90fda, v18
	v_add_f32_e32 v18, v28, v21
.LBB72_30:
	s_andn2_saveexec_b32 s4, s8
; %bb.31:
	v_mul_f32_e64 v18, 0x3f22f983, |v15|
	v_rndne_f32_e32 v19, v18
	v_fma_f32 v18, 0xbfc90fda, v19, |v15|
	v_fmamk_f32 v18, v19, 0xb3a22168, v18
	v_fmamk_f32 v18, v19, 0xa7c234c4, v18
	v_cvt_i32_f32_e32 v19, v19
; %bb.32:
	s_or_b32 exec_lo, exec_lo, s4
	v_mul_f32_e32 v20, v18, v18
	s_mov_b32 s4, 0xb94c1982
	s_mov_b32 s5, 0x37d75334
	v_and_b32_e32 v24, 1, v19
	v_lshlrev_b32_e32 v19, 30, v19
	v_fmaak_f32 v21, s4, v20, 0x3c0881c4
	v_fmaak_f32 v22, s5, v20, 0xbab64f3b
	v_xor_b32_e32 v17, v17, v15
	v_cmp_eq_u32_e32 vcc_lo, 0, v24
	v_and_b32_e32 v19, 0x80000000, v19
	v_fmaak_f32 v21, v20, v21, 0xbe2aaa9d
	v_fmaak_f32 v22, v20, v22, 0x3d2aabf7
	v_sub_f32_e32 v23, 1.0, v23
	v_mul_f32_e32 v21, v20, v21
	v_fmaak_f32 v22, v20, v22, 0xbf000004
	v_fmac_f32_e32 v18, v18, v21
	v_fma_f32 v20, v20, v22, 1.0
	v_cndmask_b32_e32 v18, v20, v18, vcc_lo
	v_cmp_class_f32_e64 vcc_lo, v15, 0x1f8
	v_xor3_b32 v17, v17, v19, v18
	v_cndmask_b32_e32 v15, 0x7fc00000, v17, vcc_lo
	v_mul_f32_e32 v15, v15, v15
	v_div_scale_f32 v17, null, v15, v15, 0xc11de9e7
	v_div_scale_f32 v20, vcc_lo, 0xc11de9e7, v15, 0xc11de9e7
	v_rcp_f32_e32 v18, v17
	v_fma_f32 v19, -v17, v18, 1.0
	v_fmac_f32_e32 v18, v19, v18
	v_mul_f32_e32 v19, v20, v18
	v_fma_f32 v21, -v17, v19, v20
	v_fmac_f32_e32 v19, v21, v18
	v_fma_f32 v17, -v17, v19, v20
	v_div_fmas_f32 v17, v17, v18, v19
	v_div_fixup_f32 v15, v17, v15, 0xc11de9e7
	v_add_f32_e32 v17, 0, v15
	v_mov_b32_e32 v15, -1.0
.LBB72_33:
	s_or_b32 exec_lo, exec_lo, s7
	v_and_b32_e32 v38, 0xffff0000, v1
	v_mov_b32_e32 v18, 0
	v_mov_b32_e32 v1, 1.0
	s_mov_b32 s7, exec_lo
	v_cmpx_gt_f32_e32 0.5, v38
	s_cbranch_execz .LBB72_39
; %bb.34:
	v_mul_f32_e32 v1, 0x40490fdb, v38
                                        ; implicit-def: $vgpr20
                                        ; implicit-def: $vgpr19
	s_mov_b32 s5, exec_lo
	v_and_b32_e32 v18, 0x7fffffff, v1
	v_cmpx_ngt_f32_e64 0x48000000, |v1|
	s_xor_b32 s8, exec_lo, s5
	s_cbranch_execz .LBB72_36
; %bb.35:
	s_mov_b32 s4, 0x7fffff
	v_mov_b32_e32 v21, 0
	v_and_or_b32 v22, v18, s4, 0x800000
	v_lshrrev_b32_e32 v28, 23, v18
	v_mad_u64_u32 v[19:20], null, 0xfe5163ab, v22, 0
	v_add_nc_u32_e32 v29, 0xffffff88, v28
	v_cmp_lt_u32_e32 vcc_lo, 63, v29
	v_mad_u64_u32 v[24:25], null, 0x3c439041, v22, v[20:21]
	v_cndmask_b32_e64 v30, 0, 0xffffffc0, vcc_lo
	v_mov_b32_e32 v20, v25
	v_add_nc_u32_e32 v30, v30, v29
	v_mad_u64_u32 v[25:26], null, 0xdb629599, v22, v[20:21]
	v_cmp_lt_u32_e64 s4, 31, v30
	v_cndmask_b32_e64 v31, 0, 0xffffffe0, s4
	v_mov_b32_e32 v20, v26
	v_cndmask_b32_e32 v19, v25, v19, vcc_lo
	v_mad_u64_u32 v[26:27], null, 0xf534ddc0, v22, v[20:21]
	v_mov_b32_e32 v20, v27
	v_cndmask_b32_e32 v24, v26, v24, vcc_lo
	v_mad_u64_u32 v[27:28], null, 0xfc2757d1, v22, v[20:21]
	v_cndmask_b32_e64 v19, v24, v19, s4
	v_mov_b32_e32 v20, v28
	v_mad_u64_u32 v[28:29], null, 0x4e441529, v22, v[20:21]
	v_mov_b32_e32 v20, v29
	v_add_nc_u32_e32 v29, v31, v30
	v_cndmask_b32_e32 v30, v28, v26, vcc_lo
	v_mad_u64_u32 v[20:21], null, 0xa2f9836e, v22, v[20:21]
	v_cmp_lt_u32_e64 s5, 31, v29
	v_cndmask_b32_e64 v22, 0, 0xffffffe0, s5
	v_cndmask_b32_e32 v20, v20, v27, vcc_lo
	v_cndmask_b32_e32 v21, v21, v28, vcc_lo
	;; [unrolled: 1-line block ×3, first 2 shown]
	v_add_nc_u32_e32 v22, v22, v29
	v_cndmask_b32_e64 v26, v20, v30, s4
	v_cndmask_b32_e64 v20, v21, v20, s4
	;; [unrolled: 1-line block ×4, first 2 shown]
	v_sub_nc_u32_e32 v28, 32, v22
	v_cmp_eq_u32_e32 vcc_lo, 0, v22
	v_cndmask_b32_e64 v20, v20, v26, s5
	v_cndmask_b32_e64 v26, v26, v21, s5
	;; [unrolled: 1-line block ×4, first 2 shown]
	v_alignbit_b32 v29, v20, v26, v28
	v_alignbit_b32 v25, v26, v21, v28
	;; [unrolled: 1-line block ×3, first 2 shown]
	v_cndmask_b32_e32 v20, v29, v20, vcc_lo
	v_cndmask_b32_e32 v22, v25, v26, vcc_lo
	;; [unrolled: 1-line block ×3, first 2 shown]
	v_bfe_u32 v24, v20, 29, 1
	v_alignbit_b32 v25, v20, v22, 30
	v_alignbit_b32 v22, v22, v21, 30
	;; [unrolled: 1-line block ×3, first 2 shown]
	v_sub_nc_u32_e32 v26, 0, v24
	v_xor_b32_e32 v25, v25, v26
	v_xor_b32_e32 v21, v22, v26
	;; [unrolled: 1-line block ×3, first 2 shown]
	v_lshrrev_b32_e32 v26, 29, v20
	v_lshrrev_b32_e32 v20, 30, v20
	v_ffbh_u32_e32 v27, v25
	v_add_nc_u32_e32 v20, v24, v20
	v_min_u32_e32 v27, 32, v27
	v_sub_nc_u32_e32 v22, 31, v27
	v_lshlrev_b32_e32 v28, 23, v27
	v_alignbit_b32 v25, v25, v21, v22
	v_alignbit_b32 v19, v21, v19, v22
	v_lshlrev_b32_e32 v21, 31, v26
	v_alignbit_b32 v22, v25, v19, 9
	v_or_b32_e32 v26, 0.5, v21
	v_lshrrev_b32_e32 v25, 9, v25
	v_or_b32_e32 v21, 0x33000000, v21
	v_ffbh_u32_e32 v29, v22
	v_sub_nc_u32_e32 v26, v26, v28
	v_min_u32_e32 v28, 32, v29
	v_or_b32_e32 v25, v25, v26
	v_not_b32_e32 v26, v28
	v_mul_f32_e32 v29, 0x3fc90fda, v25
	v_add_lshl_u32 v27, v28, v27, 23
	v_alignbit_b32 v19, v22, v19, v26
	v_fma_f32 v22, 0x3fc90fda, v25, -v29
	v_sub_nc_u32_e32 v21, v21, v27
	v_lshrrev_b32_e32 v19, 9, v19
	v_fmamk_f32 v22, v25, 0x33a22168, v22
	v_or_b32_e32 v19, v21, v19
	v_fmac_f32_e32 v22, 0x3fc90fda, v19
	v_add_f32_e32 v19, v29, v22
.LBB72_36:
	s_andn2_saveexec_b32 s4, s8
; %bb.37:
	v_mul_f32_e64 v19, 0x3f22f983, |v1|
	v_rndne_f32_e32 v20, v19
	v_fma_f32 v19, 0xbfc90fda, v20, |v1|
	v_fmamk_f32 v19, v20, 0xb3a22168, v19
	v_fmamk_f32 v19, v20, 0xa7c234c4, v19
	v_cvt_i32_f32_e32 v20, v20
; %bb.38:
	s_or_b32 exec_lo, exec_lo, s4
	v_mul_f32_e32 v21, v19, v19
	s_mov_b32 s4, 0xb94c1982
	s_mov_b32 s5, 0x37d75334
	v_and_b32_e32 v25, 1, v20
	v_lshlrev_b32_e32 v20, 30, v20
	v_fmaak_f32 v22, s4, v21, 0x3c0881c4
	v_fmaak_f32 v24, s5, v21, 0xbab64f3b
	v_xor_b32_e32 v18, v18, v1
	v_cmp_eq_u32_e32 vcc_lo, 0, v25
	v_and_b32_e32 v20, 0x80000000, v20
	v_fmaak_f32 v22, v21, v22, 0xbe2aaa9d
	v_fmaak_f32 v24, v21, v24, 0x3d2aabf7
	v_sub_f32_e32 v38, 1.0, v38
	v_mul_f32_e32 v22, v21, v22
	v_fmaak_f32 v24, v21, v24, 0xbf000004
	v_fmac_f32_e32 v19, v19, v22
	v_fma_f32 v21, v21, v24, 1.0
	v_cndmask_b32_e32 v19, v21, v19, vcc_lo
	v_cmp_class_f32_e64 vcc_lo, v1, 0x1f8
	v_xor3_b32 v18, v18, v20, v19
	v_cndmask_b32_e32 v1, 0x7fc00000, v18, vcc_lo
	v_mul_f32_e32 v1, v1, v1
	v_div_scale_f32 v18, null, v1, v1, 0xc11de9e7
	v_div_scale_f32 v21, vcc_lo, 0xc11de9e7, v1, 0xc11de9e7
	v_rcp_f32_e32 v19, v18
	v_fma_f32 v20, -v18, v19, 1.0
	v_fmac_f32_e32 v19, v20, v19
	v_mul_f32_e32 v20, v21, v19
	v_fma_f32 v22, -v18, v20, v21
	v_fmac_f32_e32 v20, v22, v19
	v_fma_f32 v18, -v18, v20, v21
	v_div_fmas_f32 v18, v18, v19, v20
	v_div_fixup_f32 v1, v18, v1, 0xc11de9e7
	v_add_f32_e32 v18, 0, v1
	v_mov_b32_e32 v1, -1.0
.LBB72_39:
	s_or_b32 exec_lo, exec_lo, s7
	v_lshlrev_b32_e32 v53, 16, v2
	v_mov_b32_e32 v20, 0
	v_mov_b32_e32 v19, 1.0
	s_mov_b32 s7, exec_lo
	v_cmpx_gt_f32_e32 0.5, v53
	s_cbranch_execz .LBB72_45
; %bb.40:
	v_mul_f32_e32 v19, 0x40490fdb, v53
                                        ; implicit-def: $vgpr22
                                        ; implicit-def: $vgpr21
	s_mov_b32 s5, exec_lo
	v_and_b32_e32 v20, 0x7fffffff, v19
	v_cmpx_ngt_f32_e64 0x48000000, |v19|
	s_xor_b32 s8, exec_lo, s5
	s_cbranch_execz .LBB72_42
; %bb.41:
	s_mov_b32 s4, 0x7fffff
	v_mov_b32_e32 v25, 0
	v_and_or_b32 v32, v20, s4, 0x800000
	v_mad_u64_u32 v[21:22], null, 0xfe5163ab, v32, 0
	v_mov_b32_e32 v24, v22
	v_lshrrev_b32_e32 v22, 23, v20
	v_mad_u64_u32 v[26:27], null, 0x3c439041, v32, v[24:25]
	v_add_nc_u32_e32 v22, 0xffffff88, v22
	v_cmp_lt_u32_e32 vcc_lo, 63, v22
	v_mov_b32_e32 v24, v27
	v_cndmask_b32_e64 v31, 0, 0xffffffc0, vcc_lo
	v_mad_u64_u32 v[27:28], null, 0xdb629599, v32, v[24:25]
	v_add_nc_u32_e32 v22, v31, v22
	v_mov_b32_e32 v24, v28
	v_cmp_lt_u32_e64 s4, 31, v22
	v_cndmask_b32_e32 v21, v27, v21, vcc_lo
	v_mad_u64_u32 v[28:29], null, 0xf534ddc0, v32, v[24:25]
	v_cndmask_b32_e64 v33, 0, 0xffffffe0, s4
	v_add_nc_u32_e32 v22, v33, v22
	v_mov_b32_e32 v24, v29
	v_cndmask_b32_e32 v26, v28, v26, vcc_lo
	v_cmp_lt_u32_e64 s5, 31, v22
	v_mad_u64_u32 v[29:30], null, 0xfc2757d1, v32, v[24:25]
	v_cndmask_b32_e64 v21, v26, v21, s4
	v_mov_b32_e32 v24, v30
	v_mad_u64_u32 v[30:31], null, 0x4e441529, v32, v[24:25]
	v_mov_b32_e32 v24, v31
	v_cndmask_b32_e64 v31, 0, 0xffffffe0, s5
	v_mad_u64_u32 v[24:25], null, 0xa2f9836e, v32, v[24:25]
	v_cndmask_b32_e32 v32, v30, v28, vcc_lo
	v_add_nc_u32_e32 v22, v31, v22
	v_cndmask_b32_e32 v24, v24, v29, vcc_lo
	v_cndmask_b32_e32 v25, v25, v30, vcc_lo
	;; [unrolled: 1-line block ×3, first 2 shown]
	v_sub_nc_u32_e32 v30, 32, v22
	v_cmp_eq_u32_e32 vcc_lo, 0, v22
	v_cndmask_b32_e64 v28, v24, v32, s4
	v_cndmask_b32_e64 v24, v25, v24, s4
	;; [unrolled: 1-line block ×8, first 2 shown]
	v_alignbit_b32 v31, v24, v28, v30
	v_alignbit_b32 v27, v28, v25, v30
	;; [unrolled: 1-line block ×3, first 2 shown]
	v_cndmask_b32_e32 v22, v31, v24, vcc_lo
	v_cndmask_b32_e32 v24, v27, v28, vcc_lo
	;; [unrolled: 1-line block ×3, first 2 shown]
	v_bfe_u32 v26, v22, 29, 1
	v_alignbit_b32 v27, v22, v24, 30
	v_alignbit_b32 v24, v24, v25, 30
	;; [unrolled: 1-line block ×3, first 2 shown]
	v_sub_nc_u32_e32 v28, 0, v26
	v_xor_b32_e32 v27, v27, v28
	v_xor_b32_e32 v24, v24, v28
	;; [unrolled: 1-line block ×3, first 2 shown]
	v_lshrrev_b32_e32 v28, 29, v22
	v_lshrrev_b32_e32 v22, 30, v22
	v_ffbh_u32_e32 v29, v27
	v_add_nc_u32_e32 v22, v26, v22
	v_min_u32_e32 v29, 32, v29
	v_sub_nc_u32_e32 v25, 31, v29
	v_lshlrev_b32_e32 v30, 23, v29
	v_alignbit_b32 v27, v27, v24, v25
	v_alignbit_b32 v21, v24, v21, v25
	v_lshlrev_b32_e32 v24, 31, v28
	v_alignbit_b32 v25, v27, v21, 9
	v_or_b32_e32 v28, 0.5, v24
	v_lshrrev_b32_e32 v27, 9, v27
	v_or_b32_e32 v24, 0x33000000, v24
	v_ffbh_u32_e32 v31, v25
	v_sub_nc_u32_e32 v28, v28, v30
	v_min_u32_e32 v30, 32, v31
	v_or_b32_e32 v27, v27, v28
	v_not_b32_e32 v28, v30
	v_mul_f32_e32 v31, 0x3fc90fda, v27
	v_add_lshl_u32 v29, v30, v29, 23
	v_alignbit_b32 v21, v25, v21, v28
	v_fma_f32 v25, 0x3fc90fda, v27, -v31
	v_sub_nc_u32_e32 v24, v24, v29
	v_lshrrev_b32_e32 v21, 9, v21
	v_fmamk_f32 v25, v27, 0x33a22168, v25
	v_or_b32_e32 v21, v24, v21
	v_fmac_f32_e32 v25, 0x3fc90fda, v21
	v_add_f32_e32 v21, v31, v25
.LBB72_42:
	s_andn2_saveexec_b32 s4, s8
; %bb.43:
	v_mul_f32_e64 v21, 0x3f22f983, |v19|
	v_rndne_f32_e32 v22, v21
	v_fma_f32 v21, 0xbfc90fda, v22, |v19|
	v_fmamk_f32 v21, v22, 0xb3a22168, v21
	v_fmamk_f32 v21, v22, 0xa7c234c4, v21
	v_cvt_i32_f32_e32 v22, v22
; %bb.44:
	s_or_b32 exec_lo, exec_lo, s4
	v_mul_f32_e32 v24, v21, v21
	s_mov_b32 s4, 0xb94c1982
	s_mov_b32 s5, 0x37d75334
	v_and_b32_e32 v27, 1, v22
	v_lshlrev_b32_e32 v22, 30, v22
	v_fmaak_f32 v25, s4, v24, 0x3c0881c4
	v_fmaak_f32 v26, s5, v24, 0xbab64f3b
	v_xor_b32_e32 v20, v20, v19
	v_cmp_eq_u32_e32 vcc_lo, 0, v27
	v_and_b32_e32 v22, 0x80000000, v22
	v_fmaak_f32 v25, v24, v25, 0xbe2aaa9d
	v_fmaak_f32 v26, v24, v26, 0x3d2aabf7
	v_sub_f32_e32 v53, 1.0, v53
	v_mul_f32_e32 v25, v24, v25
	v_fmaak_f32 v26, v24, v26, 0xbf000004
	v_fmac_f32_e32 v21, v21, v25
	v_fma_f32 v24, v24, v26, 1.0
	v_cndmask_b32_e32 v21, v24, v21, vcc_lo
	v_cmp_class_f32_e64 vcc_lo, v19, 0x1f8
	v_xor3_b32 v20, v20, v22, v21
	v_cndmask_b32_e32 v19, 0x7fc00000, v20, vcc_lo
	v_mul_f32_e32 v19, v19, v19
	v_div_scale_f32 v20, null, v19, v19, 0xc11de9e7
	v_div_scale_f32 v24, vcc_lo, 0xc11de9e7, v19, 0xc11de9e7
	v_rcp_f32_e32 v21, v20
	v_fma_f32 v22, -v20, v21, 1.0
	v_fmac_f32_e32 v21, v22, v21
	v_mul_f32_e32 v22, v24, v21
	v_fma_f32 v25, -v20, v22, v24
	v_fmac_f32_e32 v22, v25, v21
	v_fma_f32 v20, -v20, v22, v24
	v_div_fmas_f32 v20, v20, v21, v22
	v_div_fixup_f32 v19, v20, v19, 0xc11de9e7
	v_add_f32_e32 v20, 0, v19
	v_mov_b32_e32 v19, -1.0
.LBB72_45:
	s_or_b32 exec_lo, exec_lo, s7
	v_and_b32_e32 v22, 0xffff0000, v2
	v_mov_b32_e32 v21, 0
	v_mov_b32_e32 v2, 1.0
	s_mov_b32 s7, exec_lo
	v_cmpx_gt_f32_e32 0.5, v22
	s_cbranch_execz .LBB72_51
; %bb.46:
	v_mul_f32_e32 v2, 0x40490fdb, v22
                                        ; implicit-def: $vgpr25
                                        ; implicit-def: $vgpr24
	s_mov_b32 s5, exec_lo
	v_and_b32_e32 v21, 0x7fffffff, v2
	v_cmpx_ngt_f32_e64 0x48000000, |v2|
	s_xor_b32 s8, exec_lo, s5
	s_cbranch_execz .LBB72_48
; %bb.47:
	s_mov_b32 s4, 0x7fffff
	v_mov_b32_e32 v26, 0
	v_and_or_b32 v33, v21, s4, 0x800000
	v_lshrrev_b32_e32 v31, 23, v21
	v_mad_u64_u32 v[24:25], null, 0xfe5163ab, v33, 0
	v_add_nc_u32_e32 v32, 0xffffff88, v31
	v_cmp_lt_u32_e32 vcc_lo, 63, v32
	v_mad_u64_u32 v[27:28], null, 0x3c439041, v33, v[25:26]
	v_cndmask_b32_e64 v34, 0, 0xffffffc0, vcc_lo
	v_mov_b32_e32 v25, v28
	v_add_nc_u32_e32 v34, v34, v32
	v_mad_u64_u32 v[28:29], null, 0xdb629599, v33, v[25:26]
	v_cmp_lt_u32_e64 s4, 31, v34
	v_cndmask_b32_e64 v35, 0, 0xffffffe0, s4
	v_mov_b32_e32 v25, v29
	v_cndmask_b32_e32 v24, v28, v24, vcc_lo
	v_mad_u64_u32 v[29:30], null, 0xf534ddc0, v33, v[25:26]
	v_mov_b32_e32 v25, v30
	v_cndmask_b32_e32 v27, v29, v27, vcc_lo
	v_mad_u64_u32 v[30:31], null, 0xfc2757d1, v33, v[25:26]
	v_cndmask_b32_e64 v24, v27, v24, s4
	v_mov_b32_e32 v25, v31
	v_mad_u64_u32 v[31:32], null, 0x4e441529, v33, v[25:26]
	v_mov_b32_e32 v25, v32
	v_add_nc_u32_e32 v32, v35, v34
	v_cndmask_b32_e32 v34, v31, v29, vcc_lo
	v_mad_u64_u32 v[25:26], null, 0xa2f9836e, v33, v[25:26]
	v_cmp_lt_u32_e64 s5, 31, v32
	v_cndmask_b32_e64 v33, 0, 0xffffffe0, s5
	v_cndmask_b32_e32 v25, v25, v30, vcc_lo
	v_cndmask_b32_e32 v26, v26, v31, vcc_lo
	;; [unrolled: 1-line block ×3, first 2 shown]
	v_add_nc_u32_e32 v31, v33, v32
	v_cndmask_b32_e64 v29, v25, v34, s4
	v_cndmask_b32_e64 v25, v26, v25, s4
	;; [unrolled: 1-line block ×4, first 2 shown]
	v_sub_nc_u32_e32 v32, 32, v31
	v_cmp_eq_u32_e32 vcc_lo, 0, v31
	v_cndmask_b32_e64 v25, v25, v29, s5
	v_cndmask_b32_e64 v29, v29, v26, s5
	;; [unrolled: 1-line block ×4, first 2 shown]
	v_alignbit_b32 v33, v25, v29, v32
	v_alignbit_b32 v28, v29, v26, v32
	;; [unrolled: 1-line block ×3, first 2 shown]
	v_cndmask_b32_e32 v25, v33, v25, vcc_lo
	v_cndmask_b32_e32 v27, v28, v29, vcc_lo
	;; [unrolled: 1-line block ×3, first 2 shown]
	v_bfe_u32 v28, v25, 29, 1
	v_alignbit_b32 v29, v25, v27, 30
	v_alignbit_b32 v27, v27, v26, 30
	;; [unrolled: 1-line block ×3, first 2 shown]
	v_sub_nc_u32_e32 v30, 0, v28
	v_xor_b32_e32 v29, v29, v30
	v_xor_b32_e32 v26, v27, v30
	v_xor_b32_e32 v24, v24, v30
	v_lshrrev_b32_e32 v30, 29, v25
	v_lshrrev_b32_e32 v25, 30, v25
	v_ffbh_u32_e32 v31, v29
	v_add_nc_u32_e32 v25, v28, v25
	v_min_u32_e32 v31, 32, v31
	v_sub_nc_u32_e32 v27, 31, v31
	v_lshlrev_b32_e32 v32, 23, v31
	v_alignbit_b32 v29, v29, v26, v27
	v_alignbit_b32 v24, v26, v24, v27
	v_lshlrev_b32_e32 v26, 31, v30
	v_alignbit_b32 v27, v29, v24, 9
	v_or_b32_e32 v30, 0.5, v26
	v_lshrrev_b32_e32 v29, 9, v29
	v_or_b32_e32 v26, 0x33000000, v26
	v_ffbh_u32_e32 v33, v27
	v_sub_nc_u32_e32 v30, v30, v32
	v_min_u32_e32 v32, 32, v33
	v_or_b32_e32 v29, v29, v30
	v_not_b32_e32 v30, v32
	v_mul_f32_e32 v33, 0x3fc90fda, v29
	v_add_lshl_u32 v31, v32, v31, 23
	v_alignbit_b32 v24, v27, v24, v30
	v_fma_f32 v27, 0x3fc90fda, v29, -v33
	v_sub_nc_u32_e32 v26, v26, v31
	v_lshrrev_b32_e32 v24, 9, v24
	v_fmamk_f32 v27, v29, 0x33a22168, v27
	v_or_b32_e32 v24, v26, v24
	v_fmac_f32_e32 v27, 0x3fc90fda, v24
	v_add_f32_e32 v24, v33, v27
.LBB72_48:
	s_andn2_saveexec_b32 s4, s8
; %bb.49:
	v_mul_f32_e64 v24, 0x3f22f983, |v2|
	v_rndne_f32_e32 v25, v24
	v_fma_f32 v24, 0xbfc90fda, v25, |v2|
	v_fmamk_f32 v24, v25, 0xb3a22168, v24
	v_fmamk_f32 v24, v25, 0xa7c234c4, v24
	v_cvt_i32_f32_e32 v25, v25
; %bb.50:
	s_or_b32 exec_lo, exec_lo, s4
	v_mul_f32_e32 v26, v24, v24
	s_mov_b32 s4, 0xb94c1982
	s_mov_b32 s5, 0x37d75334
	v_and_b32_e32 v29, 1, v25
	v_lshlrev_b32_e32 v25, 30, v25
	v_fmaak_f32 v27, s4, v26, 0x3c0881c4
	v_fmaak_f32 v28, s5, v26, 0xbab64f3b
	v_xor_b32_e32 v21, v21, v2
	v_cmp_eq_u32_e32 vcc_lo, 0, v29
	v_and_b32_e32 v25, 0x80000000, v25
	v_fmaak_f32 v27, v26, v27, 0xbe2aaa9d
	v_fmaak_f32 v28, v26, v28, 0x3d2aabf7
	v_sub_f32_e32 v22, 1.0, v22
	v_mul_f32_e32 v27, v26, v27
	v_fmaak_f32 v28, v26, v28, 0xbf000004
	v_fmac_f32_e32 v24, v24, v27
	v_fma_f32 v26, v26, v28, 1.0
	v_cndmask_b32_e32 v24, v26, v24, vcc_lo
	v_cmp_class_f32_e64 vcc_lo, v2, 0x1f8
	v_xor3_b32 v21, v21, v25, v24
	v_cndmask_b32_e32 v2, 0x7fc00000, v21, vcc_lo
	v_mul_f32_e32 v2, v2, v2
	v_div_scale_f32 v21, null, v2, v2, 0xc11de9e7
	v_div_scale_f32 v26, vcc_lo, 0xc11de9e7, v2, 0xc11de9e7
	v_rcp_f32_e32 v24, v21
	v_fma_f32 v25, -v21, v24, 1.0
	v_fmac_f32_e32 v24, v25, v24
	v_mul_f32_e32 v25, v26, v24
	v_fma_f32 v27, -v21, v25, v26
	v_fmac_f32_e32 v25, v27, v24
	v_fma_f32 v21, -v21, v25, v26
	v_div_fmas_f32 v21, v21, v24, v25
	v_div_fixup_f32 v2, v21, v2, 0xc11de9e7
	v_add_f32_e32 v21, 0, v2
	v_mov_b32_e32 v2, -1.0
.LBB72_51:
	s_or_b32 exec_lo, exec_lo, s7
	v_add_f32_e32 v25, 1.0, v23
	v_mul_f32_e32 v24, v23, v23
	s_mov_b32 s17, 0xbcc30c31
	v_add_f32_e32 v26, 1.0, v25
	v_mul_f32_e32 v23, v25, v25
	v_div_scale_f32 v28, null, v24, v24, 1.0
	v_div_scale_f32 v31, vcc_lo, 1.0, v24, 1.0
	v_mul_f32_e32 v25, v26, v26
	v_div_scale_f32 v30, null, v23, v23, 1.0
	v_rcp_f32_e32 v32, v28
	v_add_f32_e32 v27, 1.0, v26
	v_div_scale_f32 v34, null, v25, v25, 1.0
	v_rcp_f32_e32 v33, v30
	v_div_scale_f32 v35, s4, 1.0, v23, 1.0
	v_rcp_f32_e32 v37, v34
	v_div_scale_f32 v36, s5, 1.0, v25, 1.0
	v_fma_f32 v39, -v28, v32, 1.0
	v_add_f32_e32 v29, 1.0, v27
	v_mul_f32_e32 v26, v27, v27
	v_fma_f32 v40, -v30, v33, 1.0
	v_fmac_f32_e32 v32, v39, v32
	v_mul_f32_e32 v27, v29, v29
	v_fma_f32 v39, -v34, v37, 1.0
	v_div_scale_f32 v41, null, v26, v26, 1.0
	v_fmac_f32_e32 v33, v40, v33
	v_mul_f32_e32 v43, v31, v32
	v_fmac_f32_e32 v37, v39, v37
	v_add_f32_e32 v40, 1.0, v29
	v_rcp_f32_e32 v42, v41
	v_mul_f32_e32 v44, v35, v33
	v_fma_f32 v45, -v28, v43, v31
	v_mul_f32_e32 v47, v36, v37
	v_add_f32_e32 v29, 1.0, v40
	v_div_scale_f32 v39, null, v27, v27, 1.0
	v_fma_f32 v46, -v30, v44, v35
	v_fmac_f32_e32 v43, v45, v32
	v_fma_f32 v45, -v34, v47, v36
	v_fma_f32 v48, -v41, v42, 1.0
	v_fmac_f32_e32 v44, v46, v33
	v_fma_f32 v31, -v28, v43, v31
	v_fmac_f32_e32 v47, v45, v37
	v_mul_f32_e32 v28, v40, v40
	v_add_f32_e32 v40, v29, v29
	v_fma_f32 v30, -v30, v44, v35
	v_rcp_f32_e32 v46, v39
	v_div_fmas_f32 v32, v31, v32, v43
	v_fma_f32 v34, -v34, v47, v36
	v_div_scale_f32 v35, null, v28, v28, 1.0
	v_mul_f32_e32 v43, v29, v29
	s_mov_b32 vcc_lo, s4
	v_div_scale_f32 v36, null, v40, v40, 1.0
	v_div_fmas_f32 v31, v30, v33, v44
	s_mov_b32 vcc_lo, s5
	v_fmac_f32_e32 v42, v48, v42
	v_div_fmas_f32 v30, v34, v37, v47
	v_rcp_f32_e32 v37, v35
	v_div_scale_f32 v47, null, v43, v43, 1.0
	v_rcp_f32_e32 v44, v36
	v_div_scale_f32 v33, vcc_lo, 1.0, v26, 1.0
	v_fma_f32 v34, -v39, v46, 1.0
	v_rcp_f32_e32 v49, v47
	v_div_fixup_f32 v24, v32, v24, 1.0
	v_mul_f32_e32 v45, v33, v42
	v_fma_f32 v48, -v35, v37, 1.0
	v_fmac_f32_e32 v46, v34, v46
	v_div_scale_f32 v34, s4, 1.0, v27, 1.0
	v_fma_f32 v51, -v36, v44, 1.0
	v_fma_f32 v50, -v41, v45, v33
	v_fmac_f32_e32 v37, v48, v37
	v_mul_f32_e32 v52, v34, v46
	v_div_scale_f32 v48, s5, 1.0, v28, 1.0
	v_fma_f32 v54, -v47, v49, 1.0
	v_fmac_f32_e32 v44, v51, v44
	v_div_scale_f32 v51, s7, 1.0, v40, 1.0
	v_fmac_f32_e32 v45, v50, v42
	v_fma_f32 v50, -v39, v52, v34
	v_mul_f32_e32 v55, v48, v37
	v_fmac_f32_e32 v49, v54, v49
	v_div_scale_f32 v54, s8, 1.0, v43, 1.0
	v_mul_f32_e32 v56, v51, v44
	v_fma_f32 v33, -v41, v45, v33
	v_fmac_f32_e32 v52, v50, v46
	v_fma_f32 v41, -v35, v55, v48
	v_mul_f32_e32 v57, v54, v49
	v_fma_f32 v50, -v36, v56, v51
	v_div_fmas_f32 v33, v33, v42, v45
	v_fma_f32 v34, -v39, v52, v34
	v_fmac_f32_e32 v55, v41, v37
	v_fma_f32 v39, -v47, v57, v54
	v_fmac_f32_e32 v56, v50, v44
	s_mov_b32 vcc_lo, s4
	v_add_f32_e32 v17, v17, v24
	v_fma_f32 v35, -v35, v55, v48
	v_fmac_f32_e32 v57, v39, v49
	v_div_fmas_f32 v34, v34, v46, v52
	v_fma_f32 v36, -v36, v56, v51
	s_mov_b32 vcc_lo, s5
	v_div_fixup_f32 v23, v31, v23, 1.0
	v_div_fmas_f32 v35, v35, v37, v55
	v_fma_f32 v37, -v47, v57, v54
	s_mov_b32 vcc_lo, s7
	v_div_fmas_f32 v36, v36, v44, v56
	s_mov_b32 vcc_lo, s8
	v_add_f32_e32 v17, v17, v23
	v_div_fmas_f32 v37, v37, v49, v57
	v_div_fixup_f32 v23, v30, v25, 1.0
	v_div_fixup_f32 v36, v36, v40, 1.0
	v_add_f32_e32 v40, 1.0, v38
	v_div_fixup_f32 v37, v37, v43, 1.0
	v_add_f32_e32 v17, v17, v23
	v_add_f32_e32 v36, 1.0, v36
	v_div_fixup_f32 v23, v33, v26, 1.0
	v_fmaak_f32 v39, s17, v37, 0x3d088889
	v_add_f32_e32 v17, v17, v23
	v_div_fixup_f32 v23, v34, v27, 1.0
	v_fma_f32 v39, -v37, v39, 0x3e2aaaab
	v_add_f32_e32 v17, v17, v23
	v_fmac_f32_e32 v36, v37, v39
	v_mul_f32_e32 v37, v38, v38
	v_mul_f32_e32 v38, v40, v40
	v_add_f32_e32 v40, 1.0, v40
	v_div_fixup_f32 v23, v35, v28, 1.0
	v_div_scale_f32 v41, null, v29, v29, v36
	v_div_scale_f32 v43, null, v37, v37, 1.0
	v_div_scale_f32 v46, null, v38, v38, 1.0
	v_rcp_f32_e32 v42, v41
	v_rcp_f32_e32 v44, v43
	v_div_scale_f32 v45, vcc_lo, v36, v29, v36
	v_rcp_f32_e32 v48, v46
	v_div_scale_f32 v49, s4, 1.0, v37, 1.0
	v_add_f32_e32 v54, 1.0, v40
	v_add_f32_e32 v17, v17, v23
	v_fma_f32 v39, -v41, v42, 1.0
	v_fma_f32 v55, -v46, v48, 1.0
	v_fmac_f32_e32 v42, v39, v42
	v_fma_f32 v39, -v43, v44, 1.0
	v_fmac_f32_e32 v48, v55, v48
	v_mul_f32_e32 v47, v45, v42
	v_fmac_f32_e32 v44, v39, v44
	v_mul_f32_e32 v39, v40, v40
	v_div_scale_f32 v55, s5, 1.0, v38, 1.0
	v_fma_f32 v50, -v41, v47, v45
	v_mul_f32_e32 v51, v49, v44
	v_div_scale_f32 v52, null, v39, v39, 1.0
	v_mul_f32_e32 v40, v54, v54
	v_fmac_f32_e32 v47, v50, v42
	v_fma_f32 v50, -v43, v51, v49
	v_rcp_f32_e32 v56, v52
	v_div_scale_f32 v57, null, v40, v40, 1.0
	v_fma_f32 v41, -v41, v47, v45
	v_fmac_f32_e32 v51, v50, v44
	v_mul_f32_e32 v45, v55, v48
	v_rcp_f32_e32 v58, v57
	v_div_fmas_f32 v42, v41, v42, v47
	v_fma_f32 v50, -v52, v56, 1.0
	v_fma_f32 v41, -v43, v51, v49
	v_fma_f32 v47, -v46, v45, v55
	s_mov_b32 vcc_lo, s4
	v_div_scale_f32 v49, s7, 1.0, v39, 1.0
	v_fmac_f32_e32 v56, v50, v56
	v_add_f32_e32 v50, 1.0, v54
	v_div_fmas_f32 v43, v41, v44, v51
	v_fmac_f32_e32 v45, v47, v48
	v_fma_f32 v54, -v57, v58, 1.0
	v_mul_f32_e32 v47, v49, v56
	v_add_f32_e32 v44, 1.0, v50
	v_mul_f32_e32 v41, v50, v50
	v_fma_f32 v50, -v46, v45, v55
	s_mov_b32 vcc_lo, s5
	v_fma_f32 v55, -v52, v47, v49
	v_add_f32_e32 v46, 1.0, v44
	v_div_scale_f32 v51, null, v41, v41, 1.0
	v_mul_f32_e32 v44, v44, v44
	v_fmac_f32_e32 v58, v54, v58
	v_add_f32_e32 v61, v46, v46
	v_div_scale_f32 v54, s4, 1.0, v40, 1.0
	v_rcp_f32_e32 v59, v51
	v_fmac_f32_e32 v47, v55, v56
	v_div_scale_f32 v55, null, v61, v61, 1.0
	v_mul_f32_e32 v63, v46, v46
	v_div_fmas_f32 v45, v50, v48, v45
	v_div_scale_f32 v48, null, v44, v44, 1.0
	v_mul_f32_e32 v60, v54, v58
	v_rcp_f32_e32 v65, v55
	v_fma_f32 v49, -v52, v47, v49
	v_div_scale_f32 v52, null, v63, v63, 1.0
	v_rcp_f32_e32 v62, v48
	v_fma_f32 v50, -v57, v60, v54
	v_fma_f32 v64, -v51, v59, 1.0
	v_rcp_f32_e32 v67, v52
	v_div_scale_f32 v69, s9, 1.0, v61, 1.0
	v_fmac_f32_e32 v60, v50, v58
	v_fmac_f32_e32 v59, v64, v59
	v_div_scale_f32 v64, s5, 1.0, v41, 1.0
	v_fma_f32 v50, -v55, v65, 1.0
	v_fma_f32 v66, -v48, v62, 1.0
	s_mov_b32 vcc_lo, s7
	v_mul_f32_e32 v68, v64, v59
	v_div_fmas_f32 v47, v49, v56, v47
	v_fmac_f32_e32 v65, v50, v65
	v_fma_f32 v50, -v52, v67, 1.0
	v_fmac_f32_e32 v62, v66, v62
	v_div_scale_f32 v66, s8, 1.0, v44, 1.0
	v_fma_f32 v49, -v51, v68, v64
	v_fmac_f32_e32 v67, v50, v67
	v_div_scale_f32 v71, s7, 1.0, v63, 1.0
	v_mul_f32_e32 v56, v66, v62
	v_mul_f32_e32 v70, v69, v65
	v_fma_f32 v50, -v57, v60, v54
	v_fmac_f32_e32 v68, v49, v59
	v_mul_f32_e32 v72, v71, v67
	v_fma_f32 v54, -v48, v56, v66
	v_fma_f32 v57, -v55, v70, v69
	s_mov_b32 vcc_lo, s4
	v_div_fixup_f32 v25, v42, v29, v36
	v_div_fmas_f32 v49, v50, v58, v60
	v_fma_f32 v50, -v51, v68, v64
	v_fma_f32 v51, -v52, v72, v71
	v_fmac_f32_e32 v56, v54, v62
	v_fmac_f32_e32 v70, v57, v65
	s_mov_b32 vcc_lo, s5
	v_div_fixup_f32 v29, v43, v37, 1.0
	v_fmac_f32_e32 v72, v51, v67
	v_fma_f32 v48, -v48, v56, v66
	v_fma_f32 v51, -v55, v70, v69
	v_div_fmas_f32 v50, v50, v59, v68
	s_mov_b32 vcc_lo, s8
	v_fma_f32 v52, -v52, v72, v71
	v_div_fmas_f32 v48, v48, v62, v56
	s_mov_b32 vcc_lo, s9
	v_add_f32_e32 v18, v18, v29
	v_div_fmas_f32 v51, v51, v65, v70
	s_mov_b32 vcc_lo, s7
	v_div_fixup_f32 v27, v45, v38, 1.0
	v_div_fmas_f32 v52, v52, v67, v72
	v_div_fixup_f32 v23, v49, v40, 1.0
	v_div_fixup_f32 v51, v51, v61, 1.0
	v_add_f32_e32 v17, v17, v25
	v_add_f32_e32 v18, v18, v27
	v_div_fixup_f32 v52, v52, v63, 1.0
	v_div_fixup_f32 v27, v47, v39, 1.0
	v_add_f32_e32 v51, 1.0, v51
	v_mul_f32_e32 v15, v15, v17
	v_fmaak_f32 v54, s17, v52, 0x3d088889
	v_add_f32_e32 v18, v18, v27
	v_fma_f32 v54, -v52, v54, 0x3e2aaaab
	v_add_f32_e32 v18, v18, v23
	v_div_fixup_f32 v23, v50, v41, 1.0
	v_fmac_f32_e32 v51, v52, v54
	v_mul_f32_e32 v52, v53, v53
	v_add_f32_e32 v54, 1.0, v53
	v_add_f32_e32 v17, v18, v23
	v_div_fixup_f32 v23, v48, v44, 1.0
	v_div_scale_f32 v55, null, v46, v46, v51
	v_div_scale_f32 v57, null, v52, v52, 1.0
	v_mul_f32_e32 v53, v54, v54
	v_rcp_f32_e32 v56, v55
	v_div_scale_f32 v61, vcc_lo, v51, v46, v51
	v_rcp_f32_e32 v59, v57
	v_div_scale_f32 v60, null, v53, v53, 1.0
	v_div_scale_f32 v65, s4, 1.0, v52, 1.0
	v_rcp_f32_e32 v63, v60
	v_fma_f32 v58, -v55, v56, 1.0
	v_fma_f32 v62, -v57, v59, 1.0
	v_fmac_f32_e32 v56, v58, v56
	v_add_f32_e32 v58, 1.0, v54
	v_fmac_f32_e32 v59, v62, v59
	v_fma_f32 v66, -v60, v63, 1.0
	v_mul_f32_e32 v64, v61, v56
	v_mul_f32_e32 v54, v58, v58
	;; [unrolled: 1-line block ×3, first 2 shown]
	v_fmac_f32_e32 v63, v66, v63
	v_fma_f32 v67, -v55, v64, v61
	v_div_scale_f32 v62, null, v54, v54, 1.0
	v_div_scale_f32 v66, s5, 1.0, v53, 1.0
	v_fmac_f32_e32 v64, v67, v56
	v_rcp_f32_e32 v68, v62
	v_fma_f32 v67, -v57, v69, v65
	v_mul_f32_e32 v70, v66, v63
	v_fma_f32 v55, -v55, v64, v61
	v_fmac_f32_e32 v69, v67, v59
	v_fma_f32 v61, -v60, v70, v66
	v_add_f32_e32 v67, 1.0, v58
	v_div_fmas_f32 v58, v55, v56, v64
	v_fma_f32 v71, -v62, v68, 1.0
	v_fma_f32 v56, -v57, v69, v65
	v_fmac_f32_e32 v70, v61, v63
	s_mov_b32 vcc_lo, s4
	v_mul_f32_e32 v55, v67, v67
	v_fmac_f32_e32 v68, v71, v68
	v_div_scale_f32 v71, s7, 1.0, v54, 1.0
	v_div_fmas_f32 v57, v56, v59, v69
	v_fma_f32 v56, -v60, v70, v66
	v_add_f32_e32 v60, 1.0, v67
	v_mul_f32_e32 v64, v71, v68
	s_mov_b32 vcc_lo, s5
	v_div_scale_f32 v65, null, v55, v55, 1.0
	v_div_fmas_f32 v59, v56, v63, v70
	v_fma_f32 v61, -v62, v64, v71
	v_mul_f32_e32 v56, v60, v60
	v_add_f32_e32 v60, 1.0, v60
	v_rcp_f32_e32 v69, v65
	s_mov_b32 vcc_lo, s7
	v_fmac_f32_e32 v64, v61, v68
	v_div_scale_f32 v66, null, v56, v56, 1.0
	v_div_fixup_f32 v28, v57, v52, 1.0
	v_div_fixup_f32 v27, v59, v53, 1.0
	v_fma_f32 v61, -v62, v64, v71
	v_add_f32_e32 v62, 1.0, v60
	v_mul_f32_e32 v60, v60, v60
	v_fma_f32 v63, -v65, v69, 1.0
	v_add_f32_e32 v20, v20, v28
	v_div_fmas_f32 v61, v61, v68, v64
	v_add_f32_e32 v67, v62, v62
	v_rcp_f32_e32 v64, v66
	v_div_scale_f32 v68, null, v60, v60, 1.0
	v_mul_f32_e32 v72, v62, v62
	v_div_scale_f32 v70, null, v67, v67, 1.0
	v_rcp_f32_e32 v71, v68
	v_fmac_f32_e32 v69, v63, v69
	v_div_scale_f32 v76, null, v72, v72, 1.0
	v_rcp_f32_e32 v74, v70
	v_div_scale_f32 v63, vcc_lo, 1.0, v55, 1.0
	v_fma_f32 v73, -v66, v64, 1.0
	v_rcp_f32_e32 v78, v76
	v_add_f32_e32 v20, v20, v27
	v_mul_f32_e32 v75, v63, v69
	v_fma_f32 v77, -v68, v71, 1.0
	v_fmac_f32_e32 v64, v73, v64
	v_div_scale_f32 v73, s4, 1.0, v56, 1.0
	v_fma_f32 v80, -v70, v74, 1.0
	v_fma_f32 v79, -v65, v75, v63
	v_fmac_f32_e32 v71, v77, v71
	v_mul_f32_e32 v81, v73, v64
	v_div_scale_f32 v77, s5, 1.0, v60, 1.0
	v_fma_f32 v82, -v76, v78, 1.0
	v_fmac_f32_e32 v74, v80, v74
	v_div_scale_f32 v80, s7, 1.0, v67, 1.0
	v_fmac_f32_e32 v75, v79, v69
	v_fma_f32 v79, -v66, v81, v73
	v_mul_f32_e32 v83, v77, v71
	v_fmac_f32_e32 v78, v82, v78
	v_div_scale_f32 v82, s8, 1.0, v72, 1.0
	v_mul_f32_e32 v84, v80, v74
	v_fma_f32 v63, -v65, v75, v63
	v_fmac_f32_e32 v81, v79, v64
	v_fma_f32 v65, -v68, v83, v77
	v_mul_f32_e32 v85, v82, v78
	v_fma_f32 v79, -v70, v84, v80
	v_div_fmas_f32 v63, v63, v69, v75
	v_fma_f32 v66, -v66, v81, v73
	v_fmac_f32_e32 v83, v65, v71
	v_fma_f32 v65, -v76, v85, v82
	v_fmac_f32_e32 v84, v79, v74
	s_mov_b32 vcc_lo, s4
	v_div_fixup_f32 v25, v61, v54, 1.0
	v_div_fmas_f32 v64, v66, v64, v81
	v_fma_f32 v66, -v68, v83, v77
	v_fmac_f32_e32 v85, v65, v78
	v_fma_f32 v68, -v70, v84, v80
	s_mov_b32 vcc_lo, s5
	v_add_f32_e32 v18, v20, v25
	v_div_fmas_f32 v65, v66, v71, v83
	v_fma_f32 v66, -v76, v85, v82
	s_mov_b32 vcc_lo, s7
	v_div_fixup_f32 v26, v58, v46, v51
	v_div_fmas_f32 v68, v68, v74, v84
	s_mov_b32 vcc_lo, s8
	v_div_fixup_f32 v20, v63, v55, 1.0
	v_div_fmas_f32 v66, v66, v78, v85
	v_div_fixup_f32 v67, v68, v67, 1.0
	v_add_f32_e32 v18, v18, v20
	v_div_fixup_f32 v66, v66, v72, 1.0
	v_div_fixup_f32 v20, v64, v56, 1.0
	v_add_f32_e32 v67, 1.0, v67
	v_fmaak_f32 v68, s17, v66, 0x3d088889
	v_add_f32_e32 v18, v18, v20
	v_div_fixup_f32 v20, v65, v60, 1.0
	v_fma_f32 v68, -v66, v68, 0x3e2aaaab
	v_add_f32_e32 v18, v18, v20
	v_fmac_f32_e32 v67, v66, v68
	v_mul_f32_e32 v66, v12, v12
	v_add_f32_e32 v68, 1.0, v12
	v_div_scale_f32 v69, null, v62, v62, v67
	v_div_scale_f32 v71, null, v66, v66, 1.0
	v_mul_f32_e32 v12, v68, v68
	v_rcp_f32_e32 v70, v69
	v_add_f32_e32 v74, 1.0, v68
	v_rcp_f32_e32 v73, v71
	v_div_scale_f32 v75, vcc_lo, v67, v62, v67
	v_div_scale_f32 v79, s4, 1.0, v66, 1.0
	v_mul_f32_e32 v68, v74, v74
	v_fma_f32 v72, -v69, v70, 1.0
	v_fma_f32 v76, -v71, v73, 1.0
	v_fmac_f32_e32 v70, v72, v70
	v_div_scale_f32 v72, null, v12, v12, 1.0
	v_fmac_f32_e32 v73, v76, v73
	v_div_scale_f32 v76, null, v68, v68, 1.0
	v_rcp_f32_e32 v77, v72
	v_mul_f32_e32 v78, v75, v70
	v_mul_f32_e32 v83, v79, v73
	v_rcp_f32_e32 v82, v76
	v_fma_f32 v81, -v69, v78, v75
	v_fma_f32 v80, -v72, v77, 1.0
	v_fmac_f32_e32 v78, v81, v70
	v_fma_f32 v81, -v71, v83, v79
	v_fma_f32 v85, -v76, v82, 1.0
	v_fmac_f32_e32 v77, v80, v77
	v_div_scale_f32 v80, s5, 1.0, v12, 1.0
	v_fma_f32 v69, -v69, v78, v75
	v_fmac_f32_e32 v83, v81, v73
	v_add_f32_e32 v81, 1.0, v74
	v_mul_f32_e32 v84, v80, v77
	v_fmac_f32_e32 v82, v85, v82
	v_div_scale_f32 v85, s7, 1.0, v68, 1.0
	v_div_fmas_f32 v74, v69, v70, v78
	v_fma_f32 v75, -v72, v84, v80
	v_mul_f32_e32 v69, v81, v81
	v_fma_f32 v70, -v71, v83, v79
	v_mul_f32_e32 v78, v85, v82
	s_mov_b32 vcc_lo, s4
	v_fmac_f32_e32 v84, v75, v77
	v_div_scale_f32 v79, null, v69, v69, 1.0
	v_div_fmas_f32 v71, v70, v73, v83
	v_add_f32_e32 v73, 1.0, v81
	v_fma_f32 v70, -v72, v84, v80
	v_fma_f32 v75, -v76, v78, v85
	v_rcp_f32_e32 v83, v79
	s_mov_b32 vcc_lo, s5
	v_div_fixup_f32 v27, v71, v66, 1.0
	v_div_fmas_f32 v72, v70, v77, v84
	v_mul_f32_e32 v70, v73, v73
	v_add_f32_e32 v73, 1.0, v73
	v_fmac_f32_e32 v78, v75, v82
	s_mov_b32 vcc_lo, s7
	v_add_f32_e32 v7, v7, v27
	v_div_scale_f32 v80, null, v70, v70, 1.0
	v_add_f32_e32 v77, 1.0, v73
	v_fma_f32 v75, -v76, v78, v85
	v_fma_f32 v76, -v79, v83, 1.0
	v_mul_f32_e32 v73, v73, v73
	v_div_fixup_f32 v12, v72, v12, 1.0
	v_add_f32_e32 v81, v77, v77
	v_mul_f32_e32 v86, v77, v77
	v_fmac_f32_e32 v83, v76, v83
	v_div_scale_f32 v76, null, v73, v73, 1.0
	v_div_fmas_f32 v75, v75, v82, v78
	v_rcp_f32_e32 v78, v80
	v_div_scale_f32 v82, null, v81, v81, 1.0
	v_div_scale_f32 v90, null, v86, v86, 1.0
	v_rcp_f32_e32 v85, v76
	v_rcp_f32_e32 v88, v82
	v_div_scale_f32 v84, vcc_lo, 1.0, v69, 1.0
	v_rcp_f32_e32 v92, v90
	v_fma_f32 v87, -v80, v78, 1.0
	v_add_f32_e32 v7, v7, v12
	v_mul_f32_e32 v89, v84, v83
	v_div_fixup_f32 v12, v75, v68, 1.0
	v_div_fixup_f32 v30, v74, v62, v67
	v_fma_f32 v91, -v76, v85, 1.0
	v_fmac_f32_e32 v78, v87, v78
	v_div_scale_f32 v87, s4, 1.0, v70, 1.0
	v_fma_f32 v94, -v82, v88, 1.0
	v_fma_f32 v93, -v79, v89, v84
	v_fma_f32 v96, -v90, v92, 1.0
	v_fmac_f32_e32 v85, v91, v85
	v_div_scale_f32 v91, s5, 1.0, v73, 1.0
	v_mul_f32_e32 v95, v87, v78
	v_fmac_f32_e32 v88, v94, v88
	v_div_scale_f32 v94, s7, 1.0, v81, 1.0
	v_fmac_f32_e32 v89, v93, v83
	v_fmac_f32_e32 v92, v96, v92
	v_div_scale_f32 v96, s8, 1.0, v86, 1.0
	v_mul_f32_e32 v97, v91, v85
	v_fma_f32 v93, -v80, v95, v87
	v_mul_f32_e32 v98, v94, v88
	v_fma_f32 v79, -v79, v89, v84
	;; [unrolled: 2-line block ×3, first 2 shown]
	v_fmac_f32_e32 v95, v93, v78
	v_fma_f32 v93, -v82, v98, v94
	v_div_fmas_f32 v79, v79, v83, v89
	v_fma_f32 v83, -v90, v99, v96
	v_fmac_f32_e32 v97, v84, v85
	v_fma_f32 v80, -v80, v95, v87
	v_fmac_f32_e32 v98, v93, v88
	s_mov_b32 vcc_lo, s4
	v_fmac_f32_e32 v99, v83, v92
	v_fma_f32 v76, -v76, v97, v91
	v_div_fmas_f32 v78, v80, v78, v95
	v_fma_f32 v80, -v82, v98, v94
	s_mov_b32 vcc_lo, s5
	v_fma_f32 v82, -v90, v99, v96
	v_div_fmas_f32 v76, v76, v85, v97
	s_mov_b32 vcc_lo, s7
	v_add_f32_e32 v7, v7, v12
	v_div_fmas_f32 v80, v80, v88, v98
	s_mov_b32 vcc_lo, s8
	v_div_fixup_f32 v12, v79, v69, 1.0
	v_div_fmas_f32 v82, v82, v92, v99
	v_add_f32_e32 v18, v18, v30
	v_div_fixup_f32 v80, v80, v81, 1.0
	v_add_f32_e32 v7, v7, v12
	v_div_fixup_f32 v82, v82, v86, 1.0
	v_div_fixup_f32 v12, v78, v70, 1.0
	v_add_f32_e32 v81, 1.0, v80
	v_mul_f32_e32 v18, v19, v18
	v_fmaak_f32 v83, s17, v82, 0x3d088889
	v_add_f32_e32 v7, v7, v12
	v_fma_f32 v80, -v82, v83, 0x3e2aaaab
	v_fmac_f32_e32 v81, v82, v80
	v_mul_f32_e32 v80, v13, v13
	v_add_f32_e32 v82, 1.0, v13
	v_div_scale_f32 v83, null, v77, v77, v81
	v_div_scale_f32 v85, null, v80, v80, 1.0
	v_mul_f32_e32 v13, v82, v82
	v_rcp_f32_e32 v84, v83
	v_add_f32_e32 v88, 1.0, v82
	v_rcp_f32_e32 v87, v85
	v_div_scale_f32 v89, vcc_lo, v81, v77, v81
	v_div_scale_f32 v93, s4, 1.0, v80, 1.0
	v_mul_f32_e32 v82, v88, v88
	v_add_f32_e32 v88, 1.0, v88
	v_fma_f32 v86, -v83, v84, 1.0
	v_fma_f32 v90, -v85, v87, 1.0
	v_fmac_f32_e32 v84, v86, v84
	v_div_scale_f32 v86, null, v13, v13, 1.0
	v_fmac_f32_e32 v87, v90, v87
	v_div_scale_f32 v90, null, v82, v82, 1.0
	v_rcp_f32_e32 v91, v86
	v_mul_f32_e32 v92, v89, v84
	v_mul_f32_e32 v97, v93, v87
	v_rcp_f32_e32 v96, v90
	v_fma_f32 v95, -v83, v92, v89
	v_fma_f32 v94, -v86, v91, 1.0
	v_fmac_f32_e32 v92, v95, v84
	v_fma_f32 v95, -v85, v97, v93
	v_fma_f32 v99, -v90, v96, 1.0
	v_fmac_f32_e32 v91, v94, v91
	v_div_scale_f32 v94, s5, 1.0, v13, 1.0
	v_fma_f32 v83, -v83, v92, v89
	v_fmac_f32_e32 v97, v95, v87
	v_fmac_f32_e32 v96, v99, v96
	v_mul_f32_e32 v98, v94, v91
	v_div_scale_f32 v99, s7, 1.0, v82, 1.0
	v_div_fmas_f32 v89, v83, v84, v92
	v_mul_f32_e32 v83, v88, v88
	v_fma_f32 v95, -v86, v98, v94
	v_mul_f32_e32 v92, v99, v96
	v_fma_f32 v84, -v85, v97, v93
	s_mov_b32 vcc_lo, s4
	v_div_scale_f32 v93, null, v83, v83, 1.0
	v_fmac_f32_e32 v98, v95, v91
	v_fma_f32 v85, -v90, v92, v99
	v_div_fmas_f32 v87, v84, v87, v97
	v_rcp_f32_e32 v95, v93
	s_mov_b32 vcc_lo, s5
	v_fma_f32 v84, -v86, v98, v94
	v_add_f32_e32 v86, 1.0, v88
	v_fmac_f32_e32 v92, v85, v96
	v_div_fixup_f32 v25, v87, v80, 1.0
	v_div_fixup_f32 v31, v89, v77, v81
	v_div_fmas_f32 v88, v84, v91, v98
	v_mul_f32_e32 v84, v86, v86
	v_add_f32_e32 v86, 1.0, v86
	v_fma_f32 v90, -v90, v92, v99
	v_fma_f32 v91, -v93, v95, 1.0
	s_mov_b32 vcc_lo, s7
	v_div_scale_f32 v97, null, v84, v84, 1.0
	v_add_f32_e32 v85, 1.0, v86
	v_mul_f32_e32 v86, v86, v86
	v_div_fmas_f32 v90, v90, v96, v92
	v_rcp_f32_e32 v92, v97
	v_fmac_f32_e32 v95, v91, v95
	v_add_f32_e32 v96, v85, v85
	v_div_scale_f32 v91, null, v86, v86, 1.0
	v_mul_f32_e32 v100, v85, v85
	v_div_scale_f32 v94, vcc_lo, 1.0, v83, 1.0
	v_div_scale_f32 v98, null, v96, v96, 1.0
	v_rcp_f32_e32 v99, v91
	v_div_scale_f32 v104, null, v100, v100, 1.0
	v_rcp_f32_e32 v102, v98
	v_fma_f32 v101, -v97, v92, 1.0
	v_mul_f32_e32 v103, v94, v95
	v_rcp_f32_e32 v106, v104
	v_add_f32_e32 v8, v8, v25
	v_div_fixup_f32 v13, v88, v13, 1.0
	v_fmac_f32_e32 v92, v101, v92
	v_div_scale_f32 v101, s4, 1.0, v84, 1.0
	v_fma_f32 v105, -v91, v99, 1.0
	v_fma_f32 v108, -v98, v102, 1.0
	v_fma_f32 v107, -v93, v103, v94
	v_mul_f32_e32 v109, v101, v92
	v_fma_f32 v110, -v104, v106, 1.0
	v_fmac_f32_e32 v99, v105, v99
	v_div_scale_f32 v105, s5, 1.0, v86, 1.0
	v_fmac_f32_e32 v102, v108, v102
	v_div_scale_f32 v108, s7, 1.0, v96, 1.0
	v_fmac_f32_e32 v103, v107, v95
	v_fma_f32 v107, -v97, v109, v101
	v_mul_f32_e32 v111, v105, v99
	v_fmac_f32_e32 v106, v110, v106
	v_div_scale_f32 v110, s8, 1.0, v100, 1.0
	v_mul_f32_e32 v112, v108, v102
	v_fma_f32 v93, -v93, v103, v94
	v_fmac_f32_e32 v109, v107, v92
	v_fma_f32 v107, -v91, v111, v105
	v_mul_f32_e32 v114, v110, v106
	v_fma_f32 v113, -v98, v112, v108
	v_div_fmas_f32 v94, v93, v95, v103
	v_fma_f32 v93, -v97, v109, v101
	v_fmac_f32_e32 v111, v107, v99
	v_fma_f32 v95, -v104, v114, v110
	v_fmac_f32_e32 v112, v113, v102
	s_mov_b32 vcc_lo, s4
	v_add_f32_e32 v8, v8, v13
	v_fma_f32 v91, -v91, v111, v105
	v_fmac_f32_e32 v114, v95, v106
	v_div_fmas_f32 v93, v93, v92, v109
	v_fma_f32 v95, -v98, v112, v108
	s_mov_b32 vcc_lo, s5
	v_add_f32_e32 v13, v17, v23
	v_div_fmas_f32 v92, v91, v99, v111
	v_fma_f32 v91, -v104, v114, v110
	s_mov_b32 vcc_lo, s7
	v_div_fixup_f32 v17, v90, v82, 1.0
	v_div_fmas_f32 v95, v95, v102, v112
	s_mov_b32 vcc_lo, s8
	v_add_f32_e32 v13, v13, v26
	v_div_fmas_f32 v91, v91, v106, v114
	v_add_f32_e32 v8, v8, v17
	v_bfe_u32 v17, v15, 16, 1
	v_div_fixup_f32 v20, v94, v83, 1.0
	v_mul_f32_e32 v1, v1, v13
	v_div_fixup_f32 v97, v91, v100, 1.0
	v_div_fixup_f32 v91, v95, v96, 1.0
	v_add3_u32 v12, v15, v17, 0x7fff
	v_div_fixup_f32 v13, v76, v73, 1.0
	v_bfe_u32 v17, v1, 16, 1
	v_fmaak_f32 v95, s17, v97, 0x3d088889
	v_add_f32_e32 v91, 1.0, v91
	v_add_f32_e32 v8, v8, v20
	v_div_fixup_f32 v20, v93, v84, 1.0
	v_lshrrev_b32_e32 v12, 16, v12
	v_fma_f32 v95, -v97, v95, 0x3e2aaaab
	v_add_f32_e32 v7, v7, v13
	v_add3_u32 v13, v1, v17, 0x7fff
	v_add_f32_e32 v8, v8, v20
	v_div_fixup_f32 v19, v92, v86, 1.0
	v_fmac_f32_e32 v91, v97, v95
	v_mul_f32_e32 v95, v16, v16
	v_and_b32_e32 v13, 0xffff0000, v13
	v_add_f32_e32 v7, v7, v31
	v_add_f32_e32 v8, v8, v19
	v_div_scale_f32 v97, null, v85, v85, v91
	v_div_scale_f32 v100, null, v95, v95, 1.0
	v_div_scale_f32 v99, vcc_lo, v91, v85, v91
	v_rcp_f32_e32 v98, v97
	v_rcp_f32_e32 v101, v100
	v_mul_f32_e32 v6, v6, v7
	v_bfe_u32 v17, v18, 16, 1
	v_add3_u32 v17, v18, v17, 0x7fff
	v_fma_f32 v96, -v97, v98, 1.0
	v_fma_f32 v105, -v100, v101, 1.0
	v_lshrrev_b32_e32 v17, 16, v17
	v_fmac_f32_e32 v98, v96, v98
	v_add_f32_e32 v96, 1.0, v16
	v_fmac_f32_e32 v101, v105, v101
	v_mul_f32_e32 v102, v99, v98
	v_mul_f32_e32 v16, v96, v96
	v_add_f32_e32 v106, 1.0, v96
	v_fma_f32 v104, -v97, v102, v99
	v_div_scale_f32 v103, null, v16, v16, 1.0
	v_mul_f32_e32 v96, v106, v106
	v_fmac_f32_e32 v102, v104, v98
	v_rcp_f32_e32 v107, v103
	v_div_scale_f32 v104, s4, 1.0, v95, 1.0
	v_div_scale_f32 v105, null, v96, v96, 1.0
	v_fma_f32 v97, -v97, v102, v99
	v_mul_f32_e32 v109, v104, v101
	v_add_f32_e32 v99, 1.0, v106
	v_rcp_f32_e32 v110, v105
	v_div_scale_f32 v106, s5, 1.0, v16, 1.0
	v_fma_f32 v108, -v103, v107, 1.0
	v_div_fmas_f32 v98, v97, v98, v102
	v_fma_f32 v102, -v100, v109, v104
	v_mul_f32_e32 v97, v99, v99
	v_add_f32_e32 v113, 1.0, v99
	v_fmac_f32_e32 v107, v108, v107
	s_mov_b32 vcc_lo, s4
	v_fma_f32 v108, -v105, v110, 1.0
	v_fmac_f32_e32 v109, v102, v101
	v_div_scale_f32 v112, null, v97, v97, 1.0
	v_mul_f32_e32 v111, v106, v107
	v_fmac_f32_e32 v110, v108, v110
	v_div_scale_f32 v108, s7, 1.0, v96, 1.0
	v_mul_f32_e32 v99, v113, v113
	v_fma_f32 v102, -v103, v111, v106
	v_fma_f32 v100, -v100, v109, v104
	v_add_f32_e32 v113, 1.0, v113
	v_rcp_f32_e32 v114, v112
	v_mul_f32_e32 v115, v108, v110
	v_div_scale_f32 v116, null, v99, v99, 1.0
	v_fmac_f32_e32 v111, v102, v107
	v_div_fmas_f32 v102, v100, v101, v109
	v_add_f32_e32 v101, 1.0, v113
	v_fma_f32 v104, -v105, v115, v108
	v_rcp_f32_e32 v118, v116
	v_mul_f32_e32 v100, v113, v113
	v_fma_f32 v103, -v103, v111, v106
	v_add_f32_e32 v113, v101, v101
	v_fma_f32 v117, -v112, v114, 1.0
	v_fmac_f32_e32 v115, v104, v110
	v_div_scale_f32 v109, null, v100, v100, 1.0
	v_mul_f32_e32 v119, v101, v101
	s_mov_b32 vcc_lo, s5
	v_fmac_f32_e32 v114, v117, v114
	v_div_fmas_f32 v103, v103, v107, v111
	v_div_scale_f32 v111, null, v113, v113, 1.0
	v_fma_f32 v104, -v116, v118, 1.0
	v_fma_f32 v105, -v105, v115, v108
	v_rcp_f32_e32 v117, v109
	v_div_scale_f32 v122, null, v119, v119, 1.0
	v_rcp_f32_e32 v120, v111
	s_mov_b32 vcc_lo, s7
	v_div_scale_f32 v106, s4, 1.0, v97, 1.0
	v_fmac_f32_e32 v118, v104, v118
	v_div_fmas_f32 v104, v105, v110, v115
	v_rcp_f32_e32 v110, v122
	v_mul_f32_e32 v107, v106, v114
	v_fma_f32 v105, -v109, v117, 1.0
	v_div_scale_f32 v121, s5, 1.0, v99, 1.0
	v_fma_f32 v115, -v111, v120, 1.0
	v_fma_f32 v108, -v112, v107, v106
	v_fmac_f32_e32 v117, v105, v117
	v_div_scale_f32 v105, s7, 1.0, v100, 1.0
	v_fma_f32 v124, -v122, v110, 1.0
	v_mul_f32_e32 v123, v121, v118
	v_fmac_f32_e32 v120, v115, v120
	v_div_scale_f32 v115, s8, 1.0, v113, 1.0
	v_fmac_f32_e32 v107, v108, v114
	v_mul_f32_e32 v125, v105, v117
	v_fmac_f32_e32 v110, v124, v110
	v_div_scale_f32 v124, s9, 1.0, v119, 1.0
	v_fma_f32 v108, -v116, v123, v121
	v_mul_f32_e32 v126, v115, v120
	v_fma_f32 v106, -v112, v107, v106
	v_fma_f32 v112, -v109, v125, v105
	v_mul_f32_e32 v128, v124, v110
	v_fmac_f32_e32 v123, v108, v118
	v_fma_f32 v127, -v111, v126, v115
	s_mov_b32 vcc_lo, s4
	v_fmac_f32_e32 v125, v112, v117
	v_fma_f32 v112, -v122, v128, v124
	v_div_fmas_f32 v108, v106, v114, v107
	v_fma_f32 v106, -v116, v123, v121
	v_fmac_f32_e32 v126, v127, v120
	v_fma_f32 v105, -v109, v125, v105
	v_fmac_f32_e32 v128, v112, v110
	s_mov_b32 vcc_lo, s5
	v_add_f32_e32 v112, 1.0, v14
	v_div_fmas_f32 v107, v106, v118, v123
	v_fma_f32 v109, -v111, v126, v115
	s_mov_b32 vcc_lo, s7
	v_div_fixup_f32 v20, v102, v95, 1.0
	v_div_fmas_f32 v106, v105, v117, v125
	v_fma_f32 v105, -v122, v128, v124
	s_mov_b32 vcc_lo, s8
	v_div_fmas_f32 v109, v109, v120, v126
	s_mov_b32 vcc_lo, s9
	v_add_f32_e32 v10, v10, v20
	v_div_fmas_f32 v105, v105, v110, v128
	v_div_fixup_f32 v110, v105, v119, 1.0
	v_div_fixup_f32 v105, v109, v113, 1.0
	v_fmaak_f32 v109, s17, v110, 0x3d088889
	v_add_f32_e32 v105, 1.0, v105
	v_fma_f32 v109, -v110, v109, 0x3e2aaaab
	v_fmac_f32_e32 v105, v110, v109
	v_mul_f32_e32 v109, v14, v14
	v_mul_f32_e32 v14, v112, v112
	v_add_f32_e32 v112, 1.0, v112
	v_div_scale_f32 v111, null, v101, v101, v105
	v_div_scale_f32 v114, null, v109, v109, 1.0
	v_div_scale_f32 v117, null, v14, v14, 1.0
	v_rcp_f32_e32 v113, v111
	v_rcp_f32_e32 v115, v114
	v_div_scale_f32 v116, vcc_lo, v105, v101, v105
	v_rcp_f32_e32 v120, v117
	v_div_scale_f32 v123, s4, 1.0, v109, 1.0
	v_add_f32_e32 v126, 1.0, v112
	v_fma_f32 v110, -v111, v113, 1.0
	v_fma_f32 v119, -v114, v115, 1.0
	;; [unrolled: 1-line block ×3, first 2 shown]
	v_fmac_f32_e32 v113, v110, v113
	v_mul_f32_e32 v110, v112, v112
	v_fmac_f32_e32 v115, v119, v115
	v_mul_f32_e32 v112, v126, v126
	;; [unrolled: 2-line block ×3, first 2 shown]
	v_div_scale_f32 v121, null, v110, v110, 1.0
	v_div_scale_f32 v124, s5, 1.0, v14, 1.0
	v_fma_f32 v122, -v111, v118, v116
	v_rcp_f32_e32 v119, v121
	v_div_scale_f32 v128, null, v112, v112, 1.0
	v_mul_f32_e32 v127, v124, v120
	v_fmac_f32_e32 v118, v122, v113
	v_mul_f32_e32 v122, v123, v115
	v_fma_f32 v111, -v111, v118, v116
	v_fma_f32 v125, -v121, v119, 1.0
	v_fma_f32 v116, -v114, v122, v123
	v_div_fmas_f32 v111, v111, v113, v118
	v_fmac_f32_e32 v119, v125, v119
	v_div_scale_f32 v125, s7, 1.0, v110, 1.0
	v_fmac_f32_e32 v122, v116, v115
	v_fma_f32 v116, -v117, v127, v124
	v_rcp_f32_e32 v113, v128
	v_mul_f32_e32 v129, v125, v119
	s_mov_b32 vcc_lo, s4
	v_fma_f32 v114, -v114, v122, v123
	v_fmac_f32_e32 v127, v116, v120
	v_fma_f32 v116, -v121, v129, v125
	v_div_fmas_f32 v114, v114, v115, v122
	v_fma_f32 v115, -v117, v127, v124
	v_fma_f32 v117, -v128, v113, 1.0
	v_fmac_f32_e32 v129, v116, v119
	v_add_f32_e32 v116, 1.0, v126
	s_mov_b32 vcc_lo, s5
	v_div_scale_f32 v122, s4, 1.0, v112, 1.0
	v_div_fmas_f32 v115, v115, v120, v127
	v_mul_f32_e32 v118, v116, v116
	v_add_f32_e32 v116, 1.0, v116
	v_fma_f32 v120, -v121, v129, v125
	v_fmac_f32_e32 v113, v117, v113
	s_mov_b32 vcc_lo, s7
	v_div_scale_f32 v117, null, v118, v118, 1.0
	v_mul_f32_e32 v121, v116, v116
	v_add_f32_e32 v116, 1.0, v116
	v_div_fmas_f32 v119, v120, v119, v129
	v_rcp_f32_e32 v123, v117
	v_mul_f32_e32 v126, v122, v113
	v_div_scale_f32 v124, null, v121, v121, 1.0
	v_add_f32_e32 v125, v116, v116
	v_mul_f32_e32 v129, v116, v116
	v_fma_f32 v132, -v128, v126, v122
	v_rcp_f32_e32 v127, v124
	s_mov_b32 vcc_lo, s4
	v_div_scale_f32 v120, null, v125, v125, 1.0
	v_div_scale_f32 v133, null, v129, v129, 1.0
	v_fma_f32 v130, -v117, v123, 1.0
	v_rcp_f32_e32 v131, v120
	v_fmac_f32_e32 v126, v132, v113
	v_rcp_f32_e32 v135, v133
	v_fma_f32 v134, -v124, v127, 1.0
	v_fmac_f32_e32 v123, v130, v123
	v_div_scale_f32 v130, s5, 1.0, v118, 1.0
	v_fma_f32 v122, -v128, v126, v122
	v_fmac_f32_e32 v127, v134, v127
	v_div_scale_f32 v134, s7, 1.0, v121, 1.0
	v_fma_f32 v132, -v120, v131, 1.0
	v_mul_f32_e32 v136, v130, v123
	v_fma_f32 v137, -v133, v135, 1.0
	v_mul_f32_e32 v138, v134, v127
	v_div_fmas_f32 v113, v122, v113, v126
	v_fmac_f32_e32 v131, v132, v131
	v_div_scale_f32 v132, s8, 1.0, v125, 1.0
	v_fma_f32 v128, -v117, v136, v130
	v_fmac_f32_e32 v135, v137, v135
	v_div_scale_f32 v137, s9, 1.0, v129, 1.0
	v_mul_f32_e32 v139, v132, v131
	v_fmac_f32_e32 v136, v128, v123
	v_fma_f32 v122, -v124, v138, v134
	v_mul_f32_e32 v128, v137, v135
	s_mov_b32 vcc_lo, s5
	v_fma_f32 v126, -v120, v139, v132
	v_fma_f32 v117, -v117, v136, v130
	v_fmac_f32_e32 v138, v122, v127
	v_fma_f32 v122, -v133, v128, v137
	v_div_fixup_f32 v19, v114, v109, 1.0
	v_fmac_f32_e32 v139, v126, v131
	v_div_fmas_f32 v117, v117, v123, v136
	v_fma_f32 v123, -v124, v138, v134
	v_fmac_f32_e32 v128, v122, v135
	s_mov_b32 vcc_lo, s7
	v_fma_f32 v120, -v120, v139, v132
	v_div_fmas_f32 v122, v123, v127, v138
	v_fma_f32 v123, -v133, v128, v137
	s_mov_b32 vcc_lo, s8
	s_add_u32 s8, s12, s10
	v_div_fmas_f32 v120, v120, v131, v139
	s_mov_b32 vcc_lo, s9
	s_addc_u32 s9, s13, s11
	v_div_fmas_f32 v123, v123, v135, v128
	v_div_fixup_f32 v120, v120, v125, 1.0
	v_mul_f32_e32 v125, v22, v22
	v_add_f32_e32 v22, 1.0, v22
	v_div_fixup_f32 v123, v123, v129, 1.0
	v_add_f32_e32 v120, 1.0, v120
	v_div_scale_f32 v127, null, v125, v125, 1.0
	v_fmaak_f32 v124, s17, v123, 0x3d088889
	v_rcp_f32_e32 v128, v127
	v_fma_f32 v124, -v123, v124, 0x3e2aaaab
	v_fmac_f32_e32 v120, v123, v124
	v_fma_f32 v133, -v127, v128, 1.0
	v_div_scale_f32 v123, null, v116, v116, v120
	v_div_scale_f32 v129, vcc_lo, v120, v116, v120
	v_fmac_f32_e32 v128, v133, v128
	v_rcp_f32_e32 v124, v123
	v_div_scale_f32 v133, s4, 1.0, v125, 1.0
	v_fma_f32 v126, -v123, v124, 1.0
	v_fmac_f32_e32 v124, v126, v124
	v_mul_f32_e32 v126, v22, v22
	v_add_f32_e32 v22, 1.0, v22
	v_mul_f32_e32 v131, v129, v124
	v_div_scale_f32 v130, null, v126, v126, 1.0
	v_mul_f32_e32 v136, v22, v22
	v_add_f32_e32 v22, 1.0, v22
	v_fma_f32 v134, -v123, v131, v129
	v_rcp_f32_e32 v132, v130
	v_div_scale_f32 v137, s5, 1.0, v126, 1.0
	v_mul_f32_e32 v140, v22, v22
	v_fmac_f32_e32 v131, v134, v124
	v_mul_f32_e32 v134, v133, v128
	v_add_f32_e32 v22, 1.0, v22
	v_fma_f32 v123, -v123, v131, v129
	v_fma_f32 v135, -v130, v132, 1.0
	v_fma_f32 v129, -v127, v134, v133
	v_div_fmas_f32 v123, v123, v124, v131
	v_fmac_f32_e32 v132, v135, v132
	v_div_scale_f32 v135, null, v136, v136, 1.0
	v_fmac_f32_e32 v134, v129, v128
	v_div_scale_f32 v124, null, v140, v140, 1.0
	v_rcp_f32_e32 v138, v135
	v_mul_f32_e32 v139, v137, v132
	v_fma_f32 v127, -v127, v134, v133
	v_rcp_f32_e32 v133, v124
	s_mov_b32 vcc_lo, s4
	v_fma_f32 v129, -v130, v139, v137
	v_div_fmas_f32 v127, v127, v128, v134
	v_mul_f32_e32 v134, v22, v22
	s_mov_b32 vcc_lo, s5
	v_fma_f32 v131, -v135, v138, 1.0
	v_fmac_f32_e32 v139, v129, v132
	v_div_scale_f32 v129, s7, 1.0, v136, 1.0
	v_add_f32_e32 v22, 1.0, v22
	v_fmac_f32_e32 v138, v131, v138
	v_fma_f32 v128, -v130, v139, v137
	v_fma_f32 v131, -v124, v133, 1.0
	v_div_scale_f32 v137, null, v134, v134, 1.0
	v_mul_f32_e32 v130, v129, v138
	v_div_fmas_f32 v128, v128, v132, v139
	v_fmac_f32_e32 v133, v131, v133
	v_div_scale_f32 v131, s4, 1.0, v140, 1.0
	v_fma_f32 v132, -v135, v130, v129
	v_rcp_f32_e32 v139, v137
	s_mov_b32 vcc_lo, s7
	v_fmac_f32_e32 v130, v132, v138
	v_mul_f32_e32 v132, v131, v133
	v_fma_f32 v129, -v135, v130, v129
	v_fma_f32 v135, -v124, v132, v131
	v_div_fmas_f32 v129, v129, v138, v130
	v_fmac_f32_e32 v132, v135, v133
	v_fma_f32 v135, -v137, v139, 1.0
	v_mul_f32_e32 v130, v22, v22
	s_mov_b32 vcc_lo, s4
	v_add_f32_e32 v22, 1.0, v22
	v_fma_f32 v124, -v124, v132, v131
	v_fmac_f32_e32 v139, v135, v139
	v_div_scale_f32 v131, s5, 1.0, v134, 1.0
	v_div_scale_f32 v135, null, v130, v130, 1.0
	v_div_fmas_f32 v124, v124, v133, v132
	v_mul_f32_e32 v132, v131, v139
	s_mov_b32 vcc_lo, s5
	v_rcp_f32_e32 v133, v135
	v_fma_f32 v138, -v137, v132, v131
	v_fmac_f32_e32 v132, v138, v139
	v_fma_f32 v138, -v135, v133, 1.0
	v_fma_f32 v131, -v137, v132, v131
	v_fmac_f32_e32 v133, v138, v133
	v_div_scale_f32 v138, s4, 1.0, v130, 1.0
	v_div_fmas_f32 v131, v131, v139, v132
	v_mul_f32_e32 v139, v22, v22
	s_mov_b32 vcc_lo, s4
	v_mul_f32_e32 v137, v138, v133
	v_fma_f32 v132, -v135, v137, v138
	v_fmac_f32_e32 v137, v132, v133
	v_div_scale_f32 v132, null, v139, v139, 1.0
	v_fma_f32 v135, -v135, v137, v138
	v_rcp_f32_e32 v138, v132
	v_div_fmas_f32 v133, v135, v133, v137
	v_fma_f32 v135, -v132, v138, 1.0
	v_fmac_f32_e32 v138, v135, v138
	v_div_scale_f32 v135, vcc_lo, 1.0, v139, 1.0
	v_mul_f32_e32 v137, v135, v138
	v_fma_f32 v141, -v132, v137, v135
	v_fmac_f32_e32 v137, v141, v138
	v_fma_f32 v132, -v132, v137, v135
	v_add_f32_e32 v135, v22, v22
	v_div_fmas_f32 v132, v132, v138, v137
	v_div_scale_f32 v137, null, v135, v135, 1.0
	v_div_scale_f32 v32, vcc_lo, 1.0, v135, 1.0
	v_div_fixup_f32 v29, v132, v139, 1.0
	v_rcp_f32_e32 v138, v137
	v_fma_f32 v141, -v137, v138, 1.0
	v_fmac_f32_e32 v138, v141, v138
	v_mul_f32_e32 v141, v32, v138
	v_fma_f32 v142, -v137, v141, v32
	v_fmac_f32_e32 v141, v142, v138
	v_fma_f32 v24, -v137, v141, v32
	v_fmaak_f32 v32, s17, v29, 0x3d088889
	v_div_fmas_f32 v24, v24, v138, v141
	v_fma_f32 v28, -v29, v32, 0x3e2aaaab
	v_cmp_o_f32_e32 vcc_lo, v15, v15
	v_div_fixup_f32 v15, v98, v85, v91
	v_div_fixup_f32 v24, v24, v135, 1.0
	v_cndmask_b32_e32 v12, 0x7fc0, v12, vcc_lo
	v_cmp_o_f32_e32 vcc_lo, v1, v1
	v_add_f32_e32 v8, v8, v15
	v_add_f32_e32 v24, 1.0, v24
	v_cndmask_b32_e32 v1, 0x7fc00000, v13, vcc_lo
	v_div_fixup_f32 v13, v103, v16, 1.0
	v_fmac_f32_e32 v24, v29, v28
	v_mul_f32_e32 v3, v3, v8
	v_add_f32_e32 v8, v11, v19
	v_div_fixup_f32 v11, v115, v14, 1.0
	v_add_f32_e32 v10, v10, v13
	v_div_scale_f32 v16, null, v22, v22, v24
	v_div_fixup_f32 v13, v104, v96, 1.0
	v_div_fixup_f32 v14, v107, v99, 1.0
	v_add_f32_e32 v8, v8, v11
	v_rcp_f32_e32 v15, v16
	v_div_fixup_f32 v19, v119, v110, 1.0
	v_add_f32_e32 v7, v10, v13
	v_div_fixup_f32 v10, v108, v97, 1.0
	v_div_fixup_f32 v13, v127, v125, 1.0
	v_add_f32_e32 v8, v8, v19
	v_div_fixup_f32 v19, v113, v112, 1.0
	v_add_f32_e32 v7, v7, v10
	v_add_f32_e32 v11, v21, v13
	v_fma_f32 v10, -v16, v15, 1.0
	v_div_fixup_f32 v13, v128, v126, 1.0
	v_add_f32_e32 v8, v8, v19
	v_add_f32_e32 v7, v7, v14
	v_div_fixup_f32 v19, v117, v118, 1.0
	v_fmac_f32_e32 v15, v10, v15
	v_div_scale_f32 v10, vcc_lo, v24, v22, v24
	v_add_f32_e32 v11, v11, v13
	v_div_fixup_f32 v13, v129, v136, 1.0
	v_div_fixup_f32 v21, v106, v100, 1.0
	v_mul_f32_e32 v14, v10, v15
	v_add_f32_e32 v8, v8, v19
	v_div_fixup_f32 v19, v122, v121, 1.0
	v_add_f32_e32 v11, v11, v13
	v_div_fixup_f32 v13, v124, v140, 1.0
	v_fma_f32 v20, -v16, v14, v10
	v_add_f32_e32 v7, v7, v21
	v_add_f32_e32 v8, v8, v19
	;; [unrolled: 1-line block ×3, first 2 shown]
	v_fmac_f32_e32 v14, v20, v15
	v_div_fixup_f32 v13, v131, v134, 1.0
	v_fma_f32 v10, -v16, v14, v10
	v_add_f32_e32 v11, v11, v13
	v_div_fixup_f32 v13, v133, v130, 1.0
	v_bfe_u32 v16, v3, 16, 1
	v_div_fmas_f32 v10, v10, v15, v14
	v_div_fixup_f32 v14, v111, v101, v105
	v_div_fixup_f32 v15, v123, v116, v120
	v_add_f32_e32 v11, v11, v13
	v_bfe_u32 v13, v6, 16, 1
	v_div_fixup_f32 v10, v10, v22, v24
	v_add_f32_e32 v7, v7, v14
	v_add_f32_e32 v8, v8, v15
	v_cmp_o_f32_e32 vcc_lo, v6, v6
	v_add_f32_e32 v10, v11, v10
	v_add3_u32 v11, v6, v13, 0x7fff
	v_add3_u32 v13, v3, v16, 0x7fff
	v_mul_f32_e32 v7, v9, v7
	v_mul_f32_e32 v4, v4, v8
	;; [unrolled: 1-line block ×3, first 2 shown]
	v_lshrrev_b32_e32 v8, 16, v11
	v_and_b32_e32 v9, 0xffff0000, v13
	v_bfe_u32 v10, v7, 16, 1
	v_bfe_u32 v11, v4, 16, 1
	;; [unrolled: 1-line block ×3, first 2 shown]
	v_cndmask_b32_e32 v6, 0x7fc0, v8, vcc_lo
	v_cmp_o_f32_e32 vcc_lo, v3, v3
	v_add3_u32 v8, v7, v10, 0x7fff
	v_add3_u32 v10, v4, v11, 0x7fff
	;; [unrolled: 1-line block ×3, first 2 shown]
	v_cndmask_b32_e32 v3, 0x7fc00000, v9, vcc_lo
	v_cmp_o_f32_e32 vcc_lo, v18, v18
	v_lshrrev_b32_e32 v8, 16, v8
	v_and_b32_e32 v9, 0xffff0000, v10
	v_and_b32_e32 v10, 0xffff0000, v11
	v_or_b32_e32 v3, v3, v6
	v_cndmask_b32_e32 v11, 0x7fc0, v17, vcc_lo
	v_cmp_o_f32_e32 vcc_lo, v7, v7
	v_cndmask_b32_e32 v7, 0x7fc0, v8, vcc_lo
	v_cmp_o_f32_e32 vcc_lo, v4, v4
	v_or_b32_e32 v8, v1, v12
	v_or3_b32 v1, v3, 0, 0
	v_cndmask_b32_e32 v4, 0x7fc00000, v9, vcc_lo
	v_cmp_o_f32_e32 vcc_lo, v2, v2
	v_or3_b32 v3, v8, 0, 0
	v_or3_b32 v2, 0, v7, v4
	v_cndmask_b32_e32 v6, 0x7fc00000, v10, vcc_lo
	v_or3_b32 v4, 0, v11, v6
	v_add_co_u32 v6, s4, s8, v5
	v_add_co_ci_u32_e64 v7, null, s9, 0, s4
	v_add_co_u32 v6, vcc_lo, 0x800, v6
	v_add_co_ci_u32_e64 v7, null, 0, v7, vcc_lo
	global_store_dwordx2 v5, v[1:2], s[8:9]
	global_store_dwordx2 v[6:7], v[3:4], off
	s_branch .LBB72_2
.LBB72_52:
	v_mov_b32_e32 v31, v0
	v_mov_b32_e32 v0, s12
	;; [unrolled: 1-line block ×6, first 2 shown]
	s_getpc_b64 s[4:5]
	s_add_u32 s4, s4, _ZN2at6native25elementwise_kernel_helperILb0EZZZNS0_20trigamma_kernel_cudaERNS_18TensorIteratorBaseEENKUlvE_clEvENKUlvE2_clEvEUlN3c108BFloat16EE_NS0_6memory8policies11unroll_baseILi256ESt5arrayIPcLm2EE23TrivialOffsetCalculatorILi1EjESG_NS9_15LoadWithoutCastENS9_16StoreWithoutCastELi8ELi1EEEEEvT0_T1_@rel32@lo+4
	s_addc_u32 s5, s5, _ZN2at6native25elementwise_kernel_helperILb0EZZZNS0_20trigamma_kernel_cudaERNS_18TensorIteratorBaseEENKUlvE_clEvENKUlvE2_clEvEUlN3c108BFloat16EE_NS0_6memory8policies11unroll_baseILi256ESt5arrayIPcLm2EE23TrivialOffsetCalculatorILi1EjESG_NS9_15LoadWithoutCastENS9_16StoreWithoutCastELi8ELi1EEEEEvT0_T1_@rel32@hi+12
	s_mov_b32 s12, s6
	s_swappc_b64 s[30:31], s[4:5]
	s_endpgm
	.section	.rodata,"a",@progbits
	.p2align	6, 0x0
	.amdhsa_kernel _ZN2at6native29vectorized_elementwise_kernelILi4EZZZNS0_20trigamma_kernel_cudaERNS_18TensorIteratorBaseEENKUlvE_clEvENKUlvE2_clEvEUlN3c108BFloat16EE_St5arrayIPcLm2EEEEviT0_T1_
		.amdhsa_group_segment_fixed_size 0
		.amdhsa_private_segment_fixed_size 0
		.amdhsa_kernarg_size 24
		.amdhsa_user_sgpr_count 6
		.amdhsa_user_sgpr_private_segment_buffer 1
		.amdhsa_user_sgpr_dispatch_ptr 0
		.amdhsa_user_sgpr_queue_ptr 0
		.amdhsa_user_sgpr_kernarg_segment_ptr 1
		.amdhsa_user_sgpr_dispatch_id 0
		.amdhsa_user_sgpr_flat_scratch_init 0
		.amdhsa_user_sgpr_private_segment_size 0
		.amdhsa_wavefront_size32 1
		.amdhsa_uses_dynamic_stack 0
		.amdhsa_system_sgpr_private_segment_wavefront_offset 0
		.amdhsa_system_sgpr_workgroup_id_x 1
		.amdhsa_system_sgpr_workgroup_id_y 0
		.amdhsa_system_sgpr_workgroup_id_z 0
		.amdhsa_system_sgpr_workgroup_info 0
		.amdhsa_system_vgpr_workitem_id 0
		.amdhsa_next_free_vgpr 143
		.amdhsa_next_free_sgpr 33
		.amdhsa_reserve_vcc 1
		.amdhsa_reserve_flat_scratch 0
		.amdhsa_float_round_mode_32 0
		.amdhsa_float_round_mode_16_64 0
		.amdhsa_float_denorm_mode_32 3
		.amdhsa_float_denorm_mode_16_64 3
		.amdhsa_dx10_clamp 1
		.amdhsa_ieee_mode 1
		.amdhsa_fp16_overflow 0
		.amdhsa_workgroup_processor_mode 1
		.amdhsa_memory_ordered 1
		.amdhsa_forward_progress 1
		.amdhsa_shared_vgpr_count 0
		.amdhsa_exception_fp_ieee_invalid_op 0
		.amdhsa_exception_fp_denorm_src 0
		.amdhsa_exception_fp_ieee_div_zero 0
		.amdhsa_exception_fp_ieee_overflow 0
		.amdhsa_exception_fp_ieee_underflow 0
		.amdhsa_exception_fp_ieee_inexact 0
		.amdhsa_exception_int_div_zero 0
	.end_amdhsa_kernel
	.section	.text._ZN2at6native29vectorized_elementwise_kernelILi4EZZZNS0_20trigamma_kernel_cudaERNS_18TensorIteratorBaseEENKUlvE_clEvENKUlvE2_clEvEUlN3c108BFloat16EE_St5arrayIPcLm2EEEEviT0_T1_,"axG",@progbits,_ZN2at6native29vectorized_elementwise_kernelILi4EZZZNS0_20trigamma_kernel_cudaERNS_18TensorIteratorBaseEENKUlvE_clEvENKUlvE2_clEvEUlN3c108BFloat16EE_St5arrayIPcLm2EEEEviT0_T1_,comdat
.Lfunc_end72:
	.size	_ZN2at6native29vectorized_elementwise_kernelILi4EZZZNS0_20trigamma_kernel_cudaERNS_18TensorIteratorBaseEENKUlvE_clEvENKUlvE2_clEvEUlN3c108BFloat16EE_St5arrayIPcLm2EEEEviT0_T1_, .Lfunc_end72-_ZN2at6native29vectorized_elementwise_kernelILi4EZZZNS0_20trigamma_kernel_cudaERNS_18TensorIteratorBaseEENKUlvE_clEvENKUlvE2_clEvEUlN3c108BFloat16EE_St5arrayIPcLm2EEEEviT0_T1_
                                        ; -- End function
	.set _ZN2at6native29vectorized_elementwise_kernelILi4EZZZNS0_20trigamma_kernel_cudaERNS_18TensorIteratorBaseEENKUlvE_clEvENKUlvE2_clEvEUlN3c108BFloat16EE_St5arrayIPcLm2EEEEviT0_T1_.num_vgpr, max(143, .L_ZN2at6native25elementwise_kernel_helperILb0EZZZNS0_20trigamma_kernel_cudaERNS_18TensorIteratorBaseEENKUlvE_clEvENKUlvE2_clEvEUlN3c108BFloat16EE_NS0_6memory8policies11unroll_baseILi256ESt5arrayIPcLm2EE23TrivialOffsetCalculatorILi1EjESG_NS9_15LoadWithoutCastENS9_16StoreWithoutCastELi8ELi1EEEEEvT0_T1_.num_vgpr)
	.set _ZN2at6native29vectorized_elementwise_kernelILi4EZZZNS0_20trigamma_kernel_cudaERNS_18TensorIteratorBaseEENKUlvE_clEvENKUlvE2_clEvEUlN3c108BFloat16EE_St5arrayIPcLm2EEEEviT0_T1_.num_agpr, max(0, .L_ZN2at6native25elementwise_kernel_helperILb0EZZZNS0_20trigamma_kernel_cudaERNS_18TensorIteratorBaseEENKUlvE_clEvENKUlvE2_clEvEUlN3c108BFloat16EE_NS0_6memory8policies11unroll_baseILi256ESt5arrayIPcLm2EE23TrivialOffsetCalculatorILi1EjESG_NS9_15LoadWithoutCastENS9_16StoreWithoutCastELi8ELi1EEEEEvT0_T1_.num_agpr)
	.set _ZN2at6native29vectorized_elementwise_kernelILi4EZZZNS0_20trigamma_kernel_cudaERNS_18TensorIteratorBaseEENKUlvE_clEvENKUlvE2_clEvEUlN3c108BFloat16EE_St5arrayIPcLm2EEEEviT0_T1_.numbered_sgpr, max(33, .L_ZN2at6native25elementwise_kernel_helperILb0EZZZNS0_20trigamma_kernel_cudaERNS_18TensorIteratorBaseEENKUlvE_clEvENKUlvE2_clEvEUlN3c108BFloat16EE_NS0_6memory8policies11unroll_baseILi256ESt5arrayIPcLm2EE23TrivialOffsetCalculatorILi1EjESG_NS9_15LoadWithoutCastENS9_16StoreWithoutCastELi8ELi1EEEEEvT0_T1_.numbered_sgpr)
	.set _ZN2at6native29vectorized_elementwise_kernelILi4EZZZNS0_20trigamma_kernel_cudaERNS_18TensorIteratorBaseEENKUlvE_clEvENKUlvE2_clEvEUlN3c108BFloat16EE_St5arrayIPcLm2EEEEviT0_T1_.num_named_barrier, max(0, .L_ZN2at6native25elementwise_kernel_helperILb0EZZZNS0_20trigamma_kernel_cudaERNS_18TensorIteratorBaseEENKUlvE_clEvENKUlvE2_clEvEUlN3c108BFloat16EE_NS0_6memory8policies11unroll_baseILi256ESt5arrayIPcLm2EE23TrivialOffsetCalculatorILi1EjESG_NS9_15LoadWithoutCastENS9_16StoreWithoutCastELi8ELi1EEEEEvT0_T1_.num_named_barrier)
	.set _ZN2at6native29vectorized_elementwise_kernelILi4EZZZNS0_20trigamma_kernel_cudaERNS_18TensorIteratorBaseEENKUlvE_clEvENKUlvE2_clEvEUlN3c108BFloat16EE_St5arrayIPcLm2EEEEviT0_T1_.private_seg_size, 0+max(.L_ZN2at6native25elementwise_kernel_helperILb0EZZZNS0_20trigamma_kernel_cudaERNS_18TensorIteratorBaseEENKUlvE_clEvENKUlvE2_clEvEUlN3c108BFloat16EE_NS0_6memory8policies11unroll_baseILi256ESt5arrayIPcLm2EE23TrivialOffsetCalculatorILi1EjESG_NS9_15LoadWithoutCastENS9_16StoreWithoutCastELi8ELi1EEEEEvT0_T1_.private_seg_size)
	.set _ZN2at6native29vectorized_elementwise_kernelILi4EZZZNS0_20trigamma_kernel_cudaERNS_18TensorIteratorBaseEENKUlvE_clEvENKUlvE2_clEvEUlN3c108BFloat16EE_St5arrayIPcLm2EEEEviT0_T1_.uses_vcc, or(1, .L_ZN2at6native25elementwise_kernel_helperILb0EZZZNS0_20trigamma_kernel_cudaERNS_18TensorIteratorBaseEENKUlvE_clEvENKUlvE2_clEvEUlN3c108BFloat16EE_NS0_6memory8policies11unroll_baseILi256ESt5arrayIPcLm2EE23TrivialOffsetCalculatorILi1EjESG_NS9_15LoadWithoutCastENS9_16StoreWithoutCastELi8ELi1EEEEEvT0_T1_.uses_vcc)
	.set _ZN2at6native29vectorized_elementwise_kernelILi4EZZZNS0_20trigamma_kernel_cudaERNS_18TensorIteratorBaseEENKUlvE_clEvENKUlvE2_clEvEUlN3c108BFloat16EE_St5arrayIPcLm2EEEEviT0_T1_.uses_flat_scratch, or(0, .L_ZN2at6native25elementwise_kernel_helperILb0EZZZNS0_20trigamma_kernel_cudaERNS_18TensorIteratorBaseEENKUlvE_clEvENKUlvE2_clEvEUlN3c108BFloat16EE_NS0_6memory8policies11unroll_baseILi256ESt5arrayIPcLm2EE23TrivialOffsetCalculatorILi1EjESG_NS9_15LoadWithoutCastENS9_16StoreWithoutCastELi8ELi1EEEEEvT0_T1_.uses_flat_scratch)
	.set _ZN2at6native29vectorized_elementwise_kernelILi4EZZZNS0_20trigamma_kernel_cudaERNS_18TensorIteratorBaseEENKUlvE_clEvENKUlvE2_clEvEUlN3c108BFloat16EE_St5arrayIPcLm2EEEEviT0_T1_.has_dyn_sized_stack, or(0, .L_ZN2at6native25elementwise_kernel_helperILb0EZZZNS0_20trigamma_kernel_cudaERNS_18TensorIteratorBaseEENKUlvE_clEvENKUlvE2_clEvEUlN3c108BFloat16EE_NS0_6memory8policies11unroll_baseILi256ESt5arrayIPcLm2EE23TrivialOffsetCalculatorILi1EjESG_NS9_15LoadWithoutCastENS9_16StoreWithoutCastELi8ELi1EEEEEvT0_T1_.has_dyn_sized_stack)
	.set _ZN2at6native29vectorized_elementwise_kernelILi4EZZZNS0_20trigamma_kernel_cudaERNS_18TensorIteratorBaseEENKUlvE_clEvENKUlvE2_clEvEUlN3c108BFloat16EE_St5arrayIPcLm2EEEEviT0_T1_.has_recursion, or(0, .L_ZN2at6native25elementwise_kernel_helperILb0EZZZNS0_20trigamma_kernel_cudaERNS_18TensorIteratorBaseEENKUlvE_clEvENKUlvE2_clEvEUlN3c108BFloat16EE_NS0_6memory8policies11unroll_baseILi256ESt5arrayIPcLm2EE23TrivialOffsetCalculatorILi1EjESG_NS9_15LoadWithoutCastENS9_16StoreWithoutCastELi8ELi1EEEEEvT0_T1_.has_recursion)
	.set _ZN2at6native29vectorized_elementwise_kernelILi4EZZZNS0_20trigamma_kernel_cudaERNS_18TensorIteratorBaseEENKUlvE_clEvENKUlvE2_clEvEUlN3c108BFloat16EE_St5arrayIPcLm2EEEEviT0_T1_.has_indirect_call, or(0, .L_ZN2at6native25elementwise_kernel_helperILb0EZZZNS0_20trigamma_kernel_cudaERNS_18TensorIteratorBaseEENKUlvE_clEvENKUlvE2_clEvEUlN3c108BFloat16EE_NS0_6memory8policies11unroll_baseILi256ESt5arrayIPcLm2EE23TrivialOffsetCalculatorILi1EjESG_NS9_15LoadWithoutCastENS9_16StoreWithoutCastELi8ELi1EEEEEvT0_T1_.has_indirect_call)
	.section	.AMDGPU.csdata,"",@progbits
; Kernel info:
; codeLenInByte = 14280
; TotalNumSgprs: 35
; NumVgprs: 143
; ScratchSize: 0
; MemoryBound: 0
; FloatMode: 240
; IeeeMode: 1
; LDSByteSize: 0 bytes/workgroup (compile time only)
; SGPRBlocks: 0
; VGPRBlocks: 17
; NumSGPRsForWavesPerEU: 35
; NumVGPRsForWavesPerEU: 143
; Occupancy: 7
; WaveLimiterHint : 1
; COMPUTE_PGM_RSRC2:SCRATCH_EN: 0
; COMPUTE_PGM_RSRC2:USER_SGPR: 6
; COMPUTE_PGM_RSRC2:TRAP_HANDLER: 0
; COMPUTE_PGM_RSRC2:TGID_X_EN: 1
; COMPUTE_PGM_RSRC2:TGID_Y_EN: 0
; COMPUTE_PGM_RSRC2:TGID_Z_EN: 0
; COMPUTE_PGM_RSRC2:TIDIG_COMP_CNT: 0
	.section	.text._ZN2at6native29vectorized_elementwise_kernelILi2EZZZNS0_20trigamma_kernel_cudaERNS_18TensorIteratorBaseEENKUlvE_clEvENKUlvE2_clEvEUlN3c108BFloat16EE_St5arrayIPcLm2EEEEviT0_T1_,"axG",@progbits,_ZN2at6native29vectorized_elementwise_kernelILi2EZZZNS0_20trigamma_kernel_cudaERNS_18TensorIteratorBaseEENKUlvE_clEvENKUlvE2_clEvEUlN3c108BFloat16EE_St5arrayIPcLm2EEEEviT0_T1_,comdat
	.globl	_ZN2at6native29vectorized_elementwise_kernelILi2EZZZNS0_20trigamma_kernel_cudaERNS_18TensorIteratorBaseEENKUlvE_clEvENKUlvE2_clEvEUlN3c108BFloat16EE_St5arrayIPcLm2EEEEviT0_T1_ ; -- Begin function _ZN2at6native29vectorized_elementwise_kernelILi2EZZZNS0_20trigamma_kernel_cudaERNS_18TensorIteratorBaseEENKUlvE_clEvENKUlvE2_clEvEUlN3c108BFloat16EE_St5arrayIPcLm2EEEEviT0_T1_
	.p2align	8
	.type	_ZN2at6native29vectorized_elementwise_kernelILi2EZZZNS0_20trigamma_kernel_cudaERNS_18TensorIteratorBaseEENKUlvE_clEvENKUlvE2_clEvEUlN3c108BFloat16EE_St5arrayIPcLm2EEEEviT0_T1_,@function
_ZN2at6native29vectorized_elementwise_kernelILi2EZZZNS0_20trigamma_kernel_cudaERNS_18TensorIteratorBaseEENKUlvE_clEvENKUlvE2_clEvEUlN3c108BFloat16EE_St5arrayIPcLm2EEEEviT0_T1_: ; @_ZN2at6native29vectorized_elementwise_kernelILi2EZZZNS0_20trigamma_kernel_cudaERNS_18TensorIteratorBaseEENKUlvE_clEvENKUlvE2_clEvEUlN3c108BFloat16EE_St5arrayIPcLm2EEEEviT0_T1_
; %bb.0:
	s_add_u32 s0, s0, s7
	s_clause 0x1
	s_load_dword s7, s[4:5], 0x0
	s_load_dwordx4 s[12:15], s[4:5], 0x8
	s_addc_u32 s1, s1, 0
	s_lshl_b32 s4, s6, 11
	s_mov_b32 s5, -1
	s_mov_b32 s32, 0
	s_waitcnt lgkmcnt(0)
	s_sub_i32 s16, s7, s4
	s_cmpk_gt_i32 s16, 0x7ff
	s_cbranch_scc1 .LBB73_3
; %bb.1:
	s_and_b32 vcc_lo, exec_lo, s5
	s_cbranch_vccnz .LBB73_52
.LBB73_2:
	s_endpgm
.LBB73_3:
	s_ashr_i32 s5, s4, 31
	v_lshlrev_b32_e32 v1, 2, v0
	s_lshl_b64 s[10:11], s[4:5], 1
	s_add_u32 s4, s14, s10
	s_addc_u32 s5, s15, s11
	v_add_co_u32 v2, s7, s4, v1
	v_add_co_ci_u32_e64 v3, null, s5, 0, s7
	global_load_dword v4, v1, s[4:5]
	v_add_co_u32 v2, vcc_lo, 0x800, v2
	v_add_co_ci_u32_e64 v3, null, 0, v3, vcc_lo
	s_mov_b32 s7, exec_lo
	s_clause 0x2
	global_load_dword v10, v1, s[4:5] offset:1024
	global_load_dword v14, v[2:3], off
	global_load_dword v20, v[2:3], off offset:1024
	v_mov_b32_e32 v3, 0
	v_mov_b32_e32 v2, 1.0
	s_waitcnt vmcnt(3)
	v_lshlrev_b32_e32 v9, 16, v4
	v_cmpx_gt_f32_e32 0.5, v9
	s_cbranch_execz .LBB73_9
; %bb.4:
	v_mul_f32_e32 v2, 0x40490fdb, v9
                                        ; implicit-def: $vgpr6
                                        ; implicit-def: $vgpr5
	s_mov_b32 s5, exec_lo
	v_and_b32_e32 v3, 0x7fffffff, v2
	v_cmpx_ngt_f32_e64 0x48000000, |v2|
	s_xor_b32 s8, exec_lo, s5
	s_cbranch_execz .LBB73_6
; %bb.5:
	s_mov_b32 s4, 0x7fffff
	v_mov_b32_e32 v7, 0
	v_and_or_b32 v8, v3, s4, 0x800000
	v_mad_u64_u32 v[5:6], null, 0xfe5163ab, v8, 0
	v_mad_u64_u32 v[11:12], null, 0x3c439041, v8, v[6:7]
	v_mov_b32_e32 v6, v12
	v_mad_u64_u32 v[12:13], null, 0xdb629599, v8, v[6:7]
	v_mov_b32_e32 v6, v13
	v_lshrrev_b32_e32 v13, 23, v3
	v_mad_u64_u32 v[15:16], null, 0xf534ddc0, v8, v[6:7]
	v_add_nc_u32_e32 v13, 0xffffff88, v13
	v_cmp_lt_u32_e32 vcc_lo, 63, v13
	v_mov_b32_e32 v6, v16
	v_cndmask_b32_e64 v18, 0, 0xffffffc0, vcc_lo
	v_mad_u64_u32 v[16:17], null, 0xfc2757d1, v8, v[6:7]
	v_cndmask_b32_e32 v11, v15, v11, vcc_lo
	v_cndmask_b32_e32 v5, v12, v5, vcc_lo
	v_add_nc_u32_e32 v13, v18, v13
	v_mov_b32_e32 v6, v17
	v_cmp_lt_u32_e64 s4, 31, v13
	v_mad_u64_u32 v[17:18], null, 0x4e441529, v8, v[6:7]
	v_cndmask_b32_e64 v19, 0, 0xffffffe0, s4
	v_cndmask_b32_e64 v5, v11, v5, s4
	v_add_nc_u32_e32 v13, v19, v13
	v_mov_b32_e32 v6, v18
	v_cndmask_b32_e32 v18, v17, v15, vcc_lo
	v_cmp_lt_u32_e64 s5, 31, v13
	v_mad_u64_u32 v[6:7], null, 0xa2f9836e, v8, v[6:7]
	v_cndmask_b32_e64 v8, 0, 0xffffffe0, s5
	v_cndmask_b32_e32 v6, v6, v16, vcc_lo
	v_cndmask_b32_e32 v7, v7, v17, vcc_lo
	;; [unrolled: 1-line block ×3, first 2 shown]
	v_add_nc_u32_e32 v8, v8, v13
	v_cndmask_b32_e64 v13, v6, v18, s4
	v_cndmask_b32_e64 v6, v7, v6, s4
	;; [unrolled: 1-line block ×3, first 2 shown]
	v_sub_nc_u32_e32 v15, 32, v8
	v_cndmask_b32_e64 v16, v16, v11, s4
	v_cmp_eq_u32_e32 vcc_lo, 0, v8
	v_cndmask_b32_e64 v6, v6, v13, s5
	v_cndmask_b32_e64 v13, v13, v7, s5
	;; [unrolled: 1-line block ×4, first 2 shown]
	v_alignbit_b32 v17, v6, v13, v15
	v_alignbit_b32 v12, v13, v7, v15
	;; [unrolled: 1-line block ×3, first 2 shown]
	v_cndmask_b32_e32 v6, v17, v6, vcc_lo
	v_cndmask_b32_e32 v8, v12, v13, vcc_lo
	;; [unrolled: 1-line block ×3, first 2 shown]
	v_bfe_u32 v11, v6, 29, 1
	v_alignbit_b32 v12, v6, v8, 30
	v_alignbit_b32 v8, v8, v7, 30
	;; [unrolled: 1-line block ×3, first 2 shown]
	v_sub_nc_u32_e32 v13, 0, v11
	v_xor_b32_e32 v12, v12, v13
	v_xor_b32_e32 v7, v8, v13
	;; [unrolled: 1-line block ×3, first 2 shown]
	v_lshrrev_b32_e32 v13, 29, v6
	v_lshrrev_b32_e32 v6, 30, v6
	v_ffbh_u32_e32 v15, v12
	v_add_nc_u32_e32 v6, v11, v6
	v_min_u32_e32 v15, 32, v15
	v_sub_nc_u32_e32 v8, 31, v15
	v_lshlrev_b32_e32 v16, 23, v15
	v_alignbit_b32 v12, v12, v7, v8
	v_alignbit_b32 v5, v7, v5, v8
	v_lshlrev_b32_e32 v7, 31, v13
	v_alignbit_b32 v8, v12, v5, 9
	v_or_b32_e32 v13, 0.5, v7
	v_lshrrev_b32_e32 v12, 9, v12
	v_or_b32_e32 v7, 0x33000000, v7
	v_ffbh_u32_e32 v17, v8
	v_sub_nc_u32_e32 v13, v13, v16
	v_min_u32_e32 v16, 32, v17
	v_or_b32_e32 v12, v12, v13
	v_not_b32_e32 v13, v16
	v_mul_f32_e32 v17, 0x3fc90fda, v12
	v_add_lshl_u32 v15, v16, v15, 23
	v_alignbit_b32 v5, v8, v5, v13
	v_fma_f32 v8, 0x3fc90fda, v12, -v17
	v_sub_nc_u32_e32 v7, v7, v15
	v_lshrrev_b32_e32 v5, 9, v5
	v_fmamk_f32 v8, v12, 0x33a22168, v8
	v_or_b32_e32 v5, v7, v5
	v_fmac_f32_e32 v8, 0x3fc90fda, v5
	v_add_f32_e32 v5, v17, v8
.LBB73_6:
	s_andn2_saveexec_b32 s4, s8
; %bb.7:
	v_mul_f32_e64 v5, 0x3f22f983, |v2|
	v_rndne_f32_e32 v6, v5
	v_fma_f32 v5, 0xbfc90fda, v6, |v2|
	v_fmamk_f32 v5, v6, 0xb3a22168, v5
	v_fmamk_f32 v5, v6, 0xa7c234c4, v5
	v_cvt_i32_f32_e32 v6, v6
; %bb.8:
	s_or_b32 exec_lo, exec_lo, s4
	v_mul_f32_e32 v7, v5, v5
	s_mov_b32 s4, 0xb94c1982
	s_mov_b32 s5, 0x37d75334
	v_and_b32_e32 v12, 1, v6
	v_lshlrev_b32_e32 v6, 30, v6
	v_fmaak_f32 v8, s4, v7, 0x3c0881c4
	v_fmaak_f32 v11, s5, v7, 0xbab64f3b
	v_xor_b32_e32 v3, v3, v2
	v_cmp_eq_u32_e32 vcc_lo, 0, v12
	v_and_b32_e32 v6, 0x80000000, v6
	v_fmaak_f32 v8, v7, v8, 0xbe2aaa9d
	v_fmaak_f32 v11, v7, v11, 0x3d2aabf7
	v_sub_f32_e32 v9, 1.0, v9
	v_mul_f32_e32 v8, v7, v8
	v_fmaak_f32 v11, v7, v11, 0xbf000004
	v_fmac_f32_e32 v5, v5, v8
	v_fma_f32 v7, v7, v11, 1.0
	v_cndmask_b32_e32 v5, v7, v5, vcc_lo
	v_cmp_class_f32_e64 vcc_lo, v2, 0x1f8
	v_xor3_b32 v3, v3, v6, v5
	v_cndmask_b32_e32 v2, 0x7fc00000, v3, vcc_lo
	v_mul_f32_e32 v2, v2, v2
	v_div_scale_f32 v3, null, v2, v2, 0xc11de9e7
	v_div_scale_f32 v7, vcc_lo, 0xc11de9e7, v2, 0xc11de9e7
	v_rcp_f32_e32 v5, v3
	v_fma_f32 v6, -v3, v5, 1.0
	v_fmac_f32_e32 v5, v6, v5
	v_mul_f32_e32 v6, v7, v5
	v_fma_f32 v8, -v3, v6, v7
	v_fmac_f32_e32 v6, v8, v5
	v_fma_f32 v3, -v3, v6, v7
	v_div_fmas_f32 v3, v3, v5, v6
	v_div_fixup_f32 v2, v3, v2, 0xc11de9e7
	v_add_f32_e32 v3, 0, v2
	v_mov_b32_e32 v2, -1.0
.LBB73_9:
	s_or_b32 exec_lo, exec_lo, s7
	v_and_b32_e32 v7, 0xffff0000, v4
	v_mov_b32_e32 v5, 0
	v_mov_b32_e32 v4, 1.0
	s_mov_b32 s7, exec_lo
	v_cmpx_gt_f32_e32 0.5, v7
	s_cbranch_execz .LBB73_15
; %bb.10:
	v_mul_f32_e32 v4, 0x40490fdb, v7
                                        ; implicit-def: $vgpr8
                                        ; implicit-def: $vgpr6
	s_mov_b32 s5, exec_lo
	v_and_b32_e32 v5, 0x7fffffff, v4
	v_cmpx_ngt_f32_e64 0x48000000, |v4|
	s_xor_b32 s8, exec_lo, s5
	s_cbranch_execz .LBB73_12
; %bb.11:
	s_mov_b32 s4, 0x7fffff
	v_mov_b32_e32 v13, 0
	v_and_or_b32 v6, v5, s4, 0x800000
	v_lshrrev_b32_e32 v8, 23, v5
	v_mad_u64_u32 v[11:12], null, 0xfe5163ab, v6, 0
	v_add_nc_u32_e32 v8, 0xffffff88, v8
	v_cmp_lt_u32_e32 vcc_lo, 63, v8
	v_mad_u64_u32 v[15:16], null, 0x3c439041, v6, v[12:13]
	v_cndmask_b32_e64 v21, 0, 0xffffffc0, vcc_lo
	v_mov_b32_e32 v12, v16
	v_add_nc_u32_e32 v8, v21, v8
	v_mad_u64_u32 v[16:17], null, 0xdb629599, v6, v[12:13]
	v_cmp_lt_u32_e64 s4, 31, v8
	v_mov_b32_e32 v12, v17
	v_cndmask_b32_e32 v11, v16, v11, vcc_lo
	v_mad_u64_u32 v[17:18], null, 0xf534ddc0, v6, v[12:13]
	v_mov_b32_e32 v12, v18
	v_mad_u64_u32 v[18:19], null, 0xfc2757d1, v6, v[12:13]
	v_mov_b32_e32 v12, v19
	v_cndmask_b32_e64 v19, 0, 0xffffffe0, s4
	v_mad_u64_u32 v[21:22], null, 0x4e441529, v6, v[12:13]
	v_add_nc_u32_e32 v8, v19, v8
	v_cmp_lt_u32_e64 s5, 31, v8
	v_mov_b32_e32 v12, v22
	v_cndmask_b32_e32 v19, v21, v17, vcc_lo
	v_mad_u64_u32 v[12:13], null, 0xa2f9836e, v6, v[12:13]
	v_cndmask_b32_e64 v6, 0, 0xffffffe0, s5
	v_add_nc_u32_e32 v6, v6, v8
	v_cndmask_b32_e32 v12, v12, v18, vcc_lo
	v_cndmask_b32_e32 v13, v13, v21, vcc_lo
	;; [unrolled: 1-line block ×4, first 2 shown]
	v_sub_nc_u32_e32 v17, 32, v6
	v_cndmask_b32_e64 v15, v12, v19, s4
	v_cndmask_b32_e64 v12, v13, v12, s4
	;; [unrolled: 1-line block ×4, first 2 shown]
	v_cmp_eq_u32_e32 vcc_lo, 0, v6
	v_cndmask_b32_e64 v8, v8, v11, s4
	v_cndmask_b32_e64 v12, v12, v15, s5
	;; [unrolled: 1-line block ×5, first 2 shown]
	v_alignbit_b32 v19, v12, v15, v17
	v_alignbit_b32 v16, v15, v13, v17
	;; [unrolled: 1-line block ×3, first 2 shown]
	v_cndmask_b32_e32 v6, v19, v12, vcc_lo
	v_cndmask_b32_e32 v11, v16, v15, vcc_lo
	;; [unrolled: 1-line block ×3, first 2 shown]
	v_bfe_u32 v12, v6, 29, 1
	v_alignbit_b32 v15, v6, v11, 30
	v_alignbit_b32 v11, v11, v13, 30
	;; [unrolled: 1-line block ×3, first 2 shown]
	v_sub_nc_u32_e32 v16, 0, v12
	v_xor_b32_e32 v15, v15, v16
	v_xor_b32_e32 v11, v11, v16
	v_xor_b32_e32 v8, v8, v16
	v_lshrrev_b32_e32 v16, 29, v6
	v_ffbh_u32_e32 v17, v15
	v_min_u32_e32 v17, 32, v17
	v_sub_nc_u32_e32 v13, 31, v17
	v_lshlrev_b32_e32 v18, 23, v17
	v_alignbit_b32 v15, v15, v11, v13
	v_alignbit_b32 v8, v11, v8, v13
	v_lshlrev_b32_e32 v11, 31, v16
	v_alignbit_b32 v13, v15, v8, 9
	v_or_b32_e32 v16, 0.5, v11
	v_lshrrev_b32_e32 v15, 9, v15
	v_or_b32_e32 v11, 0x33000000, v11
	v_ffbh_u32_e32 v19, v13
	v_sub_nc_u32_e32 v16, v16, v18
	v_min_u32_e32 v18, 32, v19
	v_or_b32_e32 v15, v15, v16
	v_not_b32_e32 v16, v18
	v_mul_f32_e32 v19, 0x3fc90fda, v15
	v_add_lshl_u32 v17, v18, v17, 23
	v_alignbit_b32 v8, v13, v8, v16
	v_fma_f32 v13, 0x3fc90fda, v15, -v19
	v_sub_nc_u32_e32 v11, v11, v17
	v_lshrrev_b32_e32 v8, 9, v8
	v_fmamk_f32 v13, v15, 0x33a22168, v13
	v_or_b32_e32 v8, v11, v8
	v_fmac_f32_e32 v13, 0x3fc90fda, v8
	v_lshrrev_b32_e32 v8, 30, v6
	v_add_f32_e32 v6, v19, v13
	v_add_nc_u32_e32 v8, v12, v8
.LBB73_12:
	s_andn2_saveexec_b32 s4, s8
; %bb.13:
	v_mul_f32_e64 v6, 0x3f22f983, |v4|
	v_rndne_f32_e32 v8, v6
	v_fma_f32 v6, 0xbfc90fda, v8, |v4|
	v_fmamk_f32 v6, v8, 0xb3a22168, v6
	v_fmamk_f32 v6, v8, 0xa7c234c4, v6
	v_cvt_i32_f32_e32 v8, v8
; %bb.14:
	s_or_b32 exec_lo, exec_lo, s4
	v_mul_f32_e32 v11, v6, v6
	s_mov_b32 s4, 0xb94c1982
	s_mov_b32 s5, 0x37d75334
	v_and_b32_e32 v15, 1, v8
	v_lshlrev_b32_e32 v8, 30, v8
	v_fmaak_f32 v12, s4, v11, 0x3c0881c4
	v_fmaak_f32 v13, s5, v11, 0xbab64f3b
	v_xor_b32_e32 v5, v5, v4
	v_cmp_eq_u32_e32 vcc_lo, 0, v15
	v_and_b32_e32 v8, 0x80000000, v8
	v_fmaak_f32 v12, v11, v12, 0xbe2aaa9d
	v_fmaak_f32 v13, v11, v13, 0x3d2aabf7
	v_sub_f32_e32 v7, 1.0, v7
	v_mul_f32_e32 v12, v11, v12
	v_fmaak_f32 v13, v11, v13, 0xbf000004
	v_fmac_f32_e32 v6, v6, v12
	v_fma_f32 v11, v11, v13, 1.0
	v_cndmask_b32_e32 v6, v11, v6, vcc_lo
	v_cmp_class_f32_e64 vcc_lo, v4, 0x1f8
	v_xor3_b32 v5, v5, v8, v6
	v_cndmask_b32_e32 v4, 0x7fc00000, v5, vcc_lo
	v_mul_f32_e32 v4, v4, v4
	v_div_scale_f32 v5, null, v4, v4, 0xc11de9e7
	v_div_scale_f32 v11, vcc_lo, 0xc11de9e7, v4, 0xc11de9e7
	v_rcp_f32_e32 v6, v5
	v_fma_f32 v8, -v5, v6, 1.0
	v_fmac_f32_e32 v6, v8, v6
	v_mul_f32_e32 v8, v11, v6
	v_fma_f32 v12, -v5, v8, v11
	v_fmac_f32_e32 v8, v12, v6
	v_fma_f32 v5, -v5, v8, v11
	v_div_fmas_f32 v5, v5, v6, v8
	v_div_fixup_f32 v4, v5, v4, 0xc11de9e7
	v_add_f32_e32 v5, 0, v4
	v_mov_b32_e32 v4, -1.0
.LBB73_15:
	s_or_b32 exec_lo, exec_lo, s7
	s_waitcnt vmcnt(2)
	v_lshlrev_b32_e32 v17, 16, v10
	v_mov_b32_e32 v8, 0
	v_mov_b32_e32 v6, 1.0
	s_mov_b32 s7, exec_lo
	v_cmpx_gt_f32_e32 0.5, v17
	s_cbranch_execz .LBB73_21
; %bb.16:
	v_mul_f32_e32 v6, 0x40490fdb, v17
                                        ; implicit-def: $vgpr12
                                        ; implicit-def: $vgpr11
	s_mov_b32 s5, exec_lo
	v_and_b32_e32 v8, 0x7fffffff, v6
	v_cmpx_ngt_f32_e64 0x48000000, |v6|
	s_xor_b32 s8, exec_lo, s5
	s_cbranch_execz .LBB73_18
; %bb.17:
	s_mov_b32 s4, 0x7fffff
	v_mov_b32_e32 v13, 0
	v_and_or_b32 v25, v8, s4, 0x800000
	v_mad_u64_u32 v[11:12], null, 0xfe5163ab, v25, 0
	v_mad_u64_u32 v[15:16], null, 0x3c439041, v25, v[12:13]
	v_mov_b32_e32 v12, v16
	v_lshrrev_b32_e32 v16, 23, v8
	v_mad_u64_u32 v[18:19], null, 0xdb629599, v25, v[12:13]
	v_add_nc_u32_e32 v16, 0xffffff88, v16
	v_cmp_lt_u32_e32 vcc_lo, 63, v16
	v_mov_b32_e32 v12, v19
	v_cndmask_b32_e64 v19, 0, 0xffffffc0, vcc_lo
	v_mad_u64_u32 v[21:22], null, 0xf534ddc0, v25, v[12:13]
	v_cndmask_b32_e32 v11, v18, v11, vcc_lo
	v_add_nc_u32_e32 v16, v19, v16
	v_mov_b32_e32 v12, v22
	v_cmp_lt_u32_e64 s4, 31, v16
	v_cndmask_b32_e32 v15, v21, v15, vcc_lo
	v_mad_u64_u32 v[22:23], null, 0xfc2757d1, v25, v[12:13]
	v_cndmask_b32_e64 v19, 0, 0xffffffe0, s4
	v_cndmask_b32_e64 v11, v15, v11, s4
	v_add_nc_u32_e32 v16, v19, v16
	v_mov_b32_e32 v12, v23
	v_cmp_lt_u32_e64 s5, 31, v16
	v_mad_u64_u32 v[23:24], null, 0x4e441529, v25, v[12:13]
	v_cndmask_b32_e64 v19, 0, 0xffffffe0, s5
	v_mov_b32_e32 v12, v24
	v_cndmask_b32_e32 v24, v23, v21, vcc_lo
	v_add_nc_u32_e32 v16, v19, v16
	v_mad_u64_u32 v[12:13], null, 0xa2f9836e, v25, v[12:13]
	v_sub_nc_u32_e32 v21, 32, v16
	v_cndmask_b32_e32 v12, v12, v22, vcc_lo
	v_cndmask_b32_e32 v13, v13, v23, vcc_lo
	;; [unrolled: 1-line block ×3, first 2 shown]
	v_cmp_eq_u32_e32 vcc_lo, 0, v16
	v_cndmask_b32_e64 v19, v12, v24, s4
	v_cndmask_b32_e64 v12, v13, v12, s4
	;; [unrolled: 1-line block ×8, first 2 shown]
	v_alignbit_b32 v23, v12, v19, v21
	v_alignbit_b32 v18, v19, v13, v21
	;; [unrolled: 1-line block ×3, first 2 shown]
	v_cndmask_b32_e32 v12, v23, v12, vcc_lo
	v_cndmask_b32_e32 v15, v18, v19, vcc_lo
	;; [unrolled: 1-line block ×3, first 2 shown]
	v_bfe_u32 v16, v12, 29, 1
	v_alignbit_b32 v18, v12, v15, 30
	v_alignbit_b32 v15, v15, v13, 30
	;; [unrolled: 1-line block ×3, first 2 shown]
	v_sub_nc_u32_e32 v19, 0, v16
	v_xor_b32_e32 v18, v18, v19
	v_xor_b32_e32 v13, v15, v19
	;; [unrolled: 1-line block ×3, first 2 shown]
	v_lshrrev_b32_e32 v19, 29, v12
	v_lshrrev_b32_e32 v12, 30, v12
	v_ffbh_u32_e32 v21, v18
	v_add_nc_u32_e32 v12, v16, v12
	v_min_u32_e32 v21, 32, v21
	v_sub_nc_u32_e32 v15, 31, v21
	v_lshlrev_b32_e32 v22, 23, v21
	v_alignbit_b32 v18, v18, v13, v15
	v_alignbit_b32 v11, v13, v11, v15
	v_lshlrev_b32_e32 v13, 31, v19
	v_alignbit_b32 v15, v18, v11, 9
	v_or_b32_e32 v19, 0.5, v13
	v_lshrrev_b32_e32 v18, 9, v18
	v_or_b32_e32 v13, 0x33000000, v13
	v_ffbh_u32_e32 v23, v15
	v_sub_nc_u32_e32 v19, v19, v22
	v_min_u32_e32 v22, 32, v23
	v_or_b32_e32 v18, v18, v19
	v_not_b32_e32 v19, v22
	v_mul_f32_e32 v23, 0x3fc90fda, v18
	v_add_lshl_u32 v21, v22, v21, 23
	v_alignbit_b32 v11, v15, v11, v19
	v_fma_f32 v15, 0x3fc90fda, v18, -v23
	v_sub_nc_u32_e32 v13, v13, v21
	v_lshrrev_b32_e32 v11, 9, v11
	v_fmamk_f32 v15, v18, 0x33a22168, v15
	v_or_b32_e32 v11, v13, v11
	v_fmac_f32_e32 v15, 0x3fc90fda, v11
	v_add_f32_e32 v11, v23, v15
.LBB73_18:
	s_andn2_saveexec_b32 s4, s8
; %bb.19:
	v_mul_f32_e64 v11, 0x3f22f983, |v6|
	v_rndne_f32_e32 v12, v11
	v_fma_f32 v11, 0xbfc90fda, v12, |v6|
	v_fmamk_f32 v11, v12, 0xb3a22168, v11
	v_fmamk_f32 v11, v12, 0xa7c234c4, v11
	v_cvt_i32_f32_e32 v12, v12
; %bb.20:
	s_or_b32 exec_lo, exec_lo, s4
	v_mul_f32_e32 v13, v11, v11
	s_mov_b32 s4, 0xb94c1982
	s_mov_b32 s5, 0x37d75334
	v_and_b32_e32 v18, 1, v12
	v_lshlrev_b32_e32 v12, 30, v12
	v_fmaak_f32 v15, s4, v13, 0x3c0881c4
	v_fmaak_f32 v16, s5, v13, 0xbab64f3b
	v_xor_b32_e32 v8, v8, v6
	v_cmp_eq_u32_e32 vcc_lo, 0, v18
	v_and_b32_e32 v12, 0x80000000, v12
	v_fmaak_f32 v15, v13, v15, 0xbe2aaa9d
	v_fmaak_f32 v16, v13, v16, 0x3d2aabf7
	v_sub_f32_e32 v17, 1.0, v17
	v_mul_f32_e32 v15, v13, v15
	v_fmaak_f32 v16, v13, v16, 0xbf000004
	v_fmac_f32_e32 v11, v11, v15
	v_fma_f32 v13, v13, v16, 1.0
	v_cndmask_b32_e32 v11, v13, v11, vcc_lo
	v_cmp_class_f32_e64 vcc_lo, v6, 0x1f8
	v_xor3_b32 v8, v8, v12, v11
	v_cndmask_b32_e32 v6, 0x7fc00000, v8, vcc_lo
	v_mul_f32_e32 v6, v6, v6
	v_div_scale_f32 v8, null, v6, v6, 0xc11de9e7
	v_div_scale_f32 v13, vcc_lo, 0xc11de9e7, v6, 0xc11de9e7
	v_rcp_f32_e32 v11, v8
	v_fma_f32 v12, -v8, v11, 1.0
	v_fmac_f32_e32 v11, v12, v11
	v_mul_f32_e32 v12, v13, v11
	v_fma_f32 v15, -v8, v12, v13
	v_fmac_f32_e32 v12, v15, v11
	v_fma_f32 v8, -v8, v12, v13
	v_div_fmas_f32 v8, v8, v11, v12
	v_div_fixup_f32 v6, v8, v6, 0xc11de9e7
	v_add_f32_e32 v8, 0, v6
	v_mov_b32_e32 v6, -1.0
.LBB73_21:
	s_or_b32 exec_lo, exec_lo, s7
	v_and_b32_e32 v18, 0xffff0000, v10
	v_mov_b32_e32 v11, 0
	v_mov_b32_e32 v10, 1.0
	s_mov_b32 s7, exec_lo
	v_cmpx_gt_f32_e32 0.5, v18
	s_cbranch_execz .LBB73_27
; %bb.22:
	v_mul_f32_e32 v10, 0x40490fdb, v18
                                        ; implicit-def: $vgpr13
                                        ; implicit-def: $vgpr12
	s_mov_b32 s5, exec_lo
	v_and_b32_e32 v11, 0x7fffffff, v10
	v_cmpx_ngt_f32_e64 0x48000000, |v10|
	s_xor_b32 s8, exec_lo, s5
	s_cbranch_execz .LBB73_24
; %bb.23:
	s_mov_b32 s4, 0x7fffff
	v_mov_b32_e32 v16, 0
	v_and_or_b32 v19, v11, s4, 0x800000
	v_mad_u64_u32 v[12:13], null, 0xfe5163ab, v19, 0
	v_mov_b32_e32 v15, v13
	v_lshrrev_b32_e32 v13, 23, v11
	v_mad_u64_u32 v[21:22], null, 0x3c439041, v19, v[15:16]
	v_add_nc_u32_e32 v13, 0xffffff88, v13
	v_cmp_lt_u32_e32 vcc_lo, 63, v13
	v_mov_b32_e32 v15, v22
	v_cndmask_b32_e64 v26, 0, 0xffffffc0, vcc_lo
	v_mad_u64_u32 v[22:23], null, 0xdb629599, v19, v[15:16]
	v_add_nc_u32_e32 v13, v26, v13
	v_mov_b32_e32 v15, v23
	v_cmp_lt_u32_e64 s4, 31, v13
	v_cndmask_b32_e32 v12, v22, v12, vcc_lo
	v_mad_u64_u32 v[23:24], null, 0xf534ddc0, v19, v[15:16]
	v_cndmask_b32_e64 v27, 0, 0xffffffe0, s4
	v_add_nc_u32_e32 v13, v27, v13
	v_mov_b32_e32 v15, v24
	v_cmp_lt_u32_e64 s5, 31, v13
	v_mad_u64_u32 v[24:25], null, 0xfc2757d1, v19, v[15:16]
	v_mov_b32_e32 v15, v25
	v_mad_u64_u32 v[25:26], null, 0x4e441529, v19, v[15:16]
	v_mov_b32_e32 v15, v26
	v_cndmask_b32_e32 v26, v25, v23, vcc_lo
	v_mad_u64_u32 v[15:16], null, 0xa2f9836e, v19, v[15:16]
	v_cndmask_b32_e64 v19, 0, 0xffffffe0, s5
	v_add_nc_u32_e32 v13, v19, v13
	v_cndmask_b32_e32 v15, v15, v24, vcc_lo
	v_cndmask_b32_e32 v16, v16, v25, vcc_lo
	;; [unrolled: 1-line block ×4, first 2 shown]
	v_sub_nc_u32_e32 v23, 32, v13
	v_cndmask_b32_e64 v21, v15, v26, s4
	v_cndmask_b32_e64 v15, v16, v15, s4
	;; [unrolled: 1-line block ×4, first 2 shown]
	v_cmp_eq_u32_e32 vcc_lo, 0, v13
	v_cndmask_b32_e64 v12, v19, v12, s4
	v_cndmask_b32_e64 v15, v15, v21, s5
	;; [unrolled: 1-line block ×5, first 2 shown]
	v_alignbit_b32 v25, v15, v21, v23
	v_alignbit_b32 v22, v21, v16, v23
	;; [unrolled: 1-line block ×3, first 2 shown]
	v_cndmask_b32_e32 v13, v25, v15, vcc_lo
	v_cndmask_b32_e32 v15, v22, v21, vcc_lo
	;; [unrolled: 1-line block ×3, first 2 shown]
	v_bfe_u32 v19, v13, 29, 1
	v_alignbit_b32 v21, v13, v15, 30
	v_alignbit_b32 v15, v15, v16, 30
	;; [unrolled: 1-line block ×3, first 2 shown]
	v_sub_nc_u32_e32 v22, 0, v19
	v_xor_b32_e32 v21, v21, v22
	v_xor_b32_e32 v15, v15, v22
	;; [unrolled: 1-line block ×3, first 2 shown]
	v_lshrrev_b32_e32 v22, 29, v13
	v_lshrrev_b32_e32 v13, 30, v13
	v_ffbh_u32_e32 v23, v21
	v_add_nc_u32_e32 v13, v19, v13
	v_min_u32_e32 v23, 32, v23
	v_sub_nc_u32_e32 v16, 31, v23
	v_lshlrev_b32_e32 v24, 23, v23
	v_alignbit_b32 v21, v21, v15, v16
	v_alignbit_b32 v12, v15, v12, v16
	v_lshlrev_b32_e32 v15, 31, v22
	v_alignbit_b32 v16, v21, v12, 9
	v_or_b32_e32 v22, 0.5, v15
	v_lshrrev_b32_e32 v21, 9, v21
	v_or_b32_e32 v15, 0x33000000, v15
	v_ffbh_u32_e32 v25, v16
	v_sub_nc_u32_e32 v22, v22, v24
	v_min_u32_e32 v24, 32, v25
	v_or_b32_e32 v21, v21, v22
	v_not_b32_e32 v22, v24
	v_mul_f32_e32 v25, 0x3fc90fda, v21
	v_add_lshl_u32 v23, v24, v23, 23
	v_alignbit_b32 v12, v16, v12, v22
	v_fma_f32 v16, 0x3fc90fda, v21, -v25
	v_sub_nc_u32_e32 v15, v15, v23
	v_lshrrev_b32_e32 v12, 9, v12
	v_fmamk_f32 v16, v21, 0x33a22168, v16
	v_or_b32_e32 v12, v15, v12
	v_fmac_f32_e32 v16, 0x3fc90fda, v12
	v_add_f32_e32 v12, v25, v16
.LBB73_24:
	s_andn2_saveexec_b32 s4, s8
; %bb.25:
	v_mul_f32_e64 v12, 0x3f22f983, |v10|
	v_rndne_f32_e32 v13, v12
	v_fma_f32 v12, 0xbfc90fda, v13, |v10|
	v_fmamk_f32 v12, v13, 0xb3a22168, v12
	v_fmamk_f32 v12, v13, 0xa7c234c4, v12
	v_cvt_i32_f32_e32 v13, v13
; %bb.26:
	s_or_b32 exec_lo, exec_lo, s4
	v_mul_f32_e32 v15, v12, v12
	s_mov_b32 s4, 0xb94c1982
	s_mov_b32 s5, 0x37d75334
	v_and_b32_e32 v21, 1, v13
	v_lshlrev_b32_e32 v13, 30, v13
	v_fmaak_f32 v16, s4, v15, 0x3c0881c4
	v_fmaak_f32 v19, s5, v15, 0xbab64f3b
	v_xor_b32_e32 v11, v11, v10
	v_cmp_eq_u32_e32 vcc_lo, 0, v21
	v_and_b32_e32 v13, 0x80000000, v13
	v_fmaak_f32 v16, v15, v16, 0xbe2aaa9d
	v_fmaak_f32 v19, v15, v19, 0x3d2aabf7
	v_sub_f32_e32 v18, 1.0, v18
	v_mul_f32_e32 v16, v15, v16
	v_fmaak_f32 v19, v15, v19, 0xbf000004
	v_fmac_f32_e32 v12, v12, v16
	v_fma_f32 v15, v15, v19, 1.0
	v_cndmask_b32_e32 v12, v15, v12, vcc_lo
	v_cmp_class_f32_e64 vcc_lo, v10, 0x1f8
	v_xor3_b32 v11, v11, v13, v12
	v_cndmask_b32_e32 v10, 0x7fc00000, v11, vcc_lo
	v_mul_f32_e32 v10, v10, v10
	v_div_scale_f32 v11, null, v10, v10, 0xc11de9e7
	v_div_scale_f32 v15, vcc_lo, 0xc11de9e7, v10, 0xc11de9e7
	v_rcp_f32_e32 v12, v11
	v_fma_f32 v13, -v11, v12, 1.0
	v_fmac_f32_e32 v12, v13, v12
	v_mul_f32_e32 v13, v15, v12
	v_fma_f32 v16, -v11, v13, v15
	v_fmac_f32_e32 v13, v16, v12
	v_fma_f32 v11, -v11, v13, v15
	v_div_fmas_f32 v11, v11, v12, v13
	v_div_fixup_f32 v10, v11, v10, 0xc11de9e7
	v_add_f32_e32 v11, 0, v10
	v_mov_b32_e32 v10, -1.0
.LBB73_27:
	s_or_b32 exec_lo, exec_lo, s7
	s_waitcnt vmcnt(1)
	v_lshlrev_b32_e32 v36, 16, v14
	v_mov_b32_e32 v13, 0
	v_mov_b32_e32 v12, 1.0
	s_mov_b32 s7, exec_lo
	v_cmpx_gt_f32_e32 0.5, v36
	s_cbranch_execz .LBB73_33
; %bb.28:
	v_mul_f32_e32 v12, 0x40490fdb, v36
                                        ; implicit-def: $vgpr16
                                        ; implicit-def: $vgpr15
	s_mov_b32 s5, exec_lo
	v_and_b32_e32 v13, 0x7fffffff, v12
	v_cmpx_ngt_f32_e64 0x48000000, |v12|
	s_xor_b32 s8, exec_lo, s5
	s_cbranch_execz .LBB73_30
; %bb.29:
	s_mov_b32 s4, 0x7fffff
	v_mov_b32_e32 v22, 0
	v_and_or_b32 v19, v13, s4, 0x800000
	v_mad_u64_u32 v[15:16], null, 0xfe5163ab, v19, 0
	v_mov_b32_e32 v21, v16
	v_lshrrev_b32_e32 v16, 23, v13
	v_mad_u64_u32 v[23:24], null, 0x3c439041, v19, v[21:22]
	v_add_nc_u32_e32 v16, 0xffffff88, v16
	v_cmp_lt_u32_e32 vcc_lo, 63, v16
	v_mov_b32_e32 v21, v24
	v_cndmask_b32_e64 v28, 0, 0xffffffc0, vcc_lo
	v_mad_u64_u32 v[24:25], null, 0xdb629599, v19, v[21:22]
	v_add_nc_u32_e32 v16, v28, v16
	v_mov_b32_e32 v21, v25
	v_cmp_lt_u32_e64 s4, 31, v16
	v_cndmask_b32_e32 v15, v24, v15, vcc_lo
	v_mad_u64_u32 v[25:26], null, 0xf534ddc0, v19, v[21:22]
	v_cndmask_b32_e64 v29, 0, 0xffffffe0, s4
	v_add_nc_u32_e32 v16, v29, v16
	v_mov_b32_e32 v21, v26
	v_cmp_lt_u32_e64 s5, 31, v16
	v_mad_u64_u32 v[26:27], null, 0xfc2757d1, v19, v[21:22]
	v_mov_b32_e32 v21, v27
	v_mad_u64_u32 v[27:28], null, 0x4e441529, v19, v[21:22]
	v_mov_b32_e32 v21, v28
	v_cndmask_b32_e32 v28, v27, v25, vcc_lo
	v_mad_u64_u32 v[21:22], null, 0xa2f9836e, v19, v[21:22]
	v_cndmask_b32_e64 v19, 0, 0xffffffe0, s5
	v_add_nc_u32_e32 v16, v19, v16
	v_cndmask_b32_e32 v21, v21, v26, vcc_lo
	v_cndmask_b32_e32 v22, v22, v27, vcc_lo
	;; [unrolled: 1-line block ×4, first 2 shown]
	v_sub_nc_u32_e32 v25, 32, v16
	v_cndmask_b32_e64 v23, v21, v28, s4
	v_cndmask_b32_e64 v21, v22, v21, s4
	;; [unrolled: 1-line block ×4, first 2 shown]
	v_cmp_eq_u32_e32 vcc_lo, 0, v16
	v_cndmask_b32_e64 v15, v19, v15, s4
	v_cndmask_b32_e64 v21, v21, v23, s5
	v_cndmask_b32_e64 v23, v23, v22, s5
	v_cndmask_b32_e64 v22, v22, v26, s5
	v_cndmask_b32_e64 v15, v26, v15, s5
	v_alignbit_b32 v27, v21, v23, v25
	v_alignbit_b32 v24, v23, v22, v25
	;; [unrolled: 1-line block ×3, first 2 shown]
	v_cndmask_b32_e32 v16, v27, v21, vcc_lo
	v_cndmask_b32_e32 v19, v24, v23, vcc_lo
	;; [unrolled: 1-line block ×3, first 2 shown]
	v_bfe_u32 v21, v16, 29, 1
	v_alignbit_b32 v23, v16, v19, 30
	v_alignbit_b32 v19, v19, v22, 30
	;; [unrolled: 1-line block ×3, first 2 shown]
	v_sub_nc_u32_e32 v24, 0, v21
	v_xor_b32_e32 v23, v23, v24
	v_xor_b32_e32 v19, v19, v24
	;; [unrolled: 1-line block ×3, first 2 shown]
	v_lshrrev_b32_e32 v24, 29, v16
	v_lshrrev_b32_e32 v16, 30, v16
	v_ffbh_u32_e32 v25, v23
	v_add_nc_u32_e32 v16, v21, v16
	v_min_u32_e32 v25, 32, v25
	v_sub_nc_u32_e32 v22, 31, v25
	v_lshlrev_b32_e32 v26, 23, v25
	v_alignbit_b32 v23, v23, v19, v22
	v_alignbit_b32 v15, v19, v15, v22
	v_lshlrev_b32_e32 v19, 31, v24
	v_alignbit_b32 v22, v23, v15, 9
	v_or_b32_e32 v24, 0.5, v19
	v_lshrrev_b32_e32 v23, 9, v23
	v_or_b32_e32 v19, 0x33000000, v19
	v_ffbh_u32_e32 v27, v22
	v_sub_nc_u32_e32 v24, v24, v26
	v_min_u32_e32 v26, 32, v27
	v_or_b32_e32 v23, v23, v24
	v_not_b32_e32 v24, v26
	v_mul_f32_e32 v27, 0x3fc90fda, v23
	v_add_lshl_u32 v25, v26, v25, 23
	v_alignbit_b32 v15, v22, v15, v24
	v_fma_f32 v22, 0x3fc90fda, v23, -v27
	v_sub_nc_u32_e32 v19, v19, v25
	v_lshrrev_b32_e32 v15, 9, v15
	v_fmamk_f32 v22, v23, 0x33a22168, v22
	v_or_b32_e32 v15, v19, v15
	v_fmac_f32_e32 v22, 0x3fc90fda, v15
	v_add_f32_e32 v15, v27, v22
.LBB73_30:
	s_andn2_saveexec_b32 s4, s8
; %bb.31:
	v_mul_f32_e64 v15, 0x3f22f983, |v12|
	v_rndne_f32_e32 v16, v15
	v_fma_f32 v15, 0xbfc90fda, v16, |v12|
	v_fmamk_f32 v15, v16, 0xb3a22168, v15
	v_fmamk_f32 v15, v16, 0xa7c234c4, v15
	v_cvt_i32_f32_e32 v16, v16
; %bb.32:
	s_or_b32 exec_lo, exec_lo, s4
	v_mul_f32_e32 v19, v15, v15
	s_mov_b32 s4, 0xb94c1982
	s_mov_b32 s5, 0x37d75334
	v_and_b32_e32 v23, 1, v16
	v_lshlrev_b32_e32 v16, 30, v16
	v_fmaak_f32 v21, s4, v19, 0x3c0881c4
	v_fmaak_f32 v22, s5, v19, 0xbab64f3b
	v_xor_b32_e32 v13, v13, v12
	v_cmp_eq_u32_e32 vcc_lo, 0, v23
	v_and_b32_e32 v16, 0x80000000, v16
	v_fmaak_f32 v21, v19, v21, 0xbe2aaa9d
	v_fmaak_f32 v22, v19, v22, 0x3d2aabf7
	v_sub_f32_e32 v36, 1.0, v36
	v_mul_f32_e32 v21, v19, v21
	v_fmaak_f32 v22, v19, v22, 0xbf000004
	v_fmac_f32_e32 v15, v15, v21
	v_fma_f32 v19, v19, v22, 1.0
	v_cndmask_b32_e32 v15, v19, v15, vcc_lo
	v_cmp_class_f32_e64 vcc_lo, v12, 0x1f8
	v_xor3_b32 v13, v13, v16, v15
	v_cndmask_b32_e32 v12, 0x7fc00000, v13, vcc_lo
	v_mul_f32_e32 v12, v12, v12
	v_div_scale_f32 v13, null, v12, v12, 0xc11de9e7
	v_div_scale_f32 v19, vcc_lo, 0xc11de9e7, v12, 0xc11de9e7
	v_rcp_f32_e32 v15, v13
	v_fma_f32 v16, -v13, v15, 1.0
	v_fmac_f32_e32 v15, v16, v15
	v_mul_f32_e32 v16, v19, v15
	v_fma_f32 v21, -v13, v16, v19
	v_fmac_f32_e32 v16, v21, v15
	v_fma_f32 v13, -v13, v16, v19
	v_div_fmas_f32 v13, v13, v15, v16
	v_div_fixup_f32 v12, v13, v12, 0xc11de9e7
	v_add_f32_e32 v13, 0, v12
	v_mov_b32_e32 v12, -1.0
.LBB73_33:
	s_or_b32 exec_lo, exec_lo, s7
	v_and_b32_e32 v51, 0xffff0000, v14
	v_mov_b32_e32 v15, 0
	v_mov_b32_e32 v14, 1.0
	s_mov_b32 s7, exec_lo
	v_cmpx_gt_f32_e32 0.5, v51
	s_cbranch_execz .LBB73_39
; %bb.34:
	v_mul_f32_e32 v14, 0x40490fdb, v51
                                        ; implicit-def: $vgpr19
                                        ; implicit-def: $vgpr16
	s_mov_b32 s5, exec_lo
	v_and_b32_e32 v15, 0x7fffffff, v14
	v_cmpx_ngt_f32_e64 0x48000000, |v14|
	s_xor_b32 s8, exec_lo, s5
	s_cbranch_execz .LBB73_36
; %bb.35:
	s_mov_b32 s4, 0x7fffff
	v_mov_b32_e32 v23, 0
	v_and_or_b32 v16, v15, s4, 0x800000
	v_lshrrev_b32_e32 v19, 23, v15
	v_mad_u64_u32 v[21:22], null, 0xfe5163ab, v16, 0
	v_add_nc_u32_e32 v19, 0xffffff88, v19
	v_cmp_lt_u32_e32 vcc_lo, 63, v19
	v_mad_u64_u32 v[24:25], null, 0x3c439041, v16, v[22:23]
	v_cndmask_b32_e64 v29, 0, 0xffffffc0, vcc_lo
	v_mov_b32_e32 v22, v25
	v_add_nc_u32_e32 v19, v29, v19
	v_mad_u64_u32 v[25:26], null, 0xdb629599, v16, v[22:23]
	v_cmp_lt_u32_e64 s4, 31, v19
	v_cndmask_b32_e64 v30, 0, 0xffffffe0, s4
	v_mov_b32_e32 v22, v26
	v_cndmask_b32_e32 v21, v25, v21, vcc_lo
	v_add_nc_u32_e32 v19, v30, v19
	v_mad_u64_u32 v[26:27], null, 0xf534ddc0, v16, v[22:23]
	v_cmp_lt_u32_e64 s5, 31, v19
	v_mov_b32_e32 v22, v27
	v_mad_u64_u32 v[27:28], null, 0xfc2757d1, v16, v[22:23]
	v_mov_b32_e32 v22, v28
	v_mad_u64_u32 v[28:29], null, 0x4e441529, v16, v[22:23]
	v_mov_b32_e32 v22, v29
	v_cndmask_b32_e32 v29, v28, v26, vcc_lo
	v_mad_u64_u32 v[22:23], null, 0xa2f9836e, v16, v[22:23]
	v_cndmask_b32_e64 v16, 0, 0xffffffe0, s5
	v_add_nc_u32_e32 v16, v16, v19
	v_cndmask_b32_e32 v22, v22, v27, vcc_lo
	v_cndmask_b32_e32 v23, v23, v28, vcc_lo
	v_cndmask_b32_e32 v27, v27, v25, vcc_lo
	v_cndmask_b32_e32 v19, v26, v24, vcc_lo
	v_sub_nc_u32_e32 v26, 32, v16
	v_cndmask_b32_e64 v24, v22, v29, s4
	v_cndmask_b32_e64 v22, v23, v22, s4
	;; [unrolled: 1-line block ×4, first 2 shown]
	v_cmp_eq_u32_e32 vcc_lo, 0, v16
	v_cndmask_b32_e64 v19, v19, v21, s4
	v_cndmask_b32_e64 v22, v22, v24, s5
	;; [unrolled: 1-line block ×5, first 2 shown]
	v_alignbit_b32 v28, v22, v24, v26
	v_alignbit_b32 v25, v24, v23, v26
	;; [unrolled: 1-line block ×3, first 2 shown]
	v_cndmask_b32_e32 v16, v28, v22, vcc_lo
	v_cndmask_b32_e32 v21, v25, v24, vcc_lo
	;; [unrolled: 1-line block ×3, first 2 shown]
	v_bfe_u32 v22, v16, 29, 1
	v_alignbit_b32 v24, v16, v21, 30
	v_alignbit_b32 v21, v21, v23, 30
	;; [unrolled: 1-line block ×3, first 2 shown]
	v_sub_nc_u32_e32 v25, 0, v22
	v_xor_b32_e32 v24, v24, v25
	v_xor_b32_e32 v21, v21, v25
	;; [unrolled: 1-line block ×3, first 2 shown]
	v_lshrrev_b32_e32 v25, 29, v16
	v_ffbh_u32_e32 v26, v24
	v_min_u32_e32 v26, 32, v26
	v_sub_nc_u32_e32 v23, 31, v26
	v_lshlrev_b32_e32 v27, 23, v26
	v_alignbit_b32 v24, v24, v21, v23
	v_alignbit_b32 v19, v21, v19, v23
	v_lshlrev_b32_e32 v21, 31, v25
	v_alignbit_b32 v23, v24, v19, 9
	v_or_b32_e32 v25, 0.5, v21
	v_lshrrev_b32_e32 v24, 9, v24
	v_or_b32_e32 v21, 0x33000000, v21
	v_ffbh_u32_e32 v28, v23
	v_sub_nc_u32_e32 v25, v25, v27
	v_min_u32_e32 v27, 32, v28
	v_or_b32_e32 v24, v24, v25
	v_not_b32_e32 v25, v27
	v_mul_f32_e32 v28, 0x3fc90fda, v24
	v_add_lshl_u32 v26, v27, v26, 23
	v_alignbit_b32 v19, v23, v19, v25
	v_fma_f32 v23, 0x3fc90fda, v24, -v28
	v_sub_nc_u32_e32 v21, v21, v26
	v_lshrrev_b32_e32 v19, 9, v19
	v_fmamk_f32 v23, v24, 0x33a22168, v23
	v_or_b32_e32 v19, v21, v19
	v_fmac_f32_e32 v23, 0x3fc90fda, v19
	v_lshrrev_b32_e32 v19, 30, v16
	v_add_f32_e32 v16, v28, v23
	v_add_nc_u32_e32 v19, v22, v19
.LBB73_36:
	s_andn2_saveexec_b32 s4, s8
; %bb.37:
	v_mul_f32_e64 v16, 0x3f22f983, |v14|
	v_rndne_f32_e32 v19, v16
	v_fma_f32 v16, 0xbfc90fda, v19, |v14|
	v_fmamk_f32 v16, v19, 0xb3a22168, v16
	v_fmamk_f32 v16, v19, 0xa7c234c4, v16
	v_cvt_i32_f32_e32 v19, v19
; %bb.38:
	s_or_b32 exec_lo, exec_lo, s4
	v_mul_f32_e32 v21, v16, v16
	s_mov_b32 s4, 0xb94c1982
	s_mov_b32 s5, 0x37d75334
	v_and_b32_e32 v24, 1, v19
	v_lshlrev_b32_e32 v19, 30, v19
	v_fmaak_f32 v22, s4, v21, 0x3c0881c4
	v_fmaak_f32 v23, s5, v21, 0xbab64f3b
	v_xor_b32_e32 v15, v15, v14
	v_cmp_eq_u32_e32 vcc_lo, 0, v24
	v_and_b32_e32 v19, 0x80000000, v19
	v_fmaak_f32 v22, v21, v22, 0xbe2aaa9d
	v_fmaak_f32 v23, v21, v23, 0x3d2aabf7
	v_sub_f32_e32 v51, 1.0, v51
	v_mul_f32_e32 v22, v21, v22
	v_fmaak_f32 v23, v21, v23, 0xbf000004
	v_fmac_f32_e32 v16, v16, v22
	v_fma_f32 v21, v21, v23, 1.0
	v_cndmask_b32_e32 v16, v21, v16, vcc_lo
	v_cmp_class_f32_e64 vcc_lo, v14, 0x1f8
	v_xor3_b32 v15, v15, v19, v16
	v_cndmask_b32_e32 v14, 0x7fc00000, v15, vcc_lo
	v_mul_f32_e32 v14, v14, v14
	v_div_scale_f32 v15, null, v14, v14, 0xc11de9e7
	v_div_scale_f32 v21, vcc_lo, 0xc11de9e7, v14, 0xc11de9e7
	v_rcp_f32_e32 v16, v15
	v_fma_f32 v19, -v15, v16, 1.0
	v_fmac_f32_e32 v16, v19, v16
	v_mul_f32_e32 v19, v21, v16
	v_fma_f32 v22, -v15, v19, v21
	v_fmac_f32_e32 v19, v22, v16
	v_fma_f32 v15, -v15, v19, v21
	v_div_fmas_f32 v15, v15, v16, v19
	v_div_fixup_f32 v14, v15, v14, 0xc11de9e7
	v_add_f32_e32 v15, 0, v14
	v_mov_b32_e32 v14, -1.0
.LBB73_39:
	s_or_b32 exec_lo, exec_lo, s7
	s_waitcnt vmcnt(0)
	v_lshlrev_b32_e32 v23, 16, v20
	v_mov_b32_e32 v19, 0
	v_mov_b32_e32 v16, 1.0
	s_mov_b32 s7, exec_lo
	v_cmpx_gt_f32_e32 0.5, v23
	s_cbranch_execz .LBB73_45
; %bb.40:
	v_mul_f32_e32 v16, 0x40490fdb, v23
                                        ; implicit-def: $vgpr22
                                        ; implicit-def: $vgpr21
	s_mov_b32 s5, exec_lo
	v_and_b32_e32 v19, 0x7fffffff, v16
	v_cmpx_ngt_f32_e64 0x48000000, |v16|
	s_xor_b32 s8, exec_lo, s5
	s_cbranch_execz .LBB73_42
; %bb.41:
	s_mov_b32 s4, 0x7fffff
	v_mov_b32_e32 v25, 0
	v_and_or_b32 v32, v19, s4, 0x800000
	v_mad_u64_u32 v[21:22], null, 0xfe5163ab, v32, 0
	v_mov_b32_e32 v24, v22
	v_lshrrev_b32_e32 v22, 23, v19
	v_mad_u64_u32 v[26:27], null, 0x3c439041, v32, v[24:25]
	v_add_nc_u32_e32 v22, 0xffffff88, v22
	v_cmp_lt_u32_e32 vcc_lo, 63, v22
	v_mov_b32_e32 v24, v27
	v_cndmask_b32_e64 v31, 0, 0xffffffc0, vcc_lo
	v_mad_u64_u32 v[27:28], null, 0xdb629599, v32, v[24:25]
	v_add_nc_u32_e32 v22, v31, v22
	v_mov_b32_e32 v24, v28
	v_cmp_lt_u32_e64 s4, 31, v22
	v_cndmask_b32_e32 v21, v27, v21, vcc_lo
	v_mad_u64_u32 v[28:29], null, 0xf534ddc0, v32, v[24:25]
	v_cndmask_b32_e64 v33, 0, 0xffffffe0, s4
	v_add_nc_u32_e32 v22, v33, v22
	v_mov_b32_e32 v24, v29
	v_cndmask_b32_e32 v26, v28, v26, vcc_lo
	v_cmp_lt_u32_e64 s5, 31, v22
	v_mad_u64_u32 v[29:30], null, 0xfc2757d1, v32, v[24:25]
	v_cndmask_b32_e64 v21, v26, v21, s4
	v_mov_b32_e32 v24, v30
	v_mad_u64_u32 v[30:31], null, 0x4e441529, v32, v[24:25]
	v_mov_b32_e32 v24, v31
	v_cndmask_b32_e64 v31, 0, 0xffffffe0, s5
	v_mad_u64_u32 v[24:25], null, 0xa2f9836e, v32, v[24:25]
	v_cndmask_b32_e32 v32, v30, v28, vcc_lo
	v_add_nc_u32_e32 v22, v31, v22
	v_cndmask_b32_e32 v24, v24, v29, vcc_lo
	v_cndmask_b32_e32 v25, v25, v30, vcc_lo
	;; [unrolled: 1-line block ×3, first 2 shown]
	v_sub_nc_u32_e32 v30, 32, v22
	v_cmp_eq_u32_e32 vcc_lo, 0, v22
	v_cndmask_b32_e64 v28, v24, v32, s4
	v_cndmask_b32_e64 v24, v25, v24, s4
	;; [unrolled: 1-line block ×8, first 2 shown]
	v_alignbit_b32 v31, v24, v28, v30
	v_alignbit_b32 v27, v28, v25, v30
	;; [unrolled: 1-line block ×3, first 2 shown]
	v_cndmask_b32_e32 v22, v31, v24, vcc_lo
	v_cndmask_b32_e32 v24, v27, v28, vcc_lo
	;; [unrolled: 1-line block ×3, first 2 shown]
	v_bfe_u32 v26, v22, 29, 1
	v_alignbit_b32 v27, v22, v24, 30
	v_alignbit_b32 v24, v24, v25, 30
	;; [unrolled: 1-line block ×3, first 2 shown]
	v_sub_nc_u32_e32 v28, 0, v26
	v_xor_b32_e32 v27, v27, v28
	v_xor_b32_e32 v24, v24, v28
	;; [unrolled: 1-line block ×3, first 2 shown]
	v_lshrrev_b32_e32 v28, 29, v22
	v_lshrrev_b32_e32 v22, 30, v22
	v_ffbh_u32_e32 v29, v27
	v_add_nc_u32_e32 v22, v26, v22
	v_min_u32_e32 v29, 32, v29
	v_sub_nc_u32_e32 v25, 31, v29
	v_lshlrev_b32_e32 v30, 23, v29
	v_alignbit_b32 v27, v27, v24, v25
	v_alignbit_b32 v21, v24, v21, v25
	v_lshlrev_b32_e32 v24, 31, v28
	v_alignbit_b32 v25, v27, v21, 9
	v_or_b32_e32 v28, 0.5, v24
	v_lshrrev_b32_e32 v27, 9, v27
	v_or_b32_e32 v24, 0x33000000, v24
	v_ffbh_u32_e32 v31, v25
	v_sub_nc_u32_e32 v28, v28, v30
	v_min_u32_e32 v30, 32, v31
	v_or_b32_e32 v27, v27, v28
	v_not_b32_e32 v28, v30
	v_mul_f32_e32 v31, 0x3fc90fda, v27
	v_add_lshl_u32 v29, v30, v29, 23
	v_alignbit_b32 v21, v25, v21, v28
	v_fma_f32 v25, 0x3fc90fda, v27, -v31
	v_sub_nc_u32_e32 v24, v24, v29
	v_lshrrev_b32_e32 v21, 9, v21
	v_fmamk_f32 v25, v27, 0x33a22168, v25
	v_or_b32_e32 v21, v24, v21
	v_fmac_f32_e32 v25, 0x3fc90fda, v21
	v_add_f32_e32 v21, v31, v25
.LBB73_42:
	s_andn2_saveexec_b32 s4, s8
; %bb.43:
	v_mul_f32_e64 v21, 0x3f22f983, |v16|
	v_rndne_f32_e32 v22, v21
	v_fma_f32 v21, 0xbfc90fda, v22, |v16|
	v_fmamk_f32 v21, v22, 0xb3a22168, v21
	v_fmamk_f32 v21, v22, 0xa7c234c4, v21
	v_cvt_i32_f32_e32 v22, v22
; %bb.44:
	s_or_b32 exec_lo, exec_lo, s4
	v_mul_f32_e32 v24, v21, v21
	s_mov_b32 s4, 0xb94c1982
	s_mov_b32 s5, 0x37d75334
	v_and_b32_e32 v27, 1, v22
	v_lshlrev_b32_e32 v22, 30, v22
	v_fmaak_f32 v25, s4, v24, 0x3c0881c4
	v_fmaak_f32 v26, s5, v24, 0xbab64f3b
	v_xor_b32_e32 v19, v19, v16
	v_cmp_eq_u32_e32 vcc_lo, 0, v27
	v_and_b32_e32 v22, 0x80000000, v22
	v_fmaak_f32 v25, v24, v25, 0xbe2aaa9d
	v_fmaak_f32 v26, v24, v26, 0x3d2aabf7
	v_sub_f32_e32 v23, 1.0, v23
	v_mul_f32_e32 v25, v24, v25
	v_fmaak_f32 v26, v24, v26, 0xbf000004
	v_fmac_f32_e32 v21, v21, v25
	v_fma_f32 v24, v24, v26, 1.0
	v_cndmask_b32_e32 v21, v24, v21, vcc_lo
	v_cmp_class_f32_e64 vcc_lo, v16, 0x1f8
	v_xor3_b32 v19, v19, v22, v21
	v_cndmask_b32_e32 v16, 0x7fc00000, v19, vcc_lo
	v_mul_f32_e32 v16, v16, v16
	v_div_scale_f32 v19, null, v16, v16, 0xc11de9e7
	v_div_scale_f32 v24, vcc_lo, 0xc11de9e7, v16, 0xc11de9e7
	v_rcp_f32_e32 v21, v19
	v_fma_f32 v22, -v19, v21, 1.0
	v_fmac_f32_e32 v21, v22, v21
	v_mul_f32_e32 v22, v24, v21
	v_fma_f32 v25, -v19, v22, v24
	v_fmac_f32_e32 v22, v25, v21
	v_fma_f32 v19, -v19, v22, v24
	v_div_fmas_f32 v19, v19, v21, v22
	v_div_fixup_f32 v16, v19, v16, 0xc11de9e7
	v_add_f32_e32 v19, 0, v16
	v_mov_b32_e32 v16, -1.0
.LBB73_45:
	s_or_b32 exec_lo, exec_lo, s7
	v_and_b32_e32 v22, 0xffff0000, v20
	v_mov_b32_e32 v21, 0
	v_mov_b32_e32 v20, 1.0
	s_mov_b32 s7, exec_lo
	v_cmpx_gt_f32_e32 0.5, v22
	s_cbranch_execz .LBB73_51
; %bb.46:
	v_mul_f32_e32 v20, 0x40490fdb, v22
                                        ; implicit-def: $vgpr25
                                        ; implicit-def: $vgpr24
	s_mov_b32 s5, exec_lo
	v_and_b32_e32 v21, 0x7fffffff, v20
	v_cmpx_ngt_f32_e64 0x48000000, |v20|
	s_xor_b32 s8, exec_lo, s5
	s_cbranch_execz .LBB73_48
; %bb.47:
	s_mov_b32 s4, 0x7fffff
	v_mov_b32_e32 v26, 0
	v_and_or_b32 v33, v21, s4, 0x800000
	v_lshrrev_b32_e32 v31, 23, v21
	v_mad_u64_u32 v[24:25], null, 0xfe5163ab, v33, 0
	v_add_nc_u32_e32 v32, 0xffffff88, v31
	v_cmp_lt_u32_e32 vcc_lo, 63, v32
	v_mad_u64_u32 v[27:28], null, 0x3c439041, v33, v[25:26]
	v_cndmask_b32_e64 v34, 0, 0xffffffc0, vcc_lo
	v_mov_b32_e32 v25, v28
	v_add_nc_u32_e32 v34, v34, v32
	v_mad_u64_u32 v[28:29], null, 0xdb629599, v33, v[25:26]
	v_cmp_lt_u32_e64 s4, 31, v34
	v_cndmask_b32_e64 v35, 0, 0xffffffe0, s4
	v_mov_b32_e32 v25, v29
	v_cndmask_b32_e32 v24, v28, v24, vcc_lo
	v_mad_u64_u32 v[29:30], null, 0xf534ddc0, v33, v[25:26]
	v_mov_b32_e32 v25, v30
	v_cndmask_b32_e32 v27, v29, v27, vcc_lo
	v_mad_u64_u32 v[30:31], null, 0xfc2757d1, v33, v[25:26]
	v_cndmask_b32_e64 v24, v27, v24, s4
	v_mov_b32_e32 v25, v31
	v_mad_u64_u32 v[31:32], null, 0x4e441529, v33, v[25:26]
	v_mov_b32_e32 v25, v32
	v_add_nc_u32_e32 v32, v35, v34
	v_cndmask_b32_e32 v34, v31, v29, vcc_lo
	v_mad_u64_u32 v[25:26], null, 0xa2f9836e, v33, v[25:26]
	v_cmp_lt_u32_e64 s5, 31, v32
	v_cndmask_b32_e64 v33, 0, 0xffffffe0, s5
	v_cndmask_b32_e32 v25, v25, v30, vcc_lo
	v_cndmask_b32_e32 v26, v26, v31, vcc_lo
	;; [unrolled: 1-line block ×3, first 2 shown]
	v_add_nc_u32_e32 v31, v33, v32
	v_cndmask_b32_e64 v29, v25, v34, s4
	v_cndmask_b32_e64 v25, v26, v25, s4
	;; [unrolled: 1-line block ×4, first 2 shown]
	v_sub_nc_u32_e32 v32, 32, v31
	v_cmp_eq_u32_e32 vcc_lo, 0, v31
	v_cndmask_b32_e64 v25, v25, v29, s5
	v_cndmask_b32_e64 v29, v29, v26, s5
	;; [unrolled: 1-line block ×4, first 2 shown]
	v_alignbit_b32 v33, v25, v29, v32
	v_alignbit_b32 v28, v29, v26, v32
	;; [unrolled: 1-line block ×3, first 2 shown]
	v_cndmask_b32_e32 v25, v33, v25, vcc_lo
	v_cndmask_b32_e32 v27, v28, v29, vcc_lo
	;; [unrolled: 1-line block ×3, first 2 shown]
	v_bfe_u32 v28, v25, 29, 1
	v_alignbit_b32 v29, v25, v27, 30
	v_alignbit_b32 v27, v27, v26, 30
	;; [unrolled: 1-line block ×3, first 2 shown]
	v_sub_nc_u32_e32 v30, 0, v28
	v_xor_b32_e32 v29, v29, v30
	v_xor_b32_e32 v26, v27, v30
	;; [unrolled: 1-line block ×3, first 2 shown]
	v_lshrrev_b32_e32 v30, 29, v25
	v_lshrrev_b32_e32 v25, 30, v25
	v_ffbh_u32_e32 v31, v29
	v_add_nc_u32_e32 v25, v28, v25
	v_min_u32_e32 v31, 32, v31
	v_sub_nc_u32_e32 v27, 31, v31
	v_lshlrev_b32_e32 v32, 23, v31
	v_alignbit_b32 v29, v29, v26, v27
	v_alignbit_b32 v24, v26, v24, v27
	v_lshlrev_b32_e32 v26, 31, v30
	v_alignbit_b32 v27, v29, v24, 9
	v_or_b32_e32 v30, 0.5, v26
	v_lshrrev_b32_e32 v29, 9, v29
	v_or_b32_e32 v26, 0x33000000, v26
	v_ffbh_u32_e32 v33, v27
	v_sub_nc_u32_e32 v30, v30, v32
	v_min_u32_e32 v32, 32, v33
	v_or_b32_e32 v29, v29, v30
	v_not_b32_e32 v30, v32
	v_mul_f32_e32 v33, 0x3fc90fda, v29
	v_add_lshl_u32 v31, v32, v31, 23
	v_alignbit_b32 v24, v27, v24, v30
	v_fma_f32 v27, 0x3fc90fda, v29, -v33
	v_sub_nc_u32_e32 v26, v26, v31
	v_lshrrev_b32_e32 v24, 9, v24
	v_fmamk_f32 v27, v29, 0x33a22168, v27
	v_or_b32_e32 v24, v26, v24
	v_fmac_f32_e32 v27, 0x3fc90fda, v24
	v_add_f32_e32 v24, v33, v27
.LBB73_48:
	s_andn2_saveexec_b32 s4, s8
; %bb.49:
	v_mul_f32_e64 v24, 0x3f22f983, |v20|
	v_rndne_f32_e32 v25, v24
	v_fma_f32 v24, 0xbfc90fda, v25, |v20|
	v_fmamk_f32 v24, v25, 0xb3a22168, v24
	v_fmamk_f32 v24, v25, 0xa7c234c4, v24
	v_cvt_i32_f32_e32 v25, v25
; %bb.50:
	s_or_b32 exec_lo, exec_lo, s4
	v_mul_f32_e32 v26, v24, v24
	s_mov_b32 s4, 0xb94c1982
	s_mov_b32 s5, 0x37d75334
	v_and_b32_e32 v29, 1, v25
	v_lshlrev_b32_e32 v25, 30, v25
	v_fmaak_f32 v27, s4, v26, 0x3c0881c4
	v_fmaak_f32 v28, s5, v26, 0xbab64f3b
	v_xor_b32_e32 v21, v21, v20
	v_cmp_eq_u32_e32 vcc_lo, 0, v29
	v_and_b32_e32 v25, 0x80000000, v25
	v_fmaak_f32 v27, v26, v27, 0xbe2aaa9d
	v_fmaak_f32 v28, v26, v28, 0x3d2aabf7
	v_sub_f32_e32 v22, 1.0, v22
	v_mul_f32_e32 v27, v26, v27
	v_fmaak_f32 v28, v26, v28, 0xbf000004
	v_fmac_f32_e32 v24, v24, v27
	v_fma_f32 v26, v26, v28, 1.0
	v_cndmask_b32_e32 v24, v26, v24, vcc_lo
	v_cmp_class_f32_e64 vcc_lo, v20, 0x1f8
	v_xor3_b32 v21, v21, v25, v24
	v_cndmask_b32_e32 v20, 0x7fc00000, v21, vcc_lo
	v_mul_f32_e32 v20, v20, v20
	v_div_scale_f32 v21, null, v20, v20, 0xc11de9e7
	v_div_scale_f32 v26, vcc_lo, 0xc11de9e7, v20, 0xc11de9e7
	v_rcp_f32_e32 v24, v21
	v_fma_f32 v25, -v21, v24, 1.0
	v_fmac_f32_e32 v24, v25, v24
	v_mul_f32_e32 v25, v26, v24
	v_fma_f32 v27, -v21, v25, v26
	v_fmac_f32_e32 v25, v27, v24
	v_fma_f32 v21, -v21, v25, v26
	v_div_fmas_f32 v21, v21, v24, v25
	v_div_fixup_f32 v20, v21, v20, 0xc11de9e7
	v_add_f32_e32 v21, 0, v20
	v_mov_b32_e32 v20, -1.0
.LBB73_51:
	s_or_b32 exec_lo, exec_lo, s7
	v_add_f32_e32 v25, 1.0, v23
	v_mul_f32_e32 v24, v23, v23
	s_mov_b32 s17, 0xbcc30c31
	v_mul_f32_e32 v23, v25, v25
	v_add_f32_e32 v26, 1.0, v25
	v_div_scale_f32 v28, null, v24, v24, 1.0
	v_div_scale_f32 v30, vcc_lo, 1.0, v24, 1.0
	v_div_scale_f32 v29, null, v23, v23, 1.0
	v_mul_f32_e32 v25, v26, v26
	v_rcp_f32_e32 v31, v28
	v_div_scale_f32 v34, s4, 1.0, v23, 1.0
	v_rcp_f32_e32 v32, v29
	v_div_scale_f32 v33, null, v25, v25, 1.0
	v_add_f32_e32 v27, 1.0, v26
	v_div_scale_f32 v35, s5, 1.0, v25, 1.0
	v_rcp_f32_e32 v37, v33
	v_fma_f32 v39, -v28, v31, 1.0
	v_add_f32_e32 v38, 1.0, v27
	v_mul_f32_e32 v26, v27, v27
	v_fma_f32 v40, -v29, v32, 1.0
	v_fmac_f32_e32 v31, v39, v31
	v_mul_f32_e32 v27, v38, v38
	v_add_f32_e32 v38, 1.0, v38
	v_fmac_f32_e32 v32, v40, v32
	v_fma_f32 v39, -v33, v37, 1.0
	v_mul_f32_e32 v43, v30, v31
	v_div_scale_f32 v41, null, v26, v26, 1.0
	v_mul_f32_e32 v44, v34, v32
	v_fmac_f32_e32 v37, v39, v37
	v_fma_f32 v45, -v28, v43, v30
	v_add_f32_e32 v40, 1.0, v38
	v_rcp_f32_e32 v42, v41
	v_fma_f32 v46, -v29, v44, v34
	v_mul_f32_e32 v47, v35, v37
	v_fmac_f32_e32 v43, v45, v31
	v_div_scale_f32 v39, null, v27, v27, 1.0
	v_fmac_f32_e32 v44, v46, v32
	v_fma_f32 v45, -v33, v47, v35
	v_fma_f32 v30, -v28, v43, v30
	v_mul_f32_e32 v28, v38, v38
	v_add_f32_e32 v38, v40, v40
	v_fma_f32 v29, -v29, v44, v34
	v_fmac_f32_e32 v47, v45, v37
	v_div_fmas_f32 v31, v30, v31, v43
	s_mov_b32 vcc_lo, s4
	v_rcp_f32_e32 v46, v39
	v_div_fmas_f32 v30, v29, v32, v44
	v_fma_f32 v33, -v33, v47, v35
	v_div_scale_f32 v32, null, v28, v28, 1.0
	v_mul_f32_e32 v43, v40, v40
	s_mov_b32 vcc_lo, s5
	v_div_scale_f32 v35, null, v38, v38, 1.0
	v_fma_f32 v48, -v41, v42, 1.0
	v_div_fmas_f32 v29, v33, v37, v47
	v_rcp_f32_e32 v37, v32
	v_div_scale_f32 v47, null, v43, v43, 1.0
	v_rcp_f32_e32 v44, v35
	v_fmac_f32_e32 v42, v48, v42
	v_div_scale_f32 v33, vcc_lo, 1.0, v26, 1.0
	v_fma_f32 v34, -v39, v46, 1.0
	v_rcp_f32_e32 v49, v47
	v_div_scale_f32 v48, s4, 1.0, v27, 1.0
	v_mul_f32_e32 v45, v33, v42
	v_fmac_f32_e32 v46, v34, v46
	v_fma_f32 v34, -v32, v37, 1.0
	v_fma_f32 v52, -v35, v44, 1.0
	v_div_scale_f32 v54, s5, 1.0, v28, 1.0
	v_fma_f32 v50, -v41, v45, v33
	v_mul_f32_e32 v53, v48, v46
	v_fmac_f32_e32 v37, v34, v37
	v_fma_f32 v34, -v47, v49, 1.0
	v_fmac_f32_e32 v44, v52, v44
	v_div_scale_f32 v52, s7, 1.0, v38, 1.0
	v_fmac_f32_e32 v45, v50, v42
	v_fma_f32 v50, -v39, v53, v48
	v_mul_f32_e32 v55, v54, v37
	v_fmac_f32_e32 v49, v34, v49
	v_div_scale_f32 v57, s8, 1.0, v43, 1.0
	v_mul_f32_e32 v56, v52, v44
	v_fma_f32 v33, -v41, v45, v33
	v_fmac_f32_e32 v53, v50, v46
	v_fma_f32 v41, -v32, v55, v54
	v_mul_f32_e32 v58, v57, v49
	v_fma_f32 v50, -v35, v56, v52
	v_div_fmas_f32 v34, v33, v42, v45
	v_fma_f32 v33, -v39, v53, v48
	v_fmac_f32_e32 v55, v41, v37
	v_fma_f32 v39, -v47, v58, v57
	v_fmac_f32_e32 v56, v50, v44
	s_mov_b32 vcc_lo, s4
	v_div_fixup_f32 v24, v31, v24, 1.0
	v_fma_f32 v32, -v32, v55, v54
	v_fmac_f32_e32 v58, v39, v49
	v_div_fmas_f32 v33, v33, v46, v53
	v_fma_f32 v35, -v35, v56, v52
	s_mov_b32 vcc_lo, s5
	v_add_f32_e32 v19, v19, v24
	v_div_fmas_f32 v32, v32, v37, v55
	v_fma_f32 v37, -v47, v58, v57
	s_mov_b32 vcc_lo, s7
	v_div_fixup_f32 v23, v30, v23, 1.0
	v_div_fmas_f32 v35, v35, v44, v56
	s_mov_b32 vcc_lo, s8
	v_div_fmas_f32 v37, v37, v49, v58
	v_add_f32_e32 v19, v19, v23
	v_div_fixup_f32 v35, v35, v38, 1.0
	v_div_fixup_f32 v23, v29, v25, 1.0
	;; [unrolled: 1-line block ×3, first 2 shown]
	v_add_f32_e32 v44, 1.0, v35
	v_add_f32_e32 v19, v19, v23
	v_div_fixup_f32 v23, v34, v26, 1.0
	v_fmaak_f32 v38, s17, v37, 0x3d088889
	v_add_f32_e32 v19, v19, v23
	v_fma_f32 v35, -v37, v38, 0x3e2aaaab
	v_add_f32_e32 v38, 1.0, v36
	v_div_fixup_f32 v23, v33, v27, 1.0
	v_fmac_f32_e32 v44, v37, v35
	v_mul_f32_e32 v35, v36, v36
	v_mul_f32_e32 v36, v38, v38
	v_add_f32_e32 v38, 1.0, v38
	v_add_f32_e32 v19, v19, v23
	v_div_scale_f32 v39, null, v40, v40, v44
	v_div_scale_f32 v42, null, v35, v35, 1.0
	v_div_scale_f32 v46, null, v36, v36, 1.0
	v_rcp_f32_e32 v41, v39
	v_rcp_f32_e32 v43, v42
	v_div_scale_f32 v45, vcc_lo, v44, v40, v44
	v_rcp_f32_e32 v48, v46
	v_div_scale_f32 v49, s4, 1.0, v35, 1.0
	v_add_f32_e32 v54, 1.0, v38
	v_div_fixup_f32 v23, v32, v28, 1.0
	v_fma_f32 v37, -v39, v41, 1.0
	v_add_f32_e32 v19, v19, v23
	v_fma_f32 v55, -v46, v48, 1.0
	v_fmac_f32_e32 v41, v37, v41
	v_fma_f32 v37, -v42, v43, 1.0
	v_fmac_f32_e32 v48, v55, v48
	v_mul_f32_e32 v47, v45, v41
	v_fmac_f32_e32 v43, v37, v43
	v_mul_f32_e32 v37, v38, v38
	v_mul_f32_e32 v38, v54, v54
	v_div_scale_f32 v55, s5, 1.0, v36, 1.0
	v_fma_f32 v50, -v39, v47, v45
	v_mul_f32_e32 v52, v49, v43
	v_div_scale_f32 v53, null, v37, v37, 1.0
	v_div_scale_f32 v57, null, v38, v38, 1.0
	v_fmac_f32_e32 v47, v50, v41
	v_fma_f32 v50, -v42, v52, v49
	v_rcp_f32_e32 v56, v53
	v_rcp_f32_e32 v59, v57
	v_fma_f32 v39, -v39, v47, v45
	v_fmac_f32_e32 v52, v50, v43
	v_mul_f32_e32 v45, v55, v48
	v_div_fmas_f32 v50, v39, v41, v47
	v_fma_f32 v39, -v42, v52, v49
	v_fma_f32 v58, -v53, v56, 1.0
	v_fma_f32 v42, -v46, v45, v55
	v_add_f32_e32 v49, 1.0, v54
	v_div_scale_f32 v47, s7, 1.0, v37, 1.0
	v_fmac_f32_e32 v56, v58, v56
	v_fma_f32 v54, -v57, v59, 1.0
	v_fmac_f32_e32 v45, v42, v48
	v_add_f32_e32 v42, 1.0, v49
	s_mov_b32 vcc_lo, s4
	v_div_scale_f32 v60, s4, 1.0, v38, 1.0
	v_div_fmas_f32 v41, v39, v43, v52
	v_mul_f32_e32 v39, v49, v49
	v_mul_f32_e32 v52, v47, v56
	v_fmac_f32_e32 v59, v54, v59
	v_add_f32_e32 v54, 1.0, v42
	v_fma_f32 v43, -v46, v45, v55
	v_div_scale_f32 v58, null, v39, v39, 1.0
	v_fma_f32 v46, -v53, v52, v47
	v_mul_f32_e32 v42, v42, v42
	v_add_f32_e32 v61, v54, v54
	s_mov_b32 vcc_lo, s5
	v_rcp_f32_e32 v49, v58
	v_div_fmas_f32 v43, v43, v48, v45
	v_div_scale_f32 v48, null, v42, v42, 1.0
	v_fmac_f32_e32 v52, v46, v56
	v_div_scale_f32 v62, null, v61, v61, 1.0
	v_mul_f32_e32 v64, v54, v54
	v_mul_f32_e32 v55, v60, v59
	v_rcp_f32_e32 v63, v48
	v_rcp_f32_e32 v65, v62
	v_fma_f32 v47, -v53, v52, v47
	v_div_scale_f32 v53, null, v64, v64, 1.0
	v_fma_f32 v45, -v57, v55, v60
	v_fma_f32 v46, -v58, v49, 1.0
	v_div_scale_f32 v66, s5, 1.0, v39, 1.0
	v_rcp_f32_e32 v67, v53
	v_fmac_f32_e32 v55, v45, v59
	v_fmac_f32_e32 v49, v46, v49
	v_fma_f32 v46, -v48, v63, 1.0
	v_fma_f32 v45, -v62, v65, 1.0
	v_div_scale_f32 v69, s8, 1.0, v42, 1.0
	v_mul_f32_e32 v68, v66, v49
	v_fmac_f32_e32 v63, v46, v63
	v_fmac_f32_e32 v65, v45, v65
	v_div_scale_f32 v70, s9, 1.0, v61, 1.0
	v_fma_f32 v46, -v53, v67, 1.0
	s_mov_b32 vcc_lo, s7
	v_div_scale_f32 v71, s7, 1.0, v64, 1.0
	v_div_fmas_f32 v45, v47, v56, v52
	v_fma_f32 v47, -v58, v68, v66
	v_mul_f32_e32 v52, v69, v63
	v_mul_f32_e32 v56, v70, v65
	v_fmac_f32_e32 v67, v46, v67
	v_fma_f32 v46, -v57, v55, v60
	v_fmac_f32_e32 v68, v47, v49
	v_fma_f32 v47, -v48, v52, v69
	v_fma_f32 v57, -v62, v56, v70
	v_mul_f32_e32 v60, v71, v67
	s_mov_b32 vcc_lo, s4
	v_div_fixup_f32 v40, v50, v40, v44
	v_fmac_f32_e32 v52, v47, v63
	v_fmac_f32_e32 v56, v57, v65
	v_fma_f32 v57, -v53, v60, v71
	v_div_fmas_f32 v46, v46, v59, v55
	v_fma_f32 v55, -v58, v68, v66
	v_fma_f32 v48, -v48, v52, v69
	s_mov_b32 vcc_lo, s5
	v_fmac_f32_e32 v60, v57, v67
	v_add_f32_e32 v19, v19, v40
	v_div_fmas_f32 v47, v55, v49, v68
	v_fma_f32 v49, -v62, v56, v70
	s_mov_b32 vcc_lo, s8
	v_div_fmas_f32 v48, v48, v63, v52
	v_fma_f32 v52, -v53, v60, v71
	s_mov_b32 vcc_lo, s9
	v_div_fmas_f32 v49, v49, v65, v56
	s_mov_b32 vcc_lo, s7
	v_div_fmas_f32 v52, v52, v67, v60
	v_div_fixup_f32 v49, v49, v61, 1.0
	v_div_fixup_f32 v52, v52, v64, 1.0
	v_add_f32_e32 v61, 1.0, v49
	v_fmaak_f32 v53, s17, v52, 0x3d088889
	v_fma_f32 v49, -v52, v53, 0x3e2aaaab
	v_fmac_f32_e32 v61, v52, v49
	v_mul_f32_e32 v49, v51, v51
	v_add_f32_e32 v52, 1.0, v51
	v_div_scale_f32 v53, null, v54, v54, v61
	v_div_scale_f32 v56, null, v49, v49, 1.0
	v_mul_f32_e32 v51, v52, v52
	v_rcp_f32_e32 v55, v53
	v_add_f32_e32 v59, 1.0, v52
	v_rcp_f32_e32 v58, v56
	v_div_scale_f32 v60, vcc_lo, v61, v54, v61
	v_div_scale_f32 v65, s4, 1.0, v49, 1.0
	v_mul_f32_e32 v52, v59, v59
	v_add_f32_e32 v59, 1.0, v59
	v_fma_f32 v57, -v53, v55, 1.0
	v_fma_f32 v62, -v56, v58, 1.0
	v_fmac_f32_e32 v55, v57, v55
	v_div_scale_f32 v57, null, v51, v51, 1.0
	v_fmac_f32_e32 v58, v62, v58
	v_div_scale_f32 v62, null, v52, v52, 1.0
	v_rcp_f32_e32 v63, v57
	v_mul_f32_e32 v64, v60, v55
	v_mul_f32_e32 v69, v65, v58
	v_rcp_f32_e32 v68, v62
	v_fma_f32 v67, -v53, v64, v60
	v_fma_f32 v66, -v57, v63, 1.0
	v_fmac_f32_e32 v64, v67, v55
	v_fma_f32 v67, -v56, v69, v65
	v_fma_f32 v71, -v62, v68, 1.0
	v_fmac_f32_e32 v63, v66, v63
	v_div_scale_f32 v66, s5, 1.0, v51, 1.0
	v_fma_f32 v53, -v53, v64, v60
	v_fmac_f32_e32 v69, v67, v58
	v_fmac_f32_e32 v68, v71, v68
	v_mul_f32_e32 v70, v66, v63
	v_div_scale_f32 v71, s7, 1.0, v52, 1.0
	v_div_fmas_f32 v67, v53, v55, v64
	v_fma_f32 v55, -v56, v69, v65
	v_fma_f32 v60, -v57, v70, v66
	v_mul_f32_e32 v64, v71, v68
	s_mov_b32 vcc_lo, s4
	v_mul_f32_e32 v53, v59, v59
	v_div_fmas_f32 v56, v55, v58, v69
	v_fmac_f32_e32 v70, v60, v63
	v_add_f32_e32 v58, 1.0, v59
	v_fma_f32 v65, -v62, v64, v71
	s_mov_b32 vcc_lo, s5
	v_div_scale_f32 v60, null, v53, v53, 1.0
	v_fma_f32 v55, -v57, v70, v66
	v_fmac_f32_e32 v64, v65, v68
	v_div_fixup_f32 v44, v67, v54, v61
	v_rcp_f32_e32 v69, v60
	v_div_fmas_f32 v57, v55, v63, v70
	v_mul_f32_e32 v55, v58, v58
	v_add_f32_e32 v58, 1.0, v58
	v_fma_f32 v59, -v62, v64, v71
	s_mov_b32 vcc_lo, s7
	v_div_fixup_f32 v28, v57, v51, 1.0
	v_div_scale_f32 v65, null, v55, v55, 1.0
	v_add_f32_e32 v72, 1.0, v58
	v_mul_f32_e32 v58, v58, v58
	v_div_fmas_f32 v59, v59, v68, v64
	v_rcp_f32_e32 v64, v65
	v_fma_f32 v62, -v60, v69, 1.0
	v_add_f32_e32 v66, v72, v72
	v_div_scale_f32 v68, null, v58, v58, 1.0
	v_mul_f32_e32 v73, v72, v72
	v_fmac_f32_e32 v69, v62, v69
	v_div_scale_f32 v70, null, v66, v66, 1.0
	v_rcp_f32_e32 v71, v68
	v_div_scale_f32 v76, null, v73, v73, 1.0
	v_rcp_f32_e32 v74, v70
	v_div_scale_f32 v62, vcc_lo, 1.0, v53, 1.0
	v_fma_f32 v63, -v65, v64, 1.0
	v_rcp_f32_e32 v78, v76
	v_div_scale_f32 v77, s4, 1.0, v55, 1.0
	v_mul_f32_e32 v75, v62, v69
	v_fmac_f32_e32 v64, v63, v64
	v_fma_f32 v63, -v68, v71, 1.0
	v_fma_f32 v80, -v70, v74, 1.0
	v_div_scale_f32 v82, s5, 1.0, v58, 1.0
	v_fma_f32 v79, -v60, v75, v62
	v_mul_f32_e32 v81, v77, v64
	v_fmac_f32_e32 v71, v63, v71
	v_fma_f32 v63, -v76, v78, 1.0
	v_fmac_f32_e32 v74, v80, v74
	v_div_scale_f32 v80, s7, 1.0, v66, 1.0
	v_fmac_f32_e32 v75, v79, v69
	v_fma_f32 v79, -v65, v81, v77
	v_fmac_f32_e32 v78, v63, v78
	v_div_scale_f32 v85, s8, 1.0, v73, 1.0
	v_mul_f32_e32 v83, v82, v71
	v_mul_f32_e32 v84, v80, v74
	v_fma_f32 v60, -v60, v75, v62
	v_fmac_f32_e32 v81, v79, v64
	v_mul_f32_e32 v86, v85, v78
	v_fma_f32 v62, -v68, v83, v82
	v_fma_f32 v79, -v70, v84, v80
	v_div_fmas_f32 v63, v60, v69, v75
	v_fma_f32 v60, -v65, v81, v77
	v_fma_f32 v65, -v76, v86, v85
	v_fmac_f32_e32 v83, v62, v71
	v_fmac_f32_e32 v84, v79, v74
	s_mov_b32 vcc_lo, s4
	v_fmac_f32_e32 v86, v65, v78
	v_div_fmas_f32 v62, v60, v64, v81
	v_fma_f32 v60, -v68, v83, v82
	v_fma_f32 v64, -v70, v84, v80
	s_mov_b32 vcc_lo, s5
	v_fma_f32 v65, -v76, v86, v85
	v_div_fmas_f32 v60, v60, v71, v83
	s_mov_b32 vcc_lo, s7
	v_div_fmas_f32 v64, v64, v74, v84
	s_mov_b32 vcc_lo, s8
	v_div_fmas_f32 v65, v65, v78, v86
	v_div_fixup_f32 v64, v64, v66, 1.0
	v_div_fixup_f32 v65, v65, v73, 1.0
	v_add_f32_e32 v77, 1.0, v64
	v_fmaak_f32 v66, s17, v65, 0x3d088889
	v_fma_f32 v64, -v65, v66, 0x3e2aaaab
	v_fmac_f32_e32 v77, v65, v64
	v_mul_f32_e32 v64, v17, v17
	v_add_f32_e32 v65, 1.0, v17
	v_div_scale_f32 v66, null, v72, v72, v77
	v_div_scale_f32 v69, null, v64, v64, 1.0
	v_mul_f32_e32 v17, v65, v65
	v_rcp_f32_e32 v68, v66
	v_add_f32_e32 v73, 1.0, v65
	v_rcp_f32_e32 v71, v69
	v_div_scale_f32 v74, vcc_lo, v77, v72, v77
	v_div_scale_f32 v79, s4, 1.0, v64, 1.0
	v_mul_f32_e32 v65, v73, v73
	v_add_f32_e32 v73, 1.0, v73
	v_fma_f32 v70, -v66, v68, 1.0
	v_fma_f32 v75, -v69, v71, 1.0
	v_fmac_f32_e32 v68, v70, v68
	v_div_scale_f32 v70, null, v17, v17, 1.0
	v_fmac_f32_e32 v71, v75, v71
	v_div_scale_f32 v75, null, v65, v65, 1.0
	v_rcp_f32_e32 v76, v70
	v_mul_f32_e32 v78, v74, v68
	v_mul_f32_e32 v83, v79, v71
	v_rcp_f32_e32 v82, v75
	v_fma_f32 v81, -v66, v78, v74
	v_fma_f32 v80, -v70, v76, 1.0
	v_fmac_f32_e32 v78, v81, v68
	v_fma_f32 v81, -v69, v83, v79
	v_fma_f32 v84, -v75, v82, 1.0
	v_fmac_f32_e32 v76, v80, v76
	v_div_scale_f32 v80, s5, 1.0, v17, 1.0
	v_fma_f32 v66, -v66, v78, v74
	v_fmac_f32_e32 v83, v81, v71
	v_fmac_f32_e32 v82, v84, v82
	v_mul_f32_e32 v85, v80, v76
	v_div_scale_f32 v81, s7, 1.0, v65, 1.0
	v_div_fmas_f32 v84, v66, v68, v78
	v_fma_f32 v68, -v69, v83, v79
	v_fma_f32 v74, -v70, v85, v80
	v_mul_f32_e32 v78, v81, v82
	s_mov_b32 vcc_lo, s4
	v_mul_f32_e32 v66, v73, v73
	v_div_fmas_f32 v69, v68, v71, v83
	v_fmac_f32_e32 v85, v74, v76
	v_fma_f32 v79, -v75, v78, v81
	s_mov_b32 vcc_lo, s5
	v_div_scale_f32 v74, null, v66, v66, 1.0
	v_fma_f32 v68, -v70, v85, v80
	v_add_f32_e32 v70, 1.0, v73
	v_fmac_f32_e32 v78, v79, v82
	v_rcp_f32_e32 v83, v74
	v_div_fixup_f32 v67, v84, v72, v77
	v_div_fmas_f32 v71, v68, v76, v85
	v_mul_f32_e32 v68, v70, v70
	v_add_f32_e32 v70, 1.0, v70
	v_fma_f32 v73, -v75, v78, v81
	s_mov_b32 vcc_lo, s7
	v_div_fixup_f32 v23, v69, v64, 1.0
	v_div_scale_f32 v79, null, v68, v68, 1.0
	v_add_f32_e32 v90, 1.0, v70
	v_mul_f32_e32 v70, v70, v70
	v_div_fmas_f32 v73, v73, v82, v78
	v_rcp_f32_e32 v78, v79
	v_fma_f32 v75, -v74, v83, 1.0
	v_add_f32_e32 v80, v90, v90
	v_div_scale_f32 v81, null, v70, v70, 1.0
	v_mul_f32_e32 v86, v90, v90
	v_fmac_f32_e32 v83, v75, v83
	v_div_scale_f32 v82, null, v80, v80, 1.0
	v_rcp_f32_e32 v85, v81
	v_div_scale_f32 v89, null, v86, v86, 1.0
	v_rcp_f32_e32 v87, v82
	v_div_scale_f32 v75, vcc_lo, 1.0, v66, 1.0
	v_fma_f32 v76, -v79, v78, 1.0
	v_rcp_f32_e32 v92, v89
	v_div_scale_f32 v91, s4, 1.0, v68, 1.0
	v_mul_f32_e32 v88, v75, v83
	v_fmac_f32_e32 v78, v76, v78
	v_fma_f32 v76, -v81, v85, 1.0
	v_fma_f32 v94, -v82, v87, 1.0
	v_div_scale_f32 v96, s5, 1.0, v70, 1.0
	v_fma_f32 v93, -v74, v88, v75
	v_mul_f32_e32 v95, v91, v78
	v_fmac_f32_e32 v85, v76, v85
	v_fma_f32 v76, -v89, v92, 1.0
	v_fmac_f32_e32 v87, v94, v87
	v_div_scale_f32 v94, s7, 1.0, v80, 1.0
	v_fmac_f32_e32 v88, v93, v83
	v_fma_f32 v93, -v79, v95, v91
	v_fmac_f32_e32 v92, v76, v92
	v_div_scale_f32 v99, s8, 1.0, v86, 1.0
	v_mul_f32_e32 v97, v96, v85
	v_mul_f32_e32 v98, v94, v87
	v_fma_f32 v74, -v74, v88, v75
	v_fmac_f32_e32 v95, v93, v78
	v_mul_f32_e32 v100, v99, v92
	v_fma_f32 v75, -v81, v97, v96
	v_fma_f32 v93, -v82, v98, v94
	v_div_fmas_f32 v76, v74, v83, v88
	v_fma_f32 v74, -v79, v95, v91
	v_fma_f32 v79, -v89, v100, v99
	v_fmac_f32_e32 v97, v75, v85
	v_fmac_f32_e32 v98, v93, v87
	s_mov_b32 vcc_lo, s4
	v_add_f32_e32 v8, v8, v23
	v_fmac_f32_e32 v100, v79, v92
	v_div_fmas_f32 v75, v74, v78, v95
	v_fma_f32 v74, -v81, v97, v96
	v_fma_f32 v78, -v82, v98, v94
	s_mov_b32 vcc_lo, s5
	v_fma_f32 v79, -v89, v100, v99
	v_div_fixup_f32 v23, v47, v39, 1.0
	v_div_fmas_f32 v74, v74, v85, v97
	s_mov_b32 vcc_lo, s7
	v_div_fixup_f32 v17, v71, v17, 1.0
	v_div_fmas_f32 v78, v78, v87, v98
	s_mov_b32 vcc_lo, s8
	v_div_fmas_f32 v79, v79, v92, v100
	v_add_f32_e32 v8, v8, v17
	v_div_fixup_f32 v78, v78, v80, 1.0
	v_div_fixup_f32 v17, v73, v65, 1.0
	;; [unrolled: 1-line block ×3, first 2 shown]
	v_add_f32_e32 v94, 1.0, v78
	v_add_f32_e32 v8, v8, v17
	v_div_fixup_f32 v17, v76, v66, 1.0
	v_fmaak_f32 v80, s17, v79, 0x3d088889
	v_add_f32_e32 v8, v8, v17
	v_fma_f32 v78, -v79, v80, 0x3e2aaaab
	v_div_fixup_f32 v17, v75, v68, 1.0
	v_fmac_f32_e32 v94, v79, v78
	v_mul_f32_e32 v78, v18, v18
	v_add_f32_e32 v79, 1.0, v18
	v_add_f32_e32 v8, v8, v17
	v_div_fixup_f32 v17, v74, v70, 1.0
	v_div_scale_f32 v80, null, v90, v90, v94
	v_div_scale_f32 v82, null, v78, v78, 1.0
	v_mul_f32_e32 v18, v79, v79
	v_rcp_f32_e32 v81, v80
	v_add_f32_e32 v86, 1.0, v79
	v_rcp_f32_e32 v85, v82
	v_div_scale_f32 v87, vcc_lo, v94, v90, v94
	v_div_scale_f32 v92, s4, 1.0, v78, 1.0
	v_mul_f32_e32 v79, v86, v86
	v_add_f32_e32 v86, 1.0, v86
	v_add_f32_e32 v8, v8, v17
	v_fma_f32 v83, -v80, v81, 1.0
	v_fma_f32 v88, -v82, v85, 1.0
	v_fmac_f32_e32 v81, v83, v81
	v_div_scale_f32 v83, null, v18, v18, 1.0
	v_fmac_f32_e32 v85, v88, v85
	v_div_scale_f32 v88, null, v79, v79, 1.0
	v_rcp_f32_e32 v89, v83
	v_mul_f32_e32 v91, v87, v81
	v_mul_f32_e32 v97, v92, v85
	v_rcp_f32_e32 v96, v88
	v_fma_f32 v95, -v80, v91, v87
	v_fma_f32 v93, -v83, v89, 1.0
	v_fmac_f32_e32 v91, v95, v81
	v_fma_f32 v95, -v82, v97, v92
	v_fma_f32 v99, -v88, v96, 1.0
	v_fmac_f32_e32 v89, v93, v89
	v_div_scale_f32 v93, s5, 1.0, v18, 1.0
	v_fma_f32 v80, -v80, v91, v87
	v_fmac_f32_e32 v97, v95, v85
	v_fmac_f32_e32 v96, v99, v96
	v_mul_f32_e32 v98, v93, v89
	v_div_scale_f32 v95, s7, 1.0, v79, 1.0
	v_div_fmas_f32 v101, v80, v81, v91
	v_mul_f32_e32 v81, v86, v86
	v_fma_f32 v87, -v83, v98, v93
	v_mul_f32_e32 v91, v95, v96
	v_fma_f32 v80, -v82, v97, v92
	s_mov_b32 vcc_lo, s4
	v_div_fixup_f32 v84, v101, v90, v94
	v_fmac_f32_e32 v98, v87, v89
	v_div_scale_f32 v87, null, v81, v81, 1.0
	v_fma_f32 v82, -v88, v91, v95
	v_div_fmas_f32 v85, v80, v85, v97
	v_fma_f32 v80, -v83, v98, v93
	v_add_f32_e32 v93, 1.0, v86
	v_rcp_f32_e32 v92, v87
	v_fmac_f32_e32 v91, v82, v96
	s_mov_b32 vcc_lo, s5
	v_add_f32_e32 v8, v8, v84
	v_add_f32_e32 v82, 1.0, v93
	v_mul_f32_e32 v83, v93, v93
	v_div_fmas_f32 v86, v80, v89, v98
	v_fma_f32 v88, -v88, v91, v95
	s_mov_b32 vcc_lo, s7
	v_add_f32_e32 v80, 1.0, v82
	v_div_scale_f32 v95, null, v83, v83, 1.0
	v_fma_f32 v93, -v87, v92, 1.0
	v_mul_f32_e32 v82, v82, v82
	v_div_fmas_f32 v89, v88, v96, v91
	v_add_f32_e32 v96, v80, v80
	v_rcp_f32_e32 v88, v95
	v_mul_f32_e32 v99, v80, v80
	v_fmac_f32_e32 v92, v93, v92
	v_div_scale_f32 v93, null, v82, v82, 1.0
	v_div_scale_f32 v97, null, v96, v96, 1.0
	;; [unrolled: 1-line block ×3, first 2 shown]
	v_rcp_f32_e32 v98, v93
	v_rcp_f32_e32 v102, v97
	v_div_scale_f32 v91, vcc_lo, 1.0, v81, 1.0
	v_fma_f32 v100, -v95, v88, 1.0
	v_rcp_f32_e32 v106, v104
	v_mul_f32_e32 v6, v6, v8
	v_mul_f32_e32 v103, v91, v92
	v_fmac_f32_e32 v88, v100, v88
	v_div_scale_f32 v100, s4, 1.0, v83, 1.0
	v_fma_f32 v105, -v93, v98, 1.0
	v_fma_f32 v108, -v97, v102, 1.0
	v_fma_f32 v107, -v87, v103, v91
	v_mul_f32_e32 v109, v100, v88
	v_fma_f32 v110, -v104, v106, 1.0
	v_fmac_f32_e32 v98, v105, v98
	v_div_scale_f32 v105, s5, 1.0, v82, 1.0
	v_fmac_f32_e32 v102, v108, v102
	v_div_scale_f32 v108, s7, 1.0, v96, 1.0
	v_fmac_f32_e32 v103, v107, v92
	v_fma_f32 v107, -v95, v109, v100
	v_fmac_f32_e32 v106, v110, v106
	v_div_scale_f32 v110, s8, 1.0, v99, 1.0
	v_mul_f32_e32 v111, v105, v98
	v_mul_f32_e32 v112, v108, v102
	v_fma_f32 v87, -v87, v103, v91
	v_fmac_f32_e32 v109, v107, v88
	v_mul_f32_e32 v113, v110, v106
	v_fma_f32 v91, -v93, v111, v105
	v_fma_f32 v107, -v97, v112, v108
	v_div_fmas_f32 v92, v87, v92, v103
	v_fma_f32 v87, -v95, v109, v100
	v_fma_f32 v95, -v104, v113, v110
	v_fmac_f32_e32 v111, v91, v98
	v_fmac_f32_e32 v112, v107, v102
	s_mov_b32 vcc_lo, s4
	v_div_fixup_f32 v17, v92, v81, 1.0
	v_fmac_f32_e32 v113, v95, v106
	v_div_fmas_f32 v91, v87, v88, v109
	v_fma_f32 v87, -v93, v111, v105
	v_fma_f32 v88, -v97, v112, v108
	s_mov_b32 vcc_lo, s5
	v_fma_f32 v93, -v104, v113, v110
	v_div_fmas_f32 v87, v87, v98, v111
	s_mov_b32 vcc_lo, s7
	v_div_fmas_f32 v88, v88, v102, v112
	s_mov_b32 vcc_lo, s8
	v_div_fmas_f32 v93, v93, v106, v113
	v_div_fixup_f32 v88, v88, v96, 1.0
	v_div_fixup_f32 v93, v93, v99, 1.0
	v_add_f32_e32 v88, 1.0, v88
	v_fmaak_f32 v95, s17, v93, 0x3d088889
	v_fma_f32 v95, -v93, v95, 0x3e2aaaab
	v_fmac_f32_e32 v88, v93, v95
	v_mul_f32_e32 v93, v9, v9
	v_add_f32_e32 v9, 1.0, v9
	v_div_scale_f32 v97, null, v80, v80, v88
	v_div_scale_f32 v100, vcc_lo, v88, v80, v88
	v_div_scale_f32 v99, null, v93, v93, 1.0
	v_rcp_f32_e32 v98, v97
	v_mul_f32_e32 v96, v9, v9
	v_add_f32_e32 v9, 1.0, v9
	v_rcp_f32_e32 v102, v99
	v_div_scale_f32 v104, null, v96, v96, 1.0
	v_div_scale_f32 v110, s5, 1.0, v96, 1.0
	v_fma_f32 v95, -v97, v98, 1.0
	v_rcp_f32_e32 v106, v104
	v_fma_f32 v105, -v99, v102, 1.0
	v_fmac_f32_e32 v98, v95, v98
	v_fmac_f32_e32 v102, v105, v102
	v_div_scale_f32 v105, s4, 1.0, v93, 1.0
	v_mul_f32_e32 v103, v100, v98
	v_fma_f32 v108, -v104, v106, 1.0
	v_fma_f32 v95, -v97, v103, v100
	v_fmac_f32_e32 v106, v108, v106
	v_add_f32_e32 v108, 1.0, v9
	v_fmac_f32_e32 v103, v95, v98
	v_mul_f32_e32 v95, v9, v9
	v_mul_f32_e32 v111, v110, v106
	v_fma_f32 v97, -v97, v103, v100
	v_div_scale_f32 v107, null, v95, v95, 1.0
	v_mul_f32_e32 v100, v105, v102
	v_div_scale_f32 v113, s7, 1.0, v95, 1.0
	v_rcp_f32_e32 v109, v107
	v_div_fmas_f32 v9, v97, v98, v103
	v_fma_f32 v103, -v99, v100, v105
	v_mul_f32_e32 v97, v108, v108
	v_add_f32_e32 v108, 1.0, v108
	s_mov_b32 vcc_lo, s4
	v_div_fixup_f32 v9, v9, v80, v88
	v_fmac_f32_e32 v100, v103, v102
	v_div_scale_f32 v112, null, v97, v97, 1.0
	v_fma_f32 v98, -v107, v109, 1.0
	v_fma_f32 v103, -v104, v111, v110
	v_fma_f32 v99, -v99, v100, v105
	v_rcp_f32_e32 v114, v112
	v_fmac_f32_e32 v109, v98, v109
	v_mul_f32_e32 v98, v108, v108
	v_add_f32_e32 v108, 1.0, v108
	v_fmac_f32_e32 v111, v103, v106
	v_div_fmas_f32 v102, v99, v102, v100
	v_mul_f32_e32 v115, v113, v109
	v_div_scale_f32 v116, null, v98, v98, 1.0
	v_add_f32_e32 v100, 1.0, v108
	v_fma_f32 v104, -v104, v111, v110
	v_fma_f32 v103, -v107, v115, v113
	v_rcp_f32_e32 v117, v116
	v_mul_f32_e32 v99, v108, v108
	v_add_f32_e32 v118, v100, v100
	s_mov_b32 vcc_lo, s5
	v_fmac_f32_e32 v115, v103, v109
	v_fma_f32 v105, -v112, v114, 1.0
	v_div_scale_f32 v110, null, v99, v99, 1.0
	v_div_fmas_f32 v103, v104, v106, v111
	v_fma_f32 v104, -v107, v115, v113
	v_mul_f32_e32 v113, v100, v100
	v_div_scale_f32 v106, null, v118, v118, 1.0
	v_fmac_f32_e32 v114, v105, v114
	v_fma_f32 v105, -v116, v117, 1.0
	v_rcp_f32_e32 v111, v110
	v_div_scale_f32 v121, null, v113, v113, 1.0
	v_rcp_f32_e32 v119, v106
	s_mov_b32 vcc_lo, s7
	v_div_scale_f32 v108, s4, 1.0, v97, 1.0
	v_fmac_f32_e32 v117, v105, v117
	v_div_fmas_f32 v105, v104, v109, v115
	v_rcp_f32_e32 v109, v121
	v_mul_f32_e32 v107, v108, v114
	v_fma_f32 v104, -v110, v111, 1.0
	v_div_scale_f32 v120, s5, 1.0, v98, 1.0
	v_fma_f32 v122, -v106, v119, 1.0
	v_fma_f32 v115, -v112, v107, v108
	v_fmac_f32_e32 v111, v104, v111
	v_div_scale_f32 v104, s7, 1.0, v99, 1.0
	v_fma_f32 v124, -v121, v109, 1.0
	v_mul_f32_e32 v123, v120, v117
	v_fmac_f32_e32 v119, v122, v119
	v_div_scale_f32 v122, s8, 1.0, v118, 1.0
	v_fmac_f32_e32 v107, v115, v114
	v_mul_f32_e32 v125, v104, v111
	v_fmac_f32_e32 v109, v124, v109
	v_div_scale_f32 v124, s9, 1.0, v113, 1.0
	v_fma_f32 v115, -v116, v123, v120
	v_mul_f32_e32 v126, v122, v119
	v_fma_f32 v108, -v112, v107, v108
	v_fma_f32 v112, -v110, v125, v104
	v_mul_f32_e32 v127, v124, v109
	v_fmac_f32_e32 v123, v115, v117
	v_fma_f32 v115, -v106, v126, v122
	s_mov_b32 vcc_lo, s4
	v_fmac_f32_e32 v125, v112, v111
	v_fma_f32 v112, -v121, v127, v124
	v_div_fmas_f32 v108, v108, v114, v107
	v_fma_f32 v107, -v116, v123, v120
	v_fmac_f32_e32 v126, v115, v119
	v_fma_f32 v104, -v110, v125, v104
	v_fmac_f32_e32 v127, v112, v109
	s_mov_b32 vcc_lo, s5
	v_add_f32_e32 v112, 1.0, v7
	v_div_fmas_f32 v107, v107, v117, v123
	v_fma_f32 v110, -v106, v126, v122
	s_mov_b32 vcc_lo, s7
	v_div_fmas_f32 v106, v104, v111, v125
	v_fma_f32 v104, -v121, v127, v124
	s_mov_b32 vcc_lo, s8
	v_div_fmas_f32 v110, v110, v119, v126
	s_mov_b32 vcc_lo, s9
	v_div_fmas_f32 v104, v104, v109, v127
	v_div_fixup_f32 v109, v104, v113, 1.0
	v_div_fixup_f32 v104, v110, v118, 1.0
	v_fmaak_f32 v110, s17, v109, 0x3d088889
	v_add_f32_e32 v104, 1.0, v104
	v_fma_f32 v110, -v109, v110, 0x3e2aaaab
	v_fmac_f32_e32 v104, v109, v110
	v_mul_f32_e32 v109, v7, v7
	v_mul_f32_e32 v7, v112, v112
	v_add_f32_e32 v112, 1.0, v112
	v_div_scale_f32 v111, null, v100, v100, v104
	v_div_scale_f32 v114, null, v109, v109, 1.0
	v_div_scale_f32 v117, null, v7, v7, 1.0
	v_rcp_f32_e32 v113, v111
	v_rcp_f32_e32 v115, v114
	v_div_scale_f32 v116, vcc_lo, v104, v100, v104
	v_rcp_f32_e32 v120, v117
	v_div_scale_f32 v123, s4, 1.0, v109, 1.0
	v_add_f32_e32 v126, 1.0, v112
	v_fma_f32 v110, -v111, v113, 1.0
	v_fma_f32 v119, -v114, v115, 1.0
	;; [unrolled: 1-line block ×3, first 2 shown]
	v_fmac_f32_e32 v113, v110, v113
	v_mul_f32_e32 v110, v112, v112
	v_fmac_f32_e32 v115, v119, v115
	v_mul_f32_e32 v112, v126, v126
	;; [unrolled: 2-line block ×3, first 2 shown]
	v_div_scale_f32 v121, null, v110, v110, 1.0
	v_div_scale_f32 v124, s5, 1.0, v7, 1.0
	v_fma_f32 v122, -v111, v118, v116
	v_rcp_f32_e32 v119, v121
	v_div_scale_f32 v128, null, v112, v112, 1.0
	v_mul_f32_e32 v127, v124, v120
	v_fmac_f32_e32 v118, v122, v113
	v_mul_f32_e32 v122, v123, v115
	v_fma_f32 v111, -v111, v118, v116
	v_fma_f32 v125, -v121, v119, 1.0
	v_fma_f32 v116, -v114, v122, v123
	v_div_fmas_f32 v111, v111, v113, v118
	v_fmac_f32_e32 v119, v125, v119
	v_div_scale_f32 v125, s7, 1.0, v110, 1.0
	v_fmac_f32_e32 v122, v116, v115
	v_fma_f32 v116, -v117, v127, v124
	v_rcp_f32_e32 v118, v128
	v_mul_f32_e32 v129, v125, v119
	s_mov_b32 vcc_lo, s4
	v_fma_f32 v113, -v114, v122, v123
	v_fmac_f32_e32 v127, v116, v120
	v_fma_f32 v114, -v121, v129, v125
	v_div_fmas_f32 v116, v113, v115, v122
	v_fma_f32 v113, -v117, v127, v124
	s_mov_b32 vcc_lo, s5
	v_fmac_f32_e32 v129, v114, v119
	v_add_f32_e32 v114, 1.0, v126
	v_fma_f32 v115, -v128, v118, 1.0
	v_div_fmas_f32 v117, v113, v120, v127
	s_mov_b32 vcc_lo, s7
	v_fma_f32 v121, -v121, v129, v125
	v_add_f32_e32 v120, 1.0, v114
	v_mul_f32_e32 v113, v114, v114
	v_fmac_f32_e32 v118, v115, v118
	v_div_fixup_f32 v7, v117, v7, 1.0
	v_div_fmas_f32 v119, v121, v119, v129
	v_add_f32_e32 v115, 1.0, v120
	v_div_scale_f32 v122, null, v113, v113, 1.0
	v_mul_f32_e32 v114, v120, v120
	v_div_scale_f32 v120, s4, 1.0, v112, 1.0
	v_add_f32_e32 v125, v115, v115
	v_rcp_f32_e32 v123, v122
	v_div_scale_f32 v124, null, v114, v114, 1.0
	v_mul_f32_e32 v129, v115, v115
	v_div_scale_f32 v121, null, v125, v125, 1.0
	v_rcp_f32_e32 v127, v124
	v_mul_f32_e32 v126, v120, v118
	v_div_scale_f32 v133, null, v129, v129, 1.0
	v_rcp_f32_e32 v131, v121
	v_fma_f32 v130, -v122, v123, 1.0
	v_fma_f32 v132, -v128, v126, v120
	v_rcp_f32_e32 v135, v133
	s_mov_b32 vcc_lo, s4
	v_fmac_f32_e32 v123, v130, v123
	v_div_scale_f32 v130, s5, 1.0, v113, 1.0
	v_fma_f32 v134, -v124, v127, 1.0
	v_fmac_f32_e32 v126, v132, v118
	v_fma_f32 v132, -v121, v131, 1.0
	v_mul_f32_e32 v136, v130, v123
	v_fma_f32 v137, -v133, v135, 1.0
	v_fmac_f32_e32 v127, v134, v127
	v_div_scale_f32 v134, s7, 1.0, v114, 1.0
	v_fmac_f32_e32 v131, v132, v131
	v_div_scale_f32 v132, s8, 1.0, v125, 1.0
	v_fma_f32 v120, -v128, v126, v120
	v_fma_f32 v128, -v122, v136, v130
	v_mul_f32_e32 v138, v134, v127
	v_fmac_f32_e32 v135, v137, v135
	v_div_scale_f32 v137, s9, 1.0, v129, 1.0
	v_mul_f32_e32 v139, v132, v131
	v_div_fmas_f32 v118, v120, v118, v126
	v_fmac_f32_e32 v136, v128, v123
	v_fma_f32 v120, -v124, v138, v134
	v_mul_f32_e32 v128, v137, v135
	v_fma_f32 v126, -v121, v139, v132
	s_mov_b32 vcc_lo, s5
	v_fma_f32 v122, -v122, v136, v130
	v_fmac_f32_e32 v138, v120, v127
	v_fma_f32 v120, -v133, v128, v137
	v_fmac_f32_e32 v139, v126, v131
	v_mul_f32_e32 v126, v22, v22
	v_div_fmas_f32 v122, v122, v123, v136
	v_fma_f32 v123, -v124, v138, v134
	v_fmac_f32_e32 v128, v120, v135
	v_fma_f32 v120, -v121, v139, v132
	s_mov_b32 vcc_lo, s7
	v_add_f32_e32 v22, 1.0, v22
	v_div_fmas_f32 v121, v123, v127, v138
	v_fma_f32 v123, -v133, v128, v137
	s_mov_b32 vcc_lo, s8
	v_div_fmas_f32 v120, v120, v131, v139
	s_mov_b32 vcc_lo, s9
	v_mul_f32_e32 v130, v22, v22
	v_div_fmas_f32 v123, v123, v135, v128
	v_add_f32_e32 v22, 1.0, v22
	v_div_fixup_f32 v120, v120, v125, 1.0
	v_div_scale_f32 v54, null, v130, v130, 1.0
	v_div_fixup_f32 v123, v123, v129, 1.0
	v_add_f32_e32 v120, 1.0, v120
	v_mul_f32_e32 v72, v22, v22
	v_add_f32_e32 v22, 1.0, v22
	v_fmaak_f32 v124, s17, v123, 0x3d088889
	v_div_scale_f32 v77, null, v72, v72, 1.0
	v_fma_f32 v124, -v123, v124, 0x3e2aaaab
	v_fmac_f32_e32 v120, v123, v124
	v_div_scale_f32 v123, null, v115, v115, v120
	v_div_scale_f32 v127, vcc_lo, v120, v115, v120
	v_rcp_f32_e32 v124, v123
	v_fma_f32 v125, -v123, v124, 1.0
	v_fmac_f32_e32 v124, v125, v124
	v_div_scale_f32 v125, null, v126, v126, 1.0
	v_mul_f32_e32 v129, v127, v124
	v_rcp_f32_e32 v128, v125
	v_fma_f32 v50, -v123, v129, v127
	v_fmac_f32_e32 v129, v50, v124
	v_fma_f32 v61, -v125, v128, 1.0
	v_rcp_f32_e32 v50, v54
	v_fma_f32 v90, -v123, v129, v127
	v_fmac_f32_e32 v128, v61, v128
	v_div_scale_f32 v61, s4, 1.0, v126, 1.0
	v_rcp_f32_e32 v123, v77
	v_mul_f32_e32 v127, v22, v22
	v_div_fmas_f32 v90, v90, v124, v129
	v_mul_f32_e32 v94, v61, v128
	v_fma_f32 v101, -v54, v50, 1.0
	v_add_f32_e32 v22, 1.0, v22
	v_div_scale_f32 v129, null, v127, v127, 1.0
	v_fma_f32 v124, -v125, v94, v61
	v_fmac_f32_e32 v50, v101, v50
	v_div_scale_f32 v101, s5, 1.0, v130, 1.0
	v_fma_f32 v131, -v77, v123, 1.0
	v_fmac_f32_e32 v94, v124, v128
	v_rcp_f32_e32 v132, v129
	v_mul_f32_e32 v124, v101, v50
	v_mul_f32_e32 v133, v22, v22
	v_fmac_f32_e32 v123, v131, v123
	v_div_scale_f32 v131, s7, 1.0, v72, 1.0
	v_fma_f32 v61, -v125, v94, v61
	v_div_scale_f32 v134, null, v133, v133, 1.0
	v_fma_f32 v125, -v54, v124, v101
	v_add_f32_e32 v22, 1.0, v22
	v_mul_f32_e32 v135, v131, v123
	v_fma_f32 v136, -v129, v132, 1.0
	v_rcp_f32_e32 v137, v134
	v_fmac_f32_e32 v124, v125, v50
	v_mul_f32_e32 v125, v22, v22
	s_mov_b32 vcc_lo, s4
	v_fmac_f32_e32 v132, v136, v132
	v_div_fmas_f32 v61, v61, v128, v94
	v_fma_f32 v94, -v77, v135, v131
	v_div_scale_f32 v128, s4, 1.0, v127, 1.0
	v_div_scale_f32 v138, null, v125, v125, 1.0
	v_fma_f32 v136, -v134, v137, 1.0
	v_fma_f32 v54, -v54, v124, v101
	v_fmac_f32_e32 v135, v94, v123
	v_mul_f32_e32 v94, v128, v132
	v_rcp_f32_e32 v101, v138
	s_mov_b32 vcc_lo, s5
	v_fmac_f32_e32 v137, v136, v137
	v_div_scale_f32 v136, s8, 1.0, v133, 1.0
	v_div_fmas_f32 v50, v54, v50, v124
	v_fma_f32 v54, -v77, v135, v131
	v_fma_f32 v77, -v129, v94, v128
	v_add_f32_e32 v22, 1.0, v22
	s_mov_b32 vcc_lo, s7
	v_mul_f32_e32 v124, v136, v137
	v_fma_f32 v131, -v138, v101, 1.0
	v_div_fmas_f32 v54, v54, v123, v135
	v_mul_f32_e32 v123, v22, v22
	v_fmac_f32_e32 v94, v77, v132
	v_fma_f32 v77, -v134, v124, v136
	v_fmac_f32_e32 v101, v131, v101
	v_div_scale_f32 v135, s5, 1.0, v125, 1.0
	v_div_scale_f32 v131, null, v123, v123, 1.0
	v_fma_f32 v128, -v129, v94, v128
	v_add_f32_e32 v129, v22, v22
	v_fmac_f32_e32 v124, v77, v137
	v_rcp_f32_e32 v77, v131
	s_mov_b32 vcc_lo, s4
	v_mul_f32_e32 v139, v135, v101
	v_div_scale_f32 v140, null, v129, v129, 1.0
	v_div_fmas_f32 v94, v128, v132, v94
	v_fma_f32 v128, -v134, v124, v136
	v_fma_f32 v134, -v138, v139, v135
	v_rcp_f32_e32 v132, v140
	s_mov_b32 vcc_lo, s8
	v_fma_f32 v136, -v131, v77, 1.0
	v_div_fmas_f32 v124, v128, v137, v124
	v_fmac_f32_e32 v139, v134, v101
	v_div_scale_f32 v134, s4, 1.0, v123, 1.0
	v_fmac_f32_e32 v77, v136, v77
	s_mov_b32 vcc_lo, s5
	v_fma_f32 v128, -v138, v139, v135
	v_fma_f32 v136, -v140, v132, 1.0
	v_mul_f32_e32 v31, v134, v77
	v_div_fmas_f32 v25, v128, v101, v139
	v_fmac_f32_e32 v132, v136, v132
	v_div_scale_f32 v136, s7, 1.0, v129, 1.0
	v_fma_f32 v24, -v131, v31, v134
	s_mov_b32 vcc_lo, s4
	s_add_u32 s4, s12, s10
	v_mul_f32_e32 v30, v136, v132
	s_addc_u32 s5, s13, s11
	v_fmac_f32_e32 v31, v24, v77
	v_fma_f32 v24, -v140, v30, v136
	v_fma_f32 v29, -v131, v31, v134
	v_fmac_f32_e32 v30, v24, v132
	v_div_fixup_f32 v24, v41, v35, 1.0
	v_div_fmas_f32 v26, v29, v77, v31
	s_mov_b32 vcc_lo, s7
	v_fma_f32 v29, -v140, v30, v136
	v_add_f32_e32 v13, v13, v24
	v_div_fixup_f32 v24, v43, v36, 1.0
	v_div_fmas_f32 v27, v29, v132, v30
	v_div_fixup_f32 v29, v56, v49, 1.0
	v_add_f32_e32 v13, v13, v24
	v_div_fixup_f32 v24, v45, v37, 1.0
	v_add_f32_e32 v15, v15, v29
	v_add_f32_e32 v13, v13, v24
	v_div_fixup_f32 v24, v46, v38, 1.0
	v_add_f32_e32 v15, v15, v28
	v_div_fixup_f32 v28, v59, v52, 1.0
	;; [unrolled: 2-line block ×3, first 2 shown]
	v_add_f32_e32 v15, v15, v28
	v_add_f32_e32 v13, v13, v23
	v_div_fixup_f32 v23, v48, v42, 1.0
	v_add_f32_e32 v15, v15, v24
	v_div_fixup_f32 v24, v62, v55, 1.0
	;; [unrolled: 2-line block ×4, first 2 shown]
	v_add_f32_e32 v13, v13, v44
	v_add_f32_e32 v15, v15, v23
	;; [unrolled: 1-line block ×3, first 2 shown]
	v_mul_f32_e32 v12, v12, v13
	v_div_fixup_f32 v13, v86, v18, 1.0
	v_div_fixup_f32 v23, v26, v123, 1.0
	v_add_f32_e32 v15, v15, v67
	v_div_fixup_f32 v24, v116, v109, 1.0
	v_bfe_u32 v18, v12, 16, 1
	v_add_f32_e32 v11, v11, v13
	v_div_fixup_f32 v13, v89, v79, 1.0
	v_mul_f32_e32 v14, v14, v15
	v_mul_f32_e32 v15, v16, v19
	v_add3_u32 v16, v12, v18, 0x7fff
	v_div_fixup_f32 v18, v102, v93, 1.0
	v_add_f32_e32 v11, v11, v13
	v_bfe_u32 v13, v14, 16, 1
	v_bfe_u32 v19, v15, 16, 1
	v_lshrrev_b32_e32 v16, 16, v16
	v_add_f32_e32 v3, v3, v18
	v_add_f32_e32 v11, v11, v17
	v_div_fixup_f32 v17, v91, v83, 1.0
	v_div_fixup_f32 v18, v103, v96, 1.0
	v_cmp_o_f32_e32 vcc_lo, v12, v12
	v_add3_u32 v13, v14, v13, 0x7fff
	v_add_f32_e32 v5, v5, v24
	v_add_f32_e32 v8, v11, v17
	v_add3_u32 v11, v15, v19, 0x7fff
	v_div_fixup_f32 v17, v27, v129, 1.0
	v_fmaak_f32 v19, s17, v23, 0x3d088889
	v_add_f32_e32 v3, v3, v18
	v_div_fixup_f32 v18, v105, v95, 1.0
	v_cndmask_b32_e32 v12, 0x7fc0, v16, vcc_lo
	v_add_f32_e32 v17, 1.0, v17
	v_fma_f32 v19, -v23, v19, 0x3e2aaaab
	v_cmp_o_f32_e32 vcc_lo, v14, v14
	v_add_f32_e32 v3, v3, v18
	v_div_fixup_f32 v16, v108, v97, 1.0
	v_add_f32_e32 v5, v5, v7
	v_fmac_f32_e32 v17, v23, v19
	v_and_b32_e32 v13, 0xffff0000, v13
	v_div_fixup_f32 v18, v87, v82, 1.0
	v_add_f32_e32 v3, v3, v16
	v_div_fixup_f32 v16, v107, v98, 1.0
	v_div_scale_f32 v14, null, v22, v22, v17
	v_div_fixup_f32 v19, v119, v110, 1.0
	v_cndmask_b32_e32 v13, 0x7fc00000, v13, vcc_lo
	v_add_f32_e32 v3, v3, v16
	v_rcp_f32_e32 v7, v14
	v_add_f32_e32 v8, v8, v18
	v_add_f32_e32 v5, v5, v19
	v_div_fixup_f32 v18, v118, v112, 1.0
	v_div_fixup_f32 v19, v61, v126, 1.0
	;; [unrolled: 1-line block ×3, first 2 shown]
	v_div_fixup_f32 v27, v111, v100, v104
	v_add_f32_e32 v8, v8, v9
	v_add_f32_e32 v5, v5, v18
	;; [unrolled: 1-line block ×3, first 2 shown]
	v_fma_f32 v16, -v14, v7, 1.0
	v_div_fixup_f32 v19, v50, v130, 1.0
	v_add_f32_e32 v3, v3, v23
	v_div_fixup_f32 v21, v122, v113, 1.0
	v_bfe_u32 v26, v6, 16, 1
	v_fmac_f32_e32 v7, v16, v7
	v_div_scale_f32 v16, vcc_lo, v17, v22, v17
	v_add_f32_e32 v18, v18, v19
	v_div_fixup_f32 v19, v54, v72, 1.0
	v_add_f32_e32 v5, v5, v21
	v_mul_f32_e32 v23, v16, v7
	v_div_fixup_f32 v21, v121, v114, 1.0
	v_add_f32_e32 v3, v3, v27
	v_add_f32_e32 v18, v18, v19
	v_div_fixup_f32 v19, v94, v127, 1.0
	v_fma_f32 v24, -v14, v23, v16
	v_add_f32_e32 v5, v5, v21
	v_div_fixup_f32 v21, v90, v115, v120
	v_mul_f32_e32 v8, v10, v8
	v_add_f32_e32 v18, v18, v19
	v_fmac_f32_e32 v23, v24, v7
	v_div_fixup_f32 v19, v124, v133, 1.0
	v_add_f32_e32 v5, v5, v21
	v_mul_f32_e32 v2, v2, v3
	v_lshrrev_b32_e32 v11, 16, v11
	v_fma_f32 v9, -v14, v23, v16
	v_add_f32_e32 v14, v18, v19
	v_div_fixup_f32 v16, v25, v125, 1.0
	v_mul_f32_e32 v3, v4, v5
	v_bfe_u32 v10, v2, 16, 1
	v_div_fmas_f32 v7, v9, v7, v23
	v_bfe_u32 v9, v8, 16, 1
	v_add_f32_e32 v4, v14, v16
	v_cmp_o_f32_e32 vcc_lo, v6, v6
	v_bfe_u32 v14, v3, 16, 1
	v_div_fixup_f32 v5, v7, v22, v17
	v_add3_u32 v7, v6, v26, 0x7fff
	v_add_f32_e32 v4, v4, v5
	v_lshrrev_b32_e32 v5, 16, v7
	v_add3_u32 v7, v8, v9, 0x7fff
	v_add3_u32 v9, v2, v10, 0x7fff
	;; [unrolled: 1-line block ×3, first 2 shown]
	v_mul_f32_e32 v4, v20, v4
	v_cndmask_b32_e32 v5, 0x7fc0, v5, vcc_lo
	v_and_b32_e32 v6, 0xffff0000, v7
	v_cmp_o_f32_e32 vcc_lo, v8, v8
	v_lshrrev_b32_e32 v7, 16, v9
	v_and_b32_e32 v9, 0xffff0000, v10
	v_bfe_u32 v10, v4, 16, 1
	v_cndmask_b32_e32 v6, 0x7fc00000, v6, vcc_lo
	v_cmp_o_f32_e32 vcc_lo, v2, v2
	v_or_b32_e32 v5, v6, v5
	v_cndmask_b32_e32 v2, 0x7fc0, v7, vcc_lo
	v_cmp_o_f32_e32 vcc_lo, v3, v3
	v_add3_u32 v7, v4, v10, 0x7fff
	v_cndmask_b32_e32 v3, 0x7fc00000, v9, vcc_lo
	v_cmp_o_f32_e32 vcc_lo, v15, v15
	v_or_b32_e32 v9, v13, v12
	v_or_b32_e32 v6, v3, v2
	v_cndmask_b32_e32 v8, 0x7fc0, v11, vcc_lo
	v_and_b32_e32 v2, 0xffff0000, v7
	v_cmp_o_f32_e32 vcc_lo, v4, v4
	v_add_co_u32 v3, s7, s4, v1
	v_add_co_ci_u32_e64 v7, null, s5, 0, s7
	v_cndmask_b32_e32 v4, 0x7fc00000, v2, vcc_lo
	v_add_co_u32 v2, vcc_lo, 0x800, v3
	v_add_co_ci_u32_e64 v3, null, 0, v7, vcc_lo
	v_or_b32_e32 v4, v4, v8
	global_store_dword v1, v6, s[4:5]
	global_store_dword v1, v5, s[4:5] offset:1024
	global_store_dword v[2:3], v9, off
	global_store_dword v[2:3], v4, off offset:1024
	s_branch .LBB73_2
.LBB73_52:
	v_mov_b32_e32 v31, v0
	v_mov_b32_e32 v0, s12
	;; [unrolled: 1-line block ×6, first 2 shown]
	s_getpc_b64 s[4:5]
	s_add_u32 s4, s4, _ZN2at6native25elementwise_kernel_helperILb0EZZZNS0_20trigamma_kernel_cudaERNS_18TensorIteratorBaseEENKUlvE_clEvENKUlvE2_clEvEUlN3c108BFloat16EE_NS0_6memory8policies11unroll_baseILi256ESt5arrayIPcLm2EE23TrivialOffsetCalculatorILi1EjESG_NS9_15LoadWithoutCastENS9_16StoreWithoutCastELi8ELi1EEEEEvT0_T1_@rel32@lo+4
	s_addc_u32 s5, s5, _ZN2at6native25elementwise_kernel_helperILb0EZZZNS0_20trigamma_kernel_cudaERNS_18TensorIteratorBaseEENKUlvE_clEvENKUlvE2_clEvEUlN3c108BFloat16EE_NS0_6memory8policies11unroll_baseILi256ESt5arrayIPcLm2EE23TrivialOffsetCalculatorILi1EjESG_NS9_15LoadWithoutCastENS9_16StoreWithoutCastELi8ELi1EEEEEvT0_T1_@rel32@hi+12
	s_mov_b32 s12, s6
	s_swappc_b64 s[30:31], s[4:5]
	s_endpgm
	.section	.rodata,"a",@progbits
	.p2align	6, 0x0
	.amdhsa_kernel _ZN2at6native29vectorized_elementwise_kernelILi2EZZZNS0_20trigamma_kernel_cudaERNS_18TensorIteratorBaseEENKUlvE_clEvENKUlvE2_clEvEUlN3c108BFloat16EE_St5arrayIPcLm2EEEEviT0_T1_
		.amdhsa_group_segment_fixed_size 0
		.amdhsa_private_segment_fixed_size 0
		.amdhsa_kernarg_size 24
		.amdhsa_user_sgpr_count 6
		.amdhsa_user_sgpr_private_segment_buffer 1
		.amdhsa_user_sgpr_dispatch_ptr 0
		.amdhsa_user_sgpr_queue_ptr 0
		.amdhsa_user_sgpr_kernarg_segment_ptr 1
		.amdhsa_user_sgpr_dispatch_id 0
		.amdhsa_user_sgpr_flat_scratch_init 0
		.amdhsa_user_sgpr_private_segment_size 0
		.amdhsa_wavefront_size32 1
		.amdhsa_uses_dynamic_stack 0
		.amdhsa_system_sgpr_private_segment_wavefront_offset 0
		.amdhsa_system_sgpr_workgroup_id_x 1
		.amdhsa_system_sgpr_workgroup_id_y 0
		.amdhsa_system_sgpr_workgroup_id_z 0
		.amdhsa_system_sgpr_workgroup_info 0
		.amdhsa_system_vgpr_workitem_id 0
		.amdhsa_next_free_vgpr 141
		.amdhsa_next_free_sgpr 33
		.amdhsa_reserve_vcc 1
		.amdhsa_reserve_flat_scratch 0
		.amdhsa_float_round_mode_32 0
		.amdhsa_float_round_mode_16_64 0
		.amdhsa_float_denorm_mode_32 3
		.amdhsa_float_denorm_mode_16_64 3
		.amdhsa_dx10_clamp 1
		.amdhsa_ieee_mode 1
		.amdhsa_fp16_overflow 0
		.amdhsa_workgroup_processor_mode 1
		.amdhsa_memory_ordered 1
		.amdhsa_forward_progress 1
		.amdhsa_shared_vgpr_count 0
		.amdhsa_exception_fp_ieee_invalid_op 0
		.amdhsa_exception_fp_denorm_src 0
		.amdhsa_exception_fp_ieee_div_zero 0
		.amdhsa_exception_fp_ieee_overflow 0
		.amdhsa_exception_fp_ieee_underflow 0
		.amdhsa_exception_fp_ieee_inexact 0
		.amdhsa_exception_int_div_zero 0
	.end_amdhsa_kernel
	.section	.text._ZN2at6native29vectorized_elementwise_kernelILi2EZZZNS0_20trigamma_kernel_cudaERNS_18TensorIteratorBaseEENKUlvE_clEvENKUlvE2_clEvEUlN3c108BFloat16EE_St5arrayIPcLm2EEEEviT0_T1_,"axG",@progbits,_ZN2at6native29vectorized_elementwise_kernelILi2EZZZNS0_20trigamma_kernel_cudaERNS_18TensorIteratorBaseEENKUlvE_clEvENKUlvE2_clEvEUlN3c108BFloat16EE_St5arrayIPcLm2EEEEviT0_T1_,comdat
.Lfunc_end73:
	.size	_ZN2at6native29vectorized_elementwise_kernelILi2EZZZNS0_20trigamma_kernel_cudaERNS_18TensorIteratorBaseEENKUlvE_clEvENKUlvE2_clEvEUlN3c108BFloat16EE_St5arrayIPcLm2EEEEviT0_T1_, .Lfunc_end73-_ZN2at6native29vectorized_elementwise_kernelILi2EZZZNS0_20trigamma_kernel_cudaERNS_18TensorIteratorBaseEENKUlvE_clEvENKUlvE2_clEvEUlN3c108BFloat16EE_St5arrayIPcLm2EEEEviT0_T1_
                                        ; -- End function
	.set _ZN2at6native29vectorized_elementwise_kernelILi2EZZZNS0_20trigamma_kernel_cudaERNS_18TensorIteratorBaseEENKUlvE_clEvENKUlvE2_clEvEUlN3c108BFloat16EE_St5arrayIPcLm2EEEEviT0_T1_.num_vgpr, max(141, .L_ZN2at6native25elementwise_kernel_helperILb0EZZZNS0_20trigamma_kernel_cudaERNS_18TensorIteratorBaseEENKUlvE_clEvENKUlvE2_clEvEUlN3c108BFloat16EE_NS0_6memory8policies11unroll_baseILi256ESt5arrayIPcLm2EE23TrivialOffsetCalculatorILi1EjESG_NS9_15LoadWithoutCastENS9_16StoreWithoutCastELi8ELi1EEEEEvT0_T1_.num_vgpr)
	.set _ZN2at6native29vectorized_elementwise_kernelILi2EZZZNS0_20trigamma_kernel_cudaERNS_18TensorIteratorBaseEENKUlvE_clEvENKUlvE2_clEvEUlN3c108BFloat16EE_St5arrayIPcLm2EEEEviT0_T1_.num_agpr, max(0, .L_ZN2at6native25elementwise_kernel_helperILb0EZZZNS0_20trigamma_kernel_cudaERNS_18TensorIteratorBaseEENKUlvE_clEvENKUlvE2_clEvEUlN3c108BFloat16EE_NS0_6memory8policies11unroll_baseILi256ESt5arrayIPcLm2EE23TrivialOffsetCalculatorILi1EjESG_NS9_15LoadWithoutCastENS9_16StoreWithoutCastELi8ELi1EEEEEvT0_T1_.num_agpr)
	.set _ZN2at6native29vectorized_elementwise_kernelILi2EZZZNS0_20trigamma_kernel_cudaERNS_18TensorIteratorBaseEENKUlvE_clEvENKUlvE2_clEvEUlN3c108BFloat16EE_St5arrayIPcLm2EEEEviT0_T1_.numbered_sgpr, max(33, .L_ZN2at6native25elementwise_kernel_helperILb0EZZZNS0_20trigamma_kernel_cudaERNS_18TensorIteratorBaseEENKUlvE_clEvENKUlvE2_clEvEUlN3c108BFloat16EE_NS0_6memory8policies11unroll_baseILi256ESt5arrayIPcLm2EE23TrivialOffsetCalculatorILi1EjESG_NS9_15LoadWithoutCastENS9_16StoreWithoutCastELi8ELi1EEEEEvT0_T1_.numbered_sgpr)
	.set _ZN2at6native29vectorized_elementwise_kernelILi2EZZZNS0_20trigamma_kernel_cudaERNS_18TensorIteratorBaseEENKUlvE_clEvENKUlvE2_clEvEUlN3c108BFloat16EE_St5arrayIPcLm2EEEEviT0_T1_.num_named_barrier, max(0, .L_ZN2at6native25elementwise_kernel_helperILb0EZZZNS0_20trigamma_kernel_cudaERNS_18TensorIteratorBaseEENKUlvE_clEvENKUlvE2_clEvEUlN3c108BFloat16EE_NS0_6memory8policies11unroll_baseILi256ESt5arrayIPcLm2EE23TrivialOffsetCalculatorILi1EjESG_NS9_15LoadWithoutCastENS9_16StoreWithoutCastELi8ELi1EEEEEvT0_T1_.num_named_barrier)
	.set _ZN2at6native29vectorized_elementwise_kernelILi2EZZZNS0_20trigamma_kernel_cudaERNS_18TensorIteratorBaseEENKUlvE_clEvENKUlvE2_clEvEUlN3c108BFloat16EE_St5arrayIPcLm2EEEEviT0_T1_.private_seg_size, 0+max(.L_ZN2at6native25elementwise_kernel_helperILb0EZZZNS0_20trigamma_kernel_cudaERNS_18TensorIteratorBaseEENKUlvE_clEvENKUlvE2_clEvEUlN3c108BFloat16EE_NS0_6memory8policies11unroll_baseILi256ESt5arrayIPcLm2EE23TrivialOffsetCalculatorILi1EjESG_NS9_15LoadWithoutCastENS9_16StoreWithoutCastELi8ELi1EEEEEvT0_T1_.private_seg_size)
	.set _ZN2at6native29vectorized_elementwise_kernelILi2EZZZNS0_20trigamma_kernel_cudaERNS_18TensorIteratorBaseEENKUlvE_clEvENKUlvE2_clEvEUlN3c108BFloat16EE_St5arrayIPcLm2EEEEviT0_T1_.uses_vcc, or(1, .L_ZN2at6native25elementwise_kernel_helperILb0EZZZNS0_20trigamma_kernel_cudaERNS_18TensorIteratorBaseEENKUlvE_clEvENKUlvE2_clEvEUlN3c108BFloat16EE_NS0_6memory8policies11unroll_baseILi256ESt5arrayIPcLm2EE23TrivialOffsetCalculatorILi1EjESG_NS9_15LoadWithoutCastENS9_16StoreWithoutCastELi8ELi1EEEEEvT0_T1_.uses_vcc)
	.set _ZN2at6native29vectorized_elementwise_kernelILi2EZZZNS0_20trigamma_kernel_cudaERNS_18TensorIteratorBaseEENKUlvE_clEvENKUlvE2_clEvEUlN3c108BFloat16EE_St5arrayIPcLm2EEEEviT0_T1_.uses_flat_scratch, or(0, .L_ZN2at6native25elementwise_kernel_helperILb0EZZZNS0_20trigamma_kernel_cudaERNS_18TensorIteratorBaseEENKUlvE_clEvENKUlvE2_clEvEUlN3c108BFloat16EE_NS0_6memory8policies11unroll_baseILi256ESt5arrayIPcLm2EE23TrivialOffsetCalculatorILi1EjESG_NS9_15LoadWithoutCastENS9_16StoreWithoutCastELi8ELi1EEEEEvT0_T1_.uses_flat_scratch)
	.set _ZN2at6native29vectorized_elementwise_kernelILi2EZZZNS0_20trigamma_kernel_cudaERNS_18TensorIteratorBaseEENKUlvE_clEvENKUlvE2_clEvEUlN3c108BFloat16EE_St5arrayIPcLm2EEEEviT0_T1_.has_dyn_sized_stack, or(0, .L_ZN2at6native25elementwise_kernel_helperILb0EZZZNS0_20trigamma_kernel_cudaERNS_18TensorIteratorBaseEENKUlvE_clEvENKUlvE2_clEvEUlN3c108BFloat16EE_NS0_6memory8policies11unroll_baseILi256ESt5arrayIPcLm2EE23TrivialOffsetCalculatorILi1EjESG_NS9_15LoadWithoutCastENS9_16StoreWithoutCastELi8ELi1EEEEEvT0_T1_.has_dyn_sized_stack)
	.set _ZN2at6native29vectorized_elementwise_kernelILi2EZZZNS0_20trigamma_kernel_cudaERNS_18TensorIteratorBaseEENKUlvE_clEvENKUlvE2_clEvEUlN3c108BFloat16EE_St5arrayIPcLm2EEEEviT0_T1_.has_recursion, or(0, .L_ZN2at6native25elementwise_kernel_helperILb0EZZZNS0_20trigamma_kernel_cudaERNS_18TensorIteratorBaseEENKUlvE_clEvENKUlvE2_clEvEUlN3c108BFloat16EE_NS0_6memory8policies11unroll_baseILi256ESt5arrayIPcLm2EE23TrivialOffsetCalculatorILi1EjESG_NS9_15LoadWithoutCastENS9_16StoreWithoutCastELi8ELi1EEEEEvT0_T1_.has_recursion)
	.set _ZN2at6native29vectorized_elementwise_kernelILi2EZZZNS0_20trigamma_kernel_cudaERNS_18TensorIteratorBaseEENKUlvE_clEvENKUlvE2_clEvEUlN3c108BFloat16EE_St5arrayIPcLm2EEEEviT0_T1_.has_indirect_call, or(0, .L_ZN2at6native25elementwise_kernel_helperILb0EZZZNS0_20trigamma_kernel_cudaERNS_18TensorIteratorBaseEENKUlvE_clEvENKUlvE2_clEvEUlN3c108BFloat16EE_NS0_6memory8policies11unroll_baseILi256ESt5arrayIPcLm2EE23TrivialOffsetCalculatorILi1EjESG_NS9_15LoadWithoutCastENS9_16StoreWithoutCastELi8ELi1EEEEEvT0_T1_.has_indirect_call)
	.section	.AMDGPU.csdata,"",@progbits
; Kernel info:
; codeLenInByte = 14312
; TotalNumSgprs: 35
; NumVgprs: 141
; ScratchSize: 0
; MemoryBound: 0
; FloatMode: 240
; IeeeMode: 1
; LDSByteSize: 0 bytes/workgroup (compile time only)
; SGPRBlocks: 0
; VGPRBlocks: 17
; NumSGPRsForWavesPerEU: 35
; NumVGPRsForWavesPerEU: 141
; Occupancy: 7
; WaveLimiterHint : 1
; COMPUTE_PGM_RSRC2:SCRATCH_EN: 0
; COMPUTE_PGM_RSRC2:USER_SGPR: 6
; COMPUTE_PGM_RSRC2:TRAP_HANDLER: 0
; COMPUTE_PGM_RSRC2:TGID_X_EN: 1
; COMPUTE_PGM_RSRC2:TGID_Y_EN: 0
; COMPUTE_PGM_RSRC2:TGID_Z_EN: 0
; COMPUTE_PGM_RSRC2:TIDIG_COMP_CNT: 0
	.section	.text._ZN2at6native27unrolled_elementwise_kernelIZZZNS0_20trigamma_kernel_cudaERNS_18TensorIteratorBaseEENKUlvE_clEvENKUlvE2_clEvEUlN3c108BFloat16EE_St5arrayIPcLm2EELi4E23TrivialOffsetCalculatorILi1EjESD_NS0_6memory15LoadWithoutCastENSE_16StoreWithoutCastEEEviT_T0_T2_T3_T4_T5_,"axG",@progbits,_ZN2at6native27unrolled_elementwise_kernelIZZZNS0_20trigamma_kernel_cudaERNS_18TensorIteratorBaseEENKUlvE_clEvENKUlvE2_clEvEUlN3c108BFloat16EE_St5arrayIPcLm2EELi4E23TrivialOffsetCalculatorILi1EjESD_NS0_6memory15LoadWithoutCastENSE_16StoreWithoutCastEEEviT_T0_T2_T3_T4_T5_,comdat
	.globl	_ZN2at6native27unrolled_elementwise_kernelIZZZNS0_20trigamma_kernel_cudaERNS_18TensorIteratorBaseEENKUlvE_clEvENKUlvE2_clEvEUlN3c108BFloat16EE_St5arrayIPcLm2EELi4E23TrivialOffsetCalculatorILi1EjESD_NS0_6memory15LoadWithoutCastENSE_16StoreWithoutCastEEEviT_T0_T2_T3_T4_T5_ ; -- Begin function _ZN2at6native27unrolled_elementwise_kernelIZZZNS0_20trigamma_kernel_cudaERNS_18TensorIteratorBaseEENKUlvE_clEvENKUlvE2_clEvEUlN3c108BFloat16EE_St5arrayIPcLm2EELi4E23TrivialOffsetCalculatorILi1EjESD_NS0_6memory15LoadWithoutCastENSE_16StoreWithoutCastEEEviT_T0_T2_T3_T4_T5_
	.p2align	8
	.type	_ZN2at6native27unrolled_elementwise_kernelIZZZNS0_20trigamma_kernel_cudaERNS_18TensorIteratorBaseEENKUlvE_clEvENKUlvE2_clEvEUlN3c108BFloat16EE_St5arrayIPcLm2EELi4E23TrivialOffsetCalculatorILi1EjESD_NS0_6memory15LoadWithoutCastENSE_16StoreWithoutCastEEEviT_T0_T2_T3_T4_T5_,@function
_ZN2at6native27unrolled_elementwise_kernelIZZZNS0_20trigamma_kernel_cudaERNS_18TensorIteratorBaseEENKUlvE_clEvENKUlvE2_clEvEUlN3c108BFloat16EE_St5arrayIPcLm2EELi4E23TrivialOffsetCalculatorILi1EjESD_NS0_6memory15LoadWithoutCastENSE_16StoreWithoutCastEEEviT_T0_T2_T3_T4_T5_: ; @_ZN2at6native27unrolled_elementwise_kernelIZZZNS0_20trigamma_kernel_cudaERNS_18TensorIteratorBaseEENKUlvE_clEvENKUlvE2_clEvEUlN3c108BFloat16EE_St5arrayIPcLm2EELi4E23TrivialOffsetCalculatorILi1EjESD_NS0_6memory15LoadWithoutCastENSE_16StoreWithoutCastEEEviT_T0_T2_T3_T4_T5_
; %bb.0:
	s_clause 0x1
	s_load_dword s0, s[4:5], 0x0
	s_load_dwordx4 s[8:11], s[4:5], 0x8
	s_lshl_b32 s5, s6, 10
	v_mov_b32_e32 v7, 0
	v_mov_b32_e32 v6, 0
	v_or_b32_e32 v1, s5, v0
	v_or_b32_e32 v3, 0x100, v0
	v_mov_b32_e32 v4, v0
	s_waitcnt lgkmcnt(0)
	s_sub_i32 s6, s0, s5
	v_cmp_gt_i32_e64 s0, s6, v0
	s_and_saveexec_b32 s1, s0
	s_cbranch_execz .LBB74_2
; %bb.1:
	v_mov_b32_e32 v2, 0
	v_lshlrev_b64 v[4:5], 1, v[1:2]
	v_add_co_u32 v4, vcc_lo, s10, v4
	v_add_co_ci_u32_e64 v5, null, s11, v5, vcc_lo
	global_load_ushort v2, v[4:5], off
	v_or_b32_e32 v4, 0x100, v0
	s_waitcnt vmcnt(0)
	v_lshlrev_b32_e32 v6, 16, v2
.LBB74_2:
	s_or_b32 exec_lo, exec_lo, s1
	s_mov_b32 s1, exec_lo
	v_cmpx_gt_i32_e64 s6, v4
	s_cbranch_execz .LBB74_4
; %bb.3:
	v_add_nc_u32_e32 v7, s5, v4
	v_mov_b32_e32 v8, 0
	v_add_nc_u32_e32 v4, 0x100, v4
	v_lshlrev_b64 v[7:8], 1, v[7:8]
	v_add_co_u32 v7, vcc_lo, s10, v7
	v_add_co_ci_u32_e64 v8, null, s11, v8, vcc_lo
	global_load_ushort v2, v[7:8], off
	s_waitcnt vmcnt(0)
	v_lshlrev_b32_e32 v7, 16, v2
.LBB74_4:
	s_or_b32 exec_lo, exec_lo, s1
	v_mov_b32_e32 v2, 0
	v_mov_b32_e32 v5, 0
	s_mov_b32 s1, exec_lo
	v_cmpx_gt_i32_e64 s6, v4
	s_cbranch_execz .LBB74_8
; %bb.5:
	v_add_nc_u32_e32 v8, s5, v4
	v_mov_b32_e32 v9, 0
	v_add_nc_u32_e32 v4, 0x100, v4
	v_lshlrev_b64 v[8:9], 1, v[8:9]
	v_add_co_u32 v8, vcc_lo, s10, v8
	v_add_co_ci_u32_e64 v9, null, s11, v9, vcc_lo
	global_load_ushort v5, v[8:9], off
	s_waitcnt vmcnt(0)
	v_lshlrev_b32_e32 v5, 16, v5
	s_or_b32 exec_lo, exec_lo, s1
	s_mov_b32 s1, exec_lo
	v_cmpx_gt_i32_e64 s6, v4
	s_cbranch_execnz .LBB74_9
.LBB74_6:
	s_or_b32 exec_lo, exec_lo, s1
                                        ; implicit-def: $vgpr4
	s_and_saveexec_b32 s7, s0
	s_cbranch_execnz .LBB74_10
.LBB74_7:
	s_or_b32 exec_lo, exec_lo, s7
	s_mov_b32 s7, exec_lo
                                        ; implicit-def: $vgpr6
	v_cmpx_gt_i32_e64 s6, v3
	s_cbranch_execz .LBB74_24
	s_branch .LBB74_17
.LBB74_8:
	s_or_b32 exec_lo, exec_lo, s1
	s_mov_b32 s1, exec_lo
	v_cmpx_gt_i32_e64 s6, v4
	s_cbranch_execz .LBB74_6
.LBB74_9:
	v_add_nc_u32_e32 v8, s5, v4
	v_mov_b32_e32 v9, 0
	v_lshlrev_b64 v[8:9], 1, v[8:9]
	v_add_co_u32 v8, vcc_lo, s10, v8
	v_add_co_ci_u32_e64 v9, null, s11, v9, vcc_lo
	global_load_ushort v2, v[8:9], off
	s_waitcnt vmcnt(0)
	v_lshlrev_b32_e32 v2, 16, v2
	s_or_b32 exec_lo, exec_lo, s1
                                        ; implicit-def: $vgpr4
	s_and_saveexec_b32 s7, s0
	s_cbranch_execz .LBB74_7
.LBB74_10:
	v_mov_b32_e32 v8, 0
	v_mov_b32_e32 v4, 1.0
	s_mov_b32 s3, exec_lo
	v_cmpx_gt_f32_e32 0.5, v6
	s_cbranch_execz .LBB74_16
; %bb.11:
	v_mul_f32_e32 v4, 0x40490fdb, v6
                                        ; implicit-def: $vgpr10
                                        ; implicit-def: $vgpr9
	s_mov_b32 s2, exec_lo
	v_and_b32_e32 v8, 0x7fffffff, v4
	v_cmpx_ngt_f32_e64 0x48000000, |v4|
	s_xor_b32 s4, exec_lo, s2
	s_cbranch_execz .LBB74_13
; %bb.12:
	s_mov_b32 s1, 0x7fffff
	v_mov_b32_e32 v11, 0
	v_and_or_b32 v18, v8, s1, 0x800000
	v_lshrrev_b32_e32 v16, 23, v8
	v_mad_u64_u32 v[9:10], null, 0xfe5163ab, v18, 0
	v_add_nc_u32_e32 v17, 0xffffff88, v16
	v_cmp_lt_u32_e32 vcc_lo, 63, v17
	v_mad_u64_u32 v[12:13], null, 0x3c439041, v18, v[10:11]
	v_cndmask_b32_e64 v19, 0, 0xffffffc0, vcc_lo
	v_mov_b32_e32 v10, v13
	v_add_nc_u32_e32 v19, v19, v17
	v_mad_u64_u32 v[13:14], null, 0xdb629599, v18, v[10:11]
	v_cmp_lt_u32_e64 s1, 31, v19
	v_cndmask_b32_e64 v20, 0, 0xffffffe0, s1
	v_mov_b32_e32 v10, v14
	v_cndmask_b32_e32 v9, v13, v9, vcc_lo
	v_mad_u64_u32 v[14:15], null, 0xf534ddc0, v18, v[10:11]
	v_mov_b32_e32 v10, v15
	v_cndmask_b32_e32 v12, v14, v12, vcc_lo
	v_mad_u64_u32 v[15:16], null, 0xfc2757d1, v18, v[10:11]
	v_cndmask_b32_e64 v9, v12, v9, s1
	v_mov_b32_e32 v10, v16
	v_mad_u64_u32 v[16:17], null, 0x4e441529, v18, v[10:11]
	v_mov_b32_e32 v10, v17
	v_add_nc_u32_e32 v17, v20, v19
	v_cndmask_b32_e32 v19, v16, v14, vcc_lo
	v_mad_u64_u32 v[10:11], null, 0xa2f9836e, v18, v[10:11]
	v_cmp_lt_u32_e64 s2, 31, v17
	v_cndmask_b32_e64 v18, 0, 0xffffffe0, s2
	v_cndmask_b32_e32 v10, v10, v15, vcc_lo
	v_cndmask_b32_e32 v11, v11, v16, vcc_lo
	;; [unrolled: 1-line block ×3, first 2 shown]
	v_add_nc_u32_e32 v16, v18, v17
	v_cndmask_b32_e64 v14, v10, v19, s1
	v_cndmask_b32_e64 v10, v11, v10, s1
	;; [unrolled: 1-line block ×4, first 2 shown]
	v_sub_nc_u32_e32 v17, 32, v16
	v_cmp_eq_u32_e32 vcc_lo, 0, v16
	v_cndmask_b32_e64 v10, v10, v14, s2
	v_cndmask_b32_e64 v14, v14, v11, s2
	;; [unrolled: 1-line block ×4, first 2 shown]
	v_alignbit_b32 v18, v10, v14, v17
	v_alignbit_b32 v13, v14, v11, v17
	;; [unrolled: 1-line block ×3, first 2 shown]
	v_cndmask_b32_e32 v10, v18, v10, vcc_lo
	v_cndmask_b32_e32 v12, v13, v14, vcc_lo
	;; [unrolled: 1-line block ×3, first 2 shown]
	v_bfe_u32 v13, v10, 29, 1
	v_alignbit_b32 v14, v10, v12, 30
	v_alignbit_b32 v12, v12, v11, 30
	;; [unrolled: 1-line block ×3, first 2 shown]
	v_sub_nc_u32_e32 v15, 0, v13
	v_xor_b32_e32 v14, v14, v15
	v_xor_b32_e32 v11, v12, v15
	v_xor_b32_e32 v9, v9, v15
	v_lshrrev_b32_e32 v15, 29, v10
	v_lshrrev_b32_e32 v10, 30, v10
	v_ffbh_u32_e32 v16, v14
	v_add_nc_u32_e32 v10, v13, v10
	v_min_u32_e32 v16, 32, v16
	v_sub_nc_u32_e32 v12, 31, v16
	v_lshlrev_b32_e32 v17, 23, v16
	v_alignbit_b32 v14, v14, v11, v12
	v_alignbit_b32 v9, v11, v9, v12
	v_lshlrev_b32_e32 v11, 31, v15
	v_alignbit_b32 v12, v14, v9, 9
	v_or_b32_e32 v15, 0.5, v11
	v_lshrrev_b32_e32 v14, 9, v14
	v_or_b32_e32 v11, 0x33000000, v11
	v_ffbh_u32_e32 v18, v12
	v_sub_nc_u32_e32 v15, v15, v17
	v_min_u32_e32 v17, 32, v18
	v_or_b32_e32 v14, v14, v15
	v_not_b32_e32 v15, v17
	v_mul_f32_e32 v18, 0x3fc90fda, v14
	v_add_lshl_u32 v16, v17, v16, 23
	v_alignbit_b32 v9, v12, v9, v15
	v_fma_f32 v12, 0x3fc90fda, v14, -v18
	v_sub_nc_u32_e32 v11, v11, v16
	v_lshrrev_b32_e32 v9, 9, v9
	v_fmamk_f32 v12, v14, 0x33a22168, v12
	v_or_b32_e32 v9, v11, v9
	v_fmac_f32_e32 v12, 0x3fc90fda, v9
	v_add_f32_e32 v9, v18, v12
.LBB74_13:
	s_andn2_saveexec_b32 s1, s4
; %bb.14:
	v_mul_f32_e64 v9, 0x3f22f983, |v4|
	v_rndne_f32_e32 v10, v9
	v_fma_f32 v9, 0xbfc90fda, v10, |v4|
	v_fmamk_f32 v9, v10, 0xb3a22168, v9
	v_fmamk_f32 v9, v10, 0xa7c234c4, v9
	v_cvt_i32_f32_e32 v10, v10
; %bb.15:
	s_or_b32 exec_lo, exec_lo, s1
	v_mul_f32_e32 v11, v9, v9
	s_mov_b32 s1, 0xb94c1982
	s_mov_b32 s2, 0x37d75334
	v_and_b32_e32 v14, 1, v10
	v_lshlrev_b32_e32 v10, 30, v10
	v_fmaak_f32 v12, s1, v11, 0x3c0881c4
	v_fmaak_f32 v13, s2, v11, 0xbab64f3b
	v_xor_b32_e32 v8, v8, v4
	v_cmp_eq_u32_e32 vcc_lo, 0, v14
	v_and_b32_e32 v10, 0x80000000, v10
	v_fmaak_f32 v12, v11, v12, 0xbe2aaa9d
	v_fmaak_f32 v13, v11, v13, 0x3d2aabf7
	v_sub_f32_e32 v6, 1.0, v6
	v_mul_f32_e32 v12, v11, v12
	v_fmaak_f32 v13, v11, v13, 0xbf000004
	v_fmac_f32_e32 v9, v9, v12
	v_fma_f32 v11, v11, v13, 1.0
	v_cndmask_b32_e32 v9, v11, v9, vcc_lo
	v_cmp_class_f32_e64 vcc_lo, v4, 0x1f8
	v_xor3_b32 v8, v8, v10, v9
	v_cndmask_b32_e32 v4, 0x7fc00000, v8, vcc_lo
	v_mul_f32_e32 v4, v4, v4
	v_div_scale_f32 v8, null, v4, v4, 0xc11de9e7
	v_div_scale_f32 v11, vcc_lo, 0xc11de9e7, v4, 0xc11de9e7
	v_rcp_f32_e32 v9, v8
	v_fma_f32 v10, -v8, v9, 1.0
	v_fmac_f32_e32 v9, v10, v9
	v_mul_f32_e32 v10, v11, v9
	v_fma_f32 v12, -v8, v10, v11
	v_fmac_f32_e32 v10, v12, v9
	v_fma_f32 v8, -v8, v10, v11
	v_div_fmas_f32 v8, v8, v9, v10
	v_div_fixup_f32 v4, v8, v4, 0xc11de9e7
	v_add_f32_e32 v8, 0, v4
	v_mov_b32_e32 v4, -1.0
.LBB74_16:
	s_or_b32 exec_lo, exec_lo, s3
	v_add_f32_e32 v9, 1.0, v6
	v_mul_f32_e32 v6, v6, v6
	v_mul_f32_e32 v10, v9, v9
	v_add_f32_e32 v9, 1.0, v9
	v_div_scale_f32 v11, null, v6, v6, 1.0
	v_div_scale_f32 v13, vcc_lo, 1.0, v6, 1.0
	v_mul_f32_e32 v14, v9, v9
	v_div_scale_f32 v12, null, v10, v10, 1.0
	v_rcp_f32_e32 v15, v11
	v_div_scale_f32 v18, s1, 1.0, v10, 1.0
	v_div_scale_f32 v17, null, v14, v14, 1.0
	v_rcp_f32_e32 v16, v12
	v_add_f32_e32 v9, 1.0, v9
	v_div_scale_f32 v19, s2, 1.0, v14, 1.0
	v_rcp_f32_e32 v20, v17
	v_fma_f32 v22, -v11, v15, 1.0
	v_mul_f32_e32 v21, v9, v9
	v_add_f32_e32 v9, 1.0, v9
	v_fma_f32 v23, -v12, v16, 1.0
	v_fmac_f32_e32 v15, v22, v15
	v_mul_f32_e32 v25, v9, v9
	v_add_f32_e32 v9, 1.0, v9
	v_fma_f32 v22, -v17, v20, 1.0
	v_fmac_f32_e32 v16, v23, v16
	v_mul_f32_e32 v26, v13, v15
	v_div_scale_f32 v24, null, v21, v21, 1.0
	v_fmac_f32_e32 v20, v22, v20
	v_mul_f32_e32 v27, v18, v16
	v_fma_f32 v28, -v11, v26, v13
	v_add_f32_e32 v31, 1.0, v9
	v_rcp_f32_e32 v23, v24
	v_mul_f32_e32 v30, v19, v20
	v_fma_f32 v29, -v12, v27, v18
	v_fmac_f32_e32 v26, v28, v15
	v_mul_f32_e32 v9, v9, v9
	v_div_scale_f32 v22, null, v25, v25, 1.0
	v_fma_f32 v28, -v17, v30, v19
	v_fmac_f32_e32 v27, v29, v16
	v_fma_f32 v11, -v11, v26, v13
	v_mul_f32_e32 v13, v31, v31
	v_rcp_f32_e32 v29, v22
	v_fmac_f32_e32 v30, v28, v20
	v_fma_f32 v12, -v12, v27, v18
	v_div_fmas_f32 v11, v11, v15, v26
	s_mov_b32 vcc_lo, s1
	v_fma_f32 v32, -v24, v23, 1.0
	v_fma_f32 v15, -v17, v30, v19
	v_div_fmas_f32 v12, v12, v16, v27
	s_mov_b32 vcc_lo, s2
	v_div_scale_f32 v16, null, v9, v9, 1.0
	v_div_fmas_f32 v15, v15, v20, v30
	v_div_scale_f32 v17, null, v13, v13, 1.0
	v_add_f32_e32 v20, v31, v31
	v_rcp_f32_e32 v19, v16
	v_fmac_f32_e32 v23, v32, v23
	v_rcp_f32_e32 v27, v17
	v_div_scale_f32 v18, vcc_lo, 1.0, v21, 1.0
	v_div_scale_f32 v30, null, v20, v20, 1.0
	v_fma_f32 v26, -v22, v29, 1.0
	v_mul_f32_e32 v28, v18, v23
	v_div_fixup_f32 v6, v11, v6, 1.0
	v_rcp_f32_e32 v33, v30
	v_fma_f32 v32, -v16, v19, 1.0
	v_fmac_f32_e32 v29, v26, v29
	v_div_scale_f32 v26, s1, 1.0, v25, 1.0
	v_fma_f32 v35, -v17, v27, 1.0
	v_fma_f32 v34, -v24, v28, v18
	v_fmac_f32_e32 v19, v32, v19
	v_div_scale_f32 v32, s2, 1.0, v9, 1.0
	v_mul_f32_e32 v36, v26, v29
	v_fmac_f32_e32 v27, v35, v27
	v_div_scale_f32 v35, s3, 1.0, v13, 1.0
	v_fma_f32 v37, -v30, v33, 1.0
	v_fmac_f32_e32 v28, v34, v23
	v_mul_f32_e32 v38, v32, v19
	v_fma_f32 v34, -v22, v36, v26
	v_mul_f32_e32 v39, v35, v27
	v_fmac_f32_e32 v33, v37, v33
	v_div_scale_f32 v37, s4, 1.0, v20, 1.0
	v_fma_f32 v18, -v24, v28, v18
	v_fma_f32 v24, -v16, v38, v32
	v_fmac_f32_e32 v36, v34, v29
	v_fma_f32 v34, -v17, v39, v35
	v_mul_f32_e32 v40, v37, v33
	v_div_fmas_f32 v18, v18, v23, v28
	v_fmac_f32_e32 v38, v24, v19
	v_fma_f32 v22, -v22, v36, v26
	v_fmac_f32_e32 v39, v34, v27
	v_fma_f32 v23, -v30, v40, v37
	s_mov_b32 vcc_lo, s1
	v_fma_f32 v16, -v16, v38, v32
	v_div_fmas_f32 v22, v22, v29, v36
	v_fma_f32 v17, -v17, v39, v35
	v_fmac_f32_e32 v40, v23, v33
	s_mov_b32 vcc_lo, s2
	s_mov_b32 s1, 0xbcc30c31
	v_div_fmas_f32 v16, v16, v19, v38
	s_mov_b32 vcc_lo, s3
	v_fma_f32 v19, -v30, v40, v37
	v_div_fmas_f32 v17, v17, v27, v39
	s_mov_b32 vcc_lo, s4
	v_add_f32_e32 v6, v8, v6
	v_div_fixup_f32 v8, v12, v10, 1.0
	v_div_fmas_f32 v19, v19, v33, v40
	v_div_fixup_f32 v13, v17, v13, 1.0
	v_add_f32_e32 v6, v6, v8
	v_div_fixup_f32 v17, v19, v20, 1.0
	v_fmaak_f32 v19, s1, v13, 0x3d088889
	v_div_fixup_f32 v8, v15, v14, 1.0
	v_add_f32_e32 v17, 1.0, v17
	v_fma_f32 v19, -v13, v19, 0x3e2aaaab
	v_add_f32_e32 v6, v6, v8
	v_div_fixup_f32 v8, v18, v21, 1.0
	v_fmac_f32_e32 v17, v13, v19
	v_add_f32_e32 v6, v6, v8
	v_div_fixup_f32 v8, v22, v25, 1.0
	v_div_scale_f32 v13, null, v31, v31, v17
	v_div_scale_f32 v10, vcc_lo, v17, v31, v17
	v_add_f32_e32 v6, v6, v8
	v_rcp_f32_e32 v19, v13
	v_div_fixup_f32 v8, v16, v9, 1.0
	v_add_f32_e32 v6, v6, v8
	v_fma_f32 v11, -v13, v19, 1.0
	v_fmac_f32_e32 v19, v11, v19
	v_mul_f32_e32 v11, v10, v19
	v_fma_f32 v12, -v13, v11, v10
	v_fmac_f32_e32 v11, v12, v19
	v_fma_f32 v10, -v13, v11, v10
	v_div_fmas_f32 v9, v10, v19, v11
	v_div_fixup_f32 v8, v9, v31, v17
	v_add_f32_e32 v6, v6, v8
	v_mul_f32_e32 v4, v4, v6
	v_bfe_u32 v6, v4, 16, 1
	v_cmp_o_f32_e32 vcc_lo, v4, v4
	v_add3_u32 v4, v4, v6, 0x7fff
	v_mov_b32_e32 v6, 0x7fc0
	v_cndmask_b32_sdwa v4, v6, v4, vcc_lo dst_sel:DWORD dst_unused:UNUSED_PAD src0_sel:DWORD src1_sel:WORD_1
	s_or_b32 exec_lo, exec_lo, s7
	s_mov_b32 s7, exec_lo
                                        ; implicit-def: $vgpr6
	v_cmpx_gt_i32_e64 s6, v3
	s_cbranch_execz .LBB74_24
.LBB74_17:
	v_mov_b32_e32 v8, 0
	v_mov_b32_e32 v6, 1.0
	s_mov_b32 s3, exec_lo
	v_cmpx_gt_f32_e32 0.5, v7
	s_cbranch_execz .LBB74_23
; %bb.18:
	v_mul_f32_e32 v6, 0x40490fdb, v7
                                        ; implicit-def: $vgpr10
                                        ; implicit-def: $vgpr9
	s_mov_b32 s2, exec_lo
	v_and_b32_e32 v8, 0x7fffffff, v6
	v_cmpx_ngt_f32_e64 0x48000000, |v6|
	s_xor_b32 s4, exec_lo, s2
	s_cbranch_execz .LBB74_20
; %bb.19:
	s_mov_b32 s1, 0x7fffff
	v_mov_b32_e32 v11, 0
	v_and_or_b32 v18, v8, s1, 0x800000
	v_lshrrev_b32_e32 v16, 23, v8
	v_mad_u64_u32 v[9:10], null, 0xfe5163ab, v18, 0
	v_add_nc_u32_e32 v17, 0xffffff88, v16
	v_cmp_lt_u32_e32 vcc_lo, 63, v17
	v_mad_u64_u32 v[12:13], null, 0x3c439041, v18, v[10:11]
	v_cndmask_b32_e64 v19, 0, 0xffffffc0, vcc_lo
	v_mov_b32_e32 v10, v13
	v_add_nc_u32_e32 v19, v19, v17
	v_mad_u64_u32 v[13:14], null, 0xdb629599, v18, v[10:11]
	v_cmp_lt_u32_e64 s1, 31, v19
	v_cndmask_b32_e64 v20, 0, 0xffffffe0, s1
	v_mov_b32_e32 v10, v14
	v_cndmask_b32_e32 v9, v13, v9, vcc_lo
	v_mad_u64_u32 v[14:15], null, 0xf534ddc0, v18, v[10:11]
	v_mov_b32_e32 v10, v15
	v_cndmask_b32_e32 v12, v14, v12, vcc_lo
	v_mad_u64_u32 v[15:16], null, 0xfc2757d1, v18, v[10:11]
	v_cndmask_b32_e64 v9, v12, v9, s1
	v_mov_b32_e32 v10, v16
	v_mad_u64_u32 v[16:17], null, 0x4e441529, v18, v[10:11]
	v_mov_b32_e32 v10, v17
	v_add_nc_u32_e32 v17, v20, v19
	v_cndmask_b32_e32 v19, v16, v14, vcc_lo
	v_mad_u64_u32 v[10:11], null, 0xa2f9836e, v18, v[10:11]
	v_cmp_lt_u32_e64 s2, 31, v17
	v_cndmask_b32_e64 v18, 0, 0xffffffe0, s2
	v_cndmask_b32_e32 v10, v10, v15, vcc_lo
	v_cndmask_b32_e32 v11, v11, v16, vcc_lo
	;; [unrolled: 1-line block ×3, first 2 shown]
	v_add_nc_u32_e32 v16, v18, v17
	v_cndmask_b32_e64 v14, v10, v19, s1
	v_cndmask_b32_e64 v10, v11, v10, s1
	;; [unrolled: 1-line block ×4, first 2 shown]
	v_sub_nc_u32_e32 v17, 32, v16
	v_cmp_eq_u32_e32 vcc_lo, 0, v16
	v_cndmask_b32_e64 v10, v10, v14, s2
	v_cndmask_b32_e64 v14, v14, v11, s2
	;; [unrolled: 1-line block ×4, first 2 shown]
	v_alignbit_b32 v18, v10, v14, v17
	v_alignbit_b32 v13, v14, v11, v17
	;; [unrolled: 1-line block ×3, first 2 shown]
	v_cndmask_b32_e32 v10, v18, v10, vcc_lo
	v_cndmask_b32_e32 v12, v13, v14, vcc_lo
	;; [unrolled: 1-line block ×3, first 2 shown]
	v_bfe_u32 v13, v10, 29, 1
	v_alignbit_b32 v14, v10, v12, 30
	v_alignbit_b32 v12, v12, v11, 30
	;; [unrolled: 1-line block ×3, first 2 shown]
	v_sub_nc_u32_e32 v15, 0, v13
	v_xor_b32_e32 v14, v14, v15
	v_xor_b32_e32 v11, v12, v15
	;; [unrolled: 1-line block ×3, first 2 shown]
	v_lshrrev_b32_e32 v15, 29, v10
	v_lshrrev_b32_e32 v10, 30, v10
	v_ffbh_u32_e32 v16, v14
	v_add_nc_u32_e32 v10, v13, v10
	v_min_u32_e32 v16, 32, v16
	v_sub_nc_u32_e32 v12, 31, v16
	v_lshlrev_b32_e32 v17, 23, v16
	v_alignbit_b32 v14, v14, v11, v12
	v_alignbit_b32 v9, v11, v9, v12
	v_lshlrev_b32_e32 v11, 31, v15
	v_alignbit_b32 v12, v14, v9, 9
	v_or_b32_e32 v15, 0.5, v11
	v_lshrrev_b32_e32 v14, 9, v14
	v_or_b32_e32 v11, 0x33000000, v11
	v_ffbh_u32_e32 v18, v12
	v_sub_nc_u32_e32 v15, v15, v17
	v_min_u32_e32 v17, 32, v18
	v_or_b32_e32 v14, v14, v15
	v_not_b32_e32 v15, v17
	v_mul_f32_e32 v18, 0x3fc90fda, v14
	v_add_lshl_u32 v16, v17, v16, 23
	v_alignbit_b32 v9, v12, v9, v15
	v_fma_f32 v12, 0x3fc90fda, v14, -v18
	v_sub_nc_u32_e32 v11, v11, v16
	v_lshrrev_b32_e32 v9, 9, v9
	v_fmamk_f32 v12, v14, 0x33a22168, v12
	v_or_b32_e32 v9, v11, v9
	v_fmac_f32_e32 v12, 0x3fc90fda, v9
	v_add_f32_e32 v9, v18, v12
.LBB74_20:
	s_andn2_saveexec_b32 s1, s4
; %bb.21:
	v_mul_f32_e64 v9, 0x3f22f983, |v6|
	v_rndne_f32_e32 v10, v9
	v_fma_f32 v9, 0xbfc90fda, v10, |v6|
	v_fmamk_f32 v9, v10, 0xb3a22168, v9
	v_fmamk_f32 v9, v10, 0xa7c234c4, v9
	v_cvt_i32_f32_e32 v10, v10
; %bb.22:
	s_or_b32 exec_lo, exec_lo, s1
	v_mul_f32_e32 v11, v9, v9
	s_mov_b32 s1, 0xb94c1982
	s_mov_b32 s2, 0x37d75334
	v_and_b32_e32 v14, 1, v10
	v_lshlrev_b32_e32 v10, 30, v10
	v_fmaak_f32 v12, s1, v11, 0x3c0881c4
	v_fmaak_f32 v13, s2, v11, 0xbab64f3b
	v_xor_b32_e32 v8, v8, v6
	v_cmp_eq_u32_e32 vcc_lo, 0, v14
	v_and_b32_e32 v10, 0x80000000, v10
	v_fmaak_f32 v12, v11, v12, 0xbe2aaa9d
	v_fmaak_f32 v13, v11, v13, 0x3d2aabf7
	v_sub_f32_e32 v7, 1.0, v7
	v_mul_f32_e32 v12, v11, v12
	v_fmaak_f32 v13, v11, v13, 0xbf000004
	v_fmac_f32_e32 v9, v9, v12
	v_fma_f32 v11, v11, v13, 1.0
	v_cndmask_b32_e32 v9, v11, v9, vcc_lo
	v_cmp_class_f32_e64 vcc_lo, v6, 0x1f8
	v_xor3_b32 v8, v8, v10, v9
	v_cndmask_b32_e32 v6, 0x7fc00000, v8, vcc_lo
	v_mul_f32_e32 v6, v6, v6
	v_div_scale_f32 v8, null, v6, v6, 0xc11de9e7
	v_div_scale_f32 v11, vcc_lo, 0xc11de9e7, v6, 0xc11de9e7
	v_rcp_f32_e32 v9, v8
	v_fma_f32 v10, -v8, v9, 1.0
	v_fmac_f32_e32 v9, v10, v9
	v_mul_f32_e32 v10, v11, v9
	v_fma_f32 v12, -v8, v10, v11
	v_fmac_f32_e32 v10, v12, v9
	v_fma_f32 v8, -v8, v10, v11
	v_div_fmas_f32 v8, v8, v9, v10
	v_div_fixup_f32 v6, v8, v6, 0xc11de9e7
	v_add_f32_e32 v8, 0, v6
	v_mov_b32_e32 v6, -1.0
.LBB74_23:
	s_or_b32 exec_lo, exec_lo, s3
	v_add_f32_e32 v9, 1.0, v7
	v_mul_f32_e32 v7, v7, v7
	v_mul_f32_e32 v10, v9, v9
	v_add_f32_e32 v9, 1.0, v9
	v_div_scale_f32 v11, null, v7, v7, 1.0
	v_div_scale_f32 v13, vcc_lo, 1.0, v7, 1.0
	v_mul_f32_e32 v14, v9, v9
	v_div_scale_f32 v12, null, v10, v10, 1.0
	v_rcp_f32_e32 v15, v11
	v_div_scale_f32 v18, s1, 1.0, v10, 1.0
	v_div_scale_f32 v17, null, v14, v14, 1.0
	v_rcp_f32_e32 v16, v12
	v_add_f32_e32 v9, 1.0, v9
	v_div_scale_f32 v19, s2, 1.0, v14, 1.0
	v_rcp_f32_e32 v20, v17
	v_fma_f32 v22, -v11, v15, 1.0
	v_mul_f32_e32 v21, v9, v9
	v_add_f32_e32 v9, 1.0, v9
	v_fma_f32 v23, -v12, v16, 1.0
	v_fmac_f32_e32 v15, v22, v15
	v_mul_f32_e32 v25, v9, v9
	v_add_f32_e32 v9, 1.0, v9
	v_fma_f32 v22, -v17, v20, 1.0
	v_fmac_f32_e32 v16, v23, v16
	v_mul_f32_e32 v26, v13, v15
	v_div_scale_f32 v24, null, v21, v21, 1.0
	v_fmac_f32_e32 v20, v22, v20
	v_mul_f32_e32 v27, v18, v16
	v_fma_f32 v28, -v11, v26, v13
	v_add_f32_e32 v31, 1.0, v9
	v_rcp_f32_e32 v23, v24
	v_mul_f32_e32 v30, v19, v20
	v_fma_f32 v29, -v12, v27, v18
	v_fmac_f32_e32 v26, v28, v15
	v_mul_f32_e32 v9, v9, v9
	v_div_scale_f32 v22, null, v25, v25, 1.0
	v_fma_f32 v28, -v17, v30, v19
	v_fmac_f32_e32 v27, v29, v16
	v_fma_f32 v11, -v11, v26, v13
	v_mul_f32_e32 v13, v31, v31
	v_rcp_f32_e32 v29, v22
	v_fmac_f32_e32 v30, v28, v20
	v_fma_f32 v12, -v12, v27, v18
	v_div_fmas_f32 v11, v11, v15, v26
	s_mov_b32 vcc_lo, s1
	v_fma_f32 v32, -v24, v23, 1.0
	v_fma_f32 v15, -v17, v30, v19
	v_div_fmas_f32 v12, v12, v16, v27
	s_mov_b32 vcc_lo, s2
	v_div_scale_f32 v16, null, v9, v9, 1.0
	v_div_fmas_f32 v15, v15, v20, v30
	v_div_scale_f32 v17, null, v13, v13, 1.0
	v_add_f32_e32 v20, v31, v31
	v_rcp_f32_e32 v19, v16
	v_fmac_f32_e32 v23, v32, v23
	v_rcp_f32_e32 v27, v17
	v_div_scale_f32 v18, vcc_lo, 1.0, v21, 1.0
	v_div_scale_f32 v30, null, v20, v20, 1.0
	v_fma_f32 v26, -v22, v29, 1.0
	v_mul_f32_e32 v28, v18, v23
	v_div_fixup_f32 v7, v11, v7, 1.0
	v_rcp_f32_e32 v33, v30
	v_fma_f32 v32, -v16, v19, 1.0
	v_fmac_f32_e32 v29, v26, v29
	v_div_scale_f32 v26, s1, 1.0, v25, 1.0
	v_fma_f32 v35, -v17, v27, 1.0
	v_fma_f32 v34, -v24, v28, v18
	v_fmac_f32_e32 v19, v32, v19
	v_div_scale_f32 v32, s2, 1.0, v9, 1.0
	v_mul_f32_e32 v36, v26, v29
	v_fmac_f32_e32 v27, v35, v27
	v_div_scale_f32 v35, s3, 1.0, v13, 1.0
	v_fma_f32 v37, -v30, v33, 1.0
	v_fmac_f32_e32 v28, v34, v23
	v_mul_f32_e32 v38, v32, v19
	v_fma_f32 v34, -v22, v36, v26
	v_mul_f32_e32 v39, v35, v27
	v_fmac_f32_e32 v33, v37, v33
	v_div_scale_f32 v37, s4, 1.0, v20, 1.0
	v_fma_f32 v18, -v24, v28, v18
	v_fma_f32 v24, -v16, v38, v32
	v_fmac_f32_e32 v36, v34, v29
	v_fma_f32 v34, -v17, v39, v35
	v_mul_f32_e32 v40, v37, v33
	v_div_fmas_f32 v18, v18, v23, v28
	v_fmac_f32_e32 v38, v24, v19
	v_fma_f32 v22, -v22, v36, v26
	v_fmac_f32_e32 v39, v34, v27
	v_fma_f32 v23, -v30, v40, v37
	s_mov_b32 vcc_lo, s1
	v_fma_f32 v16, -v16, v38, v32
	v_div_fmas_f32 v22, v22, v29, v36
	v_fma_f32 v17, -v17, v39, v35
	v_fmac_f32_e32 v40, v23, v33
	s_mov_b32 vcc_lo, s2
	s_mov_b32 s1, 0xbcc30c31
	v_div_fmas_f32 v16, v16, v19, v38
	s_mov_b32 vcc_lo, s3
	v_fma_f32 v19, -v30, v40, v37
	v_div_fmas_f32 v17, v17, v27, v39
	s_mov_b32 vcc_lo, s4
	v_add_f32_e32 v7, v8, v7
	v_div_fixup_f32 v8, v12, v10, 1.0
	v_div_fmas_f32 v19, v19, v33, v40
	v_div_fixup_f32 v13, v17, v13, 1.0
	v_add_f32_e32 v7, v7, v8
	v_div_fixup_f32 v17, v19, v20, 1.0
	v_fmaak_f32 v19, s1, v13, 0x3d088889
	v_div_fixup_f32 v8, v15, v14, 1.0
	v_add_f32_e32 v17, 1.0, v17
	v_fma_f32 v19, -v13, v19, 0x3e2aaaab
	v_add_f32_e32 v7, v7, v8
	v_div_fixup_f32 v8, v18, v21, 1.0
	v_fmac_f32_e32 v17, v13, v19
	v_add_f32_e32 v7, v7, v8
	v_div_fixup_f32 v8, v22, v25, 1.0
	v_div_scale_f32 v13, null, v31, v31, v17
	v_div_scale_f32 v10, vcc_lo, v17, v31, v17
	v_add_f32_e32 v7, v7, v8
	v_rcp_f32_e32 v19, v13
	v_div_fixup_f32 v8, v16, v9, 1.0
	v_add_f32_e32 v7, v7, v8
	v_fma_f32 v11, -v13, v19, 1.0
	v_fmac_f32_e32 v19, v11, v19
	v_mul_f32_e32 v11, v10, v19
	v_fma_f32 v12, -v13, v11, v10
	v_fmac_f32_e32 v11, v12, v19
	v_fma_f32 v10, -v13, v11, v10
	v_div_fmas_f32 v9, v10, v19, v11
	v_div_fixup_f32 v8, v9, v31, v17
	v_add_f32_e32 v7, v7, v8
	v_mul_f32_e32 v6, v6, v7
	v_bfe_u32 v7, v6, 16, 1
	v_cmp_o_f32_e32 vcc_lo, v6, v6
	v_add3_u32 v6, v6, v7, 0x7fff
	v_mov_b32_e32 v7, 0x7fc0
	v_cndmask_b32_sdwa v6, v7, v6, vcc_lo dst_sel:DWORD dst_unused:UNUSED_PAD src0_sel:DWORD src1_sel:WORD_1
.LBB74_24:
	s_or_b32 exec_lo, exec_lo, s7
	v_or_b32_e32 v7, 0x200, v0
	v_cmp_gt_i32_e32 vcc_lo, s6, v7
                                        ; implicit-def: $vgpr7
	s_and_saveexec_b32 s7, vcc_lo
	s_cbranch_execz .LBB74_32
; %bb.25:
	v_mov_b32_e32 v8, 0
	v_mov_b32_e32 v7, 1.0
	s_mov_b32 s3, exec_lo
	v_cmpx_gt_f32_e32 0.5, v5
	s_cbranch_execz .LBB74_31
; %bb.26:
	v_mul_f32_e32 v7, 0x40490fdb, v5
                                        ; implicit-def: $vgpr10
                                        ; implicit-def: $vgpr9
	s_mov_b32 s2, exec_lo
	v_and_b32_e32 v8, 0x7fffffff, v7
	v_cmpx_ngt_f32_e64 0x48000000, |v7|
	s_xor_b32 s4, exec_lo, s2
	s_cbranch_execz .LBB74_28
; %bb.27:
	s_mov_b32 s1, 0x7fffff
	v_mov_b32_e32 v11, 0
	v_and_or_b32 v18, v8, s1, 0x800000
	v_lshrrev_b32_e32 v16, 23, v8
	v_mad_u64_u32 v[9:10], null, 0xfe5163ab, v18, 0
	v_add_nc_u32_e32 v17, 0xffffff88, v16
	v_cmp_lt_u32_e32 vcc_lo, 63, v17
	v_mad_u64_u32 v[12:13], null, 0x3c439041, v18, v[10:11]
	v_cndmask_b32_e64 v19, 0, 0xffffffc0, vcc_lo
	v_mov_b32_e32 v10, v13
	v_add_nc_u32_e32 v19, v19, v17
	v_mad_u64_u32 v[13:14], null, 0xdb629599, v18, v[10:11]
	v_cmp_lt_u32_e64 s1, 31, v19
	v_cndmask_b32_e64 v20, 0, 0xffffffe0, s1
	v_mov_b32_e32 v10, v14
	v_cndmask_b32_e32 v9, v13, v9, vcc_lo
	v_mad_u64_u32 v[14:15], null, 0xf534ddc0, v18, v[10:11]
	v_mov_b32_e32 v10, v15
	v_cndmask_b32_e32 v12, v14, v12, vcc_lo
	v_mad_u64_u32 v[15:16], null, 0xfc2757d1, v18, v[10:11]
	v_cndmask_b32_e64 v9, v12, v9, s1
	v_mov_b32_e32 v10, v16
	v_mad_u64_u32 v[16:17], null, 0x4e441529, v18, v[10:11]
	v_mov_b32_e32 v10, v17
	v_add_nc_u32_e32 v17, v20, v19
	v_cndmask_b32_e32 v19, v16, v14, vcc_lo
	v_mad_u64_u32 v[10:11], null, 0xa2f9836e, v18, v[10:11]
	v_cmp_lt_u32_e64 s2, 31, v17
	v_cndmask_b32_e64 v18, 0, 0xffffffe0, s2
	v_cndmask_b32_e32 v10, v10, v15, vcc_lo
	v_cndmask_b32_e32 v11, v11, v16, vcc_lo
	;; [unrolled: 1-line block ×3, first 2 shown]
	v_add_nc_u32_e32 v16, v18, v17
	v_cndmask_b32_e64 v14, v10, v19, s1
	v_cndmask_b32_e64 v10, v11, v10, s1
	;; [unrolled: 1-line block ×4, first 2 shown]
	v_sub_nc_u32_e32 v17, 32, v16
	v_cmp_eq_u32_e32 vcc_lo, 0, v16
	v_cndmask_b32_e64 v10, v10, v14, s2
	v_cndmask_b32_e64 v14, v14, v11, s2
	;; [unrolled: 1-line block ×4, first 2 shown]
	v_alignbit_b32 v18, v10, v14, v17
	v_alignbit_b32 v13, v14, v11, v17
	;; [unrolled: 1-line block ×3, first 2 shown]
	v_cndmask_b32_e32 v10, v18, v10, vcc_lo
	v_cndmask_b32_e32 v12, v13, v14, vcc_lo
	;; [unrolled: 1-line block ×3, first 2 shown]
	v_bfe_u32 v13, v10, 29, 1
	v_alignbit_b32 v14, v10, v12, 30
	v_alignbit_b32 v12, v12, v11, 30
	;; [unrolled: 1-line block ×3, first 2 shown]
	v_sub_nc_u32_e32 v15, 0, v13
	v_xor_b32_e32 v14, v14, v15
	v_xor_b32_e32 v11, v12, v15
	;; [unrolled: 1-line block ×3, first 2 shown]
	v_lshrrev_b32_e32 v15, 29, v10
	v_lshrrev_b32_e32 v10, 30, v10
	v_ffbh_u32_e32 v16, v14
	v_add_nc_u32_e32 v10, v13, v10
	v_min_u32_e32 v16, 32, v16
	v_sub_nc_u32_e32 v12, 31, v16
	v_lshlrev_b32_e32 v17, 23, v16
	v_alignbit_b32 v14, v14, v11, v12
	v_alignbit_b32 v9, v11, v9, v12
	v_lshlrev_b32_e32 v11, 31, v15
	v_alignbit_b32 v12, v14, v9, 9
	v_or_b32_e32 v15, 0.5, v11
	v_lshrrev_b32_e32 v14, 9, v14
	v_or_b32_e32 v11, 0x33000000, v11
	v_ffbh_u32_e32 v18, v12
	v_sub_nc_u32_e32 v15, v15, v17
	v_min_u32_e32 v17, 32, v18
	v_or_b32_e32 v14, v14, v15
	v_not_b32_e32 v15, v17
	v_mul_f32_e32 v18, 0x3fc90fda, v14
	v_add_lshl_u32 v16, v17, v16, 23
	v_alignbit_b32 v9, v12, v9, v15
	v_fma_f32 v12, 0x3fc90fda, v14, -v18
	v_sub_nc_u32_e32 v11, v11, v16
	v_lshrrev_b32_e32 v9, 9, v9
	v_fmamk_f32 v12, v14, 0x33a22168, v12
	v_or_b32_e32 v9, v11, v9
	v_fmac_f32_e32 v12, 0x3fc90fda, v9
	v_add_f32_e32 v9, v18, v12
.LBB74_28:
	s_andn2_saveexec_b32 s1, s4
; %bb.29:
	v_mul_f32_e64 v9, 0x3f22f983, |v7|
	v_rndne_f32_e32 v10, v9
	v_fma_f32 v9, 0xbfc90fda, v10, |v7|
	v_fmamk_f32 v9, v10, 0xb3a22168, v9
	v_fmamk_f32 v9, v10, 0xa7c234c4, v9
	v_cvt_i32_f32_e32 v10, v10
; %bb.30:
	s_or_b32 exec_lo, exec_lo, s1
	v_mul_f32_e32 v11, v9, v9
	s_mov_b32 s1, 0xb94c1982
	s_mov_b32 s2, 0x37d75334
	v_and_b32_e32 v14, 1, v10
	v_lshlrev_b32_e32 v10, 30, v10
	v_fmaak_f32 v12, s1, v11, 0x3c0881c4
	v_fmaak_f32 v13, s2, v11, 0xbab64f3b
	v_xor_b32_e32 v8, v8, v7
	v_cmp_eq_u32_e32 vcc_lo, 0, v14
	v_and_b32_e32 v10, 0x80000000, v10
	v_fmaak_f32 v12, v11, v12, 0xbe2aaa9d
	v_fmaak_f32 v13, v11, v13, 0x3d2aabf7
	v_sub_f32_e32 v5, 1.0, v5
	v_mul_f32_e32 v12, v11, v12
	v_fmaak_f32 v13, v11, v13, 0xbf000004
	v_fmac_f32_e32 v9, v9, v12
	v_fma_f32 v11, v11, v13, 1.0
	v_cndmask_b32_e32 v9, v11, v9, vcc_lo
	v_cmp_class_f32_e64 vcc_lo, v7, 0x1f8
	v_xor3_b32 v8, v8, v10, v9
	v_cndmask_b32_e32 v7, 0x7fc00000, v8, vcc_lo
	v_mul_f32_e32 v7, v7, v7
	v_div_scale_f32 v8, null, v7, v7, 0xc11de9e7
	v_div_scale_f32 v11, vcc_lo, 0xc11de9e7, v7, 0xc11de9e7
	v_rcp_f32_e32 v9, v8
	v_fma_f32 v10, -v8, v9, 1.0
	v_fmac_f32_e32 v9, v10, v9
	v_mul_f32_e32 v10, v11, v9
	v_fma_f32 v12, -v8, v10, v11
	v_fmac_f32_e32 v10, v12, v9
	v_fma_f32 v8, -v8, v10, v11
	v_div_fmas_f32 v8, v8, v9, v10
	v_div_fixup_f32 v7, v8, v7, 0xc11de9e7
	v_add_f32_e32 v8, 0, v7
	v_mov_b32_e32 v7, -1.0
.LBB74_31:
	s_or_b32 exec_lo, exec_lo, s3
	v_add_f32_e32 v9, 1.0, v5
	v_mul_f32_e32 v5, v5, v5
	v_mul_f32_e32 v10, v9, v9
	v_add_f32_e32 v9, 1.0, v9
	v_div_scale_f32 v11, null, v5, v5, 1.0
	v_div_scale_f32 v13, vcc_lo, 1.0, v5, 1.0
	v_mul_f32_e32 v14, v9, v9
	v_div_scale_f32 v12, null, v10, v10, 1.0
	v_rcp_f32_e32 v15, v11
	v_div_scale_f32 v18, s1, 1.0, v10, 1.0
	v_div_scale_f32 v17, null, v14, v14, 1.0
	v_rcp_f32_e32 v16, v12
	v_add_f32_e32 v9, 1.0, v9
	v_div_scale_f32 v19, s2, 1.0, v14, 1.0
	v_rcp_f32_e32 v20, v17
	v_fma_f32 v22, -v11, v15, 1.0
	v_mul_f32_e32 v21, v9, v9
	v_add_f32_e32 v9, 1.0, v9
	v_fma_f32 v23, -v12, v16, 1.0
	v_fmac_f32_e32 v15, v22, v15
	v_mul_f32_e32 v25, v9, v9
	v_add_f32_e32 v9, 1.0, v9
	v_fma_f32 v22, -v17, v20, 1.0
	v_fmac_f32_e32 v16, v23, v16
	v_mul_f32_e32 v26, v13, v15
	v_div_scale_f32 v24, null, v21, v21, 1.0
	v_fmac_f32_e32 v20, v22, v20
	v_mul_f32_e32 v27, v18, v16
	v_fma_f32 v28, -v11, v26, v13
	v_add_f32_e32 v31, 1.0, v9
	v_rcp_f32_e32 v23, v24
	v_mul_f32_e32 v30, v19, v20
	v_fma_f32 v29, -v12, v27, v18
	v_fmac_f32_e32 v26, v28, v15
	v_mul_f32_e32 v9, v9, v9
	v_div_scale_f32 v22, null, v25, v25, 1.0
	v_fma_f32 v28, -v17, v30, v19
	v_fmac_f32_e32 v27, v29, v16
	v_fma_f32 v11, -v11, v26, v13
	v_mul_f32_e32 v13, v31, v31
	v_rcp_f32_e32 v29, v22
	v_fmac_f32_e32 v30, v28, v20
	v_fma_f32 v12, -v12, v27, v18
	v_div_fmas_f32 v11, v11, v15, v26
	s_mov_b32 vcc_lo, s1
	v_fma_f32 v32, -v24, v23, 1.0
	v_fma_f32 v15, -v17, v30, v19
	v_div_fmas_f32 v12, v12, v16, v27
	s_mov_b32 vcc_lo, s2
	v_div_scale_f32 v16, null, v9, v9, 1.0
	v_div_fmas_f32 v15, v15, v20, v30
	v_div_scale_f32 v17, null, v13, v13, 1.0
	v_add_f32_e32 v20, v31, v31
	v_rcp_f32_e32 v19, v16
	v_fmac_f32_e32 v23, v32, v23
	v_rcp_f32_e32 v27, v17
	v_div_scale_f32 v18, vcc_lo, 1.0, v21, 1.0
	v_div_scale_f32 v30, null, v20, v20, 1.0
	v_fma_f32 v26, -v22, v29, 1.0
	v_mul_f32_e32 v28, v18, v23
	v_div_fixup_f32 v5, v11, v5, 1.0
	v_rcp_f32_e32 v33, v30
	v_fma_f32 v32, -v16, v19, 1.0
	v_fmac_f32_e32 v29, v26, v29
	v_div_scale_f32 v26, s1, 1.0, v25, 1.0
	v_fma_f32 v35, -v17, v27, 1.0
	v_fma_f32 v34, -v24, v28, v18
	v_fmac_f32_e32 v19, v32, v19
	v_div_scale_f32 v32, s2, 1.0, v9, 1.0
	v_mul_f32_e32 v36, v26, v29
	v_fmac_f32_e32 v27, v35, v27
	v_div_scale_f32 v35, s3, 1.0, v13, 1.0
	v_fma_f32 v37, -v30, v33, 1.0
	v_fmac_f32_e32 v28, v34, v23
	v_mul_f32_e32 v38, v32, v19
	v_fma_f32 v34, -v22, v36, v26
	v_mul_f32_e32 v39, v35, v27
	v_fmac_f32_e32 v33, v37, v33
	v_div_scale_f32 v37, s4, 1.0, v20, 1.0
	v_fma_f32 v18, -v24, v28, v18
	v_fma_f32 v24, -v16, v38, v32
	v_fmac_f32_e32 v36, v34, v29
	v_fma_f32 v34, -v17, v39, v35
	v_mul_f32_e32 v40, v37, v33
	v_div_fmas_f32 v18, v18, v23, v28
	v_fmac_f32_e32 v38, v24, v19
	v_fma_f32 v22, -v22, v36, v26
	v_fmac_f32_e32 v39, v34, v27
	v_fma_f32 v23, -v30, v40, v37
	s_mov_b32 vcc_lo, s1
	v_fma_f32 v16, -v16, v38, v32
	v_div_fmas_f32 v22, v22, v29, v36
	v_fma_f32 v17, -v17, v39, v35
	v_fmac_f32_e32 v40, v23, v33
	s_mov_b32 vcc_lo, s2
	s_mov_b32 s1, 0xbcc30c31
	v_div_fmas_f32 v16, v16, v19, v38
	s_mov_b32 vcc_lo, s3
	v_fma_f32 v19, -v30, v40, v37
	v_div_fmas_f32 v17, v17, v27, v39
	s_mov_b32 vcc_lo, s4
	v_add_f32_e32 v5, v8, v5
	v_div_fixup_f32 v8, v12, v10, 1.0
	v_div_fmas_f32 v19, v19, v33, v40
	v_div_fixup_f32 v13, v17, v13, 1.0
	v_add_f32_e32 v5, v5, v8
	v_div_fixup_f32 v17, v19, v20, 1.0
	v_fmaak_f32 v19, s1, v13, 0x3d088889
	v_div_fixup_f32 v8, v15, v14, 1.0
	v_add_f32_e32 v17, 1.0, v17
	v_fma_f32 v19, -v13, v19, 0x3e2aaaab
	v_add_f32_e32 v5, v5, v8
	v_div_fixup_f32 v8, v18, v21, 1.0
	v_fmac_f32_e32 v17, v13, v19
	v_add_f32_e32 v5, v5, v8
	v_div_fixup_f32 v8, v22, v25, 1.0
	v_div_scale_f32 v13, null, v31, v31, v17
	v_div_scale_f32 v10, vcc_lo, v17, v31, v17
	v_add_f32_e32 v5, v5, v8
	v_rcp_f32_e32 v19, v13
	v_div_fixup_f32 v8, v16, v9, 1.0
	v_add_f32_e32 v5, v5, v8
	v_fma_f32 v11, -v13, v19, 1.0
	v_fmac_f32_e32 v19, v11, v19
	v_mul_f32_e32 v11, v10, v19
	v_fma_f32 v12, -v13, v11, v10
	v_fmac_f32_e32 v11, v12, v19
	v_fma_f32 v10, -v13, v11, v10
	v_div_fmas_f32 v9, v10, v19, v11
	v_div_fixup_f32 v8, v9, v31, v17
	v_add_f32_e32 v5, v5, v8
	v_mul_f32_e32 v5, v7, v5
	v_bfe_u32 v7, v5, 16, 1
	v_cmp_o_f32_e32 vcc_lo, v5, v5
	v_add3_u32 v5, v5, v7, 0x7fff
	v_mov_b32_e32 v7, 0x7fc0
	v_cndmask_b32_sdwa v7, v7, v5, vcc_lo dst_sel:DWORD dst_unused:UNUSED_PAD src0_sel:DWORD src1_sel:WORD_1
.LBB74_32:
	s_or_b32 exec_lo, exec_lo, s7
	v_or_b32_e32 v5, 0x300, v0
	v_cmp_gt_i32_e32 vcc_lo, s6, v5
                                        ; implicit-def: $vgpr5
	s_and_saveexec_b32 s7, vcc_lo
	s_cbranch_execz .LBB74_44
; %bb.33:
	v_mov_b32_e32 v8, 0
	v_mov_b32_e32 v5, 1.0
	s_mov_b32 s3, exec_lo
	v_cmpx_gt_f32_e32 0.5, v2
	s_cbranch_execz .LBB74_39
; %bb.34:
	v_mul_f32_e32 v5, 0x40490fdb, v2
                                        ; implicit-def: $vgpr10
                                        ; implicit-def: $vgpr9
	s_mov_b32 s2, exec_lo
	v_and_b32_e32 v8, 0x7fffffff, v5
	v_cmpx_ngt_f32_e64 0x48000000, |v5|
	s_xor_b32 s4, exec_lo, s2
	s_cbranch_execz .LBB74_36
; %bb.35:
	s_mov_b32 s1, 0x7fffff
	v_mov_b32_e32 v11, 0
	v_and_or_b32 v18, v8, s1, 0x800000
	v_lshrrev_b32_e32 v16, 23, v8
	v_mad_u64_u32 v[9:10], null, 0xfe5163ab, v18, 0
	v_add_nc_u32_e32 v17, 0xffffff88, v16
	v_cmp_lt_u32_e32 vcc_lo, 63, v17
	v_mad_u64_u32 v[12:13], null, 0x3c439041, v18, v[10:11]
	v_cndmask_b32_e64 v19, 0, 0xffffffc0, vcc_lo
	v_mov_b32_e32 v10, v13
	v_add_nc_u32_e32 v19, v19, v17
	v_mad_u64_u32 v[13:14], null, 0xdb629599, v18, v[10:11]
	v_cmp_lt_u32_e64 s1, 31, v19
	v_cndmask_b32_e64 v20, 0, 0xffffffe0, s1
	v_mov_b32_e32 v10, v14
	v_cndmask_b32_e32 v9, v13, v9, vcc_lo
	v_mad_u64_u32 v[14:15], null, 0xf534ddc0, v18, v[10:11]
	v_mov_b32_e32 v10, v15
	v_cndmask_b32_e32 v12, v14, v12, vcc_lo
	v_mad_u64_u32 v[15:16], null, 0xfc2757d1, v18, v[10:11]
	v_cndmask_b32_e64 v9, v12, v9, s1
	v_mov_b32_e32 v10, v16
	v_mad_u64_u32 v[16:17], null, 0x4e441529, v18, v[10:11]
	v_mov_b32_e32 v10, v17
	v_add_nc_u32_e32 v17, v20, v19
	v_cndmask_b32_e32 v19, v16, v14, vcc_lo
	v_mad_u64_u32 v[10:11], null, 0xa2f9836e, v18, v[10:11]
	v_cmp_lt_u32_e64 s2, 31, v17
	v_cndmask_b32_e64 v18, 0, 0xffffffe0, s2
	v_cndmask_b32_e32 v10, v10, v15, vcc_lo
	v_cndmask_b32_e32 v11, v11, v16, vcc_lo
	;; [unrolled: 1-line block ×3, first 2 shown]
	v_add_nc_u32_e32 v16, v18, v17
	v_cndmask_b32_e64 v14, v10, v19, s1
	v_cndmask_b32_e64 v10, v11, v10, s1
	;; [unrolled: 1-line block ×4, first 2 shown]
	v_sub_nc_u32_e32 v17, 32, v16
	v_cmp_eq_u32_e32 vcc_lo, 0, v16
	v_cndmask_b32_e64 v10, v10, v14, s2
	v_cndmask_b32_e64 v14, v14, v11, s2
	;; [unrolled: 1-line block ×4, first 2 shown]
	v_alignbit_b32 v18, v10, v14, v17
	v_alignbit_b32 v13, v14, v11, v17
	;; [unrolled: 1-line block ×3, first 2 shown]
	v_cndmask_b32_e32 v10, v18, v10, vcc_lo
	v_cndmask_b32_e32 v12, v13, v14, vcc_lo
	;; [unrolled: 1-line block ×3, first 2 shown]
	v_bfe_u32 v13, v10, 29, 1
	v_alignbit_b32 v14, v10, v12, 30
	v_alignbit_b32 v12, v12, v11, 30
	;; [unrolled: 1-line block ×3, first 2 shown]
	v_sub_nc_u32_e32 v15, 0, v13
	v_xor_b32_e32 v14, v14, v15
	v_xor_b32_e32 v11, v12, v15
	;; [unrolled: 1-line block ×3, first 2 shown]
	v_lshrrev_b32_e32 v15, 29, v10
	v_lshrrev_b32_e32 v10, 30, v10
	v_ffbh_u32_e32 v16, v14
	v_add_nc_u32_e32 v10, v13, v10
	v_min_u32_e32 v16, 32, v16
	v_sub_nc_u32_e32 v12, 31, v16
	v_lshlrev_b32_e32 v17, 23, v16
	v_alignbit_b32 v14, v14, v11, v12
	v_alignbit_b32 v9, v11, v9, v12
	v_lshlrev_b32_e32 v11, 31, v15
	v_alignbit_b32 v12, v14, v9, 9
	v_or_b32_e32 v15, 0.5, v11
	v_lshrrev_b32_e32 v14, 9, v14
	v_or_b32_e32 v11, 0x33000000, v11
	v_ffbh_u32_e32 v18, v12
	v_sub_nc_u32_e32 v15, v15, v17
	v_min_u32_e32 v17, 32, v18
	v_or_b32_e32 v14, v14, v15
	v_not_b32_e32 v15, v17
	v_mul_f32_e32 v18, 0x3fc90fda, v14
	v_add_lshl_u32 v16, v17, v16, 23
	v_alignbit_b32 v9, v12, v9, v15
	v_fma_f32 v12, 0x3fc90fda, v14, -v18
	v_sub_nc_u32_e32 v11, v11, v16
	v_lshrrev_b32_e32 v9, 9, v9
	v_fmamk_f32 v12, v14, 0x33a22168, v12
	v_or_b32_e32 v9, v11, v9
	v_fmac_f32_e32 v12, 0x3fc90fda, v9
	v_add_f32_e32 v9, v18, v12
.LBB74_36:
	s_andn2_saveexec_b32 s1, s4
; %bb.37:
	v_mul_f32_e64 v9, 0x3f22f983, |v5|
	v_rndne_f32_e32 v10, v9
	v_fma_f32 v9, 0xbfc90fda, v10, |v5|
	v_fmamk_f32 v9, v10, 0xb3a22168, v9
	v_fmamk_f32 v9, v10, 0xa7c234c4, v9
	v_cvt_i32_f32_e32 v10, v10
; %bb.38:
	s_or_b32 exec_lo, exec_lo, s1
	v_mul_f32_e32 v11, v9, v9
	s_mov_b32 s1, 0xb94c1982
	s_mov_b32 s2, 0x37d75334
	v_and_b32_e32 v14, 1, v10
	v_lshlrev_b32_e32 v10, 30, v10
	v_fmaak_f32 v12, s1, v11, 0x3c0881c4
	v_fmaak_f32 v13, s2, v11, 0xbab64f3b
	v_xor_b32_e32 v8, v8, v5
	v_cmp_eq_u32_e32 vcc_lo, 0, v14
	v_and_b32_e32 v10, 0x80000000, v10
	v_fmaak_f32 v12, v11, v12, 0xbe2aaa9d
	v_fmaak_f32 v13, v11, v13, 0x3d2aabf7
	v_sub_f32_e32 v2, 1.0, v2
	v_mul_f32_e32 v12, v11, v12
	v_fmaak_f32 v13, v11, v13, 0xbf000004
	v_fmac_f32_e32 v9, v9, v12
	v_fma_f32 v11, v11, v13, 1.0
	v_cndmask_b32_e32 v9, v11, v9, vcc_lo
	v_cmp_class_f32_e64 vcc_lo, v5, 0x1f8
	v_xor3_b32 v8, v8, v10, v9
	v_cndmask_b32_e32 v5, 0x7fc00000, v8, vcc_lo
	v_mul_f32_e32 v5, v5, v5
	v_div_scale_f32 v8, null, v5, v5, 0xc11de9e7
	v_div_scale_f32 v11, vcc_lo, 0xc11de9e7, v5, 0xc11de9e7
	v_rcp_f32_e32 v9, v8
	v_fma_f32 v10, -v8, v9, 1.0
	v_fmac_f32_e32 v9, v10, v9
	v_mul_f32_e32 v10, v11, v9
	v_fma_f32 v12, -v8, v10, v11
	v_fmac_f32_e32 v10, v12, v9
	v_fma_f32 v8, -v8, v10, v11
	v_div_fmas_f32 v8, v8, v9, v10
	v_div_fixup_f32 v5, v8, v5, 0xc11de9e7
	v_add_f32_e32 v8, 0, v5
	v_mov_b32_e32 v5, -1.0
.LBB74_39:
	s_or_b32 exec_lo, exec_lo, s3
	v_add_f32_e32 v9, 1.0, v2
	v_mul_f32_e32 v2, v2, v2
	v_mul_f32_e32 v10, v9, v9
	v_add_f32_e32 v9, 1.0, v9
	v_div_scale_f32 v11, null, v2, v2, 1.0
	v_div_scale_f32 v13, vcc_lo, 1.0, v2, 1.0
	v_mul_f32_e32 v14, v9, v9
	v_div_scale_f32 v12, null, v10, v10, 1.0
	v_rcp_f32_e32 v15, v11
	v_div_scale_f32 v18, s1, 1.0, v10, 1.0
	v_div_scale_f32 v17, null, v14, v14, 1.0
	v_rcp_f32_e32 v16, v12
	v_add_f32_e32 v9, 1.0, v9
	v_div_scale_f32 v19, s2, 1.0, v14, 1.0
	v_rcp_f32_e32 v20, v17
	v_fma_f32 v22, -v11, v15, 1.0
	v_mul_f32_e32 v21, v9, v9
	v_add_f32_e32 v9, 1.0, v9
	v_fma_f32 v23, -v12, v16, 1.0
	v_fmac_f32_e32 v15, v22, v15
	v_mul_f32_e32 v25, v9, v9
	v_add_f32_e32 v9, 1.0, v9
	v_fma_f32 v22, -v17, v20, 1.0
	v_fmac_f32_e32 v16, v23, v16
	v_mul_f32_e32 v26, v13, v15
	v_div_scale_f32 v24, null, v21, v21, 1.0
	v_fmac_f32_e32 v20, v22, v20
	v_mul_f32_e32 v27, v18, v16
	v_fma_f32 v28, -v11, v26, v13
	v_add_f32_e32 v31, 1.0, v9
	v_rcp_f32_e32 v23, v24
	v_mul_f32_e32 v30, v19, v20
	v_fma_f32 v29, -v12, v27, v18
	v_fmac_f32_e32 v26, v28, v15
	v_mul_f32_e32 v9, v9, v9
	v_div_scale_f32 v22, null, v25, v25, 1.0
	v_fma_f32 v28, -v17, v30, v19
	v_fmac_f32_e32 v27, v29, v16
	v_fma_f32 v11, -v11, v26, v13
	v_mul_f32_e32 v13, v31, v31
	v_rcp_f32_e32 v29, v22
	v_fmac_f32_e32 v30, v28, v20
	v_fma_f32 v12, -v12, v27, v18
	v_div_fmas_f32 v11, v11, v15, v26
	s_mov_b32 vcc_lo, s1
	v_fma_f32 v32, -v24, v23, 1.0
	v_fma_f32 v15, -v17, v30, v19
	v_div_fmas_f32 v12, v12, v16, v27
	s_mov_b32 vcc_lo, s2
	v_div_scale_f32 v16, null, v9, v9, 1.0
	v_div_fmas_f32 v15, v15, v20, v30
	v_div_scale_f32 v17, null, v13, v13, 1.0
	v_add_f32_e32 v20, v31, v31
	v_rcp_f32_e32 v19, v16
	v_fmac_f32_e32 v23, v32, v23
	v_rcp_f32_e32 v27, v17
	v_div_scale_f32 v18, vcc_lo, 1.0, v21, 1.0
	v_div_scale_f32 v30, null, v20, v20, 1.0
	v_fma_f32 v26, -v22, v29, 1.0
	v_mul_f32_e32 v28, v18, v23
	v_div_fixup_f32 v2, v11, v2, 1.0
	v_rcp_f32_e32 v33, v30
	v_fma_f32 v32, -v16, v19, 1.0
	v_fmac_f32_e32 v29, v26, v29
	v_div_scale_f32 v26, s1, 1.0, v25, 1.0
	v_fma_f32 v35, -v17, v27, 1.0
	v_fma_f32 v34, -v24, v28, v18
	v_fmac_f32_e32 v19, v32, v19
	v_div_scale_f32 v32, s2, 1.0, v9, 1.0
	v_mul_f32_e32 v36, v26, v29
	v_fmac_f32_e32 v27, v35, v27
	v_div_scale_f32 v35, s3, 1.0, v13, 1.0
	v_fma_f32 v37, -v30, v33, 1.0
	v_fmac_f32_e32 v28, v34, v23
	v_mul_f32_e32 v38, v32, v19
	v_fma_f32 v34, -v22, v36, v26
	v_mul_f32_e32 v39, v35, v27
	v_fmac_f32_e32 v33, v37, v33
	v_div_scale_f32 v37, s4, 1.0, v20, 1.0
	v_fma_f32 v18, -v24, v28, v18
	v_fma_f32 v24, -v16, v38, v32
	v_fmac_f32_e32 v36, v34, v29
	v_fma_f32 v34, -v17, v39, v35
	v_mul_f32_e32 v40, v37, v33
	v_div_fmas_f32 v18, v18, v23, v28
	v_fmac_f32_e32 v38, v24, v19
	v_fma_f32 v22, -v22, v36, v26
	v_fmac_f32_e32 v39, v34, v27
	v_fma_f32 v23, -v30, v40, v37
	s_mov_b32 vcc_lo, s1
	v_fma_f32 v16, -v16, v38, v32
	v_div_fmas_f32 v22, v22, v29, v36
	v_fma_f32 v17, -v17, v39, v35
	v_fmac_f32_e32 v40, v23, v33
	s_mov_b32 vcc_lo, s2
	s_mov_b32 s1, 0xbcc30c31
	v_div_fmas_f32 v16, v16, v19, v38
	s_mov_b32 vcc_lo, s3
	v_fma_f32 v19, -v30, v40, v37
	v_div_fmas_f32 v17, v17, v27, v39
	s_mov_b32 vcc_lo, s4
	v_add_f32_e32 v2, v8, v2
	v_div_fixup_f32 v8, v12, v10, 1.0
	v_div_fmas_f32 v19, v19, v33, v40
	v_div_fixup_f32 v13, v17, v13, 1.0
	v_add_f32_e32 v2, v2, v8
	v_div_fixup_f32 v17, v19, v20, 1.0
	v_fmaak_f32 v19, s1, v13, 0x3d088889
	v_div_fixup_f32 v8, v15, v14, 1.0
	v_add_f32_e32 v17, 1.0, v17
	v_fma_f32 v19, -v13, v19, 0x3e2aaaab
	v_add_f32_e32 v2, v2, v8
	v_div_fixup_f32 v8, v18, v21, 1.0
	v_fmac_f32_e32 v17, v13, v19
	v_add_f32_e32 v2, v2, v8
	v_div_fixup_f32 v8, v22, v25, 1.0
	v_div_scale_f32 v13, null, v31, v31, v17
	v_div_scale_f32 v10, vcc_lo, v17, v31, v17
	v_add_f32_e32 v2, v2, v8
	v_rcp_f32_e32 v19, v13
	v_div_fixup_f32 v8, v16, v9, 1.0
	v_add_f32_e32 v2, v2, v8
	v_fma_f32 v11, -v13, v19, 1.0
	v_fmac_f32_e32 v19, v11, v19
	v_mul_f32_e32 v11, v10, v19
	v_fma_f32 v12, -v13, v11, v10
	v_fmac_f32_e32 v11, v12, v19
	v_fma_f32 v10, -v13, v11, v10
	v_div_fmas_f32 v9, v10, v19, v11
	v_div_fixup_f32 v8, v9, v31, v17
	v_add_f32_e32 v2, v2, v8
	v_mul_f32_e32 v2, v5, v2
	v_bfe_u32 v5, v2, 16, 1
	v_cmp_o_f32_e32 vcc_lo, v2, v2
	v_add3_u32 v2, v2, v5, 0x7fff
	v_mov_b32_e32 v5, 0x7fc0
	v_cndmask_b32_sdwa v5, v5, v2, vcc_lo dst_sel:DWORD dst_unused:UNUSED_PAD src0_sel:DWORD src1_sel:WORD_1
	s_or_b32 exec_lo, exec_lo, s7
	s_and_saveexec_b32 s1, s0
	s_xor_b32 s0, exec_lo, s1
	s_cbranch_execnz .LBB74_45
.LBB74_40:
	s_or_b32 exec_lo, exec_lo, s0
	s_mov_b32 s0, exec_lo
	v_cmpx_gt_i32_e64 s6, v0
	s_cbranch_execz .LBB74_46
.LBB74_41:
	v_add_nc_u32_e32 v1, s5, v0
	v_mov_b32_e32 v2, 0
	v_add_nc_u32_e32 v0, 0x100, v0
	v_lshlrev_b64 v[1:2], 1, v[1:2]
	v_add_co_u32 v1, vcc_lo, s8, v1
	v_add_co_ci_u32_e64 v2, null, s9, v2, vcc_lo
	global_store_short v[1:2], v6, off
	s_or_b32 exec_lo, exec_lo, s0
	s_mov_b32 s0, exec_lo
	v_cmpx_gt_i32_e64 s6, v0
	s_cbranch_execnz .LBB74_47
.LBB74_42:
	s_or_b32 exec_lo, exec_lo, s0
	s_mov_b32 s0, exec_lo
	v_cmpx_gt_i32_e64 s6, v0
	s_cbranch_execz .LBB74_48
.LBB74_43:
	v_add_nc_u32_e32 v0, s5, v0
	v_mov_b32_e32 v1, 0
	v_lshlrev_b64 v[0:1], 1, v[0:1]
	v_add_co_u32 v0, vcc_lo, s8, v0
	v_add_co_ci_u32_e64 v1, null, s9, v1, vcc_lo
	global_store_short v[0:1], v5, off
	s_endpgm
.LBB74_44:
	s_or_b32 exec_lo, exec_lo, s7
	s_and_saveexec_b32 s1, s0
	s_xor_b32 s0, exec_lo, s1
	s_cbranch_execz .LBB74_40
.LBB74_45:
	v_mov_b32_e32 v2, 0
	v_lshlrev_b64 v[0:1], 1, v[1:2]
	v_add_co_u32 v8, vcc_lo, s8, v0
	v_add_co_ci_u32_e64 v9, null, s9, v1, vcc_lo
	v_mov_b32_e32 v0, v3
	global_store_short v[8:9], v4, off
	s_or_b32 exec_lo, exec_lo, s0
	s_mov_b32 s0, exec_lo
	v_cmpx_gt_i32_e64 s6, v0
	s_cbranch_execnz .LBB74_41
.LBB74_46:
	s_or_b32 exec_lo, exec_lo, s0
	s_mov_b32 s0, exec_lo
	v_cmpx_gt_i32_e64 s6, v0
	s_cbranch_execz .LBB74_42
.LBB74_47:
	v_add_nc_u32_e32 v1, s5, v0
	v_mov_b32_e32 v2, 0
	v_add_nc_u32_e32 v0, 0x100, v0
	v_lshlrev_b64 v[1:2], 1, v[1:2]
	v_add_co_u32 v1, vcc_lo, s8, v1
	v_add_co_ci_u32_e64 v2, null, s9, v2, vcc_lo
	global_store_short v[1:2], v7, off
	s_or_b32 exec_lo, exec_lo, s0
	s_mov_b32 s0, exec_lo
	v_cmpx_gt_i32_e64 s6, v0
	s_cbranch_execnz .LBB74_43
.LBB74_48:
	s_endpgm
	.section	.rodata,"a",@progbits
	.p2align	6, 0x0
	.amdhsa_kernel _ZN2at6native27unrolled_elementwise_kernelIZZZNS0_20trigamma_kernel_cudaERNS_18TensorIteratorBaseEENKUlvE_clEvENKUlvE2_clEvEUlN3c108BFloat16EE_St5arrayIPcLm2EELi4E23TrivialOffsetCalculatorILi1EjESD_NS0_6memory15LoadWithoutCastENSE_16StoreWithoutCastEEEviT_T0_T2_T3_T4_T5_
		.amdhsa_group_segment_fixed_size 0
		.amdhsa_private_segment_fixed_size 0
		.amdhsa_kernarg_size 28
		.amdhsa_user_sgpr_count 6
		.amdhsa_user_sgpr_private_segment_buffer 1
		.amdhsa_user_sgpr_dispatch_ptr 0
		.amdhsa_user_sgpr_queue_ptr 0
		.amdhsa_user_sgpr_kernarg_segment_ptr 1
		.amdhsa_user_sgpr_dispatch_id 0
		.amdhsa_user_sgpr_flat_scratch_init 0
		.amdhsa_user_sgpr_private_segment_size 0
		.amdhsa_wavefront_size32 1
		.amdhsa_uses_dynamic_stack 0
		.amdhsa_system_sgpr_private_segment_wavefront_offset 0
		.amdhsa_system_sgpr_workgroup_id_x 1
		.amdhsa_system_sgpr_workgroup_id_y 0
		.amdhsa_system_sgpr_workgroup_id_z 0
		.amdhsa_system_sgpr_workgroup_info 0
		.amdhsa_system_vgpr_workitem_id 0
		.amdhsa_next_free_vgpr 41
		.amdhsa_next_free_sgpr 12
		.amdhsa_reserve_vcc 1
		.amdhsa_reserve_flat_scratch 0
		.amdhsa_float_round_mode_32 0
		.amdhsa_float_round_mode_16_64 0
		.amdhsa_float_denorm_mode_32 3
		.amdhsa_float_denorm_mode_16_64 3
		.amdhsa_dx10_clamp 1
		.amdhsa_ieee_mode 1
		.amdhsa_fp16_overflow 0
		.amdhsa_workgroup_processor_mode 1
		.amdhsa_memory_ordered 1
		.amdhsa_forward_progress 1
		.amdhsa_shared_vgpr_count 0
		.amdhsa_exception_fp_ieee_invalid_op 0
		.amdhsa_exception_fp_denorm_src 0
		.amdhsa_exception_fp_ieee_div_zero 0
		.amdhsa_exception_fp_ieee_overflow 0
		.amdhsa_exception_fp_ieee_underflow 0
		.amdhsa_exception_fp_ieee_inexact 0
		.amdhsa_exception_int_div_zero 0
	.end_amdhsa_kernel
	.section	.text._ZN2at6native27unrolled_elementwise_kernelIZZZNS0_20trigamma_kernel_cudaERNS_18TensorIteratorBaseEENKUlvE_clEvENKUlvE2_clEvEUlN3c108BFloat16EE_St5arrayIPcLm2EELi4E23TrivialOffsetCalculatorILi1EjESD_NS0_6memory15LoadWithoutCastENSE_16StoreWithoutCastEEEviT_T0_T2_T3_T4_T5_,"axG",@progbits,_ZN2at6native27unrolled_elementwise_kernelIZZZNS0_20trigamma_kernel_cudaERNS_18TensorIteratorBaseEENKUlvE_clEvENKUlvE2_clEvEUlN3c108BFloat16EE_St5arrayIPcLm2EELi4E23TrivialOffsetCalculatorILi1EjESD_NS0_6memory15LoadWithoutCastENSE_16StoreWithoutCastEEEviT_T0_T2_T3_T4_T5_,comdat
.Lfunc_end74:
	.size	_ZN2at6native27unrolled_elementwise_kernelIZZZNS0_20trigamma_kernel_cudaERNS_18TensorIteratorBaseEENKUlvE_clEvENKUlvE2_clEvEUlN3c108BFloat16EE_St5arrayIPcLm2EELi4E23TrivialOffsetCalculatorILi1EjESD_NS0_6memory15LoadWithoutCastENSE_16StoreWithoutCastEEEviT_T0_T2_T3_T4_T5_, .Lfunc_end74-_ZN2at6native27unrolled_elementwise_kernelIZZZNS0_20trigamma_kernel_cudaERNS_18TensorIteratorBaseEENKUlvE_clEvENKUlvE2_clEvEUlN3c108BFloat16EE_St5arrayIPcLm2EELi4E23TrivialOffsetCalculatorILi1EjESD_NS0_6memory15LoadWithoutCastENSE_16StoreWithoutCastEEEviT_T0_T2_T3_T4_T5_
                                        ; -- End function
	.set _ZN2at6native27unrolled_elementwise_kernelIZZZNS0_20trigamma_kernel_cudaERNS_18TensorIteratorBaseEENKUlvE_clEvENKUlvE2_clEvEUlN3c108BFloat16EE_St5arrayIPcLm2EELi4E23TrivialOffsetCalculatorILi1EjESD_NS0_6memory15LoadWithoutCastENSE_16StoreWithoutCastEEEviT_T0_T2_T3_T4_T5_.num_vgpr, 41
	.set _ZN2at6native27unrolled_elementwise_kernelIZZZNS0_20trigamma_kernel_cudaERNS_18TensorIteratorBaseEENKUlvE_clEvENKUlvE2_clEvEUlN3c108BFloat16EE_St5arrayIPcLm2EELi4E23TrivialOffsetCalculatorILi1EjESD_NS0_6memory15LoadWithoutCastENSE_16StoreWithoutCastEEEviT_T0_T2_T3_T4_T5_.num_agpr, 0
	.set _ZN2at6native27unrolled_elementwise_kernelIZZZNS0_20trigamma_kernel_cudaERNS_18TensorIteratorBaseEENKUlvE_clEvENKUlvE2_clEvEUlN3c108BFloat16EE_St5arrayIPcLm2EELi4E23TrivialOffsetCalculatorILi1EjESD_NS0_6memory15LoadWithoutCastENSE_16StoreWithoutCastEEEviT_T0_T2_T3_T4_T5_.numbered_sgpr, 12
	.set _ZN2at6native27unrolled_elementwise_kernelIZZZNS0_20trigamma_kernel_cudaERNS_18TensorIteratorBaseEENKUlvE_clEvENKUlvE2_clEvEUlN3c108BFloat16EE_St5arrayIPcLm2EELi4E23TrivialOffsetCalculatorILi1EjESD_NS0_6memory15LoadWithoutCastENSE_16StoreWithoutCastEEEviT_T0_T2_T3_T4_T5_.num_named_barrier, 0
	.set _ZN2at6native27unrolled_elementwise_kernelIZZZNS0_20trigamma_kernel_cudaERNS_18TensorIteratorBaseEENKUlvE_clEvENKUlvE2_clEvEUlN3c108BFloat16EE_St5arrayIPcLm2EELi4E23TrivialOffsetCalculatorILi1EjESD_NS0_6memory15LoadWithoutCastENSE_16StoreWithoutCastEEEviT_T0_T2_T3_T4_T5_.private_seg_size, 0
	.set _ZN2at6native27unrolled_elementwise_kernelIZZZNS0_20trigamma_kernel_cudaERNS_18TensorIteratorBaseEENKUlvE_clEvENKUlvE2_clEvEUlN3c108BFloat16EE_St5arrayIPcLm2EELi4E23TrivialOffsetCalculatorILi1EjESD_NS0_6memory15LoadWithoutCastENSE_16StoreWithoutCastEEEviT_T0_T2_T3_T4_T5_.uses_vcc, 1
	.set _ZN2at6native27unrolled_elementwise_kernelIZZZNS0_20trigamma_kernel_cudaERNS_18TensorIteratorBaseEENKUlvE_clEvENKUlvE2_clEvEUlN3c108BFloat16EE_St5arrayIPcLm2EELi4E23TrivialOffsetCalculatorILi1EjESD_NS0_6memory15LoadWithoutCastENSE_16StoreWithoutCastEEEviT_T0_T2_T3_T4_T5_.uses_flat_scratch, 0
	.set _ZN2at6native27unrolled_elementwise_kernelIZZZNS0_20trigamma_kernel_cudaERNS_18TensorIteratorBaseEENKUlvE_clEvENKUlvE2_clEvEUlN3c108BFloat16EE_St5arrayIPcLm2EELi4E23TrivialOffsetCalculatorILi1EjESD_NS0_6memory15LoadWithoutCastENSE_16StoreWithoutCastEEEviT_T0_T2_T3_T4_T5_.has_dyn_sized_stack, 0
	.set _ZN2at6native27unrolled_elementwise_kernelIZZZNS0_20trigamma_kernel_cudaERNS_18TensorIteratorBaseEENKUlvE_clEvENKUlvE2_clEvEUlN3c108BFloat16EE_St5arrayIPcLm2EELi4E23TrivialOffsetCalculatorILi1EjESD_NS0_6memory15LoadWithoutCastENSE_16StoreWithoutCastEEEviT_T0_T2_T3_T4_T5_.has_recursion, 0
	.set _ZN2at6native27unrolled_elementwise_kernelIZZZNS0_20trigamma_kernel_cudaERNS_18TensorIteratorBaseEENKUlvE_clEvENKUlvE2_clEvEUlN3c108BFloat16EE_St5arrayIPcLm2EELi4E23TrivialOffsetCalculatorILi1EjESD_NS0_6memory15LoadWithoutCastENSE_16StoreWithoutCastEEEviT_T0_T2_T3_T4_T5_.has_indirect_call, 0
	.section	.AMDGPU.csdata,"",@progbits
; Kernel info:
; codeLenInByte = 7800
; TotalNumSgprs: 14
; NumVgprs: 41
; ScratchSize: 0
; MemoryBound: 0
; FloatMode: 240
; IeeeMode: 1
; LDSByteSize: 0 bytes/workgroup (compile time only)
; SGPRBlocks: 0
; VGPRBlocks: 5
; NumSGPRsForWavesPerEU: 14
; NumVGPRsForWavesPerEU: 41
; Occupancy: 16
; WaveLimiterHint : 0
; COMPUTE_PGM_RSRC2:SCRATCH_EN: 0
; COMPUTE_PGM_RSRC2:USER_SGPR: 6
; COMPUTE_PGM_RSRC2:TRAP_HANDLER: 0
; COMPUTE_PGM_RSRC2:TGID_X_EN: 1
; COMPUTE_PGM_RSRC2:TGID_Y_EN: 0
; COMPUTE_PGM_RSRC2:TGID_Z_EN: 0
; COMPUTE_PGM_RSRC2:TIDIG_COMP_CNT: 0
	.section	.text._ZN2at6native32elementwise_kernel_manual_unrollILi128ELi8EZNS0_22gpu_kernel_impl_nocastIZZZNS0_20trigamma_kernel_cudaERNS_18TensorIteratorBaseEENKUlvE_clEvENKUlvE2_clEvEUlN3c108BFloat16EE_EEvS4_RKT_EUlibE_EEviT1_,"axG",@progbits,_ZN2at6native32elementwise_kernel_manual_unrollILi128ELi8EZNS0_22gpu_kernel_impl_nocastIZZZNS0_20trigamma_kernel_cudaERNS_18TensorIteratorBaseEENKUlvE_clEvENKUlvE2_clEvEUlN3c108BFloat16EE_EEvS4_RKT_EUlibE_EEviT1_,comdat
	.globl	_ZN2at6native32elementwise_kernel_manual_unrollILi128ELi8EZNS0_22gpu_kernel_impl_nocastIZZZNS0_20trigamma_kernel_cudaERNS_18TensorIteratorBaseEENKUlvE_clEvENKUlvE2_clEvEUlN3c108BFloat16EE_EEvS4_RKT_EUlibE_EEviT1_ ; -- Begin function _ZN2at6native32elementwise_kernel_manual_unrollILi128ELi8EZNS0_22gpu_kernel_impl_nocastIZZZNS0_20trigamma_kernel_cudaERNS_18TensorIteratorBaseEENKUlvE_clEvENKUlvE2_clEvEUlN3c108BFloat16EE_EEvS4_RKT_EUlibE_EEviT1_
	.p2align	8
	.type	_ZN2at6native32elementwise_kernel_manual_unrollILi128ELi8EZNS0_22gpu_kernel_impl_nocastIZZZNS0_20trigamma_kernel_cudaERNS_18TensorIteratorBaseEENKUlvE_clEvENKUlvE2_clEvEUlN3c108BFloat16EE_EEvS4_RKT_EUlibE_EEviT1_,@function
_ZN2at6native32elementwise_kernel_manual_unrollILi128ELi8EZNS0_22gpu_kernel_impl_nocastIZZZNS0_20trigamma_kernel_cudaERNS_18TensorIteratorBaseEENKUlvE_clEvENKUlvE2_clEvEUlN3c108BFloat16EE_EEvS4_RKT_EUlibE_EEviT1_: ; @_ZN2at6native32elementwise_kernel_manual_unrollILi128ELi8EZNS0_22gpu_kernel_impl_nocastIZZZNS0_20trigamma_kernel_cudaERNS_18TensorIteratorBaseEENKUlvE_clEvENKUlvE2_clEvEUlN3c108BFloat16EE_EEvS4_RKT_EUlibE_EEviT1_
; %bb.0:
	s_clause 0x1
	s_load_dword s22, s[4:5], 0x8
	s_load_dword s27, s[4:5], 0x0
	v_lshl_or_b32 v7, s6, 10, v0
	s_add_u32 s16, s4, 8
	s_addc_u32 s17, s5, 0
	s_mov_b32 s0, exec_lo
	v_or_b32_e32 v18, 0x380, v7
	s_waitcnt lgkmcnt(0)
	s_add_i32 s23, s22, -1
	s_cmp_gt_u32 s23, 1
	s_cselect_b32 s24, -1, 0
	v_cmpx_le_i32_e64 s27, v18
	s_xor_b32 s25, exec_lo, s0
	s_cbranch_execz .LBB75_7
; %bb.1:
	s_clause 0x3
	s_load_dwordx4 s[12:15], s[16:17], 0x4
	s_load_dwordx2 s[18:19], s[16:17], 0x14
	s_load_dwordx4 s[8:11], s[16:17], 0xc4
	s_load_dwordx4 s[4:7], s[16:17], 0x148
	s_cmp_lg_u32 s22, 0
	s_mov_b32 s30, exec_lo
	s_cselect_b32 s29, -1, 0
	s_add_u32 s20, s16, 0xc4
	s_addc_u32 s21, s17, 0
	s_min_u32 s28, s23, 15
	s_cmp_gt_u32 s22, 1
	s_cselect_b32 s26, -1, 0
	v_cmpx_gt_i32_e64 s27, v7
	s_cbranch_execz .LBB75_14
; %bb.2:
	s_andn2_b32 vcc_lo, exec_lo, s24
	s_cbranch_vccnz .LBB75_21
; %bb.3:
	s_andn2_b32 vcc_lo, exec_lo, s29
	s_cbranch_vccnz .LBB75_177
; %bb.4:
	s_add_i32 s33, s28, 1
	s_cmp_eq_u32 s23, 2
	s_cbranch_scc1 .LBB75_179
; %bb.5:
	v_mov_b32_e32 v2, 0
	v_mov_b32_e32 v0, 0
	;; [unrolled: 1-line block ×3, first 2 shown]
	s_and_b32 s31, s33, 28
	s_mov_b32 s34, 0
	s_mov_b64 s[0:1], s[16:17]
	s_mov_b64 s[2:3], s[20:21]
.LBB75_6:                               ; =>This Inner Loop Header: Depth=1
	s_clause 0x1
	s_load_dwordx8 s[36:43], s[0:1], 0x4
	s_load_dwordx4 s[52:55], s[0:1], 0x24
	s_load_dwordx8 s[44:51], s[2:3], 0x0
	s_add_u32 s0, s0, 48
	s_addc_u32 s1, s1, 0
	s_add_i32 s34, s34, 4
	s_add_u32 s2, s2, 32
	s_addc_u32 s3, s3, 0
	s_cmp_lg_u32 s31, s34
	s_waitcnt lgkmcnt(0)
	v_mul_hi_u32 v3, s37, v1
	v_add_nc_u32_e32 v3, v1, v3
	v_lshrrev_b32_e32 v3, s38, v3
	v_mul_hi_u32 v4, s40, v3
	v_mul_lo_u32 v6, v3, s36
	v_add_nc_u32_e32 v4, v3, v4
	v_sub_nc_u32_e32 v1, v1, v6
	v_lshrrev_b32_e32 v4, s41, v4
	v_mul_lo_u32 v6, v1, s44
	v_mul_lo_u32 v9, v1, s45
	v_mul_hi_u32 v5, s43, v4
	v_add_nc_u32_e32 v5, v4, v5
	v_lshrrev_b32_e32 v5, s52, v5
	v_mul_hi_u32 v8, s54, v5
	v_mul_lo_u32 v10, v5, s42
	v_add_nc_u32_e32 v1, v5, v8
	v_mul_lo_u32 v8, v4, s39
	v_sub_nc_u32_e32 v4, v4, v10
	v_lshrrev_b32_e32 v1, s55, v1
	v_mul_lo_u32 v10, v4, s48
	v_mul_lo_u32 v4, v4, s49
	v_sub_nc_u32_e32 v3, v3, v8
	v_mul_lo_u32 v11, v1, s53
	v_mul_lo_u32 v8, v3, s46
	;; [unrolled: 1-line block ×3, first 2 shown]
	v_sub_nc_u32_e32 v5, v5, v11
	v_add3_u32 v0, v6, v0, v8
	v_mul_lo_u32 v11, v5, s50
	v_mul_lo_u32 v5, v5, s51
	v_add3_u32 v2, v9, v2, v3
	v_add3_u32 v0, v10, v0, v11
	;; [unrolled: 1-line block ×3, first 2 shown]
	s_cbranch_scc1 .LBB75_6
	s_branch .LBB75_180
.LBB75_7:
	s_andn2_saveexec_b32 s0, s25
	s_cbranch_execz .LBB75_305
.LBB75_8:
	v_cndmask_b32_e64 v8, 0, 1, s24
	s_andn2_b32 vcc_lo, exec_lo, s24
	s_cbranch_vccnz .LBB75_20
; %bb.9:
	s_cmp_lg_u32 s22, 0
	s_waitcnt lgkmcnt(0)
	s_mov_b32 s4, 0
	s_cbranch_scc0 .LBB75_23
; %bb.10:
	s_min_u32 s6, s23, 15
	s_add_i32 s6, s6, 1
	s_cmp_eq_u32 s23, 2
	s_cbranch_scc1 .LBB75_24
; %bb.11:
	v_mov_b32_e32 v9, 0
	v_mov_b32_e32 v0, 0
	;; [unrolled: 1-line block ×3, first 2 shown]
	s_and_b32 s5, s6, 28
	s_add_u32 s0, s16, 0xc4
	s_addc_u32 s1, s17, 0
	s_mov_b32 s7, 0
	s_mov_b64 s[2:3], s[16:17]
.LBB75_12:                              ; =>This Inner Loop Header: Depth=1
	s_clause 0x1
	s_load_dwordx8 s[8:15], s[2:3], 0x4
	s_load_dwordx4 s[36:39], s[2:3], 0x24
	s_load_dwordx8 s[24:31], s[0:1], 0x0
	s_add_u32 s2, s2, 48
	s_addc_u32 s3, s3, 0
	s_add_i32 s7, s7, 4
	s_add_u32 s0, s0, 32
	s_addc_u32 s1, s1, 0
	s_cmp_lg_u32 s5, s7
	s_waitcnt lgkmcnt(0)
	v_mul_hi_u32 v2, s9, v1
	v_add_nc_u32_e32 v2, v1, v2
	v_lshrrev_b32_e32 v2, s10, v2
	v_mul_hi_u32 v3, s12, v2
	v_mul_lo_u32 v5, v2, s8
	v_add_nc_u32_e32 v3, v2, v3
	v_sub_nc_u32_e32 v1, v1, v5
	v_lshrrev_b32_e32 v3, s13, v3
	v_mul_lo_u32 v5, v1, s24
	v_mul_lo_u32 v10, v1, s25
	v_mul_hi_u32 v4, s15, v3
	v_add_nc_u32_e32 v4, v3, v4
	v_lshrrev_b32_e32 v4, s36, v4
	v_mul_hi_u32 v6, s38, v4
	v_mul_lo_u32 v11, v4, s14
	v_add_nc_u32_e32 v1, v4, v6
	v_mul_lo_u32 v6, v3, s11
	v_sub_nc_u32_e32 v3, v3, v11
	v_lshrrev_b32_e32 v1, s39, v1
	v_mul_lo_u32 v11, v3, s28
	v_mul_lo_u32 v3, v3, s29
	v_sub_nc_u32_e32 v2, v2, v6
	v_mul_lo_u32 v12, v1, s37
	v_mul_lo_u32 v6, v2, s26
	;; [unrolled: 1-line block ×3, first 2 shown]
	v_sub_nc_u32_e32 v4, v4, v12
	v_add3_u32 v0, v5, v0, v6
	v_mul_lo_u32 v12, v4, s30
	v_mul_lo_u32 v4, v4, s31
	v_add3_u32 v2, v10, v9, v2
	v_add3_u32 v0, v11, v0, v12
	;; [unrolled: 1-line block ×3, first 2 shown]
	s_cbranch_scc1 .LBB75_12
; %bb.13:
	s_and_b32 s6, s6, 3
	s_cmp_eq_u32 s6, 0
	s_cbranch_scc0 .LBB75_25
	s_branch .LBB75_27
.LBB75_14:
	s_or_b32 exec_lo, exec_lo, s30
	s_mov_b32 s30, exec_lo
	v_cmpx_gt_i32_e64 s27, v7
	s_cbranch_execz .LBB75_193
.LBB75_15:
	s_andn2_b32 vcc_lo, exec_lo, s24
	s_cbranch_vccnz .LBB75_22
; %bb.16:
	s_andn2_b32 vcc_lo, exec_lo, s29
	s_cbranch_vccnz .LBB75_178
; %bb.17:
	s_add_i32 s33, s28, 1
	s_cmp_eq_u32 s23, 2
	s_cbranch_scc1 .LBB75_201
; %bb.18:
	v_mov_b32_e32 v2, 0
	v_mov_b32_e32 v0, 0
	;; [unrolled: 1-line block ×3, first 2 shown]
	s_and_b32 s31, s33, 28
	s_mov_b32 s34, 0
	s_mov_b64 s[0:1], s[16:17]
	s_mov_b64 s[2:3], s[20:21]
.LBB75_19:                              ; =>This Inner Loop Header: Depth=1
	s_clause 0x1
	s_load_dwordx8 s[36:43], s[0:1], 0x4
	s_load_dwordx4 s[52:55], s[0:1], 0x24
	s_load_dwordx8 s[44:51], s[2:3], 0x0
	s_add_u32 s0, s0, 48
	s_addc_u32 s1, s1, 0
	s_add_i32 s34, s34, 4
	s_add_u32 s2, s2, 32
	s_addc_u32 s3, s3, 0
	s_cmp_eq_u32 s31, s34
	s_waitcnt lgkmcnt(0)
	v_mul_hi_u32 v3, s37, v1
	v_add_nc_u32_e32 v3, v1, v3
	v_lshrrev_b32_e32 v3, s38, v3
	v_mul_hi_u32 v4, s40, v3
	v_mul_lo_u32 v6, v3, s36
	v_add_nc_u32_e32 v4, v3, v4
	v_sub_nc_u32_e32 v1, v1, v6
	v_lshrrev_b32_e32 v4, s41, v4
	v_mul_lo_u32 v6, v1, s44
	v_mul_lo_u32 v9, v1, s45
	v_mul_hi_u32 v5, s43, v4
	v_add_nc_u32_e32 v5, v4, v5
	v_lshrrev_b32_e32 v5, s52, v5
	v_mul_hi_u32 v8, s54, v5
	v_mul_lo_u32 v10, v5, s42
	v_add_nc_u32_e32 v1, v5, v8
	v_mul_lo_u32 v8, v4, s39
	v_sub_nc_u32_e32 v4, v4, v10
	v_lshrrev_b32_e32 v1, s55, v1
	v_mul_lo_u32 v10, v4, s48
	v_mul_lo_u32 v4, v4, s49
	v_sub_nc_u32_e32 v3, v3, v8
	v_mul_lo_u32 v11, v1, s53
	v_mul_lo_u32 v8, v3, s46
	;; [unrolled: 1-line block ×3, first 2 shown]
	v_sub_nc_u32_e32 v5, v5, v11
	v_add3_u32 v0, v6, v0, v8
	v_mul_lo_u32 v11, v5, s50
	v_mul_lo_u32 v5, v5, s51
	v_add3_u32 v2, v9, v2, v3
	v_add3_u32 v0, v10, v0, v11
	;; [unrolled: 1-line block ×3, first 2 shown]
	s_cbranch_scc0 .LBB75_19
	s_branch .LBB75_202
.LBB75_20:
	s_waitcnt lgkmcnt(0)
	s_mov_b32 s4, -1
                                        ; implicit-def: $vgpr0
                                        ; implicit-def: $vgpr9
	s_branch .LBB75_27
.LBB75_21:
                                        ; implicit-def: $vgpr0
                                        ; implicit-def: $vgpr2
	s_branch .LBB75_184
.LBB75_22:
                                        ; implicit-def: $vgpr0
                                        ; implicit-def: $vgpr2
	s_branch .LBB75_206
.LBB75_23:
	v_mov_b32_e32 v0, 0
	v_mov_b32_e32 v9, 0
	s_branch .LBB75_27
.LBB75_24:
	v_mov_b32_e32 v0, 0
	v_mov_b32_e32 v9, 0
	;; [unrolled: 1-line block ×3, first 2 shown]
	s_mov_b32 s5, 0
	s_and_b32 s6, s6, 3
	s_cmp_eq_u32 s6, 0
	s_cbranch_scc1 .LBB75_27
.LBB75_25:
	s_lshl_b32 s0, s5, 3
	s_mul_i32 s2, s5, 12
	s_add_u32 s0, s16, s0
	s_addc_u32 s1, s17, 0
	s_add_u32 s0, s0, 0xc4
	s_addc_u32 s1, s1, 0
	;; [unrolled: 2-line block ×3, first 2 shown]
	.p2align	6
.LBB75_26:                              ; =>This Inner Loop Header: Depth=1
	s_clause 0x1
	s_load_dwordx2 s[8:9], s[2:3], 0x4
	s_load_dword s5, s[2:3], 0xc
	s_load_dwordx2 s[10:11], s[0:1], 0x0
	s_add_u32 s2, s2, 12
	s_addc_u32 s3, s3, 0
	s_add_u32 s0, s0, 8
	s_addc_u32 s1, s1, 0
	s_add_i32 s6, s6, -1
	s_cmp_lg_u32 s6, 0
	s_waitcnt lgkmcnt(0)
	v_mul_hi_u32 v2, s9, v1
	v_add_nc_u32_e32 v2, v1, v2
	v_lshrrev_b32_e32 v2, s5, v2
	v_mul_lo_u32 v3, v2, s8
	v_sub_nc_u32_e32 v3, v1, v3
	v_mad_u64_u32 v[0:1], null, v3, s10, v[0:1]
	v_mad_u64_u32 v[9:10], null, v3, s11, v[9:10]
	v_mov_b32_e32 v1, v2
	s_cbranch_scc1 .LBB75_26
.LBB75_27:
	s_andn2_b32 vcc_lo, exec_lo, s4
	s_cbranch_vccnz .LBB75_30
; %bb.28:
	s_clause 0x1
	s_load_dwordx4 s[0:3], s[16:17], 0x4
	s_load_dwordx2 s[4:5], s[16:17], 0xc4
	s_cmp_lt_u32 s22, 2
	s_waitcnt lgkmcnt(0)
	v_mul_hi_u32 v0, s1, v7
	v_add_nc_u32_e32 v0, v7, v0
	v_lshrrev_b32_e32 v1, s2, v0
	v_mul_lo_u32 v0, v1, s0
	v_sub_nc_u32_e32 v2, v7, v0
	v_mul_lo_u32 v0, v2, s4
	v_mul_lo_u32 v9, v2, s5
	s_cbranch_scc1 .LBB75_30
; %bb.29:
	s_clause 0x1
	s_load_dwordx4 s[0:3], s[16:17], 0x10
	s_load_dwordx2 s[4:5], s[16:17], 0xcc
	s_waitcnt lgkmcnt(0)
	v_mul_hi_u32 v2, s1, v1
	v_add_nc_u32_e32 v2, v1, v2
	v_lshrrev_b32_e32 v2, s2, v2
	v_mul_lo_u32 v2, v2, s0
	v_sub_nc_u32_e32 v2, v1, v2
	v_mad_u64_u32 v[0:1], null, v2, s4, v[0:1]
	v_mad_u64_u32 v[9:10], null, v2, s5, v[9:10]
.LBB75_30:
	v_cmp_ne_u32_e32 vcc_lo, 1, v8
	v_add_nc_u32_e32 v3, 0x80, v7
	s_cbranch_vccnz .LBB75_36
; %bb.31:
	s_cmp_lg_u32 s22, 0
	s_mov_b32 s4, 0
	s_cbranch_scc0 .LBB75_37
; %bb.32:
	s_min_u32 s6, s23, 15
	s_add_i32 s6, s6, 1
	s_cmp_eq_u32 s23, 2
	s_cbranch_scc1 .LBB75_38
; %bb.33:
	v_mov_b32_e32 v10, 0
	v_mov_b32_e32 v1, 0
	;; [unrolled: 1-line block ×3, first 2 shown]
	s_and_b32 s5, s6, 28
	s_add_u32 s0, s16, 0xc4
	s_addc_u32 s1, s17, 0
	s_mov_b32 s7, 0
	s_mov_b64 s[2:3], s[16:17]
.LBB75_34:                              ; =>This Inner Loop Header: Depth=1
	s_clause 0x1
	s_load_dwordx8 s[8:15], s[2:3], 0x4
	s_load_dwordx4 s[36:39], s[2:3], 0x24
	s_load_dwordx8 s[24:31], s[0:1], 0x0
	s_add_u32 s2, s2, 48
	s_addc_u32 s3, s3, 0
	s_add_i32 s7, s7, 4
	s_add_u32 s0, s0, 32
	s_addc_u32 s1, s1, 0
	s_cmp_lg_u32 s5, s7
	s_waitcnt lgkmcnt(0)
	v_mul_hi_u32 v4, s9, v2
	v_add_nc_u32_e32 v4, v2, v4
	v_lshrrev_b32_e32 v4, s10, v4
	v_mul_hi_u32 v5, s12, v4
	v_mul_lo_u32 v11, v4, s8
	v_add_nc_u32_e32 v5, v4, v5
	v_sub_nc_u32_e32 v2, v2, v11
	v_lshrrev_b32_e32 v5, s13, v5
	v_mul_lo_u32 v11, v2, s24
	v_mul_lo_u32 v13, v2, s25
	v_mul_hi_u32 v6, s15, v5
	v_add_nc_u32_e32 v6, v5, v6
	v_lshrrev_b32_e32 v6, s36, v6
	v_mul_hi_u32 v12, s38, v6
	v_mul_lo_u32 v14, v6, s14
	v_add_nc_u32_e32 v2, v6, v12
	v_mul_lo_u32 v12, v5, s11
	v_sub_nc_u32_e32 v5, v5, v14
	v_lshrrev_b32_e32 v2, s39, v2
	v_mul_lo_u32 v14, v5, s28
	v_mul_lo_u32 v5, v5, s29
	v_sub_nc_u32_e32 v4, v4, v12
	v_mul_lo_u32 v15, v2, s37
	v_mul_lo_u32 v12, v4, s26
	;; [unrolled: 1-line block ×3, first 2 shown]
	v_sub_nc_u32_e32 v6, v6, v15
	v_add3_u32 v1, v11, v1, v12
	v_mul_lo_u32 v15, v6, s30
	v_mul_lo_u32 v6, v6, s31
	v_add3_u32 v4, v13, v10, v4
	v_add3_u32 v1, v14, v1, v15
	;; [unrolled: 1-line block ×3, first 2 shown]
	s_cbranch_scc1 .LBB75_34
; %bb.35:
	s_and_b32 s6, s6, 3
	s_cmp_eq_u32 s6, 0
	s_cbranch_scc0 .LBB75_39
	s_branch .LBB75_41
.LBB75_36:
	s_mov_b32 s4, -1
                                        ; implicit-def: $vgpr1
                                        ; implicit-def: $vgpr10
	s_branch .LBB75_41
.LBB75_37:
	v_mov_b32_e32 v1, 0
	v_mov_b32_e32 v10, 0
	s_branch .LBB75_41
.LBB75_38:
	v_mov_b32_e32 v1, 0
	v_mov_b32_e32 v10, 0
	;; [unrolled: 1-line block ×3, first 2 shown]
	s_mov_b32 s5, 0
	s_and_b32 s6, s6, 3
	s_cmp_eq_u32 s6, 0
	s_cbranch_scc1 .LBB75_41
.LBB75_39:
	s_lshl_b32 s0, s5, 3
	s_mul_i32 s2, s5, 12
	s_add_u32 s0, s16, s0
	s_addc_u32 s1, s17, 0
	s_add_u32 s0, s0, 0xc4
	s_addc_u32 s1, s1, 0
	;; [unrolled: 2-line block ×3, first 2 shown]
	.p2align	6
.LBB75_40:                              ; =>This Inner Loop Header: Depth=1
	s_clause 0x1
	s_load_dwordx2 s[8:9], s[2:3], 0x4
	s_load_dword s5, s[2:3], 0xc
	s_load_dwordx2 s[10:11], s[0:1], 0x0
	s_add_u32 s2, s2, 12
	s_addc_u32 s3, s3, 0
	s_add_u32 s0, s0, 8
	s_addc_u32 s1, s1, 0
	s_add_i32 s6, s6, -1
	s_cmp_lg_u32 s6, 0
	s_waitcnt lgkmcnt(0)
	v_mul_hi_u32 v4, s9, v2
	v_add_nc_u32_e32 v4, v2, v4
	v_lshrrev_b32_e32 v4, s5, v4
	v_mul_lo_u32 v5, v4, s8
	v_sub_nc_u32_e32 v5, v2, v5
	v_mad_u64_u32 v[1:2], null, v5, s10, v[1:2]
	v_mad_u64_u32 v[10:11], null, v5, s11, v[10:11]
	v_mov_b32_e32 v2, v4
	s_cbranch_scc1 .LBB75_40
.LBB75_41:
	s_andn2_b32 vcc_lo, exec_lo, s4
	s_cbranch_vccnz .LBB75_44
; %bb.42:
	s_clause 0x1
	s_load_dwordx4 s[0:3], s[16:17], 0x4
	s_load_dwordx2 s[4:5], s[16:17], 0xc4
	s_cmp_lt_u32 s22, 2
	s_waitcnt lgkmcnt(0)
	v_mul_hi_u32 v1, s1, v3
	v_add_nc_u32_e32 v1, v3, v1
	v_lshrrev_b32_e32 v2, s2, v1
	v_mul_lo_u32 v1, v2, s0
	v_sub_nc_u32_e32 v3, v3, v1
	v_mul_lo_u32 v1, v3, s4
	v_mul_lo_u32 v10, v3, s5
	s_cbranch_scc1 .LBB75_44
; %bb.43:
	s_clause 0x1
	s_load_dwordx4 s[0:3], s[16:17], 0x10
	s_load_dwordx2 s[4:5], s[16:17], 0xcc
	s_waitcnt lgkmcnt(0)
	v_mul_hi_u32 v3, s1, v2
	v_add_nc_u32_e32 v3, v2, v3
	v_lshrrev_b32_e32 v3, s2, v3
	v_mul_lo_u32 v3, v3, s0
	v_sub_nc_u32_e32 v3, v2, v3
	v_mad_u64_u32 v[1:2], null, v3, s4, v[1:2]
	v_mad_u64_u32 v[10:11], null, v3, s5, v[10:11]
.LBB75_44:
	v_cmp_ne_u32_e32 vcc_lo, 1, v8
	v_add_nc_u32_e32 v4, 0x100, v7
	s_cbranch_vccnz .LBB75_50
; %bb.45:
	s_cmp_lg_u32 s22, 0
	s_mov_b32 s4, 0
	s_cbranch_scc0 .LBB75_51
; %bb.46:
	s_min_u32 s6, s23, 15
	s_add_i32 s6, s6, 1
	s_cmp_eq_u32 s23, 2
	s_cbranch_scc1 .LBB75_52
; %bb.47:
	v_mov_b32_e32 v11, 0
	v_mov_b32_e32 v2, 0
	;; [unrolled: 1-line block ×3, first 2 shown]
	s_and_b32 s5, s6, 28
	s_add_u32 s0, s16, 0xc4
	s_addc_u32 s1, s17, 0
	s_mov_b32 s7, 0
	s_mov_b64 s[2:3], s[16:17]
.LBB75_48:                              ; =>This Inner Loop Header: Depth=1
	s_clause 0x1
	s_load_dwordx8 s[8:15], s[2:3], 0x4
	s_load_dwordx4 s[36:39], s[2:3], 0x24
	s_load_dwordx8 s[24:31], s[0:1], 0x0
	s_add_u32 s2, s2, 48
	s_addc_u32 s3, s3, 0
	s_add_i32 s7, s7, 4
	s_add_u32 s0, s0, 32
	s_addc_u32 s1, s1, 0
	s_cmp_lg_u32 s5, s7
	s_waitcnt lgkmcnt(0)
	v_mul_hi_u32 v5, s9, v3
	v_add_nc_u32_e32 v5, v3, v5
	v_lshrrev_b32_e32 v5, s10, v5
	v_mul_hi_u32 v6, s12, v5
	v_mul_lo_u32 v13, v5, s8
	v_add_nc_u32_e32 v6, v5, v6
	v_sub_nc_u32_e32 v3, v3, v13
	v_lshrrev_b32_e32 v6, s13, v6
	v_mul_lo_u32 v13, v3, s24
	v_mul_lo_u32 v15, v3, s25
	v_mul_hi_u32 v12, s15, v6
	v_add_nc_u32_e32 v12, v6, v12
	v_lshrrev_b32_e32 v12, s36, v12
	v_mul_hi_u32 v14, s38, v12
	v_mul_lo_u32 v16, v12, s14
	v_add_nc_u32_e32 v3, v12, v14
	v_mul_lo_u32 v14, v6, s11
	v_sub_nc_u32_e32 v6, v6, v16
	v_lshrrev_b32_e32 v3, s39, v3
	v_mul_lo_u32 v16, v6, s28
	v_mul_lo_u32 v6, v6, s29
	v_sub_nc_u32_e32 v5, v5, v14
	v_mul_lo_u32 v17, v3, s37
	v_mul_lo_u32 v14, v5, s26
	v_mul_lo_u32 v5, v5, s27
	v_sub_nc_u32_e32 v12, v12, v17
	v_add3_u32 v2, v13, v2, v14
	v_mul_lo_u32 v17, v12, s30
	v_mul_lo_u32 v12, v12, s31
	v_add3_u32 v5, v15, v11, v5
	v_add3_u32 v2, v16, v2, v17
	;; [unrolled: 1-line block ×3, first 2 shown]
	s_cbranch_scc1 .LBB75_48
; %bb.49:
	s_and_b32 s6, s6, 3
	s_cmp_eq_u32 s6, 0
	s_cbranch_scc0 .LBB75_53
	s_branch .LBB75_55
.LBB75_50:
	s_mov_b32 s4, -1
                                        ; implicit-def: $vgpr2
                                        ; implicit-def: $vgpr11
	s_branch .LBB75_55
.LBB75_51:
	v_mov_b32_e32 v2, 0
	v_mov_b32_e32 v11, 0
	s_branch .LBB75_55
.LBB75_52:
	v_mov_b32_e32 v2, 0
	v_mov_b32_e32 v11, 0
	;; [unrolled: 1-line block ×3, first 2 shown]
	s_mov_b32 s5, 0
	s_and_b32 s6, s6, 3
	s_cmp_eq_u32 s6, 0
	s_cbranch_scc1 .LBB75_55
.LBB75_53:
	s_lshl_b32 s0, s5, 3
	s_mul_i32 s2, s5, 12
	s_add_u32 s0, s16, s0
	s_addc_u32 s1, s17, 0
	s_add_u32 s0, s0, 0xc4
	s_addc_u32 s1, s1, 0
	;; [unrolled: 2-line block ×3, first 2 shown]
	.p2align	6
.LBB75_54:                              ; =>This Inner Loop Header: Depth=1
	s_clause 0x1
	s_load_dwordx2 s[8:9], s[2:3], 0x4
	s_load_dword s5, s[2:3], 0xc
	s_load_dwordx2 s[10:11], s[0:1], 0x0
	s_add_u32 s2, s2, 12
	s_addc_u32 s3, s3, 0
	s_add_u32 s0, s0, 8
	s_addc_u32 s1, s1, 0
	s_add_i32 s6, s6, -1
	s_cmp_lg_u32 s6, 0
	s_waitcnt lgkmcnt(0)
	v_mul_hi_u32 v5, s9, v3
	v_add_nc_u32_e32 v5, v3, v5
	v_lshrrev_b32_e32 v5, s5, v5
	v_mul_lo_u32 v6, v5, s8
	v_sub_nc_u32_e32 v6, v3, v6
	v_mad_u64_u32 v[2:3], null, v6, s10, v[2:3]
	v_mad_u64_u32 v[11:12], null, v6, s11, v[11:12]
	v_mov_b32_e32 v3, v5
	s_cbranch_scc1 .LBB75_54
.LBB75_55:
	s_andn2_b32 vcc_lo, exec_lo, s4
	s_cbranch_vccnz .LBB75_58
; %bb.56:
	s_clause 0x1
	s_load_dwordx4 s[0:3], s[16:17], 0x4
	s_load_dwordx2 s[4:5], s[16:17], 0xc4
	s_cmp_lt_u32 s22, 2
	s_waitcnt lgkmcnt(0)
	v_mul_hi_u32 v2, s1, v4
	v_add_nc_u32_e32 v2, v4, v2
	v_lshrrev_b32_e32 v3, s2, v2
	v_mul_lo_u32 v2, v3, s0
	v_sub_nc_u32_e32 v4, v4, v2
	v_mul_lo_u32 v2, v4, s4
	v_mul_lo_u32 v11, v4, s5
	s_cbranch_scc1 .LBB75_58
; %bb.57:
	s_clause 0x1
	s_load_dwordx4 s[0:3], s[16:17], 0x10
	s_load_dwordx2 s[4:5], s[16:17], 0xcc
	s_waitcnt lgkmcnt(0)
	v_mul_hi_u32 v4, s1, v3
	v_add_nc_u32_e32 v4, v3, v4
	v_lshrrev_b32_e32 v4, s2, v4
	v_mul_lo_u32 v4, v4, s0
	v_sub_nc_u32_e32 v4, v3, v4
	v_mad_u64_u32 v[2:3], null, v4, s4, v[2:3]
	v_mad_u64_u32 v[11:12], null, v4, s5, v[11:12]
.LBB75_58:
	v_cmp_ne_u32_e32 vcc_lo, 1, v8
	v_add_nc_u32_e32 v5, 0x180, v7
	s_cbranch_vccnz .LBB75_64
; %bb.59:
	s_cmp_lg_u32 s22, 0
	s_mov_b32 s4, 0
	s_cbranch_scc0 .LBB75_65
; %bb.60:
	s_min_u32 s6, s23, 15
	s_add_i32 s6, s6, 1
	s_cmp_eq_u32 s23, 2
	s_cbranch_scc1 .LBB75_66
; %bb.61:
	v_mov_b32_e32 v12, 0
	v_mov_b32_e32 v3, 0
	;; [unrolled: 1-line block ×3, first 2 shown]
	s_and_b32 s5, s6, 28
	s_add_u32 s0, s16, 0xc4
	s_addc_u32 s1, s17, 0
	s_mov_b32 s7, 0
	s_mov_b64 s[2:3], s[16:17]
.LBB75_62:                              ; =>This Inner Loop Header: Depth=1
	s_clause 0x1
	s_load_dwordx8 s[8:15], s[2:3], 0x4
	s_load_dwordx4 s[36:39], s[2:3], 0x24
	s_load_dwordx8 s[24:31], s[0:1], 0x0
	s_add_u32 s2, s2, 48
	s_addc_u32 s3, s3, 0
	s_add_i32 s7, s7, 4
	s_add_u32 s0, s0, 32
	s_addc_u32 s1, s1, 0
	s_cmp_lg_u32 s5, s7
	s_waitcnt lgkmcnt(0)
	v_mul_hi_u32 v6, s9, v4
	v_add_nc_u32_e32 v6, v4, v6
	v_lshrrev_b32_e32 v6, s10, v6
	v_mul_hi_u32 v13, s12, v6
	v_mul_lo_u32 v15, v6, s8
	v_add_nc_u32_e32 v13, v6, v13
	v_sub_nc_u32_e32 v4, v4, v15
	v_lshrrev_b32_e32 v13, s13, v13
	v_mul_lo_u32 v15, v4, s24
	v_mul_lo_u32 v17, v4, s25
	v_mul_hi_u32 v14, s15, v13
	v_add_nc_u32_e32 v14, v13, v14
	v_lshrrev_b32_e32 v14, s36, v14
	v_mul_hi_u32 v16, s38, v14
	v_mul_lo_u32 v19, v14, s14
	v_add_nc_u32_e32 v4, v14, v16
	v_mul_lo_u32 v16, v13, s11
	v_sub_nc_u32_e32 v13, v13, v19
	v_lshrrev_b32_e32 v4, s39, v4
	v_mul_lo_u32 v19, v13, s28
	v_mul_lo_u32 v13, v13, s29
	v_sub_nc_u32_e32 v6, v6, v16
	v_mul_lo_u32 v20, v4, s37
	v_mul_lo_u32 v16, v6, s26
	;; [unrolled: 1-line block ×3, first 2 shown]
	v_sub_nc_u32_e32 v14, v14, v20
	v_add3_u32 v3, v15, v3, v16
	v_mul_lo_u32 v20, v14, s30
	v_mul_lo_u32 v14, v14, s31
	v_add3_u32 v6, v17, v12, v6
	v_add3_u32 v3, v19, v3, v20
	;; [unrolled: 1-line block ×3, first 2 shown]
	s_cbranch_scc1 .LBB75_62
; %bb.63:
	s_and_b32 s6, s6, 3
	s_cmp_eq_u32 s6, 0
	s_cbranch_scc0 .LBB75_67
	s_branch .LBB75_69
.LBB75_64:
	s_mov_b32 s4, -1
                                        ; implicit-def: $vgpr3
                                        ; implicit-def: $vgpr12
	s_branch .LBB75_69
.LBB75_65:
	v_mov_b32_e32 v3, 0
	v_mov_b32_e32 v12, 0
	s_branch .LBB75_69
.LBB75_66:
	v_mov_b32_e32 v3, 0
	v_mov_b32_e32 v12, 0
	;; [unrolled: 1-line block ×3, first 2 shown]
	s_mov_b32 s5, 0
	s_and_b32 s6, s6, 3
	s_cmp_eq_u32 s6, 0
	s_cbranch_scc1 .LBB75_69
.LBB75_67:
	s_lshl_b32 s0, s5, 3
	s_mul_i32 s2, s5, 12
	s_add_u32 s0, s16, s0
	s_addc_u32 s1, s17, 0
	s_add_u32 s0, s0, 0xc4
	s_addc_u32 s1, s1, 0
	;; [unrolled: 2-line block ×3, first 2 shown]
	.p2align	6
.LBB75_68:                              ; =>This Inner Loop Header: Depth=1
	s_clause 0x1
	s_load_dwordx2 s[8:9], s[2:3], 0x4
	s_load_dword s5, s[2:3], 0xc
	s_load_dwordx2 s[10:11], s[0:1], 0x0
	s_add_u32 s2, s2, 12
	s_addc_u32 s3, s3, 0
	s_add_u32 s0, s0, 8
	s_addc_u32 s1, s1, 0
	s_add_i32 s6, s6, -1
	s_cmp_lg_u32 s6, 0
	s_waitcnt lgkmcnt(0)
	v_mul_hi_u32 v6, s9, v4
	v_add_nc_u32_e32 v6, v4, v6
	v_lshrrev_b32_e32 v6, s5, v6
	v_mul_lo_u32 v13, v6, s8
	v_sub_nc_u32_e32 v13, v4, v13
	v_mad_u64_u32 v[3:4], null, v13, s10, v[3:4]
	v_mad_u64_u32 v[12:13], null, v13, s11, v[12:13]
	v_mov_b32_e32 v4, v6
	s_cbranch_scc1 .LBB75_68
.LBB75_69:
	s_andn2_b32 vcc_lo, exec_lo, s4
	s_cbranch_vccnz .LBB75_72
; %bb.70:
	s_clause 0x1
	s_load_dwordx4 s[0:3], s[16:17], 0x4
	s_load_dwordx2 s[4:5], s[16:17], 0xc4
	s_cmp_lt_u32 s22, 2
	s_waitcnt lgkmcnt(0)
	v_mul_hi_u32 v3, s1, v5
	v_add_nc_u32_e32 v3, v5, v3
	v_lshrrev_b32_e32 v4, s2, v3
	v_mul_lo_u32 v3, v4, s0
	v_sub_nc_u32_e32 v5, v5, v3
	v_mul_lo_u32 v3, v5, s4
	v_mul_lo_u32 v12, v5, s5
	s_cbranch_scc1 .LBB75_72
; %bb.71:
	s_clause 0x1
	s_load_dwordx4 s[0:3], s[16:17], 0x10
	s_load_dwordx2 s[4:5], s[16:17], 0xcc
	s_waitcnt lgkmcnt(0)
	v_mul_hi_u32 v5, s1, v4
	v_add_nc_u32_e32 v5, v4, v5
	v_lshrrev_b32_e32 v5, s2, v5
	v_mul_lo_u32 v5, v5, s0
	v_sub_nc_u32_e32 v5, v4, v5
	v_mad_u64_u32 v[3:4], null, v5, s4, v[3:4]
	v_mad_u64_u32 v[12:13], null, v5, s5, v[12:13]
.LBB75_72:
	v_cmp_ne_u32_e32 vcc_lo, 1, v8
	v_add_nc_u32_e32 v6, 0x200, v7
	s_cbranch_vccnz .LBB75_78
; %bb.73:
	s_cmp_lg_u32 s22, 0
	s_mov_b32 s4, 0
	s_cbranch_scc0 .LBB75_79
; %bb.74:
	s_min_u32 s6, s23, 15
	s_add_i32 s6, s6, 1
	s_cmp_eq_u32 s23, 2
	s_cbranch_scc1 .LBB75_80
; %bb.75:
	v_mov_b32_e32 v13, 0
	v_mov_b32_e32 v4, 0
	;; [unrolled: 1-line block ×3, first 2 shown]
	s_and_b32 s5, s6, 28
	s_add_u32 s0, s16, 0xc4
	s_addc_u32 s1, s17, 0
	s_mov_b32 s7, 0
	s_mov_b64 s[2:3], s[16:17]
.LBB75_76:                              ; =>This Inner Loop Header: Depth=1
	s_clause 0x1
	s_load_dwordx8 s[8:15], s[2:3], 0x4
	s_load_dwordx4 s[36:39], s[2:3], 0x24
	s_load_dwordx8 s[24:31], s[0:1], 0x0
	s_add_u32 s2, s2, 48
	s_addc_u32 s3, s3, 0
	s_add_i32 s7, s7, 4
	s_add_u32 s0, s0, 32
	s_addc_u32 s1, s1, 0
	s_cmp_lg_u32 s5, s7
	s_waitcnt lgkmcnt(0)
	v_mul_hi_u32 v14, s9, v5
	v_add_nc_u32_e32 v14, v5, v14
	v_lshrrev_b32_e32 v14, s10, v14
	v_mul_hi_u32 v15, s12, v14
	v_mul_lo_u32 v17, v14, s8
	v_add_nc_u32_e32 v15, v14, v15
	v_sub_nc_u32_e32 v5, v5, v17
	v_lshrrev_b32_e32 v15, s13, v15
	v_mul_lo_u32 v17, v5, s24
	v_mul_lo_u32 v20, v5, s25
	v_mul_hi_u32 v16, s15, v15
	v_add_nc_u32_e32 v16, v15, v16
	v_lshrrev_b32_e32 v16, s36, v16
	v_mul_hi_u32 v19, s38, v16
	v_mul_lo_u32 v21, v16, s14
	v_add_nc_u32_e32 v5, v16, v19
	v_mul_lo_u32 v19, v15, s11
	v_sub_nc_u32_e32 v15, v15, v21
	v_lshrrev_b32_e32 v5, s39, v5
	v_mul_lo_u32 v21, v15, s28
	v_mul_lo_u32 v15, v15, s29
	v_sub_nc_u32_e32 v14, v14, v19
	v_mul_lo_u32 v22, v5, s37
	v_mul_lo_u32 v19, v14, s26
	;; [unrolled: 1-line block ×3, first 2 shown]
	v_sub_nc_u32_e32 v16, v16, v22
	v_add3_u32 v4, v17, v4, v19
	v_mul_lo_u32 v22, v16, s30
	v_mul_lo_u32 v16, v16, s31
	v_add3_u32 v13, v20, v13, v14
	v_add3_u32 v4, v21, v4, v22
	;; [unrolled: 1-line block ×3, first 2 shown]
	s_cbranch_scc1 .LBB75_76
; %bb.77:
	s_and_b32 s6, s6, 3
	s_cmp_eq_u32 s6, 0
	s_cbranch_scc0 .LBB75_81
	s_branch .LBB75_83
.LBB75_78:
	s_mov_b32 s4, -1
                                        ; implicit-def: $vgpr4
                                        ; implicit-def: $vgpr13
	s_branch .LBB75_83
.LBB75_79:
	v_mov_b32_e32 v4, 0
	v_mov_b32_e32 v13, 0
	s_branch .LBB75_83
.LBB75_80:
	v_mov_b32_e32 v4, 0
	v_mov_b32_e32 v13, 0
	;; [unrolled: 1-line block ×3, first 2 shown]
	s_mov_b32 s5, 0
	s_and_b32 s6, s6, 3
	s_cmp_eq_u32 s6, 0
	s_cbranch_scc1 .LBB75_83
.LBB75_81:
	s_lshl_b32 s0, s5, 3
	s_mul_i32 s2, s5, 12
	s_add_u32 s0, s16, s0
	s_addc_u32 s1, s17, 0
	s_add_u32 s0, s0, 0xc4
	s_addc_u32 s1, s1, 0
	;; [unrolled: 2-line block ×3, first 2 shown]
	.p2align	6
.LBB75_82:                              ; =>This Inner Loop Header: Depth=1
	s_clause 0x1
	s_load_dwordx2 s[8:9], s[2:3], 0x4
	s_load_dword s5, s[2:3], 0xc
	s_load_dwordx2 s[10:11], s[0:1], 0x0
	s_add_u32 s2, s2, 12
	s_addc_u32 s3, s3, 0
	s_add_u32 s0, s0, 8
	s_addc_u32 s1, s1, 0
	s_add_i32 s6, s6, -1
	s_cmp_lg_u32 s6, 0
	s_waitcnt lgkmcnt(0)
	v_mul_hi_u32 v14, s9, v5
	v_add_nc_u32_e32 v14, v5, v14
	v_lshrrev_b32_e32 v15, s5, v14
	v_mul_lo_u32 v14, v15, s8
	v_sub_nc_u32_e32 v14, v5, v14
	v_mad_u64_u32 v[4:5], null, v14, s10, v[4:5]
	v_mad_u64_u32 v[13:14], null, v14, s11, v[13:14]
	v_mov_b32_e32 v5, v15
	s_cbranch_scc1 .LBB75_82
.LBB75_83:
	s_andn2_b32 vcc_lo, exec_lo, s4
	s_cbranch_vccnz .LBB75_86
; %bb.84:
	s_clause 0x1
	s_load_dwordx4 s[0:3], s[16:17], 0x4
	s_load_dwordx2 s[4:5], s[16:17], 0xc4
	s_cmp_lt_u32 s22, 2
	s_waitcnt lgkmcnt(0)
	v_mul_hi_u32 v4, s1, v6
	v_add_nc_u32_e32 v4, v6, v4
	v_lshrrev_b32_e32 v5, s2, v4
	v_mul_lo_u32 v4, v5, s0
	v_sub_nc_u32_e32 v6, v6, v4
	v_mul_lo_u32 v4, v6, s4
	v_mul_lo_u32 v13, v6, s5
	s_cbranch_scc1 .LBB75_86
; %bb.85:
	s_clause 0x1
	s_load_dwordx4 s[0:3], s[16:17], 0x10
	s_load_dwordx2 s[4:5], s[16:17], 0xcc
	s_waitcnt lgkmcnt(0)
	v_mul_hi_u32 v6, s1, v5
	v_add_nc_u32_e32 v6, v5, v6
	v_lshrrev_b32_e32 v6, s2, v6
	v_mul_lo_u32 v6, v6, s0
	v_sub_nc_u32_e32 v6, v5, v6
	v_mad_u64_u32 v[4:5], null, v6, s4, v[4:5]
	v_mad_u64_u32 v[13:14], null, v6, s5, v[13:14]
.LBB75_86:
	v_cmp_ne_u32_e32 vcc_lo, 1, v8
	v_add_nc_u32_e32 v16, 0x280, v7
	s_cbranch_vccnz .LBB75_92
; %bb.87:
	s_cmp_lg_u32 s22, 0
	s_mov_b32 s4, 0
	s_cbranch_scc0 .LBB75_93
; %bb.88:
	s_min_u32 s6, s23, 15
	s_add_i32 s6, s6, 1
	s_cmp_eq_u32 s23, 2
	s_cbranch_scc1 .LBB75_94
; %bb.89:
	v_mov_b32_e32 v14, 0
	v_mov_b32_e32 v5, 0
	;; [unrolled: 1-line block ×3, first 2 shown]
	s_and_b32 s5, s6, 28
	s_add_u32 s0, s16, 0xc4
	s_addc_u32 s1, s17, 0
	s_mov_b32 s7, 0
	s_mov_b64 s[2:3], s[16:17]
.LBB75_90:                              ; =>This Inner Loop Header: Depth=1
	s_clause 0x1
	s_load_dwordx8 s[8:15], s[2:3], 0x4
	s_load_dwordx4 s[36:39], s[2:3], 0x24
	s_load_dwordx8 s[24:31], s[0:1], 0x0
	s_add_u32 s2, s2, 48
	s_addc_u32 s3, s3, 0
	s_add_i32 s7, s7, 4
	s_add_u32 s0, s0, 32
	s_addc_u32 s1, s1, 0
	s_cmp_lg_u32 s5, s7
	s_waitcnt lgkmcnt(0)
	v_mul_hi_u32 v15, s9, v6
	v_add_nc_u32_e32 v15, v6, v15
	v_lshrrev_b32_e32 v15, s10, v15
	v_mul_hi_u32 v17, s12, v15
	v_mul_lo_u32 v20, v15, s8
	v_add_nc_u32_e32 v17, v15, v17
	v_sub_nc_u32_e32 v6, v6, v20
	v_lshrrev_b32_e32 v17, s13, v17
	v_mul_lo_u32 v20, v6, s24
	v_mul_lo_u32 v22, v6, s25
	v_mul_hi_u32 v19, s15, v17
	v_add_nc_u32_e32 v19, v17, v19
	v_lshrrev_b32_e32 v19, s36, v19
	v_mul_hi_u32 v21, s38, v19
	v_mul_lo_u32 v23, v19, s14
	v_add_nc_u32_e32 v6, v19, v21
	v_mul_lo_u32 v21, v17, s11
	v_sub_nc_u32_e32 v17, v17, v23
	v_lshrrev_b32_e32 v6, s39, v6
	v_mul_lo_u32 v23, v17, s28
	v_mul_lo_u32 v17, v17, s29
	v_sub_nc_u32_e32 v15, v15, v21
	v_mul_lo_u32 v24, v6, s37
	v_mul_lo_u32 v21, v15, s26
	;; [unrolled: 1-line block ×3, first 2 shown]
	v_sub_nc_u32_e32 v19, v19, v24
	v_add3_u32 v5, v20, v5, v21
	v_mul_lo_u32 v24, v19, s30
	v_mul_lo_u32 v19, v19, s31
	v_add3_u32 v14, v22, v14, v15
	v_add3_u32 v5, v23, v5, v24
	;; [unrolled: 1-line block ×3, first 2 shown]
	s_cbranch_scc1 .LBB75_90
; %bb.91:
	s_and_b32 s6, s6, 3
	s_cmp_eq_u32 s6, 0
	s_cbranch_scc0 .LBB75_95
	s_branch .LBB75_97
.LBB75_92:
	s_mov_b32 s4, -1
                                        ; implicit-def: $vgpr5
                                        ; implicit-def: $vgpr14
	s_branch .LBB75_97
.LBB75_93:
	v_mov_b32_e32 v5, 0
	v_mov_b32_e32 v14, 0
	s_branch .LBB75_97
.LBB75_94:
	v_mov_b32_e32 v5, 0
	v_mov_b32_e32 v14, 0
	;; [unrolled: 1-line block ×3, first 2 shown]
	s_mov_b32 s5, 0
	s_and_b32 s6, s6, 3
	s_cmp_eq_u32 s6, 0
	s_cbranch_scc1 .LBB75_97
.LBB75_95:
	s_lshl_b32 s0, s5, 3
	s_mul_i32 s2, s5, 12
	s_add_u32 s0, s16, s0
	s_addc_u32 s1, s17, 0
	s_add_u32 s0, s0, 0xc4
	s_addc_u32 s1, s1, 0
	;; [unrolled: 2-line block ×3, first 2 shown]
	.p2align	6
.LBB75_96:                              ; =>This Inner Loop Header: Depth=1
	s_clause 0x1
	s_load_dwordx2 s[8:9], s[2:3], 0x4
	s_load_dword s5, s[2:3], 0xc
	s_load_dwordx2 s[10:11], s[0:1], 0x0
	s_add_u32 s2, s2, 12
	s_addc_u32 s3, s3, 0
	s_add_u32 s0, s0, 8
	s_addc_u32 s1, s1, 0
	s_add_i32 s6, s6, -1
	s_cmp_lg_u32 s6, 0
	s_waitcnt lgkmcnt(0)
	v_mul_hi_u32 v15, s9, v6
	v_add_nc_u32_e32 v15, v6, v15
	v_lshrrev_b32_e32 v17, s5, v15
	v_mul_lo_u32 v15, v17, s8
	v_sub_nc_u32_e32 v15, v6, v15
	v_mad_u64_u32 v[5:6], null, v15, s10, v[5:6]
	v_mad_u64_u32 v[14:15], null, v15, s11, v[14:15]
	v_mov_b32_e32 v6, v17
	s_cbranch_scc1 .LBB75_96
.LBB75_97:
	s_andn2_b32 vcc_lo, exec_lo, s4
	s_cbranch_vccnz .LBB75_100
; %bb.98:
	s_clause 0x1
	s_load_dwordx4 s[0:3], s[16:17], 0x4
	s_load_dwordx2 s[4:5], s[16:17], 0xc4
	s_cmp_lt_u32 s22, 2
	s_waitcnt lgkmcnt(0)
	v_mul_hi_u32 v5, s1, v16
	v_add_nc_u32_e32 v5, v16, v5
	v_lshrrev_b32_e32 v6, s2, v5
	v_mul_lo_u32 v5, v6, s0
	v_sub_nc_u32_e32 v14, v16, v5
	v_mul_lo_u32 v5, v14, s4
	v_mul_lo_u32 v14, v14, s5
	s_cbranch_scc1 .LBB75_100
; %bb.99:
	s_clause 0x1
	s_load_dwordx4 s[0:3], s[16:17], 0x10
	s_load_dwordx2 s[4:5], s[16:17], 0xcc
	s_waitcnt lgkmcnt(0)
	v_mul_hi_u32 v15, s1, v6
	v_add_nc_u32_e32 v15, v6, v15
	v_lshrrev_b32_e32 v15, s2, v15
	v_mul_lo_u32 v15, v15, s0
	v_sub_nc_u32_e32 v15, v6, v15
	v_mad_u64_u32 v[5:6], null, v15, s4, v[5:6]
	v_mad_u64_u32 v[14:15], null, v15, s5, v[14:15]
.LBB75_100:
	v_cmp_ne_u32_e32 vcc_lo, 1, v8
	v_add_nc_u32_e32 v17, 0x300, v7
	s_cbranch_vccnz .LBB75_106
; %bb.101:
	s_cmp_lg_u32 s22, 0
	s_mov_b32 s4, 0
	s_cbranch_scc0 .LBB75_107
; %bb.102:
	s_min_u32 s6, s23, 15
	s_add_i32 s6, s6, 1
	s_cmp_eq_u32 s23, 2
	s_cbranch_scc1 .LBB75_108
; %bb.103:
	v_mov_b32_e32 v15, 0
	v_mov_b32_e32 v6, 0
	;; [unrolled: 1-line block ×3, first 2 shown]
	s_and_b32 s5, s6, 28
	s_add_u32 s0, s16, 0xc4
	s_addc_u32 s1, s17, 0
	s_mov_b32 s7, 0
	s_mov_b64 s[2:3], s[16:17]
.LBB75_104:                             ; =>This Inner Loop Header: Depth=1
	s_clause 0x1
	s_load_dwordx8 s[8:15], s[2:3], 0x4
	s_load_dwordx4 s[36:39], s[2:3], 0x24
	s_load_dwordx8 s[24:31], s[0:1], 0x0
	s_add_u32 s2, s2, 48
	s_addc_u32 s3, s3, 0
	s_add_i32 s7, s7, 4
	s_add_u32 s0, s0, 32
	s_addc_u32 s1, s1, 0
	s_cmp_lg_u32 s5, s7
	s_waitcnt lgkmcnt(0)
	v_mul_hi_u32 v16, s9, v7
	v_add_nc_u32_e32 v16, v7, v16
	v_lshrrev_b32_e32 v16, s10, v16
	v_mul_hi_u32 v19, s12, v16
	v_mul_lo_u32 v21, v16, s8
	v_add_nc_u32_e32 v19, v16, v19
	v_sub_nc_u32_e32 v7, v7, v21
	v_lshrrev_b32_e32 v19, s13, v19
	v_mul_lo_u32 v21, v7, s24
	v_mul_lo_u32 v23, v7, s25
	v_mul_hi_u32 v20, s15, v19
	v_add_nc_u32_e32 v20, v19, v20
	v_lshrrev_b32_e32 v20, s36, v20
	v_mul_hi_u32 v22, s38, v20
	v_mul_lo_u32 v24, v20, s14
	v_add_nc_u32_e32 v7, v20, v22
	v_mul_lo_u32 v22, v19, s11
	v_sub_nc_u32_e32 v19, v19, v24
	v_lshrrev_b32_e32 v7, s39, v7
	v_mul_lo_u32 v24, v19, s28
	v_mul_lo_u32 v19, v19, s29
	v_sub_nc_u32_e32 v16, v16, v22
	v_mul_lo_u32 v25, v7, s37
	v_mul_lo_u32 v22, v16, s26
	;; [unrolled: 1-line block ×3, first 2 shown]
	v_sub_nc_u32_e32 v20, v20, v25
	v_add3_u32 v6, v21, v6, v22
	v_mul_lo_u32 v25, v20, s30
	v_mul_lo_u32 v20, v20, s31
	v_add3_u32 v15, v23, v15, v16
	v_add3_u32 v6, v24, v6, v25
	;; [unrolled: 1-line block ×3, first 2 shown]
	s_cbranch_scc1 .LBB75_104
; %bb.105:
	s_and_b32 s6, s6, 3
	s_cmp_eq_u32 s6, 0
	s_cbranch_scc0 .LBB75_109
	s_branch .LBB75_111
.LBB75_106:
	s_mov_b32 s4, -1
                                        ; implicit-def: $vgpr6
                                        ; implicit-def: $vgpr15
	s_branch .LBB75_111
.LBB75_107:
	v_mov_b32_e32 v6, 0
	v_mov_b32_e32 v15, 0
	s_branch .LBB75_111
.LBB75_108:
	v_mov_b32_e32 v6, 0
	v_mov_b32_e32 v15, 0
	;; [unrolled: 1-line block ×3, first 2 shown]
	s_mov_b32 s5, 0
	s_and_b32 s6, s6, 3
	s_cmp_eq_u32 s6, 0
	s_cbranch_scc1 .LBB75_111
.LBB75_109:
	s_lshl_b32 s0, s5, 3
	s_mul_i32 s2, s5, 12
	s_add_u32 s0, s16, s0
	s_addc_u32 s1, s17, 0
	s_add_u32 s0, s0, 0xc4
	s_addc_u32 s1, s1, 0
	;; [unrolled: 2-line block ×3, first 2 shown]
	.p2align	6
.LBB75_110:                             ; =>This Inner Loop Header: Depth=1
	s_clause 0x1
	s_load_dwordx2 s[8:9], s[2:3], 0x4
	s_load_dword s5, s[2:3], 0xc
	s_load_dwordx2 s[10:11], s[0:1], 0x0
	s_add_u32 s2, s2, 12
	s_addc_u32 s3, s3, 0
	s_add_u32 s0, s0, 8
	s_addc_u32 s1, s1, 0
	s_add_i32 s6, s6, -1
	s_cmp_lg_u32 s6, 0
	s_waitcnt lgkmcnt(0)
	v_mul_hi_u32 v16, s9, v7
	v_add_nc_u32_e32 v16, v7, v16
	v_lshrrev_b32_e32 v19, s5, v16
	v_mul_lo_u32 v16, v19, s8
	v_sub_nc_u32_e32 v16, v7, v16
	v_mad_u64_u32 v[6:7], null, v16, s10, v[6:7]
	v_mad_u64_u32 v[15:16], null, v16, s11, v[15:16]
	v_mov_b32_e32 v7, v19
	s_cbranch_scc1 .LBB75_110
.LBB75_111:
	s_andn2_b32 vcc_lo, exec_lo, s4
	s_cbranch_vccnz .LBB75_114
; %bb.112:
	s_clause 0x1
	s_load_dwordx4 s[0:3], s[16:17], 0x4
	s_load_dwordx2 s[4:5], s[16:17], 0xc4
	s_cmp_lt_u32 s22, 2
	s_waitcnt lgkmcnt(0)
	v_mul_hi_u32 v6, s1, v17
	v_add_nc_u32_e32 v6, v17, v6
	v_lshrrev_b32_e32 v7, s2, v6
	v_mul_lo_u32 v6, v7, s0
	v_sub_nc_u32_e32 v15, v17, v6
	v_mul_lo_u32 v6, v15, s4
	v_mul_lo_u32 v15, v15, s5
	s_cbranch_scc1 .LBB75_114
; %bb.113:
	s_clause 0x1
	s_load_dwordx4 s[0:3], s[16:17], 0x10
	s_load_dwordx2 s[4:5], s[16:17], 0xcc
	s_waitcnt lgkmcnt(0)
	v_mul_hi_u32 v16, s1, v7
	v_add_nc_u32_e32 v16, v7, v16
	v_lshrrev_b32_e32 v16, s2, v16
	v_mul_lo_u32 v16, v16, s0
	v_sub_nc_u32_e32 v16, v7, v16
	v_mad_u64_u32 v[6:7], null, v16, s4, v[6:7]
	v_mad_u64_u32 v[15:16], null, v16, s5, v[15:16]
.LBB75_114:
	v_cmp_ne_u32_e32 vcc_lo, 1, v8
	s_cbranch_vccnz .LBB75_120
; %bb.115:
	s_cmp_lg_u32 s22, 0
	s_mov_b32 s4, 0
	s_cbranch_scc0 .LBB75_121
; %bb.116:
	s_min_u32 s6, s23, 15
	s_add_i32 s6, s6, 1
	s_cmp_eq_u32 s23, 2
	s_cbranch_scc1 .LBB75_122
; %bb.117:
	v_mov_b32_e32 v16, 0
	v_mov_b32_e32 v7, 0
	;; [unrolled: 1-line block ×3, first 2 shown]
	s_and_b32 s5, s6, 28
	s_add_u32 s0, s16, 0xc4
	s_addc_u32 s1, s17, 0
	s_mov_b32 s7, 0
	s_mov_b64 s[2:3], s[16:17]
.LBB75_118:                             ; =>This Inner Loop Header: Depth=1
	s_clause 0x1
	s_load_dwordx8 s[8:15], s[2:3], 0x4
	s_load_dwordx4 s[36:39], s[2:3], 0x24
	s_load_dwordx8 s[24:31], s[0:1], 0x0
	s_add_u32 s2, s2, 48
	s_addc_u32 s3, s3, 0
	s_add_i32 s7, s7, 4
	s_add_u32 s0, s0, 32
	s_addc_u32 s1, s1, 0
	s_cmp_lg_u32 s5, s7
	s_waitcnt lgkmcnt(0)
	v_mul_hi_u32 v17, s9, v8
	v_add_nc_u32_e32 v17, v8, v17
	v_lshrrev_b32_e32 v17, s10, v17
	v_mul_hi_u32 v19, s12, v17
	v_mul_lo_u32 v21, v17, s8
	v_add_nc_u32_e32 v19, v17, v19
	v_sub_nc_u32_e32 v8, v8, v21
	v_lshrrev_b32_e32 v19, s13, v19
	v_mul_lo_u32 v21, v8, s24
	v_mul_lo_u32 v23, v8, s25
	v_mul_hi_u32 v20, s15, v19
	v_add_nc_u32_e32 v20, v19, v20
	v_lshrrev_b32_e32 v20, s36, v20
	v_mul_hi_u32 v22, s38, v20
	v_mul_lo_u32 v24, v20, s14
	v_add_nc_u32_e32 v8, v20, v22
	v_mul_lo_u32 v22, v19, s11
	v_sub_nc_u32_e32 v19, v19, v24
	v_lshrrev_b32_e32 v8, s39, v8
	v_mul_lo_u32 v24, v19, s28
	v_mul_lo_u32 v19, v19, s29
	v_sub_nc_u32_e32 v17, v17, v22
	v_mul_lo_u32 v25, v8, s37
	v_mul_lo_u32 v22, v17, s26
	;; [unrolled: 1-line block ×3, first 2 shown]
	v_sub_nc_u32_e32 v20, v20, v25
	v_add3_u32 v7, v21, v7, v22
	v_mul_lo_u32 v25, v20, s30
	v_mul_lo_u32 v20, v20, s31
	v_add3_u32 v16, v23, v16, v17
	v_add3_u32 v7, v24, v7, v25
	;; [unrolled: 1-line block ×3, first 2 shown]
	s_cbranch_scc1 .LBB75_118
; %bb.119:
	s_and_b32 s6, s6, 3
	s_cmp_eq_u32 s6, 0
	s_cbranch_scc0 .LBB75_123
	s_branch .LBB75_125
.LBB75_120:
	s_mov_b32 s4, -1
                                        ; implicit-def: $vgpr7
                                        ; implicit-def: $vgpr16
	s_branch .LBB75_125
.LBB75_121:
	v_mov_b32_e32 v7, 0
	v_mov_b32_e32 v16, 0
	s_branch .LBB75_125
.LBB75_122:
	v_mov_b32_e32 v7, 0
	v_mov_b32_e32 v16, 0
	;; [unrolled: 1-line block ×3, first 2 shown]
	s_mov_b32 s5, 0
	s_and_b32 s6, s6, 3
	s_cmp_eq_u32 s6, 0
	s_cbranch_scc1 .LBB75_125
.LBB75_123:
	s_lshl_b32 s0, s5, 3
	s_mul_i32 s2, s5, 12
	s_add_u32 s0, s16, s0
	s_addc_u32 s1, s17, 0
	s_add_u32 s0, s0, 0xc4
	s_addc_u32 s1, s1, 0
	;; [unrolled: 2-line block ×3, first 2 shown]
	.p2align	6
.LBB75_124:                             ; =>This Inner Loop Header: Depth=1
	s_clause 0x1
	s_load_dwordx2 s[8:9], s[2:3], 0x4
	s_load_dword s5, s[2:3], 0xc
	s_load_dwordx2 s[10:11], s[0:1], 0x0
	s_add_u32 s2, s2, 12
	s_addc_u32 s3, s3, 0
	s_add_u32 s0, s0, 8
	s_addc_u32 s1, s1, 0
	s_add_i32 s6, s6, -1
	s_cmp_lg_u32 s6, 0
	s_waitcnt lgkmcnt(0)
	v_mul_hi_u32 v17, s9, v8
	v_add_nc_u32_e32 v17, v8, v17
	v_lshrrev_b32_e32 v19, s5, v17
	v_mul_lo_u32 v17, v19, s8
	v_sub_nc_u32_e32 v17, v8, v17
	v_mad_u64_u32 v[7:8], null, v17, s10, v[7:8]
	v_mad_u64_u32 v[16:17], null, v17, s11, v[16:17]
	v_mov_b32_e32 v8, v19
	s_cbranch_scc1 .LBB75_124
.LBB75_125:
	s_andn2_b32 vcc_lo, exec_lo, s4
	s_cbranch_vccnz .LBB75_128
; %bb.126:
	s_clause 0x1
	s_load_dwordx4 s[0:3], s[16:17], 0x4
	s_load_dwordx2 s[4:5], s[16:17], 0xc4
	s_cmp_lt_u32 s22, 2
	s_waitcnt lgkmcnt(0)
	v_mul_hi_u32 v7, s1, v18
	v_add_nc_u32_e32 v7, v18, v7
	v_lshrrev_b32_e32 v8, s2, v7
	v_mul_lo_u32 v7, v8, s0
	v_sub_nc_u32_e32 v16, v18, v7
	v_mul_lo_u32 v7, v16, s4
	v_mul_lo_u32 v16, v16, s5
	s_cbranch_scc1 .LBB75_128
; %bb.127:
	s_clause 0x1
	s_load_dwordx4 s[0:3], s[16:17], 0x10
	s_load_dwordx2 s[4:5], s[16:17], 0xcc
	s_waitcnt lgkmcnt(0)
	v_mul_hi_u32 v17, s1, v8
	v_add_nc_u32_e32 v17, v8, v17
	v_lshrrev_b32_e32 v17, s2, v17
	v_mul_lo_u32 v17, v17, s0
	v_sub_nc_u32_e32 v17, v8, v17
	v_mad_u64_u32 v[7:8], null, v17, s4, v[7:8]
	v_mad_u64_u32 v[16:17], null, v17, s5, v[16:17]
.LBB75_128:
	s_load_dwordx4 s[8:11], s[16:17], 0x148
	s_mov_b32 s2, exec_lo
	s_waitcnt lgkmcnt(0)
	global_load_ushort v8, v9, s[10:11]
	v_mov_b32_e32 v9, 0
	s_waitcnt vmcnt(0)
	v_lshlrev_b32_e32 v18, 16, v8
	v_mov_b32_e32 v8, 1.0
	v_cmpx_gt_f32_e32 0.5, v18
	s_cbranch_execz .LBB75_134
; %bb.129:
	v_mul_f32_e32 v8, 0x40490fdb, v18
                                        ; implicit-def: $vgpr19
                                        ; implicit-def: $vgpr17
	s_mov_b32 s1, exec_lo
	v_and_b32_e32 v9, 0x7fffffff, v8
	v_cmpx_ngt_f32_e64 0x48000000, |v8|
	s_xor_b32 s3, exec_lo, s1
	s_cbranch_execz .LBB75_131
; %bb.130:
	s_mov_b32 s0, 0x7fffff
	v_mov_b32_e32 v21, 0
	v_and_or_b32 v17, v9, s0, 0x800000
	v_lshrrev_b32_e32 v26, 23, v9
	v_mad_u64_u32 v[19:20], null, 0xfe5163ab, v17, 0
	v_add_nc_u32_e32 v27, 0xffffff88, v26
	v_cmp_lt_u32_e32 vcc_lo, 63, v27
	v_mad_u64_u32 v[22:23], null, 0x3c439041, v17, v[20:21]
	v_cndmask_b32_e64 v28, 0, 0xffffffc0, vcc_lo
	v_mov_b32_e32 v20, v23
	v_add_nc_u32_e32 v28, v28, v27
	v_mad_u64_u32 v[23:24], null, 0xdb629599, v17, v[20:21]
	v_cmp_lt_u32_e64 s0, 31, v28
	v_cndmask_b32_e64 v29, 0, 0xffffffe0, s0
	v_mov_b32_e32 v20, v24
	v_cndmask_b32_e32 v19, v23, v19, vcc_lo
	v_mad_u64_u32 v[24:25], null, 0xf534ddc0, v17, v[20:21]
	v_mov_b32_e32 v20, v25
	v_cndmask_b32_e32 v22, v24, v22, vcc_lo
	v_mad_u64_u32 v[25:26], null, 0xfc2757d1, v17, v[20:21]
	v_cndmask_b32_e64 v19, v22, v19, s0
	v_mov_b32_e32 v20, v26
	v_mad_u64_u32 v[26:27], null, 0x4e441529, v17, v[20:21]
	v_mov_b32_e32 v20, v27
	v_add_nc_u32_e32 v27, v29, v28
	v_cndmask_b32_e32 v28, v26, v24, vcc_lo
	v_mad_u64_u32 v[20:21], null, 0xa2f9836e, v17, v[20:21]
	v_cmp_lt_u32_e64 s1, 31, v27
	v_cndmask_b32_e64 v17, 0, 0xffffffe0, s1
	v_cndmask_b32_e32 v20, v20, v25, vcc_lo
	v_cndmask_b32_e32 v21, v21, v26, vcc_lo
	;; [unrolled: 1-line block ×3, first 2 shown]
	v_add_nc_u32_e32 v17, v17, v27
	v_cndmask_b32_e64 v24, v20, v28, s0
	v_cndmask_b32_e64 v20, v21, v20, s0
	;; [unrolled: 1-line block ×4, first 2 shown]
	v_sub_nc_u32_e32 v26, 32, v17
	v_cmp_eq_u32_e32 vcc_lo, 0, v17
	v_cndmask_b32_e64 v20, v20, v24, s1
	v_cndmask_b32_e64 v24, v24, v21, s1
	;; [unrolled: 1-line block ×4, first 2 shown]
	v_alignbit_b32 v27, v20, v24, v26
	v_alignbit_b32 v23, v24, v21, v26
	;; [unrolled: 1-line block ×3, first 2 shown]
	v_cndmask_b32_e32 v17, v27, v20, vcc_lo
	v_cndmask_b32_e32 v20, v23, v24, vcc_lo
	v_cndmask_b32_e32 v21, v25, v21, vcc_lo
	v_bfe_u32 v22, v17, 29, 1
	v_alignbit_b32 v23, v17, v20, 30
	v_alignbit_b32 v20, v20, v21, 30
	;; [unrolled: 1-line block ×3, first 2 shown]
	v_sub_nc_u32_e32 v24, 0, v22
	v_xor_b32_e32 v23, v23, v24
	v_xor_b32_e32 v20, v20, v24
	;; [unrolled: 1-line block ×3, first 2 shown]
	v_lshrrev_b32_e32 v24, 29, v17
	v_ffbh_u32_e32 v25, v23
	v_min_u32_e32 v25, 32, v25
	v_sub_nc_u32_e32 v21, 31, v25
	v_lshlrev_b32_e32 v26, 23, v25
	v_alignbit_b32 v23, v23, v20, v21
	v_alignbit_b32 v19, v20, v19, v21
	v_lshlrev_b32_e32 v20, 31, v24
	v_alignbit_b32 v21, v23, v19, 9
	v_or_b32_e32 v24, 0.5, v20
	v_lshrrev_b32_e32 v23, 9, v23
	v_or_b32_e32 v20, 0x33000000, v20
	v_ffbh_u32_e32 v27, v21
	v_sub_nc_u32_e32 v24, v24, v26
	v_min_u32_e32 v26, 32, v27
	v_or_b32_e32 v23, v23, v24
	v_not_b32_e32 v24, v26
	v_mul_f32_e32 v27, 0x3fc90fda, v23
	v_add_lshl_u32 v25, v26, v25, 23
	v_alignbit_b32 v19, v21, v19, v24
	v_fma_f32 v21, 0x3fc90fda, v23, -v27
	v_sub_nc_u32_e32 v20, v20, v25
	v_lshrrev_b32_e32 v19, 9, v19
	v_fmamk_f32 v21, v23, 0x33a22168, v21
	v_or_b32_e32 v19, v20, v19
	v_fmac_f32_e32 v21, 0x3fc90fda, v19
	v_lshrrev_b32_e32 v19, 30, v17
	v_add_f32_e32 v17, v27, v21
	v_add_nc_u32_e32 v19, v22, v19
.LBB75_131:
	s_andn2_saveexec_b32 s0, s3
; %bb.132:
	v_mul_f32_e64 v17, 0x3f22f983, |v8|
	v_rndne_f32_e32 v19, v17
	v_fma_f32 v17, 0xbfc90fda, v19, |v8|
	v_fmamk_f32 v17, v19, 0xb3a22168, v17
	v_fmamk_f32 v17, v19, 0xa7c234c4, v17
	v_cvt_i32_f32_e32 v19, v19
; %bb.133:
	s_or_b32 exec_lo, exec_lo, s0
	v_mul_f32_e32 v20, v17, v17
	s_mov_b32 s0, 0xb94c1982
	s_mov_b32 s1, 0x37d75334
	v_and_b32_e32 v23, 1, v19
	v_lshlrev_b32_e32 v19, 30, v19
	v_fmaak_f32 v21, s0, v20, 0x3c0881c4
	v_fmaak_f32 v22, s1, v20, 0xbab64f3b
	v_xor_b32_e32 v9, v9, v8
	v_cmp_eq_u32_e32 vcc_lo, 0, v23
	v_and_b32_e32 v19, 0x80000000, v19
	v_fmaak_f32 v21, v20, v21, 0xbe2aaa9d
	v_fmaak_f32 v22, v20, v22, 0x3d2aabf7
	v_sub_f32_e32 v18, 1.0, v18
	v_mul_f32_e32 v21, v20, v21
	v_fmaak_f32 v22, v20, v22, 0xbf000004
	v_fmac_f32_e32 v17, v17, v21
	v_fma_f32 v20, v20, v22, 1.0
	v_cndmask_b32_e32 v17, v20, v17, vcc_lo
	v_cmp_class_f32_e64 vcc_lo, v8, 0x1f8
	v_xor3_b32 v9, v9, v19, v17
	v_cndmask_b32_e32 v8, 0x7fc00000, v9, vcc_lo
	v_mul_f32_e32 v8, v8, v8
	v_div_scale_f32 v9, null, v8, v8, 0xc11de9e7
	v_div_scale_f32 v20, vcc_lo, 0xc11de9e7, v8, 0xc11de9e7
	v_rcp_f32_e32 v17, v9
	v_fma_f32 v19, -v9, v17, 1.0
	v_fmac_f32_e32 v17, v19, v17
	v_mul_f32_e32 v19, v20, v17
	v_fma_f32 v21, -v9, v19, v20
	v_fmac_f32_e32 v19, v21, v17
	v_fma_f32 v9, -v9, v19, v20
	v_div_fmas_f32 v9, v9, v17, v19
	v_div_fixup_f32 v8, v9, v8, 0xc11de9e7
	v_add_f32_e32 v9, 0, v8
	v_mov_b32_e32 v8, -1.0
.LBB75_134:
	s_or_b32 exec_lo, exec_lo, s2
	global_load_ushort v10, v10, s[10:11]
	v_mov_b32_e32 v17, 0
	s_mov_b32 s2, exec_lo
	s_waitcnt vmcnt(0)
	v_lshlrev_b32_e32 v21, 16, v10
	v_mov_b32_e32 v10, 1.0
	v_cmpx_gt_f32_e32 0.5, v21
	s_cbranch_execz .LBB75_140
; %bb.135:
	v_mul_f32_e32 v10, 0x40490fdb, v21
                                        ; implicit-def: $vgpr20
                                        ; implicit-def: $vgpr19
	s_mov_b32 s1, exec_lo
	v_and_b32_e32 v17, 0x7fffffff, v10
	v_cmpx_ngt_f32_e64 0x48000000, |v10|
	s_xor_b32 s3, exec_lo, s1
	s_cbranch_execz .LBB75_137
; %bb.136:
	s_mov_b32 s0, 0x7fffff
	v_mov_b32_e32 v23, 0
	v_and_or_b32 v30, v17, s0, 0x800000
	v_mad_u64_u32 v[19:20], null, 0xfe5163ab, v30, 0
	v_mov_b32_e32 v22, v20
	v_lshrrev_b32_e32 v20, 23, v17
	v_mad_u64_u32 v[24:25], null, 0x3c439041, v30, v[22:23]
	v_add_nc_u32_e32 v20, 0xffffff88, v20
	v_cmp_lt_u32_e32 vcc_lo, 63, v20
	v_mov_b32_e32 v22, v25
	v_cndmask_b32_e64 v29, 0, 0xffffffc0, vcc_lo
	v_mad_u64_u32 v[25:26], null, 0xdb629599, v30, v[22:23]
	v_add_nc_u32_e32 v20, v29, v20
	v_mov_b32_e32 v22, v26
	v_cmp_lt_u32_e64 s0, 31, v20
	v_cndmask_b32_e32 v19, v25, v19, vcc_lo
	v_mad_u64_u32 v[26:27], null, 0xf534ddc0, v30, v[22:23]
	v_cndmask_b32_e64 v31, 0, 0xffffffe0, s0
	v_add_nc_u32_e32 v20, v31, v20
	v_mov_b32_e32 v22, v27
	v_cndmask_b32_e32 v24, v26, v24, vcc_lo
	v_cmp_lt_u32_e64 s1, 31, v20
	v_mad_u64_u32 v[27:28], null, 0xfc2757d1, v30, v[22:23]
	v_cndmask_b32_e64 v19, v24, v19, s0
	v_mov_b32_e32 v22, v28
	v_mad_u64_u32 v[28:29], null, 0x4e441529, v30, v[22:23]
	v_mov_b32_e32 v22, v29
	v_cndmask_b32_e64 v29, 0, 0xffffffe0, s1
	v_mad_u64_u32 v[22:23], null, 0xa2f9836e, v30, v[22:23]
	v_cndmask_b32_e32 v30, v28, v26, vcc_lo
	v_add_nc_u32_e32 v20, v29, v20
	v_cndmask_b32_e32 v22, v22, v27, vcc_lo
	v_cndmask_b32_e32 v23, v23, v28, vcc_lo
	;; [unrolled: 1-line block ×3, first 2 shown]
	v_sub_nc_u32_e32 v28, 32, v20
	v_cmp_eq_u32_e32 vcc_lo, 0, v20
	v_cndmask_b32_e64 v26, v22, v30, s0
	v_cndmask_b32_e64 v22, v23, v22, s0
	v_cndmask_b32_e64 v23, v30, v27, s0
	v_cndmask_b32_e64 v27, v27, v24, s0
	v_cndmask_b32_e64 v22, v22, v26, s1
	v_cndmask_b32_e64 v26, v26, v23, s1
	v_cndmask_b32_e64 v23, v23, v27, s1
	v_cndmask_b32_e64 v19, v27, v19, s1
	v_alignbit_b32 v29, v22, v26, v28
	v_alignbit_b32 v25, v26, v23, v28
	;; [unrolled: 1-line block ×3, first 2 shown]
	v_cndmask_b32_e32 v20, v29, v22, vcc_lo
	v_cndmask_b32_e32 v22, v25, v26, vcc_lo
	;; [unrolled: 1-line block ×3, first 2 shown]
	v_bfe_u32 v24, v20, 29, 1
	v_alignbit_b32 v25, v20, v22, 30
	v_alignbit_b32 v22, v22, v23, 30
	;; [unrolled: 1-line block ×3, first 2 shown]
	v_sub_nc_u32_e32 v26, 0, v24
	v_xor_b32_e32 v25, v25, v26
	v_xor_b32_e32 v22, v22, v26
	;; [unrolled: 1-line block ×3, first 2 shown]
	v_lshrrev_b32_e32 v26, 29, v20
	v_lshrrev_b32_e32 v20, 30, v20
	v_ffbh_u32_e32 v27, v25
	v_add_nc_u32_e32 v20, v24, v20
	v_min_u32_e32 v27, 32, v27
	v_sub_nc_u32_e32 v23, 31, v27
	v_lshlrev_b32_e32 v28, 23, v27
	v_alignbit_b32 v25, v25, v22, v23
	v_alignbit_b32 v19, v22, v19, v23
	v_lshlrev_b32_e32 v22, 31, v26
	v_alignbit_b32 v23, v25, v19, 9
	v_or_b32_e32 v26, 0.5, v22
	v_lshrrev_b32_e32 v25, 9, v25
	v_or_b32_e32 v22, 0x33000000, v22
	v_ffbh_u32_e32 v29, v23
	v_sub_nc_u32_e32 v26, v26, v28
	v_min_u32_e32 v28, 32, v29
	v_or_b32_e32 v25, v25, v26
	v_not_b32_e32 v26, v28
	v_mul_f32_e32 v29, 0x3fc90fda, v25
	v_add_lshl_u32 v27, v28, v27, 23
	v_alignbit_b32 v19, v23, v19, v26
	v_fma_f32 v23, 0x3fc90fda, v25, -v29
	v_sub_nc_u32_e32 v22, v22, v27
	v_lshrrev_b32_e32 v19, 9, v19
	v_fmamk_f32 v23, v25, 0x33a22168, v23
	v_or_b32_e32 v19, v22, v19
	v_fmac_f32_e32 v23, 0x3fc90fda, v19
	v_add_f32_e32 v19, v29, v23
.LBB75_137:
	s_andn2_saveexec_b32 s0, s3
; %bb.138:
	v_mul_f32_e64 v19, 0x3f22f983, |v10|
	v_rndne_f32_e32 v20, v19
	v_fma_f32 v19, 0xbfc90fda, v20, |v10|
	v_fmamk_f32 v19, v20, 0xb3a22168, v19
	v_fmamk_f32 v19, v20, 0xa7c234c4, v19
	v_cvt_i32_f32_e32 v20, v20
; %bb.139:
	s_or_b32 exec_lo, exec_lo, s0
	v_mul_f32_e32 v22, v19, v19
	s_mov_b32 s0, 0xb94c1982
	s_mov_b32 s1, 0x37d75334
	v_and_b32_e32 v25, 1, v20
	v_lshlrev_b32_e32 v20, 30, v20
	v_fmaak_f32 v23, s0, v22, 0x3c0881c4
	v_fmaak_f32 v24, s1, v22, 0xbab64f3b
	v_xor_b32_e32 v17, v17, v10
	v_cmp_eq_u32_e32 vcc_lo, 0, v25
	v_and_b32_e32 v20, 0x80000000, v20
	v_fmaak_f32 v23, v22, v23, 0xbe2aaa9d
	v_fmaak_f32 v24, v22, v24, 0x3d2aabf7
	v_sub_f32_e32 v21, 1.0, v21
	v_mul_f32_e32 v23, v22, v23
	v_fmaak_f32 v24, v22, v24, 0xbf000004
	v_fmac_f32_e32 v19, v19, v23
	v_fma_f32 v22, v22, v24, 1.0
	v_cndmask_b32_e32 v19, v22, v19, vcc_lo
	v_cmp_class_f32_e64 vcc_lo, v10, 0x1f8
	v_xor3_b32 v17, v17, v20, v19
	v_cndmask_b32_e32 v10, 0x7fc00000, v17, vcc_lo
	v_mul_f32_e32 v10, v10, v10
	v_div_scale_f32 v17, null, v10, v10, 0xc11de9e7
	v_div_scale_f32 v22, vcc_lo, 0xc11de9e7, v10, 0xc11de9e7
	v_rcp_f32_e32 v19, v17
	v_fma_f32 v20, -v17, v19, 1.0
	v_fmac_f32_e32 v19, v20, v19
	v_mul_f32_e32 v20, v22, v19
	v_fma_f32 v23, -v17, v20, v22
	v_fmac_f32_e32 v20, v23, v19
	v_fma_f32 v17, -v17, v20, v22
	v_div_fmas_f32 v17, v17, v19, v20
	v_div_fixup_f32 v10, v17, v10, 0xc11de9e7
	v_add_f32_e32 v17, 0, v10
	v_mov_b32_e32 v10, -1.0
.LBB75_140:
	s_or_b32 exec_lo, exec_lo, s2
	global_load_ushort v11, v11, s[10:11]
	v_mov_b32_e32 v19, 0
	s_mov_b32 s2, exec_lo
	s_waitcnt vmcnt(0)
	v_lshlrev_b32_e32 v23, 16, v11
	v_mov_b32_e32 v11, 1.0
	v_cmpx_gt_f32_e32 0.5, v23
	s_cbranch_execz .LBB75_146
; %bb.141:
	v_mul_f32_e32 v11, 0x40490fdb, v23
                                        ; implicit-def: $vgpr22
                                        ; implicit-def: $vgpr20
	s_mov_b32 s1, exec_lo
	v_and_b32_e32 v19, 0x7fffffff, v11
	v_cmpx_ngt_f32_e64 0x48000000, |v11|
	s_xor_b32 s3, exec_lo, s1
	s_cbranch_execz .LBB75_143
; %bb.142:
	s_mov_b32 s0, 0x7fffff
	v_mov_b32_e32 v26, 0
	v_and_or_b32 v20, v19, s0, 0x800000
	v_lshrrev_b32_e32 v22, 23, v19
	v_mad_u64_u32 v[24:25], null, 0xfe5163ab, v20, 0
	v_add_nc_u32_e32 v22, 0xffffff88, v22
	v_cmp_lt_u32_e32 vcc_lo, 63, v22
	v_mad_u64_u32 v[27:28], null, 0x3c439041, v20, v[25:26]
	v_cndmask_b32_e64 v32, 0, 0xffffffc0, vcc_lo
	v_mov_b32_e32 v25, v28
	v_add_nc_u32_e32 v22, v32, v22
	v_mad_u64_u32 v[28:29], null, 0xdb629599, v20, v[25:26]
	v_cmp_lt_u32_e64 s0, 31, v22
	v_cndmask_b32_e64 v33, 0, 0xffffffe0, s0
	v_mov_b32_e32 v25, v29
	v_cndmask_b32_e32 v24, v28, v24, vcc_lo
	v_add_nc_u32_e32 v22, v33, v22
	v_mad_u64_u32 v[29:30], null, 0xf534ddc0, v20, v[25:26]
	v_cmp_lt_u32_e64 s1, 31, v22
	v_mov_b32_e32 v25, v30
	v_mad_u64_u32 v[30:31], null, 0xfc2757d1, v20, v[25:26]
	v_mov_b32_e32 v25, v31
	v_mad_u64_u32 v[31:32], null, 0x4e441529, v20, v[25:26]
	v_mov_b32_e32 v25, v32
	v_cndmask_b32_e32 v32, v31, v29, vcc_lo
	v_mad_u64_u32 v[25:26], null, 0xa2f9836e, v20, v[25:26]
	v_cndmask_b32_e64 v20, 0, 0xffffffe0, s1
	v_add_nc_u32_e32 v20, v20, v22
	v_cndmask_b32_e32 v25, v25, v30, vcc_lo
	v_cndmask_b32_e32 v26, v26, v31, vcc_lo
	;; [unrolled: 1-line block ×4, first 2 shown]
	v_sub_nc_u32_e32 v29, 32, v20
	v_cndmask_b32_e64 v27, v25, v32, s0
	v_cndmask_b32_e64 v25, v26, v25, s0
	;; [unrolled: 1-line block ×4, first 2 shown]
	v_cmp_eq_u32_e32 vcc_lo, 0, v20
	v_cndmask_b32_e64 v22, v22, v24, s0
	v_cndmask_b32_e64 v25, v25, v27, s1
	;; [unrolled: 1-line block ×5, first 2 shown]
	v_alignbit_b32 v31, v25, v27, v29
	v_alignbit_b32 v28, v27, v26, v29
	;; [unrolled: 1-line block ×3, first 2 shown]
	v_cndmask_b32_e32 v20, v31, v25, vcc_lo
	v_cndmask_b32_e32 v24, v28, v27, vcc_lo
	;; [unrolled: 1-line block ×3, first 2 shown]
	v_bfe_u32 v25, v20, 29, 1
	v_alignbit_b32 v27, v20, v24, 30
	v_alignbit_b32 v24, v24, v26, 30
	;; [unrolled: 1-line block ×3, first 2 shown]
	v_sub_nc_u32_e32 v28, 0, v25
	v_xor_b32_e32 v27, v27, v28
	v_xor_b32_e32 v24, v24, v28
	;; [unrolled: 1-line block ×3, first 2 shown]
	v_lshrrev_b32_e32 v28, 29, v20
	v_ffbh_u32_e32 v29, v27
	v_min_u32_e32 v29, 32, v29
	v_sub_nc_u32_e32 v26, 31, v29
	v_lshlrev_b32_e32 v30, 23, v29
	v_alignbit_b32 v27, v27, v24, v26
	v_alignbit_b32 v22, v24, v22, v26
	v_lshlrev_b32_e32 v24, 31, v28
	v_alignbit_b32 v26, v27, v22, 9
	v_or_b32_e32 v28, 0.5, v24
	v_lshrrev_b32_e32 v27, 9, v27
	v_or_b32_e32 v24, 0x33000000, v24
	v_ffbh_u32_e32 v31, v26
	v_sub_nc_u32_e32 v28, v28, v30
	v_min_u32_e32 v30, 32, v31
	v_or_b32_e32 v27, v27, v28
	v_not_b32_e32 v28, v30
	v_mul_f32_e32 v31, 0x3fc90fda, v27
	v_add_lshl_u32 v29, v30, v29, 23
	v_alignbit_b32 v22, v26, v22, v28
	v_fma_f32 v26, 0x3fc90fda, v27, -v31
	v_sub_nc_u32_e32 v24, v24, v29
	v_lshrrev_b32_e32 v22, 9, v22
	v_fmamk_f32 v26, v27, 0x33a22168, v26
	v_or_b32_e32 v22, v24, v22
	v_fmac_f32_e32 v26, 0x3fc90fda, v22
	v_lshrrev_b32_e32 v22, 30, v20
	v_add_f32_e32 v20, v31, v26
	v_add_nc_u32_e32 v22, v25, v22
.LBB75_143:
	s_andn2_saveexec_b32 s0, s3
; %bb.144:
	v_mul_f32_e64 v20, 0x3f22f983, |v11|
	v_rndne_f32_e32 v22, v20
	v_fma_f32 v20, 0xbfc90fda, v22, |v11|
	v_fmamk_f32 v20, v22, 0xb3a22168, v20
	v_fmamk_f32 v20, v22, 0xa7c234c4, v20
	v_cvt_i32_f32_e32 v22, v22
; %bb.145:
	s_or_b32 exec_lo, exec_lo, s0
	v_mul_f32_e32 v24, v20, v20
	s_mov_b32 s0, 0xb94c1982
	s_mov_b32 s1, 0x37d75334
	v_and_b32_e32 v27, 1, v22
	v_lshlrev_b32_e32 v22, 30, v22
	v_fmaak_f32 v25, s0, v24, 0x3c0881c4
	v_fmaak_f32 v26, s1, v24, 0xbab64f3b
	v_xor_b32_e32 v19, v19, v11
	v_cmp_eq_u32_e32 vcc_lo, 0, v27
	v_and_b32_e32 v22, 0x80000000, v22
	v_fmaak_f32 v25, v24, v25, 0xbe2aaa9d
	v_fmaak_f32 v26, v24, v26, 0x3d2aabf7
	v_sub_f32_e32 v23, 1.0, v23
	v_mul_f32_e32 v25, v24, v25
	v_fmaak_f32 v26, v24, v26, 0xbf000004
	v_fmac_f32_e32 v20, v20, v25
	v_fma_f32 v24, v24, v26, 1.0
	v_cndmask_b32_e32 v20, v24, v20, vcc_lo
	v_cmp_class_f32_e64 vcc_lo, v11, 0x1f8
	v_xor3_b32 v19, v19, v22, v20
	v_cndmask_b32_e32 v11, 0x7fc00000, v19, vcc_lo
	v_mul_f32_e32 v11, v11, v11
	v_div_scale_f32 v19, null, v11, v11, 0xc11de9e7
	v_div_scale_f32 v24, vcc_lo, 0xc11de9e7, v11, 0xc11de9e7
	v_rcp_f32_e32 v20, v19
	v_fma_f32 v22, -v19, v20, 1.0
	v_fmac_f32_e32 v20, v22, v20
	v_mul_f32_e32 v22, v24, v20
	v_fma_f32 v25, -v19, v22, v24
	v_fmac_f32_e32 v22, v25, v20
	v_fma_f32 v19, -v19, v22, v24
	v_div_fmas_f32 v19, v19, v20, v22
	v_div_fixup_f32 v11, v19, v11, 0xc11de9e7
	v_add_f32_e32 v19, 0, v11
	v_mov_b32_e32 v11, -1.0
.LBB75_146:
	s_or_b32 exec_lo, exec_lo, s2
	global_load_ushort v12, v12, s[10:11]
	v_mov_b32_e32 v20, 0
	s_mov_b32 s2, exec_lo
	s_waitcnt vmcnt(0)
	v_lshlrev_b32_e32 v27, 16, v12
	v_mov_b32_e32 v12, 1.0
	v_cmpx_gt_f32_e32 0.5, v27
	s_cbranch_execz .LBB75_152
; %bb.147:
	v_mul_f32_e32 v12, 0x40490fdb, v27
                                        ; implicit-def: $vgpr24
                                        ; implicit-def: $vgpr22
	s_mov_b32 s1, exec_lo
	v_and_b32_e32 v20, 0x7fffffff, v12
	v_cmpx_ngt_f32_e64 0x48000000, |v12|
	s_xor_b32 s3, exec_lo, s1
	s_cbranch_execz .LBB75_149
; %bb.148:
	s_mov_b32 s0, 0x7fffff
	v_mov_b32_e32 v26, 0
	v_and_or_b32 v22, v20, s0, 0x800000
	v_lshrrev_b32_e32 v32, 23, v20
	v_mad_u64_u32 v[24:25], null, 0xfe5163ab, v22, 0
	v_add_nc_u32_e32 v33, 0xffffff88, v32
	v_cmp_lt_u32_e32 vcc_lo, 63, v33
	v_mad_u64_u32 v[28:29], null, 0x3c439041, v22, v[25:26]
	v_cndmask_b32_e64 v34, 0, 0xffffffc0, vcc_lo
	v_mov_b32_e32 v25, v29
	v_add_nc_u32_e32 v34, v34, v33
	v_mad_u64_u32 v[29:30], null, 0xdb629599, v22, v[25:26]
	v_cmp_lt_u32_e64 s0, 31, v34
	v_cndmask_b32_e64 v35, 0, 0xffffffe0, s0
	v_mov_b32_e32 v25, v30
	v_cndmask_b32_e32 v24, v29, v24, vcc_lo
	v_mad_u64_u32 v[30:31], null, 0xf534ddc0, v22, v[25:26]
	v_mov_b32_e32 v25, v31
	v_cndmask_b32_e32 v28, v30, v28, vcc_lo
	v_mad_u64_u32 v[31:32], null, 0xfc2757d1, v22, v[25:26]
	v_cndmask_b32_e64 v24, v28, v24, s0
	v_mov_b32_e32 v25, v32
	v_mad_u64_u32 v[32:33], null, 0x4e441529, v22, v[25:26]
	v_mov_b32_e32 v25, v33
	v_add_nc_u32_e32 v33, v35, v34
	v_cndmask_b32_e32 v34, v32, v30, vcc_lo
	v_mad_u64_u32 v[25:26], null, 0xa2f9836e, v22, v[25:26]
	v_cmp_lt_u32_e64 s1, 31, v33
	v_cndmask_b32_e64 v22, 0, 0xffffffe0, s1
	v_cndmask_b32_e32 v25, v25, v31, vcc_lo
	v_cndmask_b32_e32 v26, v26, v32, vcc_lo
	;; [unrolled: 1-line block ×3, first 2 shown]
	v_add_nc_u32_e32 v22, v22, v33
	v_cndmask_b32_e64 v30, v25, v34, s0
	v_cndmask_b32_e64 v25, v26, v25, s0
	;; [unrolled: 1-line block ×4, first 2 shown]
	v_sub_nc_u32_e32 v32, 32, v22
	v_cmp_eq_u32_e32 vcc_lo, 0, v22
	v_cndmask_b32_e64 v25, v25, v30, s1
	v_cndmask_b32_e64 v30, v30, v26, s1
	;; [unrolled: 1-line block ×4, first 2 shown]
	v_alignbit_b32 v33, v25, v30, v32
	v_alignbit_b32 v29, v30, v26, v32
	v_alignbit_b32 v31, v26, v24, v32
	v_cndmask_b32_e32 v22, v33, v25, vcc_lo
	v_cndmask_b32_e32 v25, v29, v30, vcc_lo
	;; [unrolled: 1-line block ×3, first 2 shown]
	v_bfe_u32 v28, v22, 29, 1
	v_alignbit_b32 v29, v22, v25, 30
	v_alignbit_b32 v25, v25, v26, 30
	;; [unrolled: 1-line block ×3, first 2 shown]
	v_sub_nc_u32_e32 v30, 0, v28
	v_xor_b32_e32 v29, v29, v30
	v_xor_b32_e32 v25, v25, v30
	;; [unrolled: 1-line block ×3, first 2 shown]
	v_lshrrev_b32_e32 v30, 29, v22
	v_ffbh_u32_e32 v31, v29
	v_min_u32_e32 v31, 32, v31
	v_sub_nc_u32_e32 v26, 31, v31
	v_lshlrev_b32_e32 v32, 23, v31
	v_alignbit_b32 v29, v29, v25, v26
	v_alignbit_b32 v24, v25, v24, v26
	v_lshlrev_b32_e32 v25, 31, v30
	v_alignbit_b32 v26, v29, v24, 9
	v_or_b32_e32 v30, 0.5, v25
	v_lshrrev_b32_e32 v29, 9, v29
	v_or_b32_e32 v25, 0x33000000, v25
	v_ffbh_u32_e32 v33, v26
	v_sub_nc_u32_e32 v30, v30, v32
	v_min_u32_e32 v32, 32, v33
	v_or_b32_e32 v29, v29, v30
	v_not_b32_e32 v30, v32
	v_mul_f32_e32 v33, 0x3fc90fda, v29
	v_add_lshl_u32 v31, v32, v31, 23
	v_alignbit_b32 v24, v26, v24, v30
	v_fma_f32 v26, 0x3fc90fda, v29, -v33
	v_sub_nc_u32_e32 v25, v25, v31
	v_lshrrev_b32_e32 v24, 9, v24
	v_fmamk_f32 v26, v29, 0x33a22168, v26
	v_or_b32_e32 v24, v25, v24
	v_fmac_f32_e32 v26, 0x3fc90fda, v24
	v_lshrrev_b32_e32 v24, 30, v22
	v_add_f32_e32 v22, v33, v26
	v_add_nc_u32_e32 v24, v28, v24
.LBB75_149:
	s_andn2_saveexec_b32 s0, s3
; %bb.150:
	v_mul_f32_e64 v22, 0x3f22f983, |v12|
	v_rndne_f32_e32 v24, v22
	v_fma_f32 v22, 0xbfc90fda, v24, |v12|
	v_fmamk_f32 v22, v24, 0xb3a22168, v22
	v_fmamk_f32 v22, v24, 0xa7c234c4, v22
	v_cvt_i32_f32_e32 v24, v24
; %bb.151:
	s_or_b32 exec_lo, exec_lo, s0
	v_mul_f32_e32 v25, v22, v22
	s_mov_b32 s0, 0xb94c1982
	s_mov_b32 s1, 0x37d75334
	v_and_b32_e32 v29, 1, v24
	v_lshlrev_b32_e32 v24, 30, v24
	v_fmaak_f32 v26, s0, v25, 0x3c0881c4
	v_fmaak_f32 v28, s1, v25, 0xbab64f3b
	v_xor_b32_e32 v20, v20, v12
	v_cmp_eq_u32_e32 vcc_lo, 0, v29
	v_and_b32_e32 v24, 0x80000000, v24
	v_fmaak_f32 v26, v25, v26, 0xbe2aaa9d
	v_fmaak_f32 v28, v25, v28, 0x3d2aabf7
	v_sub_f32_e32 v27, 1.0, v27
	v_mul_f32_e32 v26, v25, v26
	v_fmaak_f32 v28, v25, v28, 0xbf000004
	v_fmac_f32_e32 v22, v22, v26
	v_fma_f32 v25, v25, v28, 1.0
	v_cndmask_b32_e32 v22, v25, v22, vcc_lo
	v_cmp_class_f32_e64 vcc_lo, v12, 0x1f8
	v_xor3_b32 v20, v20, v24, v22
	v_cndmask_b32_e32 v12, 0x7fc00000, v20, vcc_lo
	v_mul_f32_e32 v12, v12, v12
	v_div_scale_f32 v20, null, v12, v12, 0xc11de9e7
	v_div_scale_f32 v25, vcc_lo, 0xc11de9e7, v12, 0xc11de9e7
	v_rcp_f32_e32 v22, v20
	v_fma_f32 v24, -v20, v22, 1.0
	v_fmac_f32_e32 v22, v24, v22
	v_mul_f32_e32 v24, v25, v22
	v_fma_f32 v26, -v20, v24, v25
	v_fmac_f32_e32 v24, v26, v22
	v_fma_f32 v20, -v20, v24, v25
	v_div_fmas_f32 v20, v20, v22, v24
	v_div_fixup_f32 v12, v20, v12, 0xc11de9e7
	v_add_f32_e32 v20, 0, v12
	v_mov_b32_e32 v12, -1.0
.LBB75_152:
	s_or_b32 exec_lo, exec_lo, s2
	global_load_ushort v13, v13, s[10:11]
	v_mov_b32_e32 v22, 0
	s_mov_b32 s2, exec_lo
	s_waitcnt vmcnt(0)
	v_lshlrev_b32_e32 v51, 16, v13
	v_mov_b32_e32 v13, 1.0
	v_cmpx_gt_f32_e32 0.5, v51
	s_cbranch_execz .LBB75_158
; %bb.153:
	v_mul_f32_e32 v13, 0x40490fdb, v51
                                        ; implicit-def: $vgpr25
                                        ; implicit-def: $vgpr24
	s_mov_b32 s1, exec_lo
	v_and_b32_e32 v22, 0x7fffffff, v13
	v_cmpx_ngt_f32_e64 0x48000000, |v13|
	s_xor_b32 s3, exec_lo, s1
	s_cbranch_execz .LBB75_155
; %bb.154:
	s_mov_b32 s0, 0x7fffff
	v_mov_b32_e32 v26, 0
	v_and_or_b32 v34, v22, s0, 0x800000
	v_lshrrev_b32_e32 v32, 23, v22
	v_mad_u64_u32 v[24:25], null, 0xfe5163ab, v34, 0
	v_add_nc_u32_e32 v33, 0xffffff88, v32
	v_cmp_lt_u32_e32 vcc_lo, 63, v33
	v_mad_u64_u32 v[28:29], null, 0x3c439041, v34, v[25:26]
	v_cndmask_b32_e64 v35, 0, 0xffffffc0, vcc_lo
	v_mov_b32_e32 v25, v29
	v_add_nc_u32_e32 v35, v35, v33
	v_mad_u64_u32 v[29:30], null, 0xdb629599, v34, v[25:26]
	v_cmp_lt_u32_e64 s0, 31, v35
	v_cndmask_b32_e64 v36, 0, 0xffffffe0, s0
	v_mov_b32_e32 v25, v30
	v_cndmask_b32_e32 v24, v29, v24, vcc_lo
	v_mad_u64_u32 v[30:31], null, 0xf534ddc0, v34, v[25:26]
	v_mov_b32_e32 v25, v31
	v_cndmask_b32_e32 v28, v30, v28, vcc_lo
	v_mad_u64_u32 v[31:32], null, 0xfc2757d1, v34, v[25:26]
	v_cndmask_b32_e64 v24, v28, v24, s0
	v_mov_b32_e32 v25, v32
	v_mad_u64_u32 v[32:33], null, 0x4e441529, v34, v[25:26]
	v_mov_b32_e32 v25, v33
	v_add_nc_u32_e32 v33, v36, v35
	v_cndmask_b32_e32 v35, v32, v30, vcc_lo
	v_mad_u64_u32 v[25:26], null, 0xa2f9836e, v34, v[25:26]
	v_cmp_lt_u32_e64 s1, 31, v33
	v_cndmask_b32_e64 v34, 0, 0xffffffe0, s1
	v_cndmask_b32_e32 v25, v25, v31, vcc_lo
	v_cndmask_b32_e32 v26, v26, v32, vcc_lo
	;; [unrolled: 1-line block ×3, first 2 shown]
	v_add_nc_u32_e32 v32, v34, v33
	v_cndmask_b32_e64 v30, v25, v35, s0
	v_cndmask_b32_e64 v25, v26, v25, s0
	;; [unrolled: 1-line block ×4, first 2 shown]
	v_sub_nc_u32_e32 v33, 32, v32
	v_cmp_eq_u32_e32 vcc_lo, 0, v32
	v_cndmask_b32_e64 v25, v25, v30, s1
	v_cndmask_b32_e64 v30, v30, v26, s1
	;; [unrolled: 1-line block ×4, first 2 shown]
	v_alignbit_b32 v34, v25, v30, v33
	v_alignbit_b32 v29, v30, v26, v33
	;; [unrolled: 1-line block ×3, first 2 shown]
	v_cndmask_b32_e32 v25, v34, v25, vcc_lo
	v_cndmask_b32_e32 v28, v29, v30, vcc_lo
	v_cndmask_b32_e32 v26, v32, v26, vcc_lo
	v_bfe_u32 v29, v25, 29, 1
	v_alignbit_b32 v30, v25, v28, 30
	v_alignbit_b32 v28, v28, v26, 30
	;; [unrolled: 1-line block ×3, first 2 shown]
	v_sub_nc_u32_e32 v31, 0, v29
	v_xor_b32_e32 v30, v30, v31
	v_xor_b32_e32 v26, v28, v31
	;; [unrolled: 1-line block ×3, first 2 shown]
	v_lshrrev_b32_e32 v31, 29, v25
	v_lshrrev_b32_e32 v25, 30, v25
	v_ffbh_u32_e32 v32, v30
	v_add_nc_u32_e32 v25, v29, v25
	v_min_u32_e32 v32, 32, v32
	v_sub_nc_u32_e32 v28, 31, v32
	v_lshlrev_b32_e32 v33, 23, v32
	v_alignbit_b32 v30, v30, v26, v28
	v_alignbit_b32 v24, v26, v24, v28
	v_lshlrev_b32_e32 v26, 31, v31
	v_alignbit_b32 v28, v30, v24, 9
	v_or_b32_e32 v31, 0.5, v26
	v_lshrrev_b32_e32 v30, 9, v30
	v_or_b32_e32 v26, 0x33000000, v26
	v_ffbh_u32_e32 v34, v28
	v_sub_nc_u32_e32 v31, v31, v33
	v_min_u32_e32 v33, 32, v34
	v_or_b32_e32 v30, v30, v31
	v_not_b32_e32 v31, v33
	v_mul_f32_e32 v34, 0x3fc90fda, v30
	v_add_lshl_u32 v32, v33, v32, 23
	v_alignbit_b32 v24, v28, v24, v31
	v_fma_f32 v28, 0x3fc90fda, v30, -v34
	v_sub_nc_u32_e32 v26, v26, v32
	v_lshrrev_b32_e32 v24, 9, v24
	v_fmamk_f32 v28, v30, 0x33a22168, v28
	v_or_b32_e32 v24, v26, v24
	v_fmac_f32_e32 v28, 0x3fc90fda, v24
	v_add_f32_e32 v24, v34, v28
.LBB75_155:
	s_andn2_saveexec_b32 s0, s3
; %bb.156:
	v_mul_f32_e64 v24, 0x3f22f983, |v13|
	v_rndne_f32_e32 v25, v24
	v_fma_f32 v24, 0xbfc90fda, v25, |v13|
	v_fmamk_f32 v24, v25, 0xb3a22168, v24
	v_fmamk_f32 v24, v25, 0xa7c234c4, v24
	v_cvt_i32_f32_e32 v25, v25
; %bb.157:
	s_or_b32 exec_lo, exec_lo, s0
	v_mul_f32_e32 v26, v24, v24
	s_mov_b32 s0, 0xb94c1982
	s_mov_b32 s1, 0x37d75334
	v_and_b32_e32 v30, 1, v25
	v_lshlrev_b32_e32 v25, 30, v25
	v_fmaak_f32 v28, s0, v26, 0x3c0881c4
	v_fmaak_f32 v29, s1, v26, 0xbab64f3b
	v_xor_b32_e32 v22, v22, v13
	v_cmp_eq_u32_e32 vcc_lo, 0, v30
	v_and_b32_e32 v25, 0x80000000, v25
	v_fmaak_f32 v28, v26, v28, 0xbe2aaa9d
	v_fmaak_f32 v29, v26, v29, 0x3d2aabf7
	v_sub_f32_e32 v51, 1.0, v51
	v_mul_f32_e32 v28, v26, v28
	v_fmaak_f32 v29, v26, v29, 0xbf000004
	v_fmac_f32_e32 v24, v24, v28
	v_fma_f32 v26, v26, v29, 1.0
	v_cndmask_b32_e32 v24, v26, v24, vcc_lo
	v_cmp_class_f32_e64 vcc_lo, v13, 0x1f8
	v_xor3_b32 v22, v22, v25, v24
	v_cndmask_b32_e32 v13, 0x7fc00000, v22, vcc_lo
	v_mul_f32_e32 v13, v13, v13
	v_div_scale_f32 v22, null, v13, v13, 0xc11de9e7
	v_div_scale_f32 v26, vcc_lo, 0xc11de9e7, v13, 0xc11de9e7
	v_rcp_f32_e32 v24, v22
	v_fma_f32 v25, -v22, v24, 1.0
	v_fmac_f32_e32 v24, v25, v24
	v_mul_f32_e32 v25, v26, v24
	v_fma_f32 v28, -v22, v25, v26
	v_fmac_f32_e32 v25, v28, v24
	v_fma_f32 v22, -v22, v25, v26
	v_div_fmas_f32 v22, v22, v24, v25
	v_div_fixup_f32 v13, v22, v13, 0xc11de9e7
	v_add_f32_e32 v22, 0, v13
	v_mov_b32_e32 v13, -1.0
.LBB75_158:
	s_or_b32 exec_lo, exec_lo, s2
	global_load_ushort v14, v14, s[10:11]
	v_mov_b32_e32 v24, 0
	s_mov_b32 s2, exec_lo
	s_waitcnt vmcnt(0)
	v_lshlrev_b32_e32 v42, 16, v14
	v_mov_b32_e32 v14, 1.0
	v_cmpx_gt_f32_e32 0.5, v42
	s_cbranch_execz .LBB75_164
; %bb.159:
	v_mul_f32_e32 v14, 0x40490fdb, v42
                                        ; implicit-def: $vgpr26
                                        ; implicit-def: $vgpr25
	s_mov_b32 s1, exec_lo
	v_and_b32_e32 v24, 0x7fffffff, v14
	v_cmpx_ngt_f32_e64 0x48000000, |v14|
	s_xor_b32 s3, exec_lo, s1
	s_cbranch_execz .LBB75_161
; %bb.160:
	s_mov_b32 s0, 0x7fffff
	v_mov_b32_e32 v29, 0
	v_and_or_b32 v36, v24, s0, 0x800000
	v_mad_u64_u32 v[25:26], null, 0xfe5163ab, v36, 0
	v_mov_b32_e32 v28, v26
	v_lshrrev_b32_e32 v26, 23, v24
	v_mad_u64_u32 v[30:31], null, 0x3c439041, v36, v[28:29]
	v_add_nc_u32_e32 v26, 0xffffff88, v26
	v_cmp_lt_u32_e32 vcc_lo, 63, v26
	v_mov_b32_e32 v28, v31
	v_cndmask_b32_e64 v35, 0, 0xffffffc0, vcc_lo
	v_mad_u64_u32 v[31:32], null, 0xdb629599, v36, v[28:29]
	v_add_nc_u32_e32 v26, v35, v26
	v_mov_b32_e32 v28, v32
	v_cmp_lt_u32_e64 s0, 31, v26
	v_cndmask_b32_e32 v25, v31, v25, vcc_lo
	v_mad_u64_u32 v[32:33], null, 0xf534ddc0, v36, v[28:29]
	v_cndmask_b32_e64 v37, 0, 0xffffffe0, s0
	v_add_nc_u32_e32 v26, v37, v26
	v_mov_b32_e32 v28, v33
	v_cndmask_b32_e32 v30, v32, v30, vcc_lo
	v_cmp_lt_u32_e64 s1, 31, v26
	v_mad_u64_u32 v[33:34], null, 0xfc2757d1, v36, v[28:29]
	v_cndmask_b32_e64 v25, v30, v25, s0
	v_mov_b32_e32 v28, v34
	v_mad_u64_u32 v[34:35], null, 0x4e441529, v36, v[28:29]
	v_mov_b32_e32 v28, v35
	v_cndmask_b32_e64 v35, 0, 0xffffffe0, s1
	v_mad_u64_u32 v[28:29], null, 0xa2f9836e, v36, v[28:29]
	v_cndmask_b32_e32 v36, v34, v32, vcc_lo
	v_add_nc_u32_e32 v26, v35, v26
	v_cndmask_b32_e32 v28, v28, v33, vcc_lo
	v_cndmask_b32_e32 v29, v29, v34, vcc_lo
	;; [unrolled: 1-line block ×3, first 2 shown]
	v_sub_nc_u32_e32 v34, 32, v26
	v_cmp_eq_u32_e32 vcc_lo, 0, v26
	v_cndmask_b32_e64 v32, v28, v36, s0
	v_cndmask_b32_e64 v28, v29, v28, s0
	;; [unrolled: 1-line block ×8, first 2 shown]
	v_alignbit_b32 v35, v28, v32, v34
	v_alignbit_b32 v31, v32, v29, v34
	;; [unrolled: 1-line block ×3, first 2 shown]
	v_cndmask_b32_e32 v26, v35, v28, vcc_lo
	v_cndmask_b32_e32 v28, v31, v32, vcc_lo
	;; [unrolled: 1-line block ×3, first 2 shown]
	v_bfe_u32 v30, v26, 29, 1
	v_alignbit_b32 v31, v26, v28, 30
	v_alignbit_b32 v28, v28, v29, 30
	;; [unrolled: 1-line block ×3, first 2 shown]
	v_sub_nc_u32_e32 v32, 0, v30
	v_xor_b32_e32 v31, v31, v32
	v_xor_b32_e32 v28, v28, v32
	;; [unrolled: 1-line block ×3, first 2 shown]
	v_lshrrev_b32_e32 v32, 29, v26
	v_lshrrev_b32_e32 v26, 30, v26
	v_ffbh_u32_e32 v33, v31
	v_add_nc_u32_e32 v26, v30, v26
	v_min_u32_e32 v33, 32, v33
	v_sub_nc_u32_e32 v29, 31, v33
	v_lshlrev_b32_e32 v34, 23, v33
	v_alignbit_b32 v31, v31, v28, v29
	v_alignbit_b32 v25, v28, v25, v29
	v_lshlrev_b32_e32 v28, 31, v32
	v_alignbit_b32 v29, v31, v25, 9
	v_or_b32_e32 v32, 0.5, v28
	v_lshrrev_b32_e32 v31, 9, v31
	v_or_b32_e32 v28, 0x33000000, v28
	v_ffbh_u32_e32 v35, v29
	v_sub_nc_u32_e32 v32, v32, v34
	v_min_u32_e32 v34, 32, v35
	v_or_b32_e32 v31, v31, v32
	v_not_b32_e32 v32, v34
	v_mul_f32_e32 v35, 0x3fc90fda, v31
	v_add_lshl_u32 v33, v34, v33, 23
	v_alignbit_b32 v25, v29, v25, v32
	v_fma_f32 v29, 0x3fc90fda, v31, -v35
	v_sub_nc_u32_e32 v28, v28, v33
	v_lshrrev_b32_e32 v25, 9, v25
	v_fmamk_f32 v29, v31, 0x33a22168, v29
	v_or_b32_e32 v25, v28, v25
	v_fmac_f32_e32 v29, 0x3fc90fda, v25
	v_add_f32_e32 v25, v35, v29
.LBB75_161:
	s_andn2_saveexec_b32 s0, s3
; %bb.162:
	v_mul_f32_e64 v25, 0x3f22f983, |v14|
	v_rndne_f32_e32 v26, v25
	v_fma_f32 v25, 0xbfc90fda, v26, |v14|
	v_fmamk_f32 v25, v26, 0xb3a22168, v25
	v_fmamk_f32 v25, v26, 0xa7c234c4, v25
	v_cvt_i32_f32_e32 v26, v26
; %bb.163:
	s_or_b32 exec_lo, exec_lo, s0
	v_mul_f32_e32 v28, v25, v25
	s_mov_b32 s0, 0xb94c1982
	s_mov_b32 s1, 0x37d75334
	v_and_b32_e32 v31, 1, v26
	v_lshlrev_b32_e32 v26, 30, v26
	v_fmaak_f32 v29, s0, v28, 0x3c0881c4
	v_fmaak_f32 v30, s1, v28, 0xbab64f3b
	v_xor_b32_e32 v24, v24, v14
	v_cmp_eq_u32_e32 vcc_lo, 0, v31
	v_and_b32_e32 v26, 0x80000000, v26
	v_fmaak_f32 v29, v28, v29, 0xbe2aaa9d
	v_fmaak_f32 v30, v28, v30, 0x3d2aabf7
	v_sub_f32_e32 v42, 1.0, v42
	v_mul_f32_e32 v29, v28, v29
	v_fmaak_f32 v30, v28, v30, 0xbf000004
	v_fmac_f32_e32 v25, v25, v29
	v_fma_f32 v28, v28, v30, 1.0
	v_cndmask_b32_e32 v25, v28, v25, vcc_lo
	v_cmp_class_f32_e64 vcc_lo, v14, 0x1f8
	v_xor3_b32 v24, v24, v26, v25
	v_cndmask_b32_e32 v14, 0x7fc00000, v24, vcc_lo
	v_mul_f32_e32 v14, v14, v14
	v_div_scale_f32 v24, null, v14, v14, 0xc11de9e7
	v_div_scale_f32 v28, vcc_lo, 0xc11de9e7, v14, 0xc11de9e7
	v_rcp_f32_e32 v25, v24
	v_fma_f32 v26, -v24, v25, 1.0
	v_fmac_f32_e32 v25, v26, v25
	v_mul_f32_e32 v26, v28, v25
	v_fma_f32 v29, -v24, v26, v28
	v_fmac_f32_e32 v26, v29, v25
	v_fma_f32 v24, -v24, v26, v28
	v_div_fmas_f32 v24, v24, v25, v26
	v_div_fixup_f32 v14, v24, v14, 0xc11de9e7
	v_add_f32_e32 v24, 0, v14
	v_mov_b32_e32 v14, -1.0
.LBB75_164:
	s_or_b32 exec_lo, exec_lo, s2
	global_load_ushort v15, v15, s[10:11]
	v_mov_b32_e32 v25, 0
	s_mov_b32 s2, exec_lo
	s_waitcnt vmcnt(0)
	v_lshlrev_b32_e32 v30, 16, v15
	v_mov_b32_e32 v15, 1.0
	v_cmpx_gt_f32_e32 0.5, v30
	s_cbranch_execz .LBB75_170
; %bb.165:
	v_mul_f32_e32 v15, 0x40490fdb, v30
                                        ; implicit-def: $vgpr28
                                        ; implicit-def: $vgpr26
	s_mov_b32 s1, exec_lo
	v_and_b32_e32 v25, 0x7fffffff, v15
	v_cmpx_ngt_f32_e64 0x48000000, |v15|
	s_xor_b32 s3, exec_lo, s1
	s_cbranch_execz .LBB75_167
; %bb.166:
	s_mov_b32 s0, 0x7fffff
	v_mov_b32_e32 v32, 0
	v_and_or_b32 v26, v25, s0, 0x800000
	v_mad_u64_u32 v[28:29], null, 0xfe5163ab, v26, 0
	v_mov_b32_e32 v31, v29
	v_lshrrev_b32_e32 v29, 23, v25
	v_mad_u64_u32 v[33:34], null, 0x3c439041, v26, v[31:32]
	v_add_nc_u32_e32 v29, 0xffffff88, v29
	v_cmp_lt_u32_e32 vcc_lo, 63, v29
	v_mov_b32_e32 v31, v34
	v_cndmask_b32_e64 v38, 0, 0xffffffc0, vcc_lo
	v_mad_u64_u32 v[34:35], null, 0xdb629599, v26, v[31:32]
	v_add_nc_u32_e32 v29, v38, v29
	v_mov_b32_e32 v31, v35
	v_cmp_lt_u32_e64 s0, 31, v29
	v_cndmask_b32_e32 v28, v34, v28, vcc_lo
	v_mad_u64_u32 v[35:36], null, 0xf534ddc0, v26, v[31:32]
	v_cndmask_b32_e64 v39, 0, 0xffffffe0, s0
	v_add_nc_u32_e32 v29, v39, v29
	v_mov_b32_e32 v31, v36
	v_cmp_lt_u32_e64 s1, 31, v29
	v_mad_u64_u32 v[36:37], null, 0xfc2757d1, v26, v[31:32]
	v_mov_b32_e32 v31, v37
	v_mad_u64_u32 v[37:38], null, 0x4e441529, v26, v[31:32]
	v_mov_b32_e32 v31, v38
	v_cndmask_b32_e32 v38, v37, v35, vcc_lo
	v_mad_u64_u32 v[31:32], null, 0xa2f9836e, v26, v[31:32]
	v_cndmask_b32_e64 v26, 0, 0xffffffe0, s1
	v_add_nc_u32_e32 v26, v26, v29
	v_cndmask_b32_e32 v31, v31, v36, vcc_lo
	v_cndmask_b32_e32 v32, v32, v37, vcc_lo
	;; [unrolled: 1-line block ×4, first 2 shown]
	v_sub_nc_u32_e32 v35, 32, v26
	v_cndmask_b32_e64 v33, v31, v38, s0
	v_cndmask_b32_e64 v31, v32, v31, s0
	;; [unrolled: 1-line block ×4, first 2 shown]
	v_cmp_eq_u32_e32 vcc_lo, 0, v26
	v_cndmask_b32_e64 v28, v29, v28, s0
	v_cndmask_b32_e64 v31, v31, v33, s1
	;; [unrolled: 1-line block ×5, first 2 shown]
	v_alignbit_b32 v37, v31, v33, v35
	v_alignbit_b32 v34, v33, v32, v35
	;; [unrolled: 1-line block ×3, first 2 shown]
	v_cndmask_b32_e32 v26, v37, v31, vcc_lo
	v_cndmask_b32_e32 v29, v34, v33, vcc_lo
	;; [unrolled: 1-line block ×3, first 2 shown]
	v_bfe_u32 v31, v26, 29, 1
	v_alignbit_b32 v33, v26, v29, 30
	v_alignbit_b32 v29, v29, v32, 30
	;; [unrolled: 1-line block ×3, first 2 shown]
	v_sub_nc_u32_e32 v34, 0, v31
	v_xor_b32_e32 v33, v33, v34
	v_xor_b32_e32 v29, v29, v34
	;; [unrolled: 1-line block ×3, first 2 shown]
	v_lshrrev_b32_e32 v34, 29, v26
	v_ffbh_u32_e32 v35, v33
	v_min_u32_e32 v35, 32, v35
	v_sub_nc_u32_e32 v32, 31, v35
	v_lshlrev_b32_e32 v36, 23, v35
	v_alignbit_b32 v33, v33, v29, v32
	v_alignbit_b32 v28, v29, v28, v32
	v_lshlrev_b32_e32 v29, 31, v34
	v_alignbit_b32 v32, v33, v28, 9
	v_or_b32_e32 v34, 0.5, v29
	v_lshrrev_b32_e32 v33, 9, v33
	v_or_b32_e32 v29, 0x33000000, v29
	v_ffbh_u32_e32 v37, v32
	v_sub_nc_u32_e32 v34, v34, v36
	v_min_u32_e32 v36, 32, v37
	v_or_b32_e32 v33, v33, v34
	v_not_b32_e32 v34, v36
	v_mul_f32_e32 v37, 0x3fc90fda, v33
	v_add_lshl_u32 v35, v36, v35, 23
	v_alignbit_b32 v28, v32, v28, v34
	v_fma_f32 v32, 0x3fc90fda, v33, -v37
	v_sub_nc_u32_e32 v29, v29, v35
	v_lshrrev_b32_e32 v28, 9, v28
	v_fmamk_f32 v32, v33, 0x33a22168, v32
	v_or_b32_e32 v28, v29, v28
	v_fmac_f32_e32 v32, 0x3fc90fda, v28
	v_lshrrev_b32_e32 v28, 30, v26
	v_add_f32_e32 v26, v37, v32
	v_add_nc_u32_e32 v28, v31, v28
.LBB75_167:
	s_andn2_saveexec_b32 s0, s3
; %bb.168:
	v_mul_f32_e64 v26, 0x3f22f983, |v15|
	v_rndne_f32_e32 v28, v26
	v_fma_f32 v26, 0xbfc90fda, v28, |v15|
	v_fmamk_f32 v26, v28, 0xb3a22168, v26
	v_fmamk_f32 v26, v28, 0xa7c234c4, v26
	v_cvt_i32_f32_e32 v28, v28
; %bb.169:
	s_or_b32 exec_lo, exec_lo, s0
	v_mul_f32_e32 v29, v26, v26
	s_mov_b32 s0, 0xb94c1982
	s_mov_b32 s1, 0x37d75334
	v_and_b32_e32 v33, 1, v28
	v_lshlrev_b32_e32 v28, 30, v28
	v_fmaak_f32 v31, s0, v29, 0x3c0881c4
	v_fmaak_f32 v32, s1, v29, 0xbab64f3b
	v_xor_b32_e32 v25, v25, v15
	v_cmp_eq_u32_e32 vcc_lo, 0, v33
	v_and_b32_e32 v28, 0x80000000, v28
	v_fmaak_f32 v31, v29, v31, 0xbe2aaa9d
	v_fmaak_f32 v32, v29, v32, 0x3d2aabf7
	v_sub_f32_e32 v30, 1.0, v30
	v_mul_f32_e32 v31, v29, v31
	v_fmaak_f32 v32, v29, v32, 0xbf000004
	v_fmac_f32_e32 v26, v26, v31
	v_fma_f32 v29, v29, v32, 1.0
	v_cndmask_b32_e32 v26, v29, v26, vcc_lo
	v_cmp_class_f32_e64 vcc_lo, v15, 0x1f8
	v_xor3_b32 v25, v25, v28, v26
	v_cndmask_b32_e32 v15, 0x7fc00000, v25, vcc_lo
	v_mul_f32_e32 v15, v15, v15
	v_div_scale_f32 v25, null, v15, v15, 0xc11de9e7
	v_div_scale_f32 v29, vcc_lo, 0xc11de9e7, v15, 0xc11de9e7
	v_rcp_f32_e32 v26, v25
	v_fma_f32 v28, -v25, v26, 1.0
	v_fmac_f32_e32 v26, v28, v26
	v_mul_f32_e32 v28, v29, v26
	v_fma_f32 v31, -v25, v28, v29
	v_fmac_f32_e32 v28, v31, v26
	v_fma_f32 v25, -v25, v28, v29
	v_div_fmas_f32 v25, v25, v26, v28
	v_div_fixup_f32 v15, v25, v15, 0xc11de9e7
	v_add_f32_e32 v25, 0, v15
	v_mov_b32_e32 v15, -1.0
.LBB75_170:
	s_or_b32 exec_lo, exec_lo, s2
	global_load_ushort v16, v16, s[10:11]
	v_mov_b32_e32 v26, 0
	s_mov_b32 s2, exec_lo
	s_waitcnt vmcnt(0)
	v_lshlrev_b32_e32 v28, 16, v16
	v_mov_b32_e32 v16, 1.0
	v_cmpx_gt_f32_e32 0.5, v28
	s_cbranch_execz .LBB75_176
; %bb.171:
	v_mul_f32_e32 v16, 0x40490fdb, v28
                                        ; implicit-def: $vgpr31
                                        ; implicit-def: $vgpr29
	s_mov_b32 s1, exec_lo
	v_and_b32_e32 v26, 0x7fffffff, v16
	v_cmpx_ngt_f32_e64 0x48000000, |v16|
	s_xor_b32 s3, exec_lo, s1
	s_cbranch_execz .LBB75_173
; %bb.172:
	s_mov_b32 s0, 0x7fffff
	v_mov_b32_e32 v33, 0
	v_and_or_b32 v29, v26, s0, 0x800000
	v_lshrrev_b32_e32 v38, 23, v26
	v_mad_u64_u32 v[31:32], null, 0xfe5163ab, v29, 0
	v_add_nc_u32_e32 v39, 0xffffff88, v38
	v_cmp_lt_u32_e32 vcc_lo, 63, v39
	v_mad_u64_u32 v[34:35], null, 0x3c439041, v29, v[32:33]
	v_cndmask_b32_e64 v40, 0, 0xffffffc0, vcc_lo
	v_mov_b32_e32 v32, v35
	v_add_nc_u32_e32 v40, v40, v39
	v_mad_u64_u32 v[35:36], null, 0xdb629599, v29, v[32:33]
	v_cmp_lt_u32_e64 s0, 31, v40
	v_cndmask_b32_e64 v41, 0, 0xffffffe0, s0
	v_mov_b32_e32 v32, v36
	v_cndmask_b32_e32 v31, v35, v31, vcc_lo
	v_mad_u64_u32 v[36:37], null, 0xf534ddc0, v29, v[32:33]
	v_mov_b32_e32 v32, v37
	v_cndmask_b32_e32 v34, v36, v34, vcc_lo
	v_mad_u64_u32 v[37:38], null, 0xfc2757d1, v29, v[32:33]
	v_cndmask_b32_e64 v31, v34, v31, s0
	v_mov_b32_e32 v32, v38
	v_mad_u64_u32 v[38:39], null, 0x4e441529, v29, v[32:33]
	v_mov_b32_e32 v32, v39
	v_add_nc_u32_e32 v39, v41, v40
	v_cndmask_b32_e32 v40, v38, v36, vcc_lo
	v_mad_u64_u32 v[32:33], null, 0xa2f9836e, v29, v[32:33]
	v_cmp_lt_u32_e64 s1, 31, v39
	v_cndmask_b32_e64 v29, 0, 0xffffffe0, s1
	v_cndmask_b32_e32 v32, v32, v37, vcc_lo
	v_cndmask_b32_e32 v33, v33, v38, vcc_lo
	;; [unrolled: 1-line block ×3, first 2 shown]
	v_add_nc_u32_e32 v29, v29, v39
	v_cndmask_b32_e64 v36, v32, v40, s0
	v_cndmask_b32_e64 v32, v33, v32, s0
	;; [unrolled: 1-line block ×4, first 2 shown]
	v_sub_nc_u32_e32 v38, 32, v29
	v_cmp_eq_u32_e32 vcc_lo, 0, v29
	v_cndmask_b32_e64 v32, v32, v36, s1
	v_cndmask_b32_e64 v36, v36, v33, s1
	;; [unrolled: 1-line block ×4, first 2 shown]
	v_alignbit_b32 v39, v32, v36, v38
	v_alignbit_b32 v35, v36, v33, v38
	;; [unrolled: 1-line block ×3, first 2 shown]
	v_cndmask_b32_e32 v29, v39, v32, vcc_lo
	v_cndmask_b32_e32 v32, v35, v36, vcc_lo
	;; [unrolled: 1-line block ×3, first 2 shown]
	v_bfe_u32 v34, v29, 29, 1
	v_alignbit_b32 v35, v29, v32, 30
	v_alignbit_b32 v32, v32, v33, 30
	;; [unrolled: 1-line block ×3, first 2 shown]
	v_sub_nc_u32_e32 v36, 0, v34
	v_xor_b32_e32 v35, v35, v36
	v_xor_b32_e32 v32, v32, v36
	;; [unrolled: 1-line block ×3, first 2 shown]
	v_lshrrev_b32_e32 v36, 29, v29
	v_ffbh_u32_e32 v37, v35
	v_min_u32_e32 v37, 32, v37
	v_sub_nc_u32_e32 v33, 31, v37
	v_lshlrev_b32_e32 v38, 23, v37
	v_alignbit_b32 v35, v35, v32, v33
	v_alignbit_b32 v31, v32, v31, v33
	v_lshlrev_b32_e32 v32, 31, v36
	v_alignbit_b32 v33, v35, v31, 9
	v_or_b32_e32 v36, 0.5, v32
	v_lshrrev_b32_e32 v35, 9, v35
	v_or_b32_e32 v32, 0x33000000, v32
	v_ffbh_u32_e32 v39, v33
	v_sub_nc_u32_e32 v36, v36, v38
	v_min_u32_e32 v38, 32, v39
	v_or_b32_e32 v35, v35, v36
	v_not_b32_e32 v36, v38
	v_mul_f32_e32 v39, 0x3fc90fda, v35
	v_add_lshl_u32 v37, v38, v37, 23
	v_alignbit_b32 v31, v33, v31, v36
	v_fma_f32 v33, 0x3fc90fda, v35, -v39
	v_sub_nc_u32_e32 v32, v32, v37
	v_lshrrev_b32_e32 v31, 9, v31
	v_fmamk_f32 v33, v35, 0x33a22168, v33
	v_or_b32_e32 v31, v32, v31
	v_fmac_f32_e32 v33, 0x3fc90fda, v31
	v_lshrrev_b32_e32 v31, 30, v29
	v_add_f32_e32 v29, v39, v33
	v_add_nc_u32_e32 v31, v34, v31
.LBB75_173:
	s_andn2_saveexec_b32 s0, s3
; %bb.174:
	v_mul_f32_e64 v29, 0x3f22f983, |v16|
	v_rndne_f32_e32 v31, v29
	v_fma_f32 v29, 0xbfc90fda, v31, |v16|
	v_fmamk_f32 v29, v31, 0xb3a22168, v29
	v_fmamk_f32 v29, v31, 0xa7c234c4, v29
	v_cvt_i32_f32_e32 v31, v31
; %bb.175:
	s_or_b32 exec_lo, exec_lo, s0
	v_mul_f32_e32 v32, v29, v29
	s_mov_b32 s0, 0xb94c1982
	s_mov_b32 s1, 0x37d75334
	v_and_b32_e32 v35, 1, v31
	v_lshlrev_b32_e32 v31, 30, v31
	v_fmaak_f32 v33, s0, v32, 0x3c0881c4
	v_fmaak_f32 v34, s1, v32, 0xbab64f3b
	v_xor_b32_e32 v26, v26, v16
	v_cmp_eq_u32_e32 vcc_lo, 0, v35
	v_and_b32_e32 v31, 0x80000000, v31
	v_fmaak_f32 v33, v32, v33, 0xbe2aaa9d
	v_fmaak_f32 v34, v32, v34, 0x3d2aabf7
	v_sub_f32_e32 v28, 1.0, v28
	v_mul_f32_e32 v33, v32, v33
	v_fmaak_f32 v34, v32, v34, 0xbf000004
	v_fmac_f32_e32 v29, v29, v33
	v_fma_f32 v32, v32, v34, 1.0
	v_cndmask_b32_e32 v29, v32, v29, vcc_lo
	v_cmp_class_f32_e64 vcc_lo, v16, 0x1f8
	v_xor3_b32 v26, v26, v31, v29
	v_cndmask_b32_e32 v16, 0x7fc00000, v26, vcc_lo
	v_mul_f32_e32 v16, v16, v16
	v_div_scale_f32 v26, null, v16, v16, 0xc11de9e7
	v_div_scale_f32 v32, vcc_lo, 0xc11de9e7, v16, 0xc11de9e7
	v_rcp_f32_e32 v29, v26
	v_fma_f32 v31, -v26, v29, 1.0
	v_fmac_f32_e32 v29, v31, v29
	v_mul_f32_e32 v31, v32, v29
	v_fma_f32 v33, -v26, v31, v32
	v_fmac_f32_e32 v31, v33, v29
	v_fma_f32 v26, -v26, v31, v32
	v_div_fmas_f32 v26, v26, v29, v31
	v_div_fixup_f32 v16, v26, v16, 0xc11de9e7
	v_add_f32_e32 v26, 0, v16
	v_mov_b32_e32 v16, -1.0
.LBB75_176:
	s_or_b32 exec_lo, exec_lo, s2
	v_mul_f32_e32 v29, v30, v30
	v_add_f32_e32 v31, 1.0, v30
	s_mov_b32 s5, 0xbcc30c31
	v_div_scale_f32 v34, null, v29, v29, 1.0
	v_mul_f32_e32 v30, v31, v31
	v_add_f32_e32 v32, 1.0, v31
	v_div_scale_f32 v37, vcc_lo, 1.0, v29, 1.0
	v_rcp_f32_e32 v35, v34
	v_div_scale_f32 v36, null, v30, v30, 1.0
	v_mul_f32_e32 v31, v32, v32
	v_add_f32_e32 v33, 1.0, v32
	v_div_scale_f32 v41, s0, 1.0, v30, 1.0
	v_rcp_f32_e32 v38, v36
	v_div_scale_f32 v39, null, v31, v31, 1.0
	v_fma_f32 v40, -v34, v35, 1.0
	v_mul_f32_e32 v32, v33, v33
	v_add_f32_e32 v47, 1.0, v33
	v_rcp_f32_e32 v43, v39
	v_div_scale_f32 v45, s1, 1.0, v31, 1.0
	v_fmac_f32_e32 v35, v40, v35
	v_fma_f32 v40, -v36, v38, 1.0
	v_div_scale_f32 v46, null, v32, v32, 1.0
	v_mul_f32_e32 v33, v47, v47
	v_mul_f32_e32 v44, v37, v35
	v_fmac_f32_e32 v38, v40, v38
	v_fma_f32 v40, -v39, v43, 1.0
	v_rcp_f32_e32 v48, v46
	v_add_f32_e32 v47, 1.0, v47
	v_fma_f32 v49, -v34, v44, v37
	v_mul_f32_e32 v50, v41, v38
	v_fmac_f32_e32 v43, v40, v43
	v_div_scale_f32 v52, null, v33, v33, 1.0
	v_fmac_f32_e32 v44, v49, v35
	v_fma_f32 v40, -v36, v50, v41
	v_mul_f32_e32 v49, v45, v43
	v_fma_f32 v53, -v46, v48, 1.0
	v_fma_f32 v34, -v34, v44, v37
	v_fmac_f32_e32 v50, v40, v38
	v_fma_f32 v37, -v39, v49, v45
	v_fmac_f32_e32 v48, v53, v48
	v_rcp_f32_e32 v53, v52
	v_div_fmas_f32 v35, v34, v35, v44
	v_add_f32_e32 v44, 1.0, v47
	v_mul_f32_e32 v34, v47, v47
	v_fma_f32 v36, -v36, v50, v41
	s_mov_b32 vcc_lo, s0
	v_div_scale_f32 v40, s2, 1.0, v32, 1.0
	v_mul_f32_e32 v54, v44, v44
	v_div_scale_f32 v47, null, v34, v34, 1.0
	v_fmac_f32_e32 v49, v37, v43
	v_div_fmas_f32 v36, v36, v38, v50
	v_div_scale_f32 v50, null, v54, v54, 1.0
	v_add_f32_e32 v56, v44, v44
	v_rcp_f32_e32 v55, v47
	v_mul_f32_e32 v41, v40, v48
	v_rcp_f32_e32 v57, v50
	v_fma_f32 v39, -v39, v49, v45
	v_div_scale_f32 v45, null, v56, v56, 1.0
	v_fma_f32 v38, -v52, v53, 1.0
	v_fma_f32 v37, -v46, v41, v40
	v_div_scale_f32 v58, s0, 1.0, v33, 1.0
	v_rcp_f32_e32 v59, v45
	v_fmac_f32_e32 v53, v38, v53
	v_fma_f32 v38, -v47, v55, 1.0
	v_fmac_f32_e32 v41, v37, v48
	v_fma_f32 v37, -v50, v57, 1.0
	v_div_scale_f32 v61, s3, 1.0, v34, 1.0
	v_mul_f32_e32 v60, v58, v53
	v_fmac_f32_e32 v55, v38, v55
	v_fmac_f32_e32 v57, v37, v57
	v_div_scale_f32 v62, s4, 1.0, v54, 1.0
	v_fma_f32 v38, -v45, v59, 1.0
	s_mov_b32 vcc_lo, s1
	v_div_scale_f32 v63, s1, 1.0, v56, 1.0
	v_div_fmas_f32 v37, v39, v43, v49
	v_fma_f32 v39, -v52, v60, v58
	v_mul_f32_e32 v43, v61, v55
	v_mul_f32_e32 v49, v62, v57
	v_fmac_f32_e32 v59, v38, v59
	v_fma_f32 v38, -v46, v41, v40
	v_fmac_f32_e32 v60, v39, v53
	v_fma_f32 v39, -v47, v43, v61
	v_fma_f32 v40, -v50, v49, v62
	v_mul_f32_e32 v46, v63, v59
	s_mov_b32 vcc_lo, s2
	v_div_fixup_f32 v29, v35, v29, 1.0
	v_div_fmas_f32 v38, v38, v48, v41
	v_fma_f32 v41, -v52, v60, v58
	v_fmac_f32_e32 v43, v39, v55
	v_fmac_f32_e32 v49, v40, v57
	v_fma_f32 v40, -v45, v46, v63
	s_mov_b32 vcc_lo, s0
	v_add_f32_e32 v25, v25, v29
	v_div_fmas_f32 v39, v41, v53, v60
	v_fma_f32 v41, -v47, v43, v61
	v_fmac_f32_e32 v46, v40, v59
	v_fma_f32 v47, -v50, v49, v62
	s_mov_b32 vcc_lo, s3
	v_div_fixup_f32 v29, v36, v30, 1.0
	v_div_fmas_f32 v40, v41, v55, v43
	s_mov_b32 vcc_lo, s4
	v_fma_f32 v41, -v45, v46, v63
	v_div_fmas_f32 v43, v47, v57, v49
	s_mov_b32 vcc_lo, s1
	v_add_f32_e32 v25, v25, v29
	v_div_fixup_f32 v29, v37, v31, 1.0
	v_div_fmas_f32 v41, v41, v59, v46
	v_div_fixup_f32 v43, v43, v54, 1.0
	v_add_f32_e32 v25, v25, v29
	v_div_fixup_f32 v41, v41, v56, 1.0
	v_fmaak_f32 v45, s5, v43, 0x3d088889
	v_div_fixup_f32 v29, v38, v32, 1.0
	v_add_f32_e32 v53, 1.0, v41
	v_fma_f32 v41, -v43, v45, 0x3e2aaaab
	v_add_f32_e32 v25, v25, v29
	v_div_fixup_f32 v29, v39, v33, 1.0
	v_fmac_f32_e32 v53, v43, v41
	v_mul_f32_e32 v41, v42, v42
	v_add_f32_e32 v43, 1.0, v42
	v_add_f32_e32 v25, v25, v29
	v_div_fixup_f32 v29, v40, v34, 1.0
	v_div_scale_f32 v45, null, v44, v44, v53
	v_div_scale_f32 v47, null, v41, v41, 1.0
	v_mul_f32_e32 v42, v43, v43
	v_rcp_f32_e32 v46, v45
	v_add_f32_e32 v50, 1.0, v43
	v_rcp_f32_e32 v49, v47
	v_div_scale_f32 v52, vcc_lo, v53, v44, v53
	v_div_scale_f32 v57, s0, 1.0, v41, 1.0
	v_mul_f32_e32 v43, v50, v50
	v_add_f32_e32 v50, 1.0, v50
	v_add_f32_e32 v25, v25, v29
	v_fma_f32 v48, -v45, v46, 1.0
	v_fma_f32 v54, -v47, v49, 1.0
	v_fmac_f32_e32 v46, v48, v46
	v_div_scale_f32 v48, null, v42, v42, 1.0
	v_fmac_f32_e32 v49, v54, v49
	v_div_scale_f32 v54, null, v43, v43, 1.0
	v_rcp_f32_e32 v55, v48
	v_mul_f32_e32 v56, v52, v46
	v_mul_f32_e32 v62, v57, v49
	v_rcp_f32_e32 v60, v54
	v_fma_f32 v59, -v45, v56, v52
	v_fma_f32 v58, -v48, v55, 1.0
	v_fmac_f32_e32 v56, v59, v46
	v_fma_f32 v59, -v47, v62, v57
	v_fma_f32 v61, -v54, v60, 1.0
	v_fmac_f32_e32 v55, v58, v55
	v_div_scale_f32 v58, s1, 1.0, v42, 1.0
	v_fma_f32 v45, -v45, v56, v52
	v_fmac_f32_e32 v62, v59, v49
	v_fmac_f32_e32 v60, v61, v60
	v_mul_f32_e32 v63, v58, v55
	v_div_scale_f32 v59, s2, 1.0, v43, 1.0
	v_div_fmas_f32 v61, v45, v46, v56
	v_fma_f32 v46, -v47, v62, v57
	v_fma_f32 v52, -v48, v63, v58
	v_mul_f32_e32 v56, v59, v60
	s_mov_b32 vcc_lo, s0
	v_mul_f32_e32 v45, v50, v50
	v_div_fmas_f32 v47, v46, v49, v62
	v_fmac_f32_e32 v63, v52, v55
	v_add_f32_e32 v49, 1.0, v50
	v_fma_f32 v52, -v54, v56, v59
	s_mov_b32 vcc_lo, s1
	v_div_scale_f32 v57, null, v45, v45, 1.0
	v_fma_f32 v46, -v48, v63, v58
	v_add_f32_e32 v50, 1.0, v49
	v_fmac_f32_e32 v56, v52, v60
	v_rcp_f32_e32 v62, v57
	v_div_fixup_f32 v44, v61, v44, v53
	v_div_fmas_f32 v48, v46, v55, v63
	v_mul_f32_e32 v46, v49, v49
	v_add_f32_e32 v49, 1.0, v50
	v_fma_f32 v52, -v54, v56, v59
	v_mul_f32_e32 v50, v50, v50
	s_mov_b32 vcc_lo, s2
	v_div_scale_f32 v58, null, v46, v46, 1.0
	v_mul_f32_e32 v59, v49, v49
	v_div_fmas_f32 v52, v52, v60, v56
	v_div_scale_f32 v60, null, v50, v50, 1.0
	v_rcp_f32_e32 v56, v58
	v_div_scale_f32 v63, null, v59, v59, 1.0
	v_add_f32_e32 v65, v49, v49
	v_fma_f32 v54, -v57, v62, 1.0
	v_rcp_f32_e32 v64, v60
	v_rcp_f32_e32 v66, v63
	v_div_scale_f32 v69, s0, 1.0, v46, 1.0
	v_div_scale_f32 v68, null, v65, v65, 1.0
	v_fmac_f32_e32 v62, v54, v62
	v_div_scale_f32 v54, vcc_lo, 1.0, v45, 1.0
	v_fma_f32 v55, -v58, v56, 1.0
	v_rcp_f32_e32 v70, v68
	v_fma_f32 v72, -v63, v66, 1.0
	v_mul_f32_e32 v67, v54, v62
	v_div_scale_f32 v74, s1, 1.0, v50, 1.0
	v_fmac_f32_e32 v56, v55, v56
	v_fma_f32 v55, -v60, v64, 1.0
	v_fma_f32 v71, -v57, v67, v54
	v_fmac_f32_e32 v66, v72, v66
	v_div_scale_f32 v72, s2, 1.0, v59, 1.0
	v_mul_f32_e32 v73, v69, v56
	v_fmac_f32_e32 v64, v55, v64
	v_fma_f32 v55, -v68, v70, 1.0
	v_fmac_f32_e32 v67, v71, v62
	v_mul_f32_e32 v76, v72, v66
	v_fma_f32 v71, -v58, v73, v69
	v_mul_f32_e32 v75, v74, v64
	v_fmac_f32_e32 v70, v55, v70
	v_div_scale_f32 v77, s3, 1.0, v65, 1.0
	v_fma_f32 v54, -v57, v67, v54
	v_fmac_f32_e32 v73, v71, v56
	v_fma_f32 v57, -v60, v75, v74
	v_fma_f32 v71, -v63, v76, v72
	v_mul_f32_e32 v78, v77, v70
	v_div_fmas_f32 v55, v54, v62, v67
	v_fma_f32 v54, -v58, v73, v69
	v_fmac_f32_e32 v75, v57, v64
	v_fmac_f32_e32 v76, v71, v66
	v_fma_f32 v57, -v68, v78, v77
	s_mov_b32 vcc_lo, s0
	v_div_fixup_f32 v36, v47, v41, 1.0
	v_div_fmas_f32 v54, v54, v56, v73
	v_fma_f32 v56, -v60, v75, v74
	v_fmac_f32_e32 v78, v57, v70
	v_fma_f32 v57, -v63, v76, v72
	s_mov_b32 vcc_lo, s1
	v_add_f32_e32 v24, v24, v36
	v_div_fmas_f32 v56, v56, v64, v75
	s_mov_b32 vcc_lo, s2
	v_fma_f32 v58, -v68, v78, v77
	v_div_fmas_f32 v57, v57, v66, v76
	s_mov_b32 vcc_lo, s3
	v_div_fixup_f32 v36, v48, v42, 1.0
	v_div_fixup_f32 v32, v52, v43, 1.0
	v_div_fmas_f32 v58, v58, v70, v78
	v_div_fixup_f32 v59, v57, v59, 1.0
	v_add_f32_e32 v25, v25, v44
	v_add_f32_e32 v24, v24, v36
	v_div_fixup_f32 v57, v58, v65, 1.0
	v_fmaak_f32 v58, s5, v59, 0x3d088889
	v_mul_f32_e32 v15, v15, v25
	v_add_f32_e32 v24, v24, v32
	v_add_f32_e32 v57, 1.0, v57
	v_fma_f32 v58, -v59, v58, 0x3e2aaaab
	v_fmac_f32_e32 v57, v59, v58
	v_mul_f32_e32 v58, v51, v51
	v_add_f32_e32 v59, 1.0, v51
	v_div_scale_f32 v60, null, v49, v49, v57
	v_div_scale_f32 v63, null, v58, v58, 1.0
	v_mul_f32_e32 v51, v59, v59
	v_rcp_f32_e32 v62, v60
	v_add_f32_e32 v65, 1.0, v59
	v_rcp_f32_e32 v66, v63
	v_div_scale_f32 v67, vcc_lo, v57, v49, v57
	v_div_scale_f32 v71, s0, 1.0, v58, 1.0
	v_mul_f32_e32 v59, v65, v65
	v_fma_f32 v64, -v60, v62, 1.0
	v_fma_f32 v68, -v63, v66, 1.0
	v_fmac_f32_e32 v62, v64, v62
	v_div_scale_f32 v64, null, v51, v51, 1.0
	v_fmac_f32_e32 v66, v68, v66
	v_div_scale_f32 v68, null, v59, v59, 1.0
	v_rcp_f32_e32 v69, v64
	v_mul_f32_e32 v70, v67, v62
	v_mul_f32_e32 v75, v71, v66
	v_rcp_f32_e32 v74, v68
	v_fma_f32 v73, -v60, v70, v67
	v_fma_f32 v72, -v64, v69, 1.0
	v_fmac_f32_e32 v70, v73, v62
	v_fma_f32 v73, -v63, v75, v71
	v_fma_f32 v77, -v68, v74, 1.0
	v_fmac_f32_e32 v69, v72, v69
	v_div_scale_f32 v72, s1, 1.0, v51, 1.0
	v_fma_f32 v60, -v60, v70, v67
	v_fmac_f32_e32 v75, v73, v66
	v_fmac_f32_e32 v74, v77, v74
	v_mul_f32_e32 v76, v72, v69
	v_div_scale_f32 v77, s2, 1.0, v59, 1.0
	v_add_f32_e32 v73, 1.0, v65
	v_div_fmas_f32 v65, v60, v62, v70
	v_fma_f32 v67, -v64, v76, v72
	v_mul_f32_e32 v70, v77, v74
	v_fma_f32 v62, -v63, v75, v71
	s_mov_b32 vcc_lo, s0
	v_mul_f32_e32 v60, v73, v73
	v_fmac_f32_e32 v76, v67, v69
	v_fma_f32 v67, -v68, v70, v77
	v_div_fmas_f32 v63, v62, v66, v75
	v_add_f32_e32 v66, 1.0, v73
	s_mov_b32 vcc_lo, s1
	v_fma_f32 v62, -v64, v76, v72
	v_fmac_f32_e32 v70, v67, v74
	v_div_scale_f32 v71, null, v60, v60, 1.0
	v_div_fixup_f32 v34, v63, v58, 1.0
	v_div_fmas_f32 v64, v62, v69, v76
	v_mul_f32_e32 v62, v66, v66
	v_add_f32_e32 v66, 1.0, v66
	v_fma_f32 v67, -v68, v70, v77
	v_rcp_f32_e32 v75, v71
	s_mov_b32 vcc_lo, s2
	v_div_scale_f32 v72, null, v62, v62, 1.0
	v_add_f32_e32 v68, 1.0, v66
	v_mul_f32_e32 v66, v66, v66
	v_div_fmas_f32 v67, v67, v74, v70
	v_rcp_f32_e32 v70, v72
	v_add_f32_e32 v22, v22, v34
	v_mul_f32_e32 v73, v68, v68
	v_div_scale_f32 v74, null, v66, v66, 1.0
	v_add_f32_e32 v78, v68, v68
	v_fma_f32 v69, -v71, v75, 1.0
	v_div_scale_f32 v76, null, v73, v73, 1.0
	v_rcp_f32_e32 v77, v74
	v_div_scale_f32 v82, null, v78, v78, 1.0
	v_rcp_f32_e32 v80, v76
	v_fmac_f32_e32 v75, v69, v75
	v_div_scale_f32 v69, vcc_lo, 1.0, v60, 1.0
	v_fma_f32 v79, -v72, v70, 1.0
	v_rcp_f32_e32 v84, v82
	v_div_fixup_f32 v34, v64, v51, 1.0
	v_mul_f32_e32 v81, v69, v75
	v_fma_f32 v83, -v74, v77, 1.0
	v_fmac_f32_e32 v70, v79, v70
	v_div_scale_f32 v79, s0, 1.0, v62, 1.0
	v_fma_f32 v86, -v76, v80, 1.0
	v_fma_f32 v85, -v71, v81, v69
	v_fmac_f32_e32 v77, v83, v77
	v_mul_f32_e32 v87, v79, v70
	v_div_scale_f32 v83, s1, 1.0, v66, 1.0
	v_fmac_f32_e32 v80, v86, v80
	v_div_scale_f32 v86, s2, 1.0, v73, 1.0
	v_fma_f32 v88, -v82, v84, 1.0
	v_fmac_f32_e32 v81, v85, v75
	v_fma_f32 v85, -v72, v87, v79
	v_mul_f32_e32 v89, v83, v77
	v_mul_f32_e32 v90, v86, v80
	v_fmac_f32_e32 v84, v88, v84
	v_div_scale_f32 v88, s3, 1.0, v78, 1.0
	v_fma_f32 v69, -v71, v81, v69
	v_fmac_f32_e32 v87, v85, v70
	v_fma_f32 v71, -v74, v89, v83
	v_fma_f32 v85, -v76, v90, v86
	v_mul_f32_e32 v91, v88, v84
	v_div_fmas_f32 v69, v69, v75, v81
	v_fma_f32 v72, -v72, v87, v79
	v_fmac_f32_e32 v89, v71, v77
	v_fmac_f32_e32 v90, v85, v80
	v_fma_f32 v71, -v82, v91, v88
	s_mov_b32 vcc_lo, s0
	v_add_f32_e32 v22, v22, v34
	v_div_fmas_f32 v70, v72, v70, v87
	v_fma_f32 v72, -v74, v89, v83
	v_fmac_f32_e32 v91, v71, v84
	v_fma_f32 v74, -v76, v90, v86
	s_mov_b32 vcc_lo, s1
	v_div_fixup_f32 v34, v67, v59, 1.0
	v_div_fmas_f32 v71, v72, v77, v89
	s_mov_b32 vcc_lo, s2
	v_fma_f32 v72, -v82, v91, v88
	v_div_fmas_f32 v74, v74, v80, v90
	s_mov_b32 vcc_lo, s3
	v_add_f32_e32 v22, v22, v34
	v_div_fixup_f32 v34, v69, v60, 1.0
	v_div_fmas_f32 v72, v72, v84, v91
	v_div_fixup_f32 v74, v74, v73, 1.0
	v_add_f32_e32 v22, v22, v34
	v_div_fixup_f32 v72, v72, v78, 1.0
	v_fmaak_f32 v75, s5, v74, 0x3d088889
	v_add_f32_e32 v73, 1.0, v72
	v_fma_f32 v72, -v74, v75, 0x3e2aaaab
	v_fmac_f32_e32 v73, v74, v72
	v_mul_f32_e32 v72, v27, v27
	v_add_f32_e32 v74, 1.0, v27
	v_div_scale_f32 v75, null, v68, v68, v73
	v_div_scale_f32 v77, null, v72, v72, 1.0
	v_mul_f32_e32 v27, v74, v74
	v_rcp_f32_e32 v76, v75
	v_add_f32_e32 v80, 1.0, v74
	v_rcp_f32_e32 v79, v77
	v_div_scale_f32 v81, vcc_lo, v73, v68, v73
	v_div_scale_f32 v85, s0, 1.0, v72, 1.0
	v_mul_f32_e32 v74, v80, v80
	v_fma_f32 v78, -v75, v76, 1.0
	v_fma_f32 v82, -v77, v79, 1.0
	v_fmac_f32_e32 v76, v78, v76
	v_div_scale_f32 v78, null, v27, v27, 1.0
	v_fmac_f32_e32 v79, v82, v79
	v_div_scale_f32 v82, null, v74, v74, 1.0
	v_rcp_f32_e32 v83, v78
	v_mul_f32_e32 v84, v81, v76
	v_mul_f32_e32 v89, v85, v79
	v_rcp_f32_e32 v88, v82
	v_fma_f32 v87, -v75, v84, v81
	v_fma_f32 v86, -v78, v83, 1.0
	v_fmac_f32_e32 v84, v87, v76
	v_fma_f32 v87, -v77, v89, v85
	v_fma_f32 v91, -v82, v88, 1.0
	v_fmac_f32_e32 v83, v86, v83
	v_div_scale_f32 v86, s1, 1.0, v27, 1.0
	v_fma_f32 v75, -v75, v84, v81
	v_fmac_f32_e32 v89, v87, v79
	v_add_f32_e32 v87, 1.0, v80
	v_mul_f32_e32 v90, v86, v83
	v_fmac_f32_e32 v88, v91, v88
	v_div_scale_f32 v91, s2, 1.0, v74, 1.0
	v_div_fmas_f32 v80, v75, v76, v84
	v_fma_f32 v81, -v78, v90, v86
	v_mul_f32_e32 v75, v87, v87
	v_mul_f32_e32 v84, v91, v88
	v_fma_f32 v76, -v77, v89, v85
	s_mov_b32 vcc_lo, s0
	v_fmac_f32_e32 v90, v81, v83
	v_div_scale_f32 v85, null, v75, v75, 1.0
	v_fma_f32 v81, -v82, v84, v91
	v_div_fmas_f32 v77, v76, v79, v89
	v_fma_f32 v76, -v78, v90, v86
	v_add_f32_e32 v79, 1.0, v87
	v_rcp_f32_e32 v89, v85
	s_mov_b32 vcc_lo, s1
	v_fmac_f32_e32 v84, v81, v88
	v_div_fmas_f32 v78, v76, v83, v90
	v_mul_f32_e32 v76, v79, v79
	v_add_f32_e32 v79, 1.0, v79
	s_mov_b32 vcc_lo, s2
	v_fma_f32 v81, -v82, v84, v91
	v_div_scale_f32 v86, null, v76, v76, 1.0
	v_add_f32_e32 v82, 1.0, v79
	v_fma_f32 v83, -v85, v89, 1.0
	v_mul_f32_e32 v79, v79, v79
	v_div_fmas_f32 v81, v81, v88, v84
	v_rcp_f32_e32 v84, v86
	v_mul_f32_e32 v87, v82, v82
	v_fmac_f32_e32 v89, v83, v89
	v_div_scale_f32 v83, null, v79, v79, 1.0
	v_add_f32_e32 v92, v82, v82
	v_div_scale_f32 v88, null, v87, v87, 1.0
	v_rcp_f32_e32 v91, v83
	v_div_scale_f32 v90, vcc_lo, 1.0, v75, 1.0
	v_rcp_f32_e32 v94, v88
	v_div_scale_f32 v96, null, v92, v92, 1.0
	v_fma_f32 v93, -v86, v84, 1.0
	v_mul_f32_e32 v95, v90, v89
	v_rcp_f32_e32 v98, v96
	v_fma_f32 v97, -v83, v91, 1.0
	v_fmac_f32_e32 v84, v93, v84
	v_div_scale_f32 v93, s0, 1.0, v76, 1.0
	v_fma_f32 v100, -v88, v94, 1.0
	v_fma_f32 v99, -v85, v95, v90
	v_fmac_f32_e32 v91, v97, v91
	v_div_scale_f32 v97, s1, 1.0, v79, 1.0
	v_mul_f32_e32 v101, v93, v84
	v_fmac_f32_e32 v94, v100, v94
	v_div_scale_f32 v100, s2, 1.0, v87, 1.0
	v_fma_f32 v102, -v96, v98, 1.0
	v_fmac_f32_e32 v95, v99, v89
	v_mul_f32_e32 v103, v97, v91
	v_fma_f32 v99, -v86, v101, v93
	v_mul_f32_e32 v104, v100, v94
	v_fmac_f32_e32 v98, v102, v98
	v_div_scale_f32 v102, s3, 1.0, v92, 1.0
	v_fma_f32 v85, -v85, v95, v90
	v_fma_f32 v90, -v83, v103, v97
	v_fmac_f32_e32 v101, v99, v84
	v_fma_f32 v99, -v88, v104, v100
	v_mul_f32_e32 v105, v102, v98
	v_div_fmas_f32 v85, v85, v89, v95
	v_fmac_f32_e32 v103, v90, v91
	v_fma_f32 v86, -v86, v101, v93
	v_fmac_f32_e32 v104, v99, v94
	v_fma_f32 v89, -v96, v105, v102
	s_mov_b32 vcc_lo, s0
	v_fma_f32 v83, -v83, v103, v97
	v_div_fmas_f32 v84, v86, v84, v101
	v_fma_f32 v86, -v88, v104, v100
	v_fmac_f32_e32 v105, v89, v98
	s_mov_b32 vcc_lo, s1
	v_div_fmas_f32 v83, v83, v91, v103
	s_mov_b32 vcc_lo, s2
	v_fma_f32 v88, -v96, v105, v102
	v_div_fmas_f32 v86, v86, v94, v104
	s_mov_b32 vcc_lo, s3
	v_div_fmas_f32 v88, v88, v98, v105
	v_div_fixup_f32 v86, v86, v87, 1.0
	v_div_fixup_f32 v87, v88, v92, 1.0
	v_fmaak_f32 v88, s5, v86, 0x3d088889
	v_add_f32_e32 v87, 1.0, v87
	v_fma_f32 v88, -v86, v88, 0x3e2aaaab
	v_fmac_f32_e32 v87, v86, v88
	v_mul_f32_e32 v86, v23, v23
	v_add_f32_e32 v88, 1.0, v23
	v_div_scale_f32 v89, null, v82, v82, v87
	v_div_scale_f32 v91, null, v86, v86, 1.0
	v_mul_f32_e32 v23, v88, v88
	v_rcp_f32_e32 v90, v89
	v_add_f32_e32 v94, 1.0, v88
	v_rcp_f32_e32 v93, v91
	v_div_scale_f32 v95, vcc_lo, v87, v82, v87
	v_div_scale_f32 v99, s0, 1.0, v86, 1.0
	v_mul_f32_e32 v88, v94, v94
	v_fma_f32 v92, -v89, v90, 1.0
	v_fma_f32 v96, -v91, v93, 1.0
	v_fmac_f32_e32 v90, v92, v90
	v_div_scale_f32 v92, null, v23, v23, 1.0
	v_fmac_f32_e32 v93, v96, v93
	v_div_scale_f32 v96, null, v88, v88, 1.0
	v_rcp_f32_e32 v97, v92
	v_mul_f32_e32 v98, v95, v90
	v_mul_f32_e32 v103, v99, v93
	v_rcp_f32_e32 v102, v96
	v_fma_f32 v101, -v89, v98, v95
	v_fma_f32 v100, -v92, v97, 1.0
	v_fmac_f32_e32 v98, v101, v90
	v_fma_f32 v101, -v91, v103, v99
	v_fma_f32 v105, -v96, v102, 1.0
	v_fmac_f32_e32 v97, v100, v97
	v_div_scale_f32 v100, s1, 1.0, v23, 1.0
	v_fma_f32 v89, -v89, v98, v95
	v_fmac_f32_e32 v103, v101, v93
	v_add_f32_e32 v101, 1.0, v94
	v_mul_f32_e32 v104, v100, v97
	v_fmac_f32_e32 v102, v105, v102
	v_div_scale_f32 v105, s2, 1.0, v88, 1.0
	v_div_fmas_f32 v94, v89, v90, v98
	v_fma_f32 v95, -v92, v104, v100
	v_mul_f32_e32 v89, v101, v101
	v_fma_f32 v90, -v91, v103, v99
	v_mul_f32_e32 v98, v105, v102
	s_mov_b32 vcc_lo, s0
	v_fmac_f32_e32 v104, v95, v97
	v_div_scale_f32 v99, null, v89, v89, 1.0
	v_div_fmas_f32 v91, v90, v93, v103
	v_add_f32_e32 v93, 1.0, v101
	v_fma_f32 v90, -v92, v104, v100
	v_fma_f32 v95, -v96, v98, v105
	v_rcp_f32_e32 v103, v99
	s_mov_b32 vcc_lo, s1
	v_div_fmas_f32 v92, v90, v97, v104
	v_mul_f32_e32 v90, v93, v93
	v_add_f32_e32 v93, 1.0, v93
	v_fmac_f32_e32 v98, v95, v102
	s_mov_b32 vcc_lo, s2
	v_div_fixup_f32 v23, v92, v23, 1.0
	v_div_scale_f32 v100, null, v90, v90, 1.0
	v_add_f32_e32 v97, 1.0, v93
	v_fma_f32 v95, -v96, v98, v105
	v_fma_f32 v96, -v99, v103, 1.0
	v_mul_f32_e32 v93, v93, v93
	v_mul_f32_e32 v101, v97, v97
	v_div_fmas_f32 v95, v95, v102, v98
	v_fmac_f32_e32 v103, v96, v103
	v_div_scale_f32 v96, null, v93, v93, 1.0
	v_rcp_f32_e32 v98, v100
	v_div_scale_f32 v102, null, v101, v101, 1.0
	v_add_f32_e32 v106, v97, v97
	v_rcp_f32_e32 v105, v96
	v_div_scale_f32 v104, vcc_lo, 1.0, v89, 1.0
	v_rcp_f32_e32 v108, v102
	v_div_scale_f32 v110, null, v106, v106, 1.0
	v_fma_f32 v107, -v100, v98, 1.0
	v_mul_f32_e32 v109, v104, v103
	v_rcp_f32_e32 v112, v110
	v_fma_f32 v111, -v96, v105, 1.0
	v_fmac_f32_e32 v98, v107, v98
	v_div_scale_f32 v107, s0, 1.0, v90, 1.0
	v_fma_f32 v114, -v102, v108, 1.0
	v_fma_f32 v113, -v99, v109, v104
	v_fmac_f32_e32 v105, v111, v105
	v_div_scale_f32 v111, s1, 1.0, v93, 1.0
	v_mul_f32_e32 v115, v107, v98
	v_fmac_f32_e32 v108, v114, v108
	v_div_scale_f32 v114, s2, 1.0, v101, 1.0
	v_fma_f32 v116, -v110, v112, 1.0
	v_fmac_f32_e32 v109, v113, v103
	v_mul_f32_e32 v117, v111, v105
	v_fma_f32 v113, -v100, v115, v107
	v_mul_f32_e32 v118, v114, v108
	v_fmac_f32_e32 v112, v116, v112
	v_div_scale_f32 v116, s3, 1.0, v106, 1.0
	v_fma_f32 v99, -v99, v109, v104
	v_fma_f32 v104, -v96, v117, v111
	v_fmac_f32_e32 v115, v113, v98
	v_fma_f32 v113, -v102, v118, v114
	v_mul_f32_e32 v119, v116, v112
	v_div_fmas_f32 v99, v99, v103, v109
	v_fmac_f32_e32 v117, v104, v105
	v_fma_f32 v100, -v100, v115, v107
	v_fmac_f32_e32 v118, v113, v108
	v_fma_f32 v103, -v110, v119, v116
	s_mov_b32 vcc_lo, s0
	v_fma_f32 v96, -v96, v117, v111
	v_div_fmas_f32 v98, v100, v98, v115
	v_fma_f32 v100, -v102, v118, v114
	v_fmac_f32_e32 v119, v103, v112
	s_mov_b32 vcc_lo, s1
	v_div_fmas_f32 v96, v96, v105, v117
	s_mov_b32 vcc_lo, s2
	v_fma_f32 v102, -v110, v119, v116
	v_div_fmas_f32 v100, v100, v108, v118
	s_mov_b32 vcc_lo, s3
	v_div_fmas_f32 v102, v102, v112, v119
	v_div_fixup_f32 v100, v100, v101, 1.0
	v_div_fixup_f32 v101, v102, v106, 1.0
	v_fmaak_f32 v103, s5, v100, 0x3d088889
	v_add_f32_e32 v102, 1.0, v101
	v_fma_f32 v101, -v100, v103, 0x3e2aaaab
	v_fmac_f32_e32 v102, v100, v101
	v_mul_f32_e32 v100, v21, v21
	v_div_scale_f32 v103, null, v97, v97, v102
	v_div_scale_f32 v105, null, v100, v100, 1.0
	v_div_scale_f32 v106, vcc_lo, v102, v97, v102
	v_rcp_f32_e32 v104, v103
	v_rcp_f32_e32 v108, v105
	v_fma_f32 v101, -v103, v104, 1.0
	v_fma_f32 v111, -v105, v108, 1.0
	v_fmac_f32_e32 v104, v101, v104
	v_add_f32_e32 v101, 1.0, v21
	v_fmac_f32_e32 v108, v111, v108
	v_div_scale_f32 v111, s0, 1.0, v100, 1.0
	v_mul_f32_e32 v107, v106, v104
	v_mul_f32_e32 v21, v101, v101
	v_mul_f32_e32 v113, v111, v108
	v_fma_f32 v110, -v103, v107, v106
	v_div_scale_f32 v109, null, v21, v21, 1.0
	v_div_scale_f32 v115, s1, 1.0, v21, 1.0
	v_fmac_f32_e32 v107, v110, v104
	v_rcp_f32_e32 v112, v109
	v_add_f32_e32 v110, 1.0, v101
	v_fma_f32 v106, -v103, v107, v106
	v_mul_f32_e32 v101, v110, v110
	v_add_f32_e32 v110, 1.0, v110
	v_div_fmas_f32 v107, v106, v104, v107
	v_fma_f32 v103, -v109, v112, 1.0
	v_div_scale_f32 v114, null, v101, v101, 1.0
	v_fma_f32 v104, -v105, v113, v111
	v_add_f32_e32 v106, 1.0, v110
	v_fmac_f32_e32 v112, v103, v112
	v_mul_f32_e32 v103, v110, v110
	v_rcp_f32_e32 v116, v114
	v_fmac_f32_e32 v113, v104, v108
	v_mul_f32_e32 v104, v106, v106
	v_mul_f32_e32 v117, v115, v112
	v_div_scale_f32 v118, null, v103, v103, 1.0
	v_fma_f32 v105, -v105, v113, v111
	v_div_scale_f32 v121, null, v104, v104, 1.0
	v_fma_f32 v119, -v109, v117, v115
	v_rcp_f32_e32 v120, v118
	v_add_f32_e32 v106, 1.0, v106
	v_fma_f32 v110, -v114, v116, 1.0
	v_rcp_f32_e32 v122, v121
	v_fmac_f32_e32 v117, v119, v112
	s_mov_b32 vcc_lo, s0
	v_div_fmas_f32 v108, v105, v108, v113
	v_add_f32_e32 v105, 1.0, v106
	v_fmac_f32_e32 v116, v110, v116
	v_div_scale_f32 v110, s2, 1.0, v101, 1.0
	v_fma_f32 v119, -v118, v120, 1.0
	v_fma_f32 v109, -v109, v117, v115
	v_mul_f32_e32 v106, v106, v106
	v_mul_f32_e32 v123, v105, v105
	s_mov_b32 vcc_lo, s1
	v_mul_f32_e32 v111, v110, v116
	v_fmac_f32_e32 v120, v119, v120
	v_fma_f32 v119, -v121, v122, 1.0
	v_div_fmas_f32 v109, v109, v112, v117
	v_div_scale_f32 v117, null, v106, v106, 1.0
	v_div_scale_f32 v124, null, v123, v123, 1.0
	v_add_f32_e32 v126, v105, v105
	v_fma_f32 v113, -v114, v111, v110
	v_fmac_f32_e32 v122, v119, v122
	v_rcp_f32_e32 v119, v117
	v_rcp_f32_e32 v125, v124
	v_div_scale_f32 v128, null, v126, v126, 1.0
	v_div_scale_f32 v115, s0, 1.0, v103, 1.0
	v_fmac_f32_e32 v111, v113, v116
	v_rcp_f32_e32 v132, v128
	v_div_scale_f32 v127, s1, 1.0, v104, 1.0
	v_mul_f32_e32 v113, v115, v120
	v_fma_f32 v110, -v114, v111, v110
	v_fma_f32 v130, -v117, v119, 1.0
	v_fma_f32 v131, -v124, v125, 1.0
	s_mov_b32 vcc_lo, s2
	v_fma_f32 v114, -v118, v113, v115
	v_div_fmas_f32 v112, v110, v116, v111
	v_fmac_f32_e32 v119, v130, v119
	v_div_scale_f32 v110, s2, 1.0, v106, 1.0
	v_fmac_f32_e32 v125, v131, v125
	v_div_scale_f32 v111, s3, 1.0, v123, 1.0
	v_fma_f32 v116, -v128, v132, 1.0
	v_mul_f32_e32 v129, v127, v122
	v_fmac_f32_e32 v113, v114, v120
	v_mul_f32_e32 v130, v110, v119
	v_mul_f32_e32 v131, v111, v125
	v_fmac_f32_e32 v132, v116, v132
	v_div_scale_f32 v116, s4, 1.0, v126, 1.0
	v_fma_f32 v114, -v121, v129, v127
	v_fma_f32 v115, -v118, v113, v115
	;; [unrolled: 1-line block ×4, first 2 shown]
	v_mul_f32_e32 v134, v116, v132
	v_fmac_f32_e32 v129, v114, v122
	s_mov_b32 vcc_lo, s0
	v_fmac_f32_e32 v130, v118, v119
	v_div_fmas_f32 v114, v115, v120, v113
	v_fmac_f32_e32 v131, v133, v125
	v_fma_f32 v115, -v128, v134, v116
	v_fma_f32 v113, -v121, v129, v127
	;; [unrolled: 1-line block ×3, first 2 shown]
	s_mov_b32 vcc_lo, s1
	v_add_f32_e32 v117, 1.0, v18
	v_fmac_f32_e32 v134, v115, v132
	v_fma_f32 v115, -v124, v131, v111
	v_div_fmas_f32 v113, v113, v122, v129
	s_mov_b32 vcc_lo, s2
	v_add_f32_e32 v122, 1.0, v117
	v_div_fmas_f32 v111, v110, v119, v130
	s_mov_b32 vcc_lo, s3
	v_fma_f32 v110, -v128, v134, v116
	v_div_fmas_f32 v115, v115, v125, v131
	s_mov_b32 vcc_lo, s4
	v_div_fixup_f32 v21, v109, v21, 1.0
	v_div_fmas_f32 v110, v110, v132, v134
	v_div_fixup_f32 v115, v115, v123, 1.0
	v_div_fixup_f32 v110, v110, v126, 1.0
	v_fmaak_f32 v116, s5, v115, 0x3d088889
	v_add_f32_e32 v110, 1.0, v110
	v_fma_f32 v116, -v115, v116, 0x3e2aaaab
	v_fmac_f32_e32 v110, v115, v116
	v_mul_f32_e32 v115, v18, v18
	v_mul_f32_e32 v18, v117, v117
	v_mul_f32_e32 v117, v122, v122
	v_add_f32_e32 v122, 1.0, v122
	v_div_scale_f32 v116, null, v105, v105, v110
	v_div_scale_f32 v119, null, v115, v115, 1.0
	v_div_scale_f32 v123, vcc_lo, v110, v105, v110
	v_rcp_f32_e32 v118, v116
	v_rcp_f32_e32 v121, v119
	v_div_scale_f32 v127, s0, 1.0, v115, 1.0
	v_fma_f32 v120, -v116, v118, 1.0
	v_fma_f32 v124, -v119, v121, 1.0
	v_fmac_f32_e32 v118, v120, v118
	v_div_scale_f32 v120, null, v18, v18, 1.0
	v_fmac_f32_e32 v121, v124, v121
	v_div_scale_f32 v124, null, v117, v117, 1.0
	v_rcp_f32_e32 v125, v120
	v_mul_f32_e32 v126, v123, v118
	v_mul_f32_e32 v131, v127, v121
	v_rcp_f32_e32 v130, v124
	v_fma_f32 v129, -v116, v126, v123
	v_fma_f32 v128, -v120, v125, 1.0
	v_fmac_f32_e32 v126, v129, v118
	v_fma_f32 v129, -v119, v131, v127
	v_fma_f32 v133, -v124, v130, 1.0
	v_fmac_f32_e32 v125, v128, v125
	v_div_scale_f32 v128, s1, 1.0, v18, 1.0
	v_fma_f32 v116, -v116, v126, v123
	v_fmac_f32_e32 v131, v129, v121
	v_fmac_f32_e32 v130, v133, v130
	v_mul_f32_e32 v132, v128, v125
	v_div_scale_f32 v129, s2, 1.0, v117, 1.0
	v_div_fmas_f32 v116, v116, v118, v126
	v_mul_f32_e32 v118, v122, v122
	v_fma_f32 v123, -v120, v132, v128
	v_fma_f32 v119, -v119, v131, v127
	s_mov_b32 vcc_lo, s0
	v_mul_f32_e32 v126, v129, v130
	v_fmac_f32_e32 v132, v123, v125
	v_div_scale_f32 v123, null, v118, v118, 1.0
	v_div_fmas_f32 v121, v119, v121, v131
	s_mov_b32 vcc_lo, s1
	v_fma_f32 v119, -v120, v132, v128
	v_add_f32_e32 v120, 1.0, v122
	v_rcp_f32_e32 v131, v123
	v_fma_f32 v127, -v124, v126, v129
	v_div_fmas_f32 v122, v119, v125, v132
	v_mul_f32_e32 v119, v120, v120
	v_add_f32_e32 v120, 1.0, v120
	v_fmac_f32_e32 v126, v127, v130
	s_mov_b32 vcc_lo, s2
	v_div_fixup_f32 v18, v122, v18, 1.0
	v_div_scale_f32 v127, null, v119, v119, 1.0
	v_add_f32_e32 v128, 1.0, v120
	v_fma_f32 v125, -v123, v131, 1.0
	v_mul_f32_e32 v120, v120, v120
	v_fma_f32 v124, -v124, v126, v129
	v_mul_f32_e32 v129, v128, v128
	v_fmac_f32_e32 v131, v125, v131
	v_div_scale_f32 v125, null, v120, v120, 1.0
	v_div_fmas_f32 v124, v124, v130, v126
	v_rcp_f32_e32 v126, v127
	v_div_scale_f32 v130, null, v129, v129, 1.0
	v_add_f32_e32 v134, v128, v128
	v_rcp_f32_e32 v133, v125
	v_div_scale_f32 v132, vcc_lo, 1.0, v118, 1.0
	v_rcp_f32_e32 v136, v130
	v_div_scale_f32 v138, null, v134, v134, 1.0
	v_fma_f32 v135, -v127, v126, 1.0
	v_mul_f32_e32 v137, v132, v131
	v_rcp_f32_e32 v140, v138
	v_fma_f32 v139, -v125, v133, 1.0
	v_fmac_f32_e32 v126, v135, v126
	v_div_scale_f32 v135, s0, 1.0, v119, 1.0
	v_fma_f32 v142, -v130, v136, 1.0
	v_fma_f32 v141, -v123, v137, v132
	v_fmac_f32_e32 v133, v139, v133
	v_div_scale_f32 v139, s1, 1.0, v120, 1.0
	v_mul_f32_e32 v143, v135, v126
	v_fmac_f32_e32 v136, v142, v136
	v_div_scale_f32 v142, s2, 1.0, v129, 1.0
	v_fma_f32 v144, -v138, v140, 1.0
	v_fmac_f32_e32 v137, v141, v131
	v_mul_f32_e32 v145, v139, v133
	v_fma_f32 v141, -v127, v143, v135
	v_mul_f32_e32 v146, v142, v136
	v_fmac_f32_e32 v140, v144, v140
	v_div_scale_f32 v144, s3, 1.0, v134, 1.0
	v_fma_f32 v123, -v123, v137, v132
	v_fma_f32 v132, -v125, v145, v139
	v_fmac_f32_e32 v143, v141, v126
	v_fma_f32 v141, -v130, v146, v142
	v_mul_f32_e32 v147, v144, v140
	v_div_fmas_f32 v123, v123, v131, v137
	v_fmac_f32_e32 v145, v132, v133
	v_fma_f32 v127, -v127, v143, v135
	v_fmac_f32_e32 v146, v141, v136
	v_fma_f32 v131, -v138, v147, v144
	s_mov_b32 vcc_lo, s0
	v_fma_f32 v125, -v125, v145, v139
	v_div_fmas_f32 v126, v127, v126, v143
	v_fma_f32 v127, -v130, v146, v142
	v_fmac_f32_e32 v147, v131, v140
	s_mov_b32 vcc_lo, s1
	v_mul_f32_e32 v131, v28, v28
	v_div_fmas_f32 v125, v125, v133, v145
	s_mov_b32 vcc_lo, s2
	v_fma_f32 v130, -v138, v147, v144
	v_div_fmas_f32 v127, v127, v136, v146
	s_mov_b32 vcc_lo, s3
	v_div_scale_f32 v133, null, v131, v131, 1.0
	v_div_fmas_f32 v130, v130, v140, v147
	v_div_fixup_f32 v127, v127, v129, 1.0
	v_add_f32_e32 v28, 1.0, v28
	v_div_scale_f32 v141, s0, 1.0, v131, 1.0
	v_div_fixup_f32 v129, v130, v134, 1.0
	v_fmaak_f32 v130, s5, v127, 0x3d088889
	v_mul_f32_e32 v135, v28, v28
	v_add_f32_e32 v28, 1.0, v28
	v_add_f32_e32 v129, 1.0, v129
	v_fma_f32 v130, -v127, v130, 0x3e2aaaab
	v_div_scale_f32 v137, null, v135, v135, 1.0
	v_fmac_f32_e32 v129, v127, v130
	v_rcp_f32_e32 v140, v137
	v_div_scale_f32 v127, null, v128, v128, v129
	v_div_scale_f32 v134, vcc_lo, v129, v128, v129
	v_rcp_f32_e32 v130, v127
	v_fma_f32 v143, -v137, v140, 1.0
	v_fmac_f32_e32 v140, v143, v140
	v_fma_f32 v132, -v127, v130, 1.0
	v_fmac_f32_e32 v130, v132, v130
	v_rcp_f32_e32 v132, v133
	v_mul_f32_e32 v136, v134, v130
	v_fma_f32 v139, -v127, v136, v134
	v_fma_f32 v138, -v133, v132, 1.0
	v_fmac_f32_e32 v136, v139, v130
	v_fmac_f32_e32 v132, v138, v132
	v_mul_f32_e32 v138, v28, v28
	v_add_f32_e32 v28, 1.0, v28
	v_fma_f32 v53, -v127, v136, v134
	v_mul_f32_e32 v142, v141, v132
	v_div_scale_f32 v139, null, v138, v138, 1.0
	v_div_scale_f32 v134, s1, 1.0, v135, 1.0
	v_fma_f32 v127, -v133, v142, v141
	v_rcp_f32_e32 v61, v139
	v_div_fmas_f32 v53, v53, v130, v136
	v_mul_f32_e32 v130, v28, v28
	v_add_f32_e32 v28, 1.0, v28
	v_fmac_f32_e32 v142, v127, v132
	v_mul_f32_e32 v127, v134, v140
	s_mov_b32 vcc_lo, s0
	v_div_scale_f32 v143, null, v130, v130, 1.0
	v_fma_f32 v133, -v133, v142, v141
	v_fma_f32 v136, -v139, v61, 1.0
	v_fma_f32 v144, -v137, v127, v134
	v_rcp_f32_e32 v141, v143
	v_div_fmas_f32 v132, v133, v132, v142
	v_fmac_f32_e32 v61, v136, v61
	v_div_scale_f32 v136, s2, 1.0, v138, 1.0
	v_mul_f32_e32 v133, v28, v28
	v_fmac_f32_e32 v127, v144, v140
	v_add_f32_e32 v28, 1.0, v28
	v_mul_f32_e32 v145, v136, v61
	v_fma_f32 v144, -v143, v141, 1.0
	v_div_scale_f32 v146, null, v133, v133, 1.0
	v_fma_f32 v134, -v137, v127, v134
	v_fma_f32 v142, -v139, v145, v136
	v_fmac_f32_e32 v141, v144, v141
	v_rcp_f32_e32 v137, v146
	v_mul_f32_e32 v144, v28, v28
	s_mov_b32 vcc_lo, s1
	v_fmac_f32_e32 v145, v142, v61
	v_div_scale_f32 v142, s0, 1.0, v130, 1.0
	v_div_fmas_f32 v127, v134, v140, v127
	s_mov_b32 vcc_lo, s2
	v_fma_f32 v134, -v139, v145, v136
	v_div_scale_f32 v139, null, v144, v144, 1.0
	v_mul_f32_e32 v136, v142, v141
	v_fma_f32 v140, -v146, v137, 1.0
	v_div_fmas_f32 v61, v134, v61, v145
	v_rcp_f32_e32 v134, v139
	v_add_f32_e32 v28, 1.0, v28
	v_fma_f32 v145, -v143, v136, v142
	v_fmac_f32_e32 v137, v140, v137
	v_div_scale_f32 v140, s1, 1.0, v133, 1.0
	s_mov_b32 vcc_lo, s0
	v_fmac_f32_e32 v136, v145, v141
	v_mul_f32_e32 v145, v140, v137
	v_fma_f32 v147, -v139, v134, 1.0
	v_fma_f32 v142, -v143, v136, v142
	v_fma_f32 v143, -v146, v145, v140
	v_fmac_f32_e32 v134, v147, v134
	v_div_scale_f32 v147, s2, 1.0, v144, 1.0
	v_div_fmas_f32 v136, v142, v141, v136
	v_fmac_f32_e32 v145, v143, v137
	v_mul_f32_e32 v141, v28, v28
	v_mul_f32_e32 v143, v147, v134
	s_mov_b32 vcc_lo, s1
	v_fma_f32 v140, -v146, v145, v140
	v_div_scale_f32 v146, null, v141, v141, 1.0
	v_fma_f32 v142, -v139, v143, v147
	v_div_scale_f32 v35, s0, 1.0, v141, 1.0
	v_div_fmas_f32 v137, v140, v137, v145
	v_add_f32_e32 v140, v28, v28
	v_fmac_f32_e32 v143, v142, v134
	v_rcp_f32_e32 v142, v146
	s_mov_b32 vcc_lo, s2
	v_div_scale_f32 v30, s1, 1.0, v140, 1.0
	v_fma_f32 v139, -v139, v143, v147
	v_div_scale_f32 v147, null, v140, v140, 1.0
	v_fma_f32 v145, -v146, v142, 1.0
	v_div_fmas_f32 v134, v139, v134, v143
	s_mov_b32 vcc_lo, s0
	v_fmac_f32_e32 v142, v145, v142
	v_rcp_f32_e32 v145, v147
	v_mul_f32_e32 v143, v35, v142
	v_fma_f32 v31, -v146, v143, v35
	v_fma_f32 v139, -v147, v145, 1.0
	v_fmac_f32_e32 v143, v31, v142
	v_fmac_f32_e32 v145, v139, v145
	v_fma_f32 v33, -v146, v143, v35
	v_mul_f32_e32 v37, v30, v145
	v_div_fmas_f32 v32, v33, v142, v143
	v_fma_f32 v31, -v147, v37, v30
	s_mov_b32 vcc_lo, s1
	v_div_fixup_f32 v33, v80, v68, v73
	v_div_fixup_f32 v32, v32, v141, 1.0
	v_fmac_f32_e32 v37, v31, v145
	v_div_fixup_f32 v31, v55, v45, 1.0
	v_fmaak_f32 v25, s5, v32, 0x3d088889
	v_fma_f32 v30, -v147, v37, v30
	v_add_f32_e32 v24, v24, v31
	v_div_fixup_f32 v31, v54, v46, 1.0
	v_fma_f32 v25, -v32, v25, 0x3e2aaaab
	v_div_fmas_f32 v29, v30, v145, v37
	v_div_fixup_f32 v30, v56, v50, 1.0
	v_add_f32_e32 v24, v24, v31
	v_div_fixup_f32 v31, v65, v49, v57
	v_cmp_o_f32_e32 vcc_lo, v15, v15
	v_div_fixup_f32 v29, v29, v140, 1.0
	v_add_f32_e32 v24, v24, v30
	v_div_fixup_f32 v30, v94, v82, v87
	v_add_f32_e32 v29, 1.0, v29
	v_add_f32_e32 v24, v24, v31
	v_bfe_u32 v31, v15, 16, 1
	v_fmac_f32_e32 v29, v32, v25
	v_div_fixup_f32 v25, v77, v72, 1.0
	v_mul_f32_e32 v14, v14, v24
	v_add3_u32 v31, v15, v31, 0x7fff
	v_div_fixup_f32 v24, v107, v97, v102
	v_add_f32_e32 v20, v20, v25
	v_bfe_u32 v32, v14, 16, 1
	v_div_fixup_f32 v25, v78, v27, 1.0
	v_lshrrev_b32_e32 v31, 16, v31
	v_add3_u32 v27, v14, v32, 0x7fff
	v_div_fixup_f32 v32, v91, v86, 1.0
	v_add_f32_e32 v20, v20, v25
	v_div_fixup_f32 v25, v81, v74, 1.0
	v_cndmask_b32_e32 v15, 0x7fc0, v31, vcc_lo
	v_lshrrev_b32_e32 v27, 16, v27
	v_add_f32_e32 v19, v19, v32
	v_div_fixup_f32 v32, v70, v62, 1.0
	v_add_f32_e32 v20, v20, v25
	v_div_fixup_f32 v25, v85, v75, 1.0
	v_cmp_o_f32_e32 vcc_lo, v14, v14
	v_add_f32_e32 v19, v19, v23
	v_add_f32_e32 v22, v22, v32
	v_div_fixup_f32 v32, v71, v66, 1.0
	v_add_f32_e32 v20, v20, v25
	v_div_fixup_f32 v25, v84, v76, 1.0
	v_div_fixup_f32 v23, v95, v88, 1.0
	v_cndmask_b32_e32 v14, 0x7fc0, v27, vcc_lo
	v_add_f32_e32 v22, v22, v32
	v_div_fixup_f32 v32, v108, v100, 1.0
	v_add_f32_e32 v20, v20, v25
	v_div_fixup_f32 v25, v83, v79, 1.0
	;; [unrolled: 2-line block ×3, first 2 shown]
	v_add_f32_e32 v22, v22, v33
	v_add_f32_e32 v17, v17, v32
	;; [unrolled: 1-line block ×3, first 2 shown]
	v_div_fixup_f32 v25, v121, v115, 1.0
	v_add_f32_e32 v19, v19, v23
	v_div_fixup_f32 v23, v98, v90, 1.0
	v_mul_f32_e32 v13, v13, v22
	v_add_f32_e32 v20, v20, v30
	v_add_f32_e32 v17, v17, v21
	v_div_fixup_f32 v22, v96, v93, 1.0
	v_add_f32_e32 v19, v19, v23
	v_bfe_u32 v21, v13, 16, 1
	v_div_fixup_f32 v23, v112, v101, 1.0
	v_mul_f32_e32 v12, v12, v20
	v_div_scale_f32 v20, null, v28, v28, v29
	v_add3_u32 v21, v13, v21, 0x7fff
	v_add_f32_e32 v17, v17, v23
	v_add_f32_e32 v9, v9, v25
	v_rcp_f32_e32 v23, v20
	v_cmp_o_f32_e32 vcc_lo, v13, v13
	v_lshrrev_b32_e32 v21, 16, v21
	v_add_f32_e32 v19, v19, v22
	v_div_fixup_f32 v22, v114, v103, 1.0
	v_add_f32_e32 v9, v9, v18
	v_div_fixup_f32 v18, v124, v117, 1.0
	v_cndmask_b32_e32 v13, 0x7fc0, v21, vcc_lo
	v_div_fixup_f32 v25, v132, v131, 1.0
	v_add_f32_e32 v17, v17, v22
	v_fma_f32 v21, -v20, v23, 1.0
	v_div_fixup_f32 v22, v113, v104, 1.0
	v_add_f32_e32 v9, v9, v18
	v_div_fixup_f32 v18, v123, v118, 1.0
	v_add_f32_e32 v19, v19, v24
	v_fmac_f32_e32 v23, v21, v23
	v_div_scale_f32 v21, vcc_lo, v29, v28, v29
	v_add_f32_e32 v17, v17, v22
	v_add_f32_e32 v9, v9, v18
	;; [unrolled: 1-line block ×3, first 2 shown]
	v_div_fixup_f32 v22, v127, v135, 1.0
	v_mul_f32_e32 v27, v21, v23
	v_div_fixup_f32 v25, v126, v119, 1.0
	v_div_fixup_f32 v26, v111, v106, 1.0
	v_mul_f32_e32 v11, v11, v19
	v_add_f32_e32 v18, v18, v22
	v_div_fixup_f32 v22, v61, v138, 1.0
	v_fma_f32 v30, -v20, v27, v21
	v_add_f32_e32 v9, v9, v25
	v_div_fixup_f32 v25, v125, v120, 1.0
	v_add_f32_e32 v17, v17, v26
	v_add_f32_e32 v18, v18, v22
	v_div_fixup_f32 v22, v136, v130, 1.0
	v_fmac_f32_e32 v27, v30, v23
	v_add_f32_e32 v9, v9, v25
	v_div_fixup_f32 v25, v53, v128, v129
	v_div_fixup_f32 v26, v116, v105, v110
	v_add_f32_e32 v18, v18, v22
	v_div_fixup_f32 v22, v137, v133, 1.0
	v_fma_f32 v19, -v20, v27, v21
	v_add_f32_e32 v9, v9, v25
	v_div_fixup_f32 v20, v134, v144, 1.0
	v_bfe_u32 v24, v12, 16, 1
	v_add_f32_e32 v18, v18, v22
	v_div_fmas_f32 v19, v19, v23, v27
	v_add_f32_e32 v17, v17, v26
	v_mul_f32_e32 v8, v8, v9
	v_bfe_u32 v9, v11, 16, 1
	v_add_f32_e32 v18, v18, v20
	v_div_fixup_f32 v19, v19, v28, v29
	v_mul_f32_e32 v10, v10, v17
	v_add3_u32 v17, v12, v24, 0x7fff
	v_bfe_u32 v20, v8, 16, 1
	v_cmp_o_f32_e32 vcc_lo, v12, v12
	v_add_f32_e32 v18, v18, v19
	v_bfe_u32 v19, v10, 16, 1
	v_lshrrev_b32_e32 v17, 16, v17
	v_add3_u32 v20, v8, v20, 0x7fff
	v_add3_u32 v9, v11, v9, 0x7fff
	v_mul_f32_e32 v16, v16, v18
	v_add3_u32 v18, v10, v19, 0x7fff
	v_cndmask_b32_e32 v12, 0x7fc0, v17, vcc_lo
	v_lshrrev_b32_e32 v17, 16, v20
	v_cmp_o_f32_e64 s0, v8, v8
	v_lshrrev_b32_e32 v9, 16, v9
	v_bfe_u32 v19, v16, 16, 1
	v_cmp_o_f32_e32 vcc_lo, v11, v11
	v_lshrrev_b32_e32 v11, 16, v18
	v_cndmask_b32_e64 v8, 0x7fc0, v17, s0
	v_cmp_o_f32_e64 s0, v10, v10
	v_mov_b32_e32 v18, 0x7fc0
	v_cndmask_b32_e32 v9, 0x7fc0, v9, vcc_lo
	v_cmp_o_f32_e32 vcc_lo, v16, v16
	v_add3_u32 v16, v16, v19, 0x7fff
	v_cndmask_b32_e64 v10, 0x7fc0, v11, s0
	v_cndmask_b32_sdwa v11, v18, v16, vcc_lo dst_sel:DWORD dst_unused:UNUSED_PAD src0_sel:DWORD src1_sel:WORD_1
	global_store_short v0, v8, s[8:9]
	global_store_short v1, v10, s[8:9]
	;; [unrolled: 1-line block ×8, first 2 shown]
	s_endpgm
.LBB75_177:
	v_mov_b32_e32 v0, 0
	v_mov_b32_e32 v2, 0
	s_branch .LBB75_183
.LBB75_178:
	v_mov_b32_e32 v0, 0
	v_mov_b32_e32 v2, 0
	s_branch .LBB75_205
.LBB75_179:
	v_mov_b32_e32 v0, 0
	v_mov_b32_e32 v2, 0
	;; [unrolled: 1-line block ×3, first 2 shown]
	s_mov_b32 s31, 0
.LBB75_180:
	s_and_b32 s33, s33, 3
	s_cmp_eq_u32 s33, 0
	s_cbranch_scc1 .LBB75_183
; %bb.181:
	s_lshl_b32 s0, s31, 3
	s_mul_i32 s2, s31, 12
	s_add_u32 s0, s16, s0
	s_addc_u32 s1, s17, 0
	s_add_u32 s0, s0, 0xc4
	s_addc_u32 s1, s1, 0
	;; [unrolled: 2-line block ×3, first 2 shown]
	.p2align	6
.LBB75_182:                             ; =>This Inner Loop Header: Depth=1
	s_clause 0x1
	s_load_dwordx2 s[34:35], s[2:3], 0x4
	s_load_dword s31, s[2:3], 0xc
	s_load_dwordx2 s[36:37], s[0:1], 0x0
	s_add_u32 s2, s2, 12
	s_addc_u32 s3, s3, 0
	s_add_u32 s0, s0, 8
	s_addc_u32 s1, s1, 0
	s_add_i32 s33, s33, -1
	s_cmp_lg_u32 s33, 0
	s_waitcnt lgkmcnt(0)
	v_mul_hi_u32 v3, s35, v1
	v_add_nc_u32_e32 v3, v1, v3
	v_lshrrev_b32_e32 v4, s31, v3
	v_mul_lo_u32 v3, v4, s34
	v_sub_nc_u32_e32 v3, v1, v3
	v_mad_u64_u32 v[0:1], null, v3, s36, v[0:1]
	v_mad_u64_u32 v[2:3], null, v3, s37, v[2:3]
	v_mov_b32_e32 v1, v4
	s_cbranch_scc1 .LBB75_182
.LBB75_183:
	s_cbranch_execnz .LBB75_186
.LBB75_184:
	s_waitcnt lgkmcnt(0)
	v_mul_hi_u32 v0, s13, v7
	s_andn2_b32 vcc_lo, exec_lo, s26
	v_add_nc_u32_e32 v0, v7, v0
	v_lshrrev_b32_e32 v1, s14, v0
	v_mul_lo_u32 v0, v1, s12
	v_sub_nc_u32_e32 v2, v7, v0
	v_mul_lo_u32 v0, v2, s8
	v_mul_lo_u32 v2, v2, s9
	s_cbranch_vccnz .LBB75_186
; %bb.185:
	v_mul_hi_u32 v3, s18, v1
	v_add_nc_u32_e32 v3, v1, v3
	v_lshrrev_b32_e32 v3, s19, v3
	v_mul_lo_u32 v3, v3, s15
	v_sub_nc_u32_e32 v3, v1, v3
	v_mad_u64_u32 v[0:1], null, v3, s10, v[0:1]
	v_mad_u64_u32 v[2:3], null, v3, s11, v[2:3]
.LBB75_186:
	s_waitcnt lgkmcnt(0)
	global_load_ushort v1, v2, s[6:7]
	v_mov_b32_e32 v3, 0
	v_mov_b32_e32 v2, 1.0
	s_mov_b32 s2, exec_lo
	s_waitcnt vmcnt(0)
	v_lshlrev_b32_e32 v1, 16, v1
	v_cmpx_gt_f32_e32 0.5, v1
	s_cbranch_execz .LBB75_192
; %bb.187:
	v_mul_f32_e32 v2, 0x40490fdb, v1
                                        ; implicit-def: $vgpr5
                                        ; implicit-def: $vgpr4
	s_mov_b32 s1, exec_lo
	v_and_b32_e32 v3, 0x7fffffff, v2
	v_cmpx_ngt_f32_e64 0x48000000, |v2|
	s_xor_b32 s3, exec_lo, s1
	s_cbranch_execz .LBB75_189
; %bb.188:
	s_mov_b32 s0, 0x7fffff
	v_mov_b32_e32 v6, 0
	v_and_or_b32 v14, v3, s0, 0x800000
	v_lshrrev_b32_e32 v12, 23, v3
	v_mad_u64_u32 v[4:5], null, 0xfe5163ab, v14, 0
	v_add_nc_u32_e32 v13, 0xffffff88, v12
	v_cmp_lt_u32_e32 vcc_lo, 63, v13
	v_mad_u64_u32 v[8:9], null, 0x3c439041, v14, v[5:6]
	v_cndmask_b32_e64 v15, 0, 0xffffffc0, vcc_lo
	v_mov_b32_e32 v5, v9
	v_add_nc_u32_e32 v15, v15, v13
	v_mad_u64_u32 v[9:10], null, 0xdb629599, v14, v[5:6]
	v_cmp_lt_u32_e64 s0, 31, v15
	v_cndmask_b32_e64 v16, 0, 0xffffffe0, s0
	v_mov_b32_e32 v5, v10
	v_cndmask_b32_e32 v4, v9, v4, vcc_lo
	v_mad_u64_u32 v[10:11], null, 0xf534ddc0, v14, v[5:6]
	v_mov_b32_e32 v5, v11
	v_cndmask_b32_e32 v8, v10, v8, vcc_lo
	v_mad_u64_u32 v[11:12], null, 0xfc2757d1, v14, v[5:6]
	v_cndmask_b32_e64 v4, v8, v4, s0
	v_mov_b32_e32 v5, v12
	v_mad_u64_u32 v[12:13], null, 0x4e441529, v14, v[5:6]
	v_mov_b32_e32 v5, v13
	v_add_nc_u32_e32 v13, v16, v15
	v_cndmask_b32_e32 v15, v12, v10, vcc_lo
	v_mad_u64_u32 v[5:6], null, 0xa2f9836e, v14, v[5:6]
	v_cmp_lt_u32_e64 s1, 31, v13
	v_cndmask_b32_e64 v14, 0, 0xffffffe0, s1
	v_cndmask_b32_e32 v5, v5, v11, vcc_lo
	v_cndmask_b32_e32 v6, v6, v12, vcc_lo
	;; [unrolled: 1-line block ×3, first 2 shown]
	v_add_nc_u32_e32 v12, v14, v13
	v_cndmask_b32_e64 v10, v5, v15, s0
	v_cndmask_b32_e64 v5, v6, v5, s0
	;; [unrolled: 1-line block ×4, first 2 shown]
	v_sub_nc_u32_e32 v13, 32, v12
	v_cmp_eq_u32_e32 vcc_lo, 0, v12
	v_cndmask_b32_e64 v5, v5, v10, s1
	v_cndmask_b32_e64 v10, v10, v6, s1
	;; [unrolled: 1-line block ×4, first 2 shown]
	v_alignbit_b32 v14, v5, v10, v13
	v_alignbit_b32 v9, v10, v6, v13
	;; [unrolled: 1-line block ×3, first 2 shown]
	v_cndmask_b32_e32 v5, v14, v5, vcc_lo
	v_cndmask_b32_e32 v8, v9, v10, vcc_lo
	;; [unrolled: 1-line block ×3, first 2 shown]
	v_bfe_u32 v9, v5, 29, 1
	v_alignbit_b32 v10, v5, v8, 30
	v_alignbit_b32 v8, v8, v6, 30
	;; [unrolled: 1-line block ×3, first 2 shown]
	v_sub_nc_u32_e32 v11, 0, v9
	v_xor_b32_e32 v10, v10, v11
	v_xor_b32_e32 v6, v8, v11
	;; [unrolled: 1-line block ×3, first 2 shown]
	v_lshrrev_b32_e32 v11, 29, v5
	v_lshrrev_b32_e32 v5, 30, v5
	v_ffbh_u32_e32 v12, v10
	v_add_nc_u32_e32 v5, v9, v5
	v_min_u32_e32 v12, 32, v12
	v_sub_nc_u32_e32 v8, 31, v12
	v_lshlrev_b32_e32 v13, 23, v12
	v_alignbit_b32 v10, v10, v6, v8
	v_alignbit_b32 v4, v6, v4, v8
	v_lshlrev_b32_e32 v6, 31, v11
	v_alignbit_b32 v8, v10, v4, 9
	v_or_b32_e32 v11, 0.5, v6
	v_lshrrev_b32_e32 v10, 9, v10
	v_or_b32_e32 v6, 0x33000000, v6
	v_ffbh_u32_e32 v14, v8
	v_sub_nc_u32_e32 v11, v11, v13
	v_min_u32_e32 v13, 32, v14
	v_or_b32_e32 v10, v10, v11
	v_not_b32_e32 v11, v13
	v_mul_f32_e32 v14, 0x3fc90fda, v10
	v_add_lshl_u32 v12, v13, v12, 23
	v_alignbit_b32 v4, v8, v4, v11
	v_fma_f32 v8, 0x3fc90fda, v10, -v14
	v_sub_nc_u32_e32 v6, v6, v12
	v_lshrrev_b32_e32 v4, 9, v4
	v_fmamk_f32 v8, v10, 0x33a22168, v8
	v_or_b32_e32 v4, v6, v4
	v_fmac_f32_e32 v8, 0x3fc90fda, v4
	v_add_f32_e32 v4, v14, v8
.LBB75_189:
	s_andn2_saveexec_b32 s0, s3
; %bb.190:
	v_mul_f32_e64 v4, 0x3f22f983, |v2|
	v_rndne_f32_e32 v5, v4
	v_fma_f32 v4, 0xbfc90fda, v5, |v2|
	v_fmamk_f32 v4, v5, 0xb3a22168, v4
	v_fmamk_f32 v4, v5, 0xa7c234c4, v4
	v_cvt_i32_f32_e32 v5, v5
; %bb.191:
	s_or_b32 exec_lo, exec_lo, s0
	v_mul_f32_e32 v6, v4, v4
	s_mov_b32 s0, 0xb94c1982
	s_mov_b32 s1, 0x37d75334
	v_and_b32_e32 v10, 1, v5
	v_lshlrev_b32_e32 v5, 30, v5
	v_fmaak_f32 v8, s0, v6, 0x3c0881c4
	v_fmaak_f32 v9, s1, v6, 0xbab64f3b
	v_xor_b32_e32 v3, v3, v2
	v_cmp_eq_u32_e32 vcc_lo, 0, v10
	v_and_b32_e32 v5, 0x80000000, v5
	v_fmaak_f32 v8, v6, v8, 0xbe2aaa9d
	v_fmaak_f32 v9, v6, v9, 0x3d2aabf7
	v_sub_f32_e32 v1, 1.0, v1
	v_mul_f32_e32 v8, v6, v8
	v_fmaak_f32 v9, v6, v9, 0xbf000004
	v_fmac_f32_e32 v4, v4, v8
	v_fma_f32 v6, v6, v9, 1.0
	v_cndmask_b32_e32 v4, v6, v4, vcc_lo
	v_cmp_class_f32_e64 vcc_lo, v2, 0x1f8
	v_xor3_b32 v3, v3, v5, v4
	v_cndmask_b32_e32 v2, 0x7fc00000, v3, vcc_lo
	v_mul_f32_e32 v2, v2, v2
	v_div_scale_f32 v3, null, v2, v2, 0xc11de9e7
	v_div_scale_f32 v6, vcc_lo, 0xc11de9e7, v2, 0xc11de9e7
	v_rcp_f32_e32 v4, v3
	v_fma_f32 v5, -v3, v4, 1.0
	v_fmac_f32_e32 v4, v5, v4
	v_mul_f32_e32 v5, v6, v4
	v_fma_f32 v8, -v3, v5, v6
	v_fmac_f32_e32 v5, v8, v4
	v_fma_f32 v3, -v3, v5, v6
	v_div_fmas_f32 v3, v3, v4, v5
	v_div_fixup_f32 v2, v3, v2, 0xc11de9e7
	v_add_f32_e32 v3, 0, v2
	v_mov_b32_e32 v2, -1.0
.LBB75_192:
	s_or_b32 exec_lo, exec_lo, s2
	v_add_f32_e32 v4, 1.0, v1
	v_mul_f32_e32 v1, v1, v1
	v_add_nc_u32_e32 v7, 0x80, v7
	v_mul_f32_e32 v5, v4, v4
	v_add_f32_e32 v4, 1.0, v4
	v_div_scale_f32 v6, null, v1, v1, 1.0
	v_div_scale_f32 v9, vcc_lo, 1.0, v1, 1.0
	v_mul_f32_e32 v10, v4, v4
	v_div_scale_f32 v8, null, v5, v5, 1.0
	v_rcp_f32_e32 v11, v6
	v_div_scale_f32 v14, s0, 1.0, v5, 1.0
	v_div_scale_f32 v13, null, v10, v10, 1.0
	v_rcp_f32_e32 v12, v8
	v_add_f32_e32 v4, 1.0, v4
	v_div_scale_f32 v15, s1, 1.0, v10, 1.0
	v_rcp_f32_e32 v16, v13
	v_fma_f32 v18, -v6, v11, 1.0
	v_mul_f32_e32 v17, v4, v4
	v_add_f32_e32 v4, 1.0, v4
	v_fma_f32 v19, -v8, v12, 1.0
	v_fmac_f32_e32 v11, v18, v11
	v_mul_f32_e32 v21, v4, v4
	v_add_f32_e32 v4, 1.0, v4
	v_fma_f32 v18, -v13, v16, 1.0
	v_fmac_f32_e32 v12, v19, v12
	v_mul_f32_e32 v22, v9, v11
	v_div_scale_f32 v20, null, v17, v17, 1.0
	v_fmac_f32_e32 v16, v18, v16
	v_mul_f32_e32 v23, v14, v12
	v_fma_f32 v24, -v6, v22, v9
	v_add_f32_e32 v27, 1.0, v4
	v_rcp_f32_e32 v19, v20
	v_mul_f32_e32 v26, v15, v16
	v_fma_f32 v25, -v8, v23, v14
	v_fmac_f32_e32 v22, v24, v11
	v_mul_f32_e32 v4, v4, v4
	v_div_scale_f32 v18, null, v21, v21, 1.0
	v_fma_f32 v24, -v13, v26, v15
	v_fmac_f32_e32 v23, v25, v12
	v_fma_f32 v6, -v6, v22, v9
	v_mul_f32_e32 v9, v27, v27
	v_rcp_f32_e32 v25, v18
	v_fmac_f32_e32 v26, v24, v16
	v_fma_f32 v8, -v8, v23, v14
	v_div_fmas_f32 v6, v6, v11, v22
	s_mov_b32 vcc_lo, s0
	v_fma_f32 v28, -v20, v19, 1.0
	v_fma_f32 v11, -v13, v26, v15
	v_div_fmas_f32 v8, v8, v12, v23
	s_mov_b32 vcc_lo, s1
	v_div_scale_f32 v12, null, v4, v4, 1.0
	v_div_fmas_f32 v11, v11, v16, v26
	v_div_scale_f32 v13, null, v9, v9, 1.0
	v_add_f32_e32 v16, v27, v27
	v_rcp_f32_e32 v15, v12
	v_fmac_f32_e32 v19, v28, v19
	v_rcp_f32_e32 v23, v13
	v_div_scale_f32 v14, vcc_lo, 1.0, v17, 1.0
	v_div_scale_f32 v26, null, v16, v16, 1.0
	v_fma_f32 v22, -v18, v25, 1.0
	v_mul_f32_e32 v24, v14, v19
	v_div_fixup_f32 v1, v6, v1, 1.0
	v_rcp_f32_e32 v29, v26
	v_fma_f32 v28, -v12, v15, 1.0
	v_fmac_f32_e32 v25, v22, v25
	v_div_scale_f32 v22, s0, 1.0, v21, 1.0
	v_fma_f32 v31, -v13, v23, 1.0
	v_fma_f32 v30, -v20, v24, v14
	v_fmac_f32_e32 v15, v28, v15
	v_div_scale_f32 v28, s1, 1.0, v4, 1.0
	v_mul_f32_e32 v32, v22, v25
	v_fmac_f32_e32 v23, v31, v23
	v_div_scale_f32 v31, s2, 1.0, v9, 1.0
	v_fma_f32 v33, -v26, v29, 1.0
	v_fmac_f32_e32 v24, v30, v19
	v_mul_f32_e32 v34, v28, v15
	v_fma_f32 v30, -v18, v32, v22
	v_mul_f32_e32 v35, v31, v23
	v_fmac_f32_e32 v29, v33, v29
	v_div_scale_f32 v33, s3, 1.0, v16, 1.0
	v_fma_f32 v14, -v20, v24, v14
	v_fma_f32 v20, -v12, v34, v28
	v_fmac_f32_e32 v32, v30, v25
	v_fma_f32 v30, -v13, v35, v31
	v_mul_f32_e32 v36, v33, v29
	v_div_fmas_f32 v14, v14, v19, v24
	v_fmac_f32_e32 v34, v20, v15
	v_fma_f32 v18, -v18, v32, v22
	v_fmac_f32_e32 v35, v30, v23
	v_fma_f32 v19, -v26, v36, v33
	s_mov_b32 vcc_lo, s0
	v_fma_f32 v12, -v12, v34, v28
	v_div_fmas_f32 v18, v18, v25, v32
	v_fma_f32 v13, -v13, v35, v31
	v_fmac_f32_e32 v36, v19, v29
	s_mov_b32 vcc_lo, s1
	s_mov_b32 s0, 0xbcc30c31
	v_div_fmas_f32 v12, v12, v15, v34
	s_mov_b32 vcc_lo, s2
	v_fma_f32 v15, -v26, v36, v33
	v_div_fmas_f32 v13, v13, v23, v35
	s_mov_b32 vcc_lo, s3
	v_add_f32_e32 v1, v3, v1
	v_div_fixup_f32 v3, v8, v5, 1.0
	v_div_fmas_f32 v15, v15, v29, v36
	v_div_fixup_f32 v9, v13, v9, 1.0
	v_add_f32_e32 v1, v1, v3
	v_div_fixup_f32 v13, v15, v16, 1.0
	v_fmaak_f32 v15, s0, v9, 0x3d088889
	v_div_fixup_f32 v3, v11, v10, 1.0
	v_add_f32_e32 v13, 1.0, v13
	v_fma_f32 v15, -v9, v15, 0x3e2aaaab
	v_add_f32_e32 v1, v1, v3
	v_div_fixup_f32 v3, v14, v17, 1.0
	v_fmac_f32_e32 v13, v9, v15
	v_add_f32_e32 v1, v1, v3
	v_div_fixup_f32 v3, v18, v21, 1.0
	v_div_scale_f32 v9, null, v27, v27, v13
	v_div_scale_f32 v5, vcc_lo, v13, v27, v13
	v_add_f32_e32 v1, v1, v3
	v_rcp_f32_e32 v15, v9
	v_div_fixup_f32 v3, v12, v4, 1.0
	v_add_f32_e32 v1, v1, v3
	v_fma_f32 v6, -v9, v15, 1.0
	v_fmac_f32_e32 v15, v6, v15
	v_mul_f32_e32 v6, v5, v15
	v_fma_f32 v8, -v9, v6, v5
	v_fmac_f32_e32 v6, v8, v15
	v_fma_f32 v5, -v9, v6, v5
	v_div_fmas_f32 v4, v5, v15, v6
	v_div_fixup_f32 v3, v4, v27, v13
	v_add_f32_e32 v1, v1, v3
	v_mul_f32_e32 v1, v2, v1
	v_bfe_u32 v2, v1, 16, 1
	v_cmp_o_f32_e32 vcc_lo, v1, v1
	v_add3_u32 v1, v1, v2, 0x7fff
	v_mov_b32_e32 v2, 0x7fc0
	v_cndmask_b32_sdwa v1, v2, v1, vcc_lo dst_sel:DWORD dst_unused:UNUSED_PAD src0_sel:DWORD src1_sel:WORD_1
	global_store_short v0, v1, s[4:5]
	s_or_b32 exec_lo, exec_lo, s30
	s_mov_b32 s30, exec_lo
	v_cmpx_gt_i32_e64 s27, v7
	s_cbranch_execnz .LBB75_15
.LBB75_193:
	s_or_b32 exec_lo, exec_lo, s30
	s_mov_b32 s30, exec_lo
	v_cmpx_gt_i32_e64 s27, v7
	s_cbranch_execz .LBB75_215
.LBB75_194:
	s_andn2_b32 vcc_lo, exec_lo, s24
	s_cbranch_vccnz .LBB75_199
; %bb.195:
	s_andn2_b32 vcc_lo, exec_lo, s29
	s_cbranch_vccnz .LBB75_200
; %bb.196:
	s_add_i32 s33, s28, 1
	s_cmp_eq_u32 s23, 2
	s_cbranch_scc1 .LBB75_223
; %bb.197:
	v_mov_b32_e32 v2, 0
	v_mov_b32_e32 v0, 0
	;; [unrolled: 1-line block ×3, first 2 shown]
	s_and_b32 s31, s33, 28
	s_mov_b32 s34, 0
	s_mov_b64 s[0:1], s[16:17]
	s_mov_b64 s[2:3], s[20:21]
.LBB75_198:                             ; =>This Inner Loop Header: Depth=1
	s_clause 0x1
	s_load_dwordx8 s[36:43], s[0:1], 0x4
	s_load_dwordx4 s[52:55], s[0:1], 0x24
	s_load_dwordx8 s[44:51], s[2:3], 0x0
	s_add_u32 s0, s0, 48
	s_addc_u32 s1, s1, 0
	s_add_i32 s34, s34, 4
	s_add_u32 s2, s2, 32
	s_addc_u32 s3, s3, 0
	s_cmp_eq_u32 s31, s34
	s_waitcnt lgkmcnt(0)
	v_mul_hi_u32 v3, s37, v1
	v_add_nc_u32_e32 v3, v1, v3
	v_lshrrev_b32_e32 v3, s38, v3
	v_mul_hi_u32 v4, s40, v3
	v_mul_lo_u32 v6, v3, s36
	v_add_nc_u32_e32 v4, v3, v4
	v_sub_nc_u32_e32 v1, v1, v6
	v_lshrrev_b32_e32 v4, s41, v4
	v_mul_lo_u32 v6, v1, s44
	v_mul_lo_u32 v9, v1, s45
	v_mul_hi_u32 v5, s43, v4
	v_add_nc_u32_e32 v5, v4, v5
	v_lshrrev_b32_e32 v5, s52, v5
	v_mul_hi_u32 v8, s54, v5
	v_mul_lo_u32 v10, v5, s42
	v_add_nc_u32_e32 v1, v5, v8
	v_mul_lo_u32 v8, v4, s39
	v_sub_nc_u32_e32 v4, v4, v10
	v_lshrrev_b32_e32 v1, s55, v1
	v_mul_lo_u32 v10, v4, s48
	v_mul_lo_u32 v4, v4, s49
	v_sub_nc_u32_e32 v3, v3, v8
	v_mul_lo_u32 v11, v1, s53
	v_mul_lo_u32 v8, v3, s46
	;; [unrolled: 1-line block ×3, first 2 shown]
	v_sub_nc_u32_e32 v5, v5, v11
	v_add3_u32 v0, v6, v0, v8
	v_mul_lo_u32 v11, v5, s50
	v_mul_lo_u32 v5, v5, s51
	v_add3_u32 v2, v9, v2, v3
	v_add3_u32 v0, v10, v0, v11
	;; [unrolled: 1-line block ×3, first 2 shown]
	s_cbranch_scc0 .LBB75_198
	s_branch .LBB75_224
.LBB75_199:
                                        ; implicit-def: $vgpr0
                                        ; implicit-def: $vgpr2
	s_branch .LBB75_228
.LBB75_200:
	v_mov_b32_e32 v0, 0
	v_mov_b32_e32 v2, 0
	s_branch .LBB75_227
.LBB75_201:
	v_mov_b32_e32 v0, 0
	v_mov_b32_e32 v2, 0
	;; [unrolled: 1-line block ×3, first 2 shown]
	s_mov_b32 s31, 0
.LBB75_202:
	s_and_b32 s33, s33, 3
	s_cmp_eq_u32 s33, 0
	s_cbranch_scc1 .LBB75_205
; %bb.203:
	s_lshl_b32 s0, s31, 3
	s_mul_i32 s2, s31, 12
	s_add_u32 s0, s16, s0
	s_addc_u32 s1, s17, 0
	s_add_u32 s0, s0, 0xc4
	s_addc_u32 s1, s1, 0
	;; [unrolled: 2-line block ×3, first 2 shown]
	.p2align	6
.LBB75_204:                             ; =>This Inner Loop Header: Depth=1
	s_clause 0x1
	s_load_dwordx2 s[34:35], s[2:3], 0x4
	s_load_dword s31, s[2:3], 0xc
	s_load_dwordx2 s[36:37], s[0:1], 0x0
	s_add_u32 s2, s2, 12
	s_addc_u32 s3, s3, 0
	s_add_u32 s0, s0, 8
	s_addc_u32 s1, s1, 0
	s_add_i32 s33, s33, -1
	s_cmp_lg_u32 s33, 0
	s_waitcnt lgkmcnt(0)
	v_mul_hi_u32 v3, s35, v1
	v_add_nc_u32_e32 v3, v1, v3
	v_lshrrev_b32_e32 v4, s31, v3
	v_mul_lo_u32 v3, v4, s34
	v_sub_nc_u32_e32 v3, v1, v3
	v_mad_u64_u32 v[0:1], null, v3, s36, v[0:1]
	v_mad_u64_u32 v[2:3], null, v3, s37, v[2:3]
	v_mov_b32_e32 v1, v4
	s_cbranch_scc1 .LBB75_204
.LBB75_205:
	s_cbranch_execnz .LBB75_208
.LBB75_206:
	s_waitcnt lgkmcnt(0)
	v_mul_hi_u32 v0, s13, v7
	s_andn2_b32 vcc_lo, exec_lo, s26
	v_add_nc_u32_e32 v0, v7, v0
	v_lshrrev_b32_e32 v1, s14, v0
	v_mul_lo_u32 v0, v1, s12
	v_sub_nc_u32_e32 v2, v7, v0
	v_mul_lo_u32 v0, v2, s8
	v_mul_lo_u32 v2, v2, s9
	s_cbranch_vccnz .LBB75_208
; %bb.207:
	v_mul_hi_u32 v3, s18, v1
	v_add_nc_u32_e32 v3, v1, v3
	v_lshrrev_b32_e32 v3, s19, v3
	v_mul_lo_u32 v3, v3, s15
	v_sub_nc_u32_e32 v3, v1, v3
	v_mad_u64_u32 v[0:1], null, v3, s10, v[0:1]
	v_mad_u64_u32 v[2:3], null, v3, s11, v[2:3]
.LBB75_208:
	s_waitcnt lgkmcnt(0)
	global_load_ushort v1, v2, s[6:7]
	v_mov_b32_e32 v3, 0
	v_mov_b32_e32 v2, 1.0
	s_mov_b32 s2, exec_lo
	s_waitcnt vmcnt(0)
	v_lshlrev_b32_e32 v1, 16, v1
	v_cmpx_gt_f32_e32 0.5, v1
	s_cbranch_execz .LBB75_214
; %bb.209:
	v_mul_f32_e32 v2, 0x40490fdb, v1
                                        ; implicit-def: $vgpr5
                                        ; implicit-def: $vgpr4
	s_mov_b32 s1, exec_lo
	v_and_b32_e32 v3, 0x7fffffff, v2
	v_cmpx_ngt_f32_e64 0x48000000, |v2|
	s_xor_b32 s3, exec_lo, s1
	s_cbranch_execz .LBB75_211
; %bb.210:
	s_mov_b32 s0, 0x7fffff
	v_mov_b32_e32 v6, 0
	v_and_or_b32 v14, v3, s0, 0x800000
	v_lshrrev_b32_e32 v12, 23, v3
	v_mad_u64_u32 v[4:5], null, 0xfe5163ab, v14, 0
	v_add_nc_u32_e32 v13, 0xffffff88, v12
	v_cmp_lt_u32_e32 vcc_lo, 63, v13
	v_mad_u64_u32 v[8:9], null, 0x3c439041, v14, v[5:6]
	v_cndmask_b32_e64 v15, 0, 0xffffffc0, vcc_lo
	v_mov_b32_e32 v5, v9
	v_add_nc_u32_e32 v15, v15, v13
	v_mad_u64_u32 v[9:10], null, 0xdb629599, v14, v[5:6]
	v_cmp_lt_u32_e64 s0, 31, v15
	v_cndmask_b32_e64 v16, 0, 0xffffffe0, s0
	v_mov_b32_e32 v5, v10
	v_cndmask_b32_e32 v4, v9, v4, vcc_lo
	v_mad_u64_u32 v[10:11], null, 0xf534ddc0, v14, v[5:6]
	v_mov_b32_e32 v5, v11
	v_cndmask_b32_e32 v8, v10, v8, vcc_lo
	v_mad_u64_u32 v[11:12], null, 0xfc2757d1, v14, v[5:6]
	v_cndmask_b32_e64 v4, v8, v4, s0
	v_mov_b32_e32 v5, v12
	v_mad_u64_u32 v[12:13], null, 0x4e441529, v14, v[5:6]
	v_mov_b32_e32 v5, v13
	v_add_nc_u32_e32 v13, v16, v15
	v_cndmask_b32_e32 v15, v12, v10, vcc_lo
	v_mad_u64_u32 v[5:6], null, 0xa2f9836e, v14, v[5:6]
	v_cmp_lt_u32_e64 s1, 31, v13
	v_cndmask_b32_e64 v14, 0, 0xffffffe0, s1
	v_cndmask_b32_e32 v5, v5, v11, vcc_lo
	v_cndmask_b32_e32 v6, v6, v12, vcc_lo
	;; [unrolled: 1-line block ×3, first 2 shown]
	v_add_nc_u32_e32 v12, v14, v13
	v_cndmask_b32_e64 v10, v5, v15, s0
	v_cndmask_b32_e64 v5, v6, v5, s0
	;; [unrolled: 1-line block ×4, first 2 shown]
	v_sub_nc_u32_e32 v13, 32, v12
	v_cmp_eq_u32_e32 vcc_lo, 0, v12
	v_cndmask_b32_e64 v5, v5, v10, s1
	v_cndmask_b32_e64 v10, v10, v6, s1
	;; [unrolled: 1-line block ×4, first 2 shown]
	v_alignbit_b32 v14, v5, v10, v13
	v_alignbit_b32 v9, v10, v6, v13
	;; [unrolled: 1-line block ×3, first 2 shown]
	v_cndmask_b32_e32 v5, v14, v5, vcc_lo
	v_cndmask_b32_e32 v8, v9, v10, vcc_lo
	;; [unrolled: 1-line block ×3, first 2 shown]
	v_bfe_u32 v9, v5, 29, 1
	v_alignbit_b32 v10, v5, v8, 30
	v_alignbit_b32 v8, v8, v6, 30
	;; [unrolled: 1-line block ×3, first 2 shown]
	v_sub_nc_u32_e32 v11, 0, v9
	v_xor_b32_e32 v10, v10, v11
	v_xor_b32_e32 v6, v8, v11
	;; [unrolled: 1-line block ×3, first 2 shown]
	v_lshrrev_b32_e32 v11, 29, v5
	v_lshrrev_b32_e32 v5, 30, v5
	v_ffbh_u32_e32 v12, v10
	v_add_nc_u32_e32 v5, v9, v5
	v_min_u32_e32 v12, 32, v12
	v_sub_nc_u32_e32 v8, 31, v12
	v_lshlrev_b32_e32 v13, 23, v12
	v_alignbit_b32 v10, v10, v6, v8
	v_alignbit_b32 v4, v6, v4, v8
	v_lshlrev_b32_e32 v6, 31, v11
	v_alignbit_b32 v8, v10, v4, 9
	v_or_b32_e32 v11, 0.5, v6
	v_lshrrev_b32_e32 v10, 9, v10
	v_or_b32_e32 v6, 0x33000000, v6
	v_ffbh_u32_e32 v14, v8
	v_sub_nc_u32_e32 v11, v11, v13
	v_min_u32_e32 v13, 32, v14
	v_or_b32_e32 v10, v10, v11
	v_not_b32_e32 v11, v13
	v_mul_f32_e32 v14, 0x3fc90fda, v10
	v_add_lshl_u32 v12, v13, v12, 23
	v_alignbit_b32 v4, v8, v4, v11
	v_fma_f32 v8, 0x3fc90fda, v10, -v14
	v_sub_nc_u32_e32 v6, v6, v12
	v_lshrrev_b32_e32 v4, 9, v4
	v_fmamk_f32 v8, v10, 0x33a22168, v8
	v_or_b32_e32 v4, v6, v4
	v_fmac_f32_e32 v8, 0x3fc90fda, v4
	v_add_f32_e32 v4, v14, v8
.LBB75_211:
	s_andn2_saveexec_b32 s0, s3
; %bb.212:
	v_mul_f32_e64 v4, 0x3f22f983, |v2|
	v_rndne_f32_e32 v5, v4
	v_fma_f32 v4, 0xbfc90fda, v5, |v2|
	v_fmamk_f32 v4, v5, 0xb3a22168, v4
	v_fmamk_f32 v4, v5, 0xa7c234c4, v4
	v_cvt_i32_f32_e32 v5, v5
; %bb.213:
	s_or_b32 exec_lo, exec_lo, s0
	v_mul_f32_e32 v6, v4, v4
	s_mov_b32 s0, 0xb94c1982
	s_mov_b32 s1, 0x37d75334
	v_and_b32_e32 v10, 1, v5
	v_lshlrev_b32_e32 v5, 30, v5
	v_fmaak_f32 v8, s0, v6, 0x3c0881c4
	v_fmaak_f32 v9, s1, v6, 0xbab64f3b
	v_xor_b32_e32 v3, v3, v2
	v_cmp_eq_u32_e32 vcc_lo, 0, v10
	v_and_b32_e32 v5, 0x80000000, v5
	v_fmaak_f32 v8, v6, v8, 0xbe2aaa9d
	v_fmaak_f32 v9, v6, v9, 0x3d2aabf7
	v_sub_f32_e32 v1, 1.0, v1
	v_mul_f32_e32 v8, v6, v8
	v_fmaak_f32 v9, v6, v9, 0xbf000004
	v_fmac_f32_e32 v4, v4, v8
	v_fma_f32 v6, v6, v9, 1.0
	v_cndmask_b32_e32 v4, v6, v4, vcc_lo
	v_cmp_class_f32_e64 vcc_lo, v2, 0x1f8
	v_xor3_b32 v3, v3, v5, v4
	v_cndmask_b32_e32 v2, 0x7fc00000, v3, vcc_lo
	v_mul_f32_e32 v2, v2, v2
	v_div_scale_f32 v3, null, v2, v2, 0xc11de9e7
	v_div_scale_f32 v6, vcc_lo, 0xc11de9e7, v2, 0xc11de9e7
	v_rcp_f32_e32 v4, v3
	v_fma_f32 v5, -v3, v4, 1.0
	v_fmac_f32_e32 v4, v5, v4
	v_mul_f32_e32 v5, v6, v4
	v_fma_f32 v8, -v3, v5, v6
	v_fmac_f32_e32 v5, v8, v4
	v_fma_f32 v3, -v3, v5, v6
	v_div_fmas_f32 v3, v3, v4, v5
	v_div_fixup_f32 v2, v3, v2, 0xc11de9e7
	v_add_f32_e32 v3, 0, v2
	v_mov_b32_e32 v2, -1.0
.LBB75_214:
	s_or_b32 exec_lo, exec_lo, s2
	v_add_f32_e32 v4, 1.0, v1
	v_mul_f32_e32 v1, v1, v1
	v_add_nc_u32_e32 v7, 0x80, v7
	v_mul_f32_e32 v5, v4, v4
	v_add_f32_e32 v4, 1.0, v4
	v_div_scale_f32 v6, null, v1, v1, 1.0
	v_div_scale_f32 v9, vcc_lo, 1.0, v1, 1.0
	v_mul_f32_e32 v10, v4, v4
	v_div_scale_f32 v8, null, v5, v5, 1.0
	v_rcp_f32_e32 v11, v6
	v_div_scale_f32 v14, s0, 1.0, v5, 1.0
	v_div_scale_f32 v13, null, v10, v10, 1.0
	v_rcp_f32_e32 v12, v8
	v_add_f32_e32 v4, 1.0, v4
	v_div_scale_f32 v15, s1, 1.0, v10, 1.0
	v_rcp_f32_e32 v16, v13
	v_fma_f32 v18, -v6, v11, 1.0
	v_mul_f32_e32 v17, v4, v4
	v_add_f32_e32 v4, 1.0, v4
	v_fma_f32 v19, -v8, v12, 1.0
	v_fmac_f32_e32 v11, v18, v11
	v_mul_f32_e32 v21, v4, v4
	v_add_f32_e32 v4, 1.0, v4
	v_fma_f32 v18, -v13, v16, 1.0
	v_fmac_f32_e32 v12, v19, v12
	v_mul_f32_e32 v22, v9, v11
	v_div_scale_f32 v20, null, v17, v17, 1.0
	v_fmac_f32_e32 v16, v18, v16
	v_mul_f32_e32 v23, v14, v12
	v_fma_f32 v24, -v6, v22, v9
	v_add_f32_e32 v27, 1.0, v4
	v_rcp_f32_e32 v19, v20
	v_mul_f32_e32 v26, v15, v16
	v_fma_f32 v25, -v8, v23, v14
	v_fmac_f32_e32 v22, v24, v11
	v_mul_f32_e32 v4, v4, v4
	v_div_scale_f32 v18, null, v21, v21, 1.0
	v_fma_f32 v24, -v13, v26, v15
	v_fmac_f32_e32 v23, v25, v12
	v_fma_f32 v6, -v6, v22, v9
	v_mul_f32_e32 v9, v27, v27
	v_rcp_f32_e32 v25, v18
	v_fmac_f32_e32 v26, v24, v16
	v_fma_f32 v8, -v8, v23, v14
	v_div_fmas_f32 v6, v6, v11, v22
	s_mov_b32 vcc_lo, s0
	v_fma_f32 v28, -v20, v19, 1.0
	v_fma_f32 v11, -v13, v26, v15
	v_div_fmas_f32 v8, v8, v12, v23
	s_mov_b32 vcc_lo, s1
	v_div_scale_f32 v12, null, v4, v4, 1.0
	v_div_fmas_f32 v11, v11, v16, v26
	v_div_scale_f32 v13, null, v9, v9, 1.0
	v_add_f32_e32 v16, v27, v27
	v_rcp_f32_e32 v15, v12
	v_fmac_f32_e32 v19, v28, v19
	v_rcp_f32_e32 v23, v13
	v_div_scale_f32 v14, vcc_lo, 1.0, v17, 1.0
	v_div_scale_f32 v26, null, v16, v16, 1.0
	v_fma_f32 v22, -v18, v25, 1.0
	v_mul_f32_e32 v24, v14, v19
	v_div_fixup_f32 v1, v6, v1, 1.0
	v_rcp_f32_e32 v29, v26
	v_fma_f32 v28, -v12, v15, 1.0
	v_fmac_f32_e32 v25, v22, v25
	v_div_scale_f32 v22, s0, 1.0, v21, 1.0
	v_fma_f32 v31, -v13, v23, 1.0
	v_fma_f32 v30, -v20, v24, v14
	v_fmac_f32_e32 v15, v28, v15
	v_div_scale_f32 v28, s1, 1.0, v4, 1.0
	v_mul_f32_e32 v32, v22, v25
	v_fmac_f32_e32 v23, v31, v23
	v_div_scale_f32 v31, s2, 1.0, v9, 1.0
	v_fma_f32 v33, -v26, v29, 1.0
	v_fmac_f32_e32 v24, v30, v19
	v_mul_f32_e32 v34, v28, v15
	v_fma_f32 v30, -v18, v32, v22
	v_mul_f32_e32 v35, v31, v23
	v_fmac_f32_e32 v29, v33, v29
	v_div_scale_f32 v33, s3, 1.0, v16, 1.0
	v_fma_f32 v14, -v20, v24, v14
	v_fma_f32 v20, -v12, v34, v28
	v_fmac_f32_e32 v32, v30, v25
	v_fma_f32 v30, -v13, v35, v31
	v_mul_f32_e32 v36, v33, v29
	v_div_fmas_f32 v14, v14, v19, v24
	v_fmac_f32_e32 v34, v20, v15
	v_fma_f32 v18, -v18, v32, v22
	v_fmac_f32_e32 v35, v30, v23
	v_fma_f32 v19, -v26, v36, v33
	s_mov_b32 vcc_lo, s0
	v_fma_f32 v12, -v12, v34, v28
	v_div_fmas_f32 v18, v18, v25, v32
	v_fma_f32 v13, -v13, v35, v31
	v_fmac_f32_e32 v36, v19, v29
	s_mov_b32 vcc_lo, s1
	s_mov_b32 s0, 0xbcc30c31
	v_div_fmas_f32 v12, v12, v15, v34
	s_mov_b32 vcc_lo, s2
	v_fma_f32 v15, -v26, v36, v33
	v_div_fmas_f32 v13, v13, v23, v35
	s_mov_b32 vcc_lo, s3
	v_add_f32_e32 v1, v3, v1
	v_div_fixup_f32 v3, v8, v5, 1.0
	v_div_fmas_f32 v15, v15, v29, v36
	v_div_fixup_f32 v9, v13, v9, 1.0
	v_add_f32_e32 v1, v1, v3
	v_div_fixup_f32 v13, v15, v16, 1.0
	v_fmaak_f32 v15, s0, v9, 0x3d088889
	v_div_fixup_f32 v3, v11, v10, 1.0
	v_add_f32_e32 v13, 1.0, v13
	v_fma_f32 v15, -v9, v15, 0x3e2aaaab
	v_add_f32_e32 v1, v1, v3
	v_div_fixup_f32 v3, v14, v17, 1.0
	v_fmac_f32_e32 v13, v9, v15
	v_add_f32_e32 v1, v1, v3
	v_div_fixup_f32 v3, v18, v21, 1.0
	v_div_scale_f32 v9, null, v27, v27, v13
	v_div_scale_f32 v5, vcc_lo, v13, v27, v13
	v_add_f32_e32 v1, v1, v3
	v_rcp_f32_e32 v15, v9
	v_div_fixup_f32 v3, v12, v4, 1.0
	v_add_f32_e32 v1, v1, v3
	v_fma_f32 v6, -v9, v15, 1.0
	v_fmac_f32_e32 v15, v6, v15
	v_mul_f32_e32 v6, v5, v15
	v_fma_f32 v8, -v9, v6, v5
	v_fmac_f32_e32 v6, v8, v15
	v_fma_f32 v5, -v9, v6, v5
	v_div_fmas_f32 v4, v5, v15, v6
	v_div_fixup_f32 v3, v4, v27, v13
	v_add_f32_e32 v1, v1, v3
	v_mul_f32_e32 v1, v2, v1
	v_bfe_u32 v2, v1, 16, 1
	v_cmp_o_f32_e32 vcc_lo, v1, v1
	v_add3_u32 v1, v1, v2, 0x7fff
	v_mov_b32_e32 v2, 0x7fc0
	v_cndmask_b32_sdwa v1, v2, v1, vcc_lo dst_sel:DWORD dst_unused:UNUSED_PAD src0_sel:DWORD src1_sel:WORD_1
	global_store_short v0, v1, s[4:5]
	s_or_b32 exec_lo, exec_lo, s30
	s_mov_b32 s30, exec_lo
	v_cmpx_gt_i32_e64 s27, v7
	s_cbranch_execnz .LBB75_194
.LBB75_215:
	s_or_b32 exec_lo, exec_lo, s30
	s_mov_b32 s30, exec_lo
	v_cmpx_gt_i32_e64 s27, v7
	s_cbranch_execz .LBB75_237
.LBB75_216:
	s_andn2_b32 vcc_lo, exec_lo, s24
	s_cbranch_vccnz .LBB75_221
; %bb.217:
	s_andn2_b32 vcc_lo, exec_lo, s29
	s_cbranch_vccnz .LBB75_222
; %bb.218:
	s_add_i32 s33, s28, 1
	s_cmp_eq_u32 s23, 2
	s_cbranch_scc1 .LBB75_245
; %bb.219:
	v_mov_b32_e32 v2, 0
	v_mov_b32_e32 v0, 0
	;; [unrolled: 1-line block ×3, first 2 shown]
	s_and_b32 s31, s33, 28
	s_mov_b32 s34, 0
	s_mov_b64 s[0:1], s[16:17]
	s_mov_b64 s[2:3], s[20:21]
.LBB75_220:                             ; =>This Inner Loop Header: Depth=1
	s_clause 0x1
	s_load_dwordx8 s[36:43], s[0:1], 0x4
	s_load_dwordx4 s[52:55], s[0:1], 0x24
	s_load_dwordx8 s[44:51], s[2:3], 0x0
	s_add_u32 s0, s0, 48
	s_addc_u32 s1, s1, 0
	s_add_i32 s34, s34, 4
	s_add_u32 s2, s2, 32
	s_addc_u32 s3, s3, 0
	s_cmp_eq_u32 s31, s34
	s_waitcnt lgkmcnt(0)
	v_mul_hi_u32 v3, s37, v1
	v_add_nc_u32_e32 v3, v1, v3
	v_lshrrev_b32_e32 v3, s38, v3
	v_mul_hi_u32 v4, s40, v3
	v_mul_lo_u32 v6, v3, s36
	v_add_nc_u32_e32 v4, v3, v4
	v_sub_nc_u32_e32 v1, v1, v6
	v_lshrrev_b32_e32 v4, s41, v4
	v_mul_lo_u32 v6, v1, s44
	v_mul_lo_u32 v9, v1, s45
	v_mul_hi_u32 v5, s43, v4
	v_add_nc_u32_e32 v5, v4, v5
	v_lshrrev_b32_e32 v5, s52, v5
	v_mul_hi_u32 v8, s54, v5
	v_mul_lo_u32 v10, v5, s42
	v_add_nc_u32_e32 v1, v5, v8
	v_mul_lo_u32 v8, v4, s39
	v_sub_nc_u32_e32 v4, v4, v10
	v_lshrrev_b32_e32 v1, s55, v1
	v_mul_lo_u32 v10, v4, s48
	v_mul_lo_u32 v4, v4, s49
	v_sub_nc_u32_e32 v3, v3, v8
	v_mul_lo_u32 v11, v1, s53
	v_mul_lo_u32 v8, v3, s46
	;; [unrolled: 1-line block ×3, first 2 shown]
	v_sub_nc_u32_e32 v5, v5, v11
	v_add3_u32 v0, v6, v0, v8
	v_mul_lo_u32 v11, v5, s50
	v_mul_lo_u32 v5, v5, s51
	v_add3_u32 v2, v9, v2, v3
	v_add3_u32 v0, v10, v0, v11
	v_add3_u32 v2, v4, v2, v5
	s_cbranch_scc0 .LBB75_220
	s_branch .LBB75_246
.LBB75_221:
                                        ; implicit-def: $vgpr0
                                        ; implicit-def: $vgpr2
	s_branch .LBB75_250
.LBB75_222:
	v_mov_b32_e32 v0, 0
	v_mov_b32_e32 v2, 0
	s_branch .LBB75_249
.LBB75_223:
	v_mov_b32_e32 v0, 0
	v_mov_b32_e32 v2, 0
	;; [unrolled: 1-line block ×3, first 2 shown]
	s_mov_b32 s31, 0
.LBB75_224:
	s_and_b32 s33, s33, 3
	s_cmp_eq_u32 s33, 0
	s_cbranch_scc1 .LBB75_227
; %bb.225:
	s_lshl_b32 s0, s31, 3
	s_mul_i32 s2, s31, 12
	s_add_u32 s0, s16, s0
	s_addc_u32 s1, s17, 0
	s_add_u32 s0, s0, 0xc4
	s_addc_u32 s1, s1, 0
	;; [unrolled: 2-line block ×3, first 2 shown]
	.p2align	6
.LBB75_226:                             ; =>This Inner Loop Header: Depth=1
	s_clause 0x1
	s_load_dwordx2 s[34:35], s[2:3], 0x4
	s_load_dword s31, s[2:3], 0xc
	s_load_dwordx2 s[36:37], s[0:1], 0x0
	s_add_u32 s2, s2, 12
	s_addc_u32 s3, s3, 0
	s_add_u32 s0, s0, 8
	s_addc_u32 s1, s1, 0
	s_add_i32 s33, s33, -1
	s_cmp_lg_u32 s33, 0
	s_waitcnt lgkmcnt(0)
	v_mul_hi_u32 v3, s35, v1
	v_add_nc_u32_e32 v3, v1, v3
	v_lshrrev_b32_e32 v4, s31, v3
	v_mul_lo_u32 v3, v4, s34
	v_sub_nc_u32_e32 v3, v1, v3
	v_mad_u64_u32 v[0:1], null, v3, s36, v[0:1]
	v_mad_u64_u32 v[2:3], null, v3, s37, v[2:3]
	v_mov_b32_e32 v1, v4
	s_cbranch_scc1 .LBB75_226
.LBB75_227:
	s_cbranch_execnz .LBB75_230
.LBB75_228:
	s_waitcnt lgkmcnt(0)
	v_mul_hi_u32 v0, s13, v7
	s_andn2_b32 vcc_lo, exec_lo, s26
	v_add_nc_u32_e32 v0, v7, v0
	v_lshrrev_b32_e32 v1, s14, v0
	v_mul_lo_u32 v0, v1, s12
	v_sub_nc_u32_e32 v2, v7, v0
	v_mul_lo_u32 v0, v2, s8
	v_mul_lo_u32 v2, v2, s9
	s_cbranch_vccnz .LBB75_230
; %bb.229:
	v_mul_hi_u32 v3, s18, v1
	v_add_nc_u32_e32 v3, v1, v3
	v_lshrrev_b32_e32 v3, s19, v3
	v_mul_lo_u32 v3, v3, s15
	v_sub_nc_u32_e32 v3, v1, v3
	v_mad_u64_u32 v[0:1], null, v3, s10, v[0:1]
	v_mad_u64_u32 v[2:3], null, v3, s11, v[2:3]
.LBB75_230:
	s_waitcnt lgkmcnt(0)
	global_load_ushort v1, v2, s[6:7]
	v_mov_b32_e32 v3, 0
	v_mov_b32_e32 v2, 1.0
	s_mov_b32 s2, exec_lo
	s_waitcnt vmcnt(0)
	v_lshlrev_b32_e32 v1, 16, v1
	v_cmpx_gt_f32_e32 0.5, v1
	s_cbranch_execz .LBB75_236
; %bb.231:
	v_mul_f32_e32 v2, 0x40490fdb, v1
                                        ; implicit-def: $vgpr5
                                        ; implicit-def: $vgpr4
	s_mov_b32 s1, exec_lo
	v_and_b32_e32 v3, 0x7fffffff, v2
	v_cmpx_ngt_f32_e64 0x48000000, |v2|
	s_xor_b32 s3, exec_lo, s1
	s_cbranch_execz .LBB75_233
; %bb.232:
	s_mov_b32 s0, 0x7fffff
	v_mov_b32_e32 v6, 0
	v_and_or_b32 v14, v3, s0, 0x800000
	v_lshrrev_b32_e32 v12, 23, v3
	v_mad_u64_u32 v[4:5], null, 0xfe5163ab, v14, 0
	v_add_nc_u32_e32 v13, 0xffffff88, v12
	v_cmp_lt_u32_e32 vcc_lo, 63, v13
	v_mad_u64_u32 v[8:9], null, 0x3c439041, v14, v[5:6]
	v_cndmask_b32_e64 v15, 0, 0xffffffc0, vcc_lo
	v_mov_b32_e32 v5, v9
	v_add_nc_u32_e32 v15, v15, v13
	v_mad_u64_u32 v[9:10], null, 0xdb629599, v14, v[5:6]
	v_cmp_lt_u32_e64 s0, 31, v15
	v_cndmask_b32_e64 v16, 0, 0xffffffe0, s0
	v_mov_b32_e32 v5, v10
	v_cndmask_b32_e32 v4, v9, v4, vcc_lo
	v_mad_u64_u32 v[10:11], null, 0xf534ddc0, v14, v[5:6]
	v_mov_b32_e32 v5, v11
	v_cndmask_b32_e32 v8, v10, v8, vcc_lo
	v_mad_u64_u32 v[11:12], null, 0xfc2757d1, v14, v[5:6]
	v_cndmask_b32_e64 v4, v8, v4, s0
	v_mov_b32_e32 v5, v12
	v_mad_u64_u32 v[12:13], null, 0x4e441529, v14, v[5:6]
	v_mov_b32_e32 v5, v13
	v_add_nc_u32_e32 v13, v16, v15
	v_cndmask_b32_e32 v15, v12, v10, vcc_lo
	v_mad_u64_u32 v[5:6], null, 0xa2f9836e, v14, v[5:6]
	v_cmp_lt_u32_e64 s1, 31, v13
	v_cndmask_b32_e64 v14, 0, 0xffffffe0, s1
	v_cndmask_b32_e32 v5, v5, v11, vcc_lo
	v_cndmask_b32_e32 v6, v6, v12, vcc_lo
	v_cndmask_b32_e32 v11, v11, v9, vcc_lo
	v_add_nc_u32_e32 v12, v14, v13
	v_cndmask_b32_e64 v10, v5, v15, s0
	v_cndmask_b32_e64 v5, v6, v5, s0
	;; [unrolled: 1-line block ×4, first 2 shown]
	v_sub_nc_u32_e32 v13, 32, v12
	v_cmp_eq_u32_e32 vcc_lo, 0, v12
	v_cndmask_b32_e64 v5, v5, v10, s1
	v_cndmask_b32_e64 v10, v10, v6, s1
	v_cndmask_b32_e64 v6, v6, v11, s1
	v_cndmask_b32_e64 v4, v11, v4, s1
	v_alignbit_b32 v14, v5, v10, v13
	v_alignbit_b32 v9, v10, v6, v13
	;; [unrolled: 1-line block ×3, first 2 shown]
	v_cndmask_b32_e32 v5, v14, v5, vcc_lo
	v_cndmask_b32_e32 v8, v9, v10, vcc_lo
	;; [unrolled: 1-line block ×3, first 2 shown]
	v_bfe_u32 v9, v5, 29, 1
	v_alignbit_b32 v10, v5, v8, 30
	v_alignbit_b32 v8, v8, v6, 30
	;; [unrolled: 1-line block ×3, first 2 shown]
	v_sub_nc_u32_e32 v11, 0, v9
	v_xor_b32_e32 v10, v10, v11
	v_xor_b32_e32 v6, v8, v11
	;; [unrolled: 1-line block ×3, first 2 shown]
	v_lshrrev_b32_e32 v11, 29, v5
	v_lshrrev_b32_e32 v5, 30, v5
	v_ffbh_u32_e32 v12, v10
	v_add_nc_u32_e32 v5, v9, v5
	v_min_u32_e32 v12, 32, v12
	v_sub_nc_u32_e32 v8, 31, v12
	v_lshlrev_b32_e32 v13, 23, v12
	v_alignbit_b32 v10, v10, v6, v8
	v_alignbit_b32 v4, v6, v4, v8
	v_lshlrev_b32_e32 v6, 31, v11
	v_alignbit_b32 v8, v10, v4, 9
	v_or_b32_e32 v11, 0.5, v6
	v_lshrrev_b32_e32 v10, 9, v10
	v_or_b32_e32 v6, 0x33000000, v6
	v_ffbh_u32_e32 v14, v8
	v_sub_nc_u32_e32 v11, v11, v13
	v_min_u32_e32 v13, 32, v14
	v_or_b32_e32 v10, v10, v11
	v_not_b32_e32 v11, v13
	v_mul_f32_e32 v14, 0x3fc90fda, v10
	v_add_lshl_u32 v12, v13, v12, 23
	v_alignbit_b32 v4, v8, v4, v11
	v_fma_f32 v8, 0x3fc90fda, v10, -v14
	v_sub_nc_u32_e32 v6, v6, v12
	v_lshrrev_b32_e32 v4, 9, v4
	v_fmamk_f32 v8, v10, 0x33a22168, v8
	v_or_b32_e32 v4, v6, v4
	v_fmac_f32_e32 v8, 0x3fc90fda, v4
	v_add_f32_e32 v4, v14, v8
.LBB75_233:
	s_andn2_saveexec_b32 s0, s3
; %bb.234:
	v_mul_f32_e64 v4, 0x3f22f983, |v2|
	v_rndne_f32_e32 v5, v4
	v_fma_f32 v4, 0xbfc90fda, v5, |v2|
	v_fmamk_f32 v4, v5, 0xb3a22168, v4
	v_fmamk_f32 v4, v5, 0xa7c234c4, v4
	v_cvt_i32_f32_e32 v5, v5
; %bb.235:
	s_or_b32 exec_lo, exec_lo, s0
	v_mul_f32_e32 v6, v4, v4
	s_mov_b32 s0, 0xb94c1982
	s_mov_b32 s1, 0x37d75334
	v_and_b32_e32 v10, 1, v5
	v_lshlrev_b32_e32 v5, 30, v5
	v_fmaak_f32 v8, s0, v6, 0x3c0881c4
	v_fmaak_f32 v9, s1, v6, 0xbab64f3b
	v_xor_b32_e32 v3, v3, v2
	v_cmp_eq_u32_e32 vcc_lo, 0, v10
	v_and_b32_e32 v5, 0x80000000, v5
	v_fmaak_f32 v8, v6, v8, 0xbe2aaa9d
	v_fmaak_f32 v9, v6, v9, 0x3d2aabf7
	v_sub_f32_e32 v1, 1.0, v1
	v_mul_f32_e32 v8, v6, v8
	v_fmaak_f32 v9, v6, v9, 0xbf000004
	v_fmac_f32_e32 v4, v4, v8
	v_fma_f32 v6, v6, v9, 1.0
	v_cndmask_b32_e32 v4, v6, v4, vcc_lo
	v_cmp_class_f32_e64 vcc_lo, v2, 0x1f8
	v_xor3_b32 v3, v3, v5, v4
	v_cndmask_b32_e32 v2, 0x7fc00000, v3, vcc_lo
	v_mul_f32_e32 v2, v2, v2
	v_div_scale_f32 v3, null, v2, v2, 0xc11de9e7
	v_div_scale_f32 v6, vcc_lo, 0xc11de9e7, v2, 0xc11de9e7
	v_rcp_f32_e32 v4, v3
	v_fma_f32 v5, -v3, v4, 1.0
	v_fmac_f32_e32 v4, v5, v4
	v_mul_f32_e32 v5, v6, v4
	v_fma_f32 v8, -v3, v5, v6
	v_fmac_f32_e32 v5, v8, v4
	v_fma_f32 v3, -v3, v5, v6
	v_div_fmas_f32 v3, v3, v4, v5
	v_div_fixup_f32 v2, v3, v2, 0xc11de9e7
	v_add_f32_e32 v3, 0, v2
	v_mov_b32_e32 v2, -1.0
.LBB75_236:
	s_or_b32 exec_lo, exec_lo, s2
	v_add_f32_e32 v4, 1.0, v1
	v_mul_f32_e32 v1, v1, v1
	v_add_nc_u32_e32 v7, 0x80, v7
	v_mul_f32_e32 v5, v4, v4
	v_add_f32_e32 v4, 1.0, v4
	v_div_scale_f32 v6, null, v1, v1, 1.0
	v_div_scale_f32 v9, vcc_lo, 1.0, v1, 1.0
	v_mul_f32_e32 v10, v4, v4
	v_div_scale_f32 v8, null, v5, v5, 1.0
	v_rcp_f32_e32 v11, v6
	v_div_scale_f32 v14, s0, 1.0, v5, 1.0
	v_div_scale_f32 v13, null, v10, v10, 1.0
	v_rcp_f32_e32 v12, v8
	v_add_f32_e32 v4, 1.0, v4
	v_div_scale_f32 v15, s1, 1.0, v10, 1.0
	v_rcp_f32_e32 v16, v13
	v_fma_f32 v18, -v6, v11, 1.0
	v_mul_f32_e32 v17, v4, v4
	v_add_f32_e32 v4, 1.0, v4
	v_fma_f32 v19, -v8, v12, 1.0
	v_fmac_f32_e32 v11, v18, v11
	v_mul_f32_e32 v21, v4, v4
	v_add_f32_e32 v4, 1.0, v4
	v_fma_f32 v18, -v13, v16, 1.0
	v_fmac_f32_e32 v12, v19, v12
	v_mul_f32_e32 v22, v9, v11
	v_div_scale_f32 v20, null, v17, v17, 1.0
	v_fmac_f32_e32 v16, v18, v16
	v_mul_f32_e32 v23, v14, v12
	v_fma_f32 v24, -v6, v22, v9
	v_add_f32_e32 v27, 1.0, v4
	v_rcp_f32_e32 v19, v20
	v_mul_f32_e32 v26, v15, v16
	v_fma_f32 v25, -v8, v23, v14
	v_fmac_f32_e32 v22, v24, v11
	v_mul_f32_e32 v4, v4, v4
	v_div_scale_f32 v18, null, v21, v21, 1.0
	v_fma_f32 v24, -v13, v26, v15
	v_fmac_f32_e32 v23, v25, v12
	v_fma_f32 v6, -v6, v22, v9
	v_mul_f32_e32 v9, v27, v27
	v_rcp_f32_e32 v25, v18
	v_fmac_f32_e32 v26, v24, v16
	v_fma_f32 v8, -v8, v23, v14
	v_div_fmas_f32 v6, v6, v11, v22
	s_mov_b32 vcc_lo, s0
	v_fma_f32 v28, -v20, v19, 1.0
	v_fma_f32 v11, -v13, v26, v15
	v_div_fmas_f32 v8, v8, v12, v23
	s_mov_b32 vcc_lo, s1
	v_div_scale_f32 v12, null, v4, v4, 1.0
	v_div_fmas_f32 v11, v11, v16, v26
	v_div_scale_f32 v13, null, v9, v9, 1.0
	v_add_f32_e32 v16, v27, v27
	v_rcp_f32_e32 v15, v12
	v_fmac_f32_e32 v19, v28, v19
	v_rcp_f32_e32 v23, v13
	v_div_scale_f32 v14, vcc_lo, 1.0, v17, 1.0
	v_div_scale_f32 v26, null, v16, v16, 1.0
	v_fma_f32 v22, -v18, v25, 1.0
	v_mul_f32_e32 v24, v14, v19
	v_div_fixup_f32 v1, v6, v1, 1.0
	v_rcp_f32_e32 v29, v26
	v_fma_f32 v28, -v12, v15, 1.0
	v_fmac_f32_e32 v25, v22, v25
	v_div_scale_f32 v22, s0, 1.0, v21, 1.0
	v_fma_f32 v31, -v13, v23, 1.0
	v_fma_f32 v30, -v20, v24, v14
	v_fmac_f32_e32 v15, v28, v15
	v_div_scale_f32 v28, s1, 1.0, v4, 1.0
	v_mul_f32_e32 v32, v22, v25
	v_fmac_f32_e32 v23, v31, v23
	v_div_scale_f32 v31, s2, 1.0, v9, 1.0
	v_fma_f32 v33, -v26, v29, 1.0
	v_fmac_f32_e32 v24, v30, v19
	v_mul_f32_e32 v34, v28, v15
	v_fma_f32 v30, -v18, v32, v22
	v_mul_f32_e32 v35, v31, v23
	v_fmac_f32_e32 v29, v33, v29
	v_div_scale_f32 v33, s3, 1.0, v16, 1.0
	v_fma_f32 v14, -v20, v24, v14
	v_fma_f32 v20, -v12, v34, v28
	v_fmac_f32_e32 v32, v30, v25
	v_fma_f32 v30, -v13, v35, v31
	v_mul_f32_e32 v36, v33, v29
	v_div_fmas_f32 v14, v14, v19, v24
	v_fmac_f32_e32 v34, v20, v15
	v_fma_f32 v18, -v18, v32, v22
	v_fmac_f32_e32 v35, v30, v23
	v_fma_f32 v19, -v26, v36, v33
	s_mov_b32 vcc_lo, s0
	v_fma_f32 v12, -v12, v34, v28
	v_div_fmas_f32 v18, v18, v25, v32
	v_fma_f32 v13, -v13, v35, v31
	v_fmac_f32_e32 v36, v19, v29
	s_mov_b32 vcc_lo, s1
	s_mov_b32 s0, 0xbcc30c31
	v_div_fmas_f32 v12, v12, v15, v34
	s_mov_b32 vcc_lo, s2
	v_fma_f32 v15, -v26, v36, v33
	v_div_fmas_f32 v13, v13, v23, v35
	s_mov_b32 vcc_lo, s3
	v_add_f32_e32 v1, v3, v1
	v_div_fixup_f32 v3, v8, v5, 1.0
	v_div_fmas_f32 v15, v15, v29, v36
	v_div_fixup_f32 v9, v13, v9, 1.0
	v_add_f32_e32 v1, v1, v3
	v_div_fixup_f32 v13, v15, v16, 1.0
	v_fmaak_f32 v15, s0, v9, 0x3d088889
	v_div_fixup_f32 v3, v11, v10, 1.0
	v_add_f32_e32 v13, 1.0, v13
	v_fma_f32 v15, -v9, v15, 0x3e2aaaab
	v_add_f32_e32 v1, v1, v3
	v_div_fixup_f32 v3, v14, v17, 1.0
	v_fmac_f32_e32 v13, v9, v15
	v_add_f32_e32 v1, v1, v3
	v_div_fixup_f32 v3, v18, v21, 1.0
	v_div_scale_f32 v9, null, v27, v27, v13
	v_div_scale_f32 v5, vcc_lo, v13, v27, v13
	v_add_f32_e32 v1, v1, v3
	v_rcp_f32_e32 v15, v9
	v_div_fixup_f32 v3, v12, v4, 1.0
	v_add_f32_e32 v1, v1, v3
	v_fma_f32 v6, -v9, v15, 1.0
	v_fmac_f32_e32 v15, v6, v15
	v_mul_f32_e32 v6, v5, v15
	v_fma_f32 v8, -v9, v6, v5
	v_fmac_f32_e32 v6, v8, v15
	v_fma_f32 v5, -v9, v6, v5
	v_div_fmas_f32 v4, v5, v15, v6
	v_div_fixup_f32 v3, v4, v27, v13
	v_add_f32_e32 v1, v1, v3
	v_mul_f32_e32 v1, v2, v1
	v_bfe_u32 v2, v1, 16, 1
	v_cmp_o_f32_e32 vcc_lo, v1, v1
	v_add3_u32 v1, v1, v2, 0x7fff
	v_mov_b32_e32 v2, 0x7fc0
	v_cndmask_b32_sdwa v1, v2, v1, vcc_lo dst_sel:DWORD dst_unused:UNUSED_PAD src0_sel:DWORD src1_sel:WORD_1
	global_store_short v0, v1, s[4:5]
	s_or_b32 exec_lo, exec_lo, s30
	s_mov_b32 s30, exec_lo
	v_cmpx_gt_i32_e64 s27, v7
	s_cbranch_execnz .LBB75_216
.LBB75_237:
	s_or_b32 exec_lo, exec_lo, s30
	s_mov_b32 s30, exec_lo
	v_cmpx_gt_i32_e64 s27, v7
	s_cbranch_execz .LBB75_259
.LBB75_238:
	s_andn2_b32 vcc_lo, exec_lo, s24
	s_cbranch_vccnz .LBB75_243
; %bb.239:
	s_andn2_b32 vcc_lo, exec_lo, s29
	s_cbranch_vccnz .LBB75_244
; %bb.240:
	s_add_i32 s33, s28, 1
	s_cmp_eq_u32 s23, 2
	s_cbranch_scc1 .LBB75_267
; %bb.241:
	v_mov_b32_e32 v2, 0
	v_mov_b32_e32 v0, 0
	;; [unrolled: 1-line block ×3, first 2 shown]
	s_and_b32 s31, s33, 28
	s_mov_b32 s34, 0
	s_mov_b64 s[0:1], s[16:17]
	s_mov_b64 s[2:3], s[20:21]
.LBB75_242:                             ; =>This Inner Loop Header: Depth=1
	s_clause 0x1
	s_load_dwordx8 s[36:43], s[0:1], 0x4
	s_load_dwordx4 s[52:55], s[0:1], 0x24
	s_load_dwordx8 s[44:51], s[2:3], 0x0
	s_add_u32 s0, s0, 48
	s_addc_u32 s1, s1, 0
	s_add_i32 s34, s34, 4
	s_add_u32 s2, s2, 32
	s_addc_u32 s3, s3, 0
	s_cmp_eq_u32 s31, s34
	s_waitcnt lgkmcnt(0)
	v_mul_hi_u32 v3, s37, v1
	v_add_nc_u32_e32 v3, v1, v3
	v_lshrrev_b32_e32 v3, s38, v3
	v_mul_hi_u32 v4, s40, v3
	v_mul_lo_u32 v6, v3, s36
	v_add_nc_u32_e32 v4, v3, v4
	v_sub_nc_u32_e32 v1, v1, v6
	v_lshrrev_b32_e32 v4, s41, v4
	v_mul_lo_u32 v6, v1, s44
	v_mul_lo_u32 v9, v1, s45
	v_mul_hi_u32 v5, s43, v4
	v_add_nc_u32_e32 v5, v4, v5
	v_lshrrev_b32_e32 v5, s52, v5
	v_mul_hi_u32 v8, s54, v5
	v_mul_lo_u32 v10, v5, s42
	v_add_nc_u32_e32 v1, v5, v8
	v_mul_lo_u32 v8, v4, s39
	v_sub_nc_u32_e32 v4, v4, v10
	v_lshrrev_b32_e32 v1, s55, v1
	v_mul_lo_u32 v10, v4, s48
	v_mul_lo_u32 v4, v4, s49
	v_sub_nc_u32_e32 v3, v3, v8
	v_mul_lo_u32 v11, v1, s53
	v_mul_lo_u32 v8, v3, s46
	;; [unrolled: 1-line block ×3, first 2 shown]
	v_sub_nc_u32_e32 v5, v5, v11
	v_add3_u32 v0, v6, v0, v8
	v_mul_lo_u32 v11, v5, s50
	v_mul_lo_u32 v5, v5, s51
	v_add3_u32 v2, v9, v2, v3
	v_add3_u32 v0, v10, v0, v11
	;; [unrolled: 1-line block ×3, first 2 shown]
	s_cbranch_scc0 .LBB75_242
	s_branch .LBB75_268
.LBB75_243:
                                        ; implicit-def: $vgpr0
                                        ; implicit-def: $vgpr2
	s_branch .LBB75_272
.LBB75_244:
	v_mov_b32_e32 v0, 0
	v_mov_b32_e32 v2, 0
	s_branch .LBB75_271
.LBB75_245:
	v_mov_b32_e32 v0, 0
	v_mov_b32_e32 v2, 0
	;; [unrolled: 1-line block ×3, first 2 shown]
	s_mov_b32 s31, 0
.LBB75_246:
	s_and_b32 s33, s33, 3
	s_cmp_eq_u32 s33, 0
	s_cbranch_scc1 .LBB75_249
; %bb.247:
	s_lshl_b32 s0, s31, 3
	s_mul_i32 s2, s31, 12
	s_add_u32 s0, s16, s0
	s_addc_u32 s1, s17, 0
	s_add_u32 s0, s0, 0xc4
	s_addc_u32 s1, s1, 0
	;; [unrolled: 2-line block ×3, first 2 shown]
	.p2align	6
.LBB75_248:                             ; =>This Inner Loop Header: Depth=1
	s_clause 0x1
	s_load_dwordx2 s[34:35], s[2:3], 0x4
	s_load_dword s31, s[2:3], 0xc
	s_load_dwordx2 s[36:37], s[0:1], 0x0
	s_add_u32 s2, s2, 12
	s_addc_u32 s3, s3, 0
	s_add_u32 s0, s0, 8
	s_addc_u32 s1, s1, 0
	s_add_i32 s33, s33, -1
	s_cmp_lg_u32 s33, 0
	s_waitcnt lgkmcnt(0)
	v_mul_hi_u32 v3, s35, v1
	v_add_nc_u32_e32 v3, v1, v3
	v_lshrrev_b32_e32 v4, s31, v3
	v_mul_lo_u32 v3, v4, s34
	v_sub_nc_u32_e32 v3, v1, v3
	v_mad_u64_u32 v[0:1], null, v3, s36, v[0:1]
	v_mad_u64_u32 v[2:3], null, v3, s37, v[2:3]
	v_mov_b32_e32 v1, v4
	s_cbranch_scc1 .LBB75_248
.LBB75_249:
	s_cbranch_execnz .LBB75_252
.LBB75_250:
	s_waitcnt lgkmcnt(0)
	v_mul_hi_u32 v0, s13, v7
	s_andn2_b32 vcc_lo, exec_lo, s26
	v_add_nc_u32_e32 v0, v7, v0
	v_lshrrev_b32_e32 v1, s14, v0
	v_mul_lo_u32 v0, v1, s12
	v_sub_nc_u32_e32 v2, v7, v0
	v_mul_lo_u32 v0, v2, s8
	v_mul_lo_u32 v2, v2, s9
	s_cbranch_vccnz .LBB75_252
; %bb.251:
	v_mul_hi_u32 v3, s18, v1
	v_add_nc_u32_e32 v3, v1, v3
	v_lshrrev_b32_e32 v3, s19, v3
	v_mul_lo_u32 v3, v3, s15
	v_sub_nc_u32_e32 v3, v1, v3
	v_mad_u64_u32 v[0:1], null, v3, s10, v[0:1]
	v_mad_u64_u32 v[2:3], null, v3, s11, v[2:3]
.LBB75_252:
	s_waitcnt lgkmcnt(0)
	global_load_ushort v1, v2, s[6:7]
	v_mov_b32_e32 v3, 0
	v_mov_b32_e32 v2, 1.0
	s_mov_b32 s2, exec_lo
	s_waitcnt vmcnt(0)
	v_lshlrev_b32_e32 v1, 16, v1
	v_cmpx_gt_f32_e32 0.5, v1
	s_cbranch_execz .LBB75_258
; %bb.253:
	v_mul_f32_e32 v2, 0x40490fdb, v1
                                        ; implicit-def: $vgpr5
                                        ; implicit-def: $vgpr4
	s_mov_b32 s1, exec_lo
	v_and_b32_e32 v3, 0x7fffffff, v2
	v_cmpx_ngt_f32_e64 0x48000000, |v2|
	s_xor_b32 s3, exec_lo, s1
	s_cbranch_execz .LBB75_255
; %bb.254:
	s_mov_b32 s0, 0x7fffff
	v_mov_b32_e32 v6, 0
	v_and_or_b32 v14, v3, s0, 0x800000
	v_lshrrev_b32_e32 v12, 23, v3
	v_mad_u64_u32 v[4:5], null, 0xfe5163ab, v14, 0
	v_add_nc_u32_e32 v13, 0xffffff88, v12
	v_cmp_lt_u32_e32 vcc_lo, 63, v13
	v_mad_u64_u32 v[8:9], null, 0x3c439041, v14, v[5:6]
	v_cndmask_b32_e64 v15, 0, 0xffffffc0, vcc_lo
	v_mov_b32_e32 v5, v9
	v_add_nc_u32_e32 v15, v15, v13
	v_mad_u64_u32 v[9:10], null, 0xdb629599, v14, v[5:6]
	v_cmp_lt_u32_e64 s0, 31, v15
	v_cndmask_b32_e64 v16, 0, 0xffffffe0, s0
	v_mov_b32_e32 v5, v10
	v_cndmask_b32_e32 v4, v9, v4, vcc_lo
	v_mad_u64_u32 v[10:11], null, 0xf534ddc0, v14, v[5:6]
	v_mov_b32_e32 v5, v11
	v_cndmask_b32_e32 v8, v10, v8, vcc_lo
	v_mad_u64_u32 v[11:12], null, 0xfc2757d1, v14, v[5:6]
	v_cndmask_b32_e64 v4, v8, v4, s0
	v_mov_b32_e32 v5, v12
	v_mad_u64_u32 v[12:13], null, 0x4e441529, v14, v[5:6]
	v_mov_b32_e32 v5, v13
	v_add_nc_u32_e32 v13, v16, v15
	v_cndmask_b32_e32 v15, v12, v10, vcc_lo
	v_mad_u64_u32 v[5:6], null, 0xa2f9836e, v14, v[5:6]
	v_cmp_lt_u32_e64 s1, 31, v13
	v_cndmask_b32_e64 v14, 0, 0xffffffe0, s1
	v_cndmask_b32_e32 v5, v5, v11, vcc_lo
	v_cndmask_b32_e32 v6, v6, v12, vcc_lo
	;; [unrolled: 1-line block ×3, first 2 shown]
	v_add_nc_u32_e32 v12, v14, v13
	v_cndmask_b32_e64 v10, v5, v15, s0
	v_cndmask_b32_e64 v5, v6, v5, s0
	;; [unrolled: 1-line block ×4, first 2 shown]
	v_sub_nc_u32_e32 v13, 32, v12
	v_cmp_eq_u32_e32 vcc_lo, 0, v12
	v_cndmask_b32_e64 v5, v5, v10, s1
	v_cndmask_b32_e64 v10, v10, v6, s1
	;; [unrolled: 1-line block ×4, first 2 shown]
	v_alignbit_b32 v14, v5, v10, v13
	v_alignbit_b32 v9, v10, v6, v13
	;; [unrolled: 1-line block ×3, first 2 shown]
	v_cndmask_b32_e32 v5, v14, v5, vcc_lo
	v_cndmask_b32_e32 v8, v9, v10, vcc_lo
	;; [unrolled: 1-line block ×3, first 2 shown]
	v_bfe_u32 v9, v5, 29, 1
	v_alignbit_b32 v10, v5, v8, 30
	v_alignbit_b32 v8, v8, v6, 30
	;; [unrolled: 1-line block ×3, first 2 shown]
	v_sub_nc_u32_e32 v11, 0, v9
	v_xor_b32_e32 v10, v10, v11
	v_xor_b32_e32 v6, v8, v11
	;; [unrolled: 1-line block ×3, first 2 shown]
	v_lshrrev_b32_e32 v11, 29, v5
	v_lshrrev_b32_e32 v5, 30, v5
	v_ffbh_u32_e32 v12, v10
	v_add_nc_u32_e32 v5, v9, v5
	v_min_u32_e32 v12, 32, v12
	v_sub_nc_u32_e32 v8, 31, v12
	v_lshlrev_b32_e32 v13, 23, v12
	v_alignbit_b32 v10, v10, v6, v8
	v_alignbit_b32 v4, v6, v4, v8
	v_lshlrev_b32_e32 v6, 31, v11
	v_alignbit_b32 v8, v10, v4, 9
	v_or_b32_e32 v11, 0.5, v6
	v_lshrrev_b32_e32 v10, 9, v10
	v_or_b32_e32 v6, 0x33000000, v6
	v_ffbh_u32_e32 v14, v8
	v_sub_nc_u32_e32 v11, v11, v13
	v_min_u32_e32 v13, 32, v14
	v_or_b32_e32 v10, v10, v11
	v_not_b32_e32 v11, v13
	v_mul_f32_e32 v14, 0x3fc90fda, v10
	v_add_lshl_u32 v12, v13, v12, 23
	v_alignbit_b32 v4, v8, v4, v11
	v_fma_f32 v8, 0x3fc90fda, v10, -v14
	v_sub_nc_u32_e32 v6, v6, v12
	v_lshrrev_b32_e32 v4, 9, v4
	v_fmamk_f32 v8, v10, 0x33a22168, v8
	v_or_b32_e32 v4, v6, v4
	v_fmac_f32_e32 v8, 0x3fc90fda, v4
	v_add_f32_e32 v4, v14, v8
.LBB75_255:
	s_andn2_saveexec_b32 s0, s3
; %bb.256:
	v_mul_f32_e64 v4, 0x3f22f983, |v2|
	v_rndne_f32_e32 v5, v4
	v_fma_f32 v4, 0xbfc90fda, v5, |v2|
	v_fmamk_f32 v4, v5, 0xb3a22168, v4
	v_fmamk_f32 v4, v5, 0xa7c234c4, v4
	v_cvt_i32_f32_e32 v5, v5
; %bb.257:
	s_or_b32 exec_lo, exec_lo, s0
	v_mul_f32_e32 v6, v4, v4
	s_mov_b32 s0, 0xb94c1982
	s_mov_b32 s1, 0x37d75334
	v_and_b32_e32 v10, 1, v5
	v_lshlrev_b32_e32 v5, 30, v5
	v_fmaak_f32 v8, s0, v6, 0x3c0881c4
	v_fmaak_f32 v9, s1, v6, 0xbab64f3b
	v_xor_b32_e32 v3, v3, v2
	v_cmp_eq_u32_e32 vcc_lo, 0, v10
	v_and_b32_e32 v5, 0x80000000, v5
	v_fmaak_f32 v8, v6, v8, 0xbe2aaa9d
	v_fmaak_f32 v9, v6, v9, 0x3d2aabf7
	v_sub_f32_e32 v1, 1.0, v1
	v_mul_f32_e32 v8, v6, v8
	v_fmaak_f32 v9, v6, v9, 0xbf000004
	v_fmac_f32_e32 v4, v4, v8
	v_fma_f32 v6, v6, v9, 1.0
	v_cndmask_b32_e32 v4, v6, v4, vcc_lo
	v_cmp_class_f32_e64 vcc_lo, v2, 0x1f8
	v_xor3_b32 v3, v3, v5, v4
	v_cndmask_b32_e32 v2, 0x7fc00000, v3, vcc_lo
	v_mul_f32_e32 v2, v2, v2
	v_div_scale_f32 v3, null, v2, v2, 0xc11de9e7
	v_div_scale_f32 v6, vcc_lo, 0xc11de9e7, v2, 0xc11de9e7
	v_rcp_f32_e32 v4, v3
	v_fma_f32 v5, -v3, v4, 1.0
	v_fmac_f32_e32 v4, v5, v4
	v_mul_f32_e32 v5, v6, v4
	v_fma_f32 v8, -v3, v5, v6
	v_fmac_f32_e32 v5, v8, v4
	v_fma_f32 v3, -v3, v5, v6
	v_div_fmas_f32 v3, v3, v4, v5
	v_div_fixup_f32 v2, v3, v2, 0xc11de9e7
	v_add_f32_e32 v3, 0, v2
	v_mov_b32_e32 v2, -1.0
.LBB75_258:
	s_or_b32 exec_lo, exec_lo, s2
	v_add_f32_e32 v4, 1.0, v1
	v_mul_f32_e32 v1, v1, v1
	v_add_nc_u32_e32 v7, 0x80, v7
	v_mul_f32_e32 v5, v4, v4
	v_add_f32_e32 v4, 1.0, v4
	v_div_scale_f32 v6, null, v1, v1, 1.0
	v_div_scale_f32 v9, vcc_lo, 1.0, v1, 1.0
	v_mul_f32_e32 v10, v4, v4
	v_div_scale_f32 v8, null, v5, v5, 1.0
	v_rcp_f32_e32 v11, v6
	v_div_scale_f32 v14, s0, 1.0, v5, 1.0
	v_div_scale_f32 v13, null, v10, v10, 1.0
	v_rcp_f32_e32 v12, v8
	v_add_f32_e32 v4, 1.0, v4
	v_div_scale_f32 v15, s1, 1.0, v10, 1.0
	v_rcp_f32_e32 v16, v13
	v_fma_f32 v18, -v6, v11, 1.0
	v_mul_f32_e32 v17, v4, v4
	v_add_f32_e32 v4, 1.0, v4
	v_fma_f32 v19, -v8, v12, 1.0
	v_fmac_f32_e32 v11, v18, v11
	v_mul_f32_e32 v21, v4, v4
	v_add_f32_e32 v4, 1.0, v4
	v_fma_f32 v18, -v13, v16, 1.0
	v_fmac_f32_e32 v12, v19, v12
	v_mul_f32_e32 v22, v9, v11
	v_div_scale_f32 v20, null, v17, v17, 1.0
	v_fmac_f32_e32 v16, v18, v16
	v_mul_f32_e32 v23, v14, v12
	v_fma_f32 v24, -v6, v22, v9
	v_add_f32_e32 v27, 1.0, v4
	v_rcp_f32_e32 v19, v20
	v_mul_f32_e32 v26, v15, v16
	v_fma_f32 v25, -v8, v23, v14
	v_fmac_f32_e32 v22, v24, v11
	v_mul_f32_e32 v4, v4, v4
	v_div_scale_f32 v18, null, v21, v21, 1.0
	v_fma_f32 v24, -v13, v26, v15
	v_fmac_f32_e32 v23, v25, v12
	v_fma_f32 v6, -v6, v22, v9
	v_mul_f32_e32 v9, v27, v27
	v_rcp_f32_e32 v25, v18
	v_fmac_f32_e32 v26, v24, v16
	v_fma_f32 v8, -v8, v23, v14
	v_div_fmas_f32 v6, v6, v11, v22
	s_mov_b32 vcc_lo, s0
	v_fma_f32 v28, -v20, v19, 1.0
	v_fma_f32 v11, -v13, v26, v15
	v_div_fmas_f32 v8, v8, v12, v23
	s_mov_b32 vcc_lo, s1
	v_div_scale_f32 v12, null, v4, v4, 1.0
	v_div_fmas_f32 v11, v11, v16, v26
	v_div_scale_f32 v13, null, v9, v9, 1.0
	v_add_f32_e32 v16, v27, v27
	v_rcp_f32_e32 v15, v12
	v_fmac_f32_e32 v19, v28, v19
	v_rcp_f32_e32 v23, v13
	v_div_scale_f32 v14, vcc_lo, 1.0, v17, 1.0
	v_div_scale_f32 v26, null, v16, v16, 1.0
	v_fma_f32 v22, -v18, v25, 1.0
	v_mul_f32_e32 v24, v14, v19
	v_div_fixup_f32 v1, v6, v1, 1.0
	v_rcp_f32_e32 v29, v26
	v_fma_f32 v28, -v12, v15, 1.0
	v_fmac_f32_e32 v25, v22, v25
	v_div_scale_f32 v22, s0, 1.0, v21, 1.0
	v_fma_f32 v31, -v13, v23, 1.0
	v_fma_f32 v30, -v20, v24, v14
	v_fmac_f32_e32 v15, v28, v15
	v_div_scale_f32 v28, s1, 1.0, v4, 1.0
	v_mul_f32_e32 v32, v22, v25
	v_fmac_f32_e32 v23, v31, v23
	v_div_scale_f32 v31, s2, 1.0, v9, 1.0
	v_fma_f32 v33, -v26, v29, 1.0
	v_fmac_f32_e32 v24, v30, v19
	v_mul_f32_e32 v34, v28, v15
	v_fma_f32 v30, -v18, v32, v22
	v_mul_f32_e32 v35, v31, v23
	v_fmac_f32_e32 v29, v33, v29
	v_div_scale_f32 v33, s3, 1.0, v16, 1.0
	v_fma_f32 v14, -v20, v24, v14
	v_fma_f32 v20, -v12, v34, v28
	v_fmac_f32_e32 v32, v30, v25
	v_fma_f32 v30, -v13, v35, v31
	v_mul_f32_e32 v36, v33, v29
	v_div_fmas_f32 v14, v14, v19, v24
	v_fmac_f32_e32 v34, v20, v15
	v_fma_f32 v18, -v18, v32, v22
	v_fmac_f32_e32 v35, v30, v23
	v_fma_f32 v19, -v26, v36, v33
	s_mov_b32 vcc_lo, s0
	v_fma_f32 v12, -v12, v34, v28
	v_div_fmas_f32 v18, v18, v25, v32
	v_fma_f32 v13, -v13, v35, v31
	v_fmac_f32_e32 v36, v19, v29
	s_mov_b32 vcc_lo, s1
	s_mov_b32 s0, 0xbcc30c31
	v_div_fmas_f32 v12, v12, v15, v34
	s_mov_b32 vcc_lo, s2
	v_fma_f32 v15, -v26, v36, v33
	v_div_fmas_f32 v13, v13, v23, v35
	s_mov_b32 vcc_lo, s3
	v_add_f32_e32 v1, v3, v1
	v_div_fixup_f32 v3, v8, v5, 1.0
	v_div_fmas_f32 v15, v15, v29, v36
	v_div_fixup_f32 v9, v13, v9, 1.0
	v_add_f32_e32 v1, v1, v3
	v_div_fixup_f32 v13, v15, v16, 1.0
	v_fmaak_f32 v15, s0, v9, 0x3d088889
	v_div_fixup_f32 v3, v11, v10, 1.0
	v_add_f32_e32 v13, 1.0, v13
	v_fma_f32 v15, -v9, v15, 0x3e2aaaab
	v_add_f32_e32 v1, v1, v3
	v_div_fixup_f32 v3, v14, v17, 1.0
	v_fmac_f32_e32 v13, v9, v15
	v_add_f32_e32 v1, v1, v3
	v_div_fixup_f32 v3, v18, v21, 1.0
	v_div_scale_f32 v9, null, v27, v27, v13
	v_div_scale_f32 v5, vcc_lo, v13, v27, v13
	v_add_f32_e32 v1, v1, v3
	v_rcp_f32_e32 v15, v9
	v_div_fixup_f32 v3, v12, v4, 1.0
	v_add_f32_e32 v1, v1, v3
	v_fma_f32 v6, -v9, v15, 1.0
	v_fmac_f32_e32 v15, v6, v15
	v_mul_f32_e32 v6, v5, v15
	v_fma_f32 v8, -v9, v6, v5
	v_fmac_f32_e32 v6, v8, v15
	v_fma_f32 v5, -v9, v6, v5
	v_div_fmas_f32 v4, v5, v15, v6
	v_div_fixup_f32 v3, v4, v27, v13
	v_add_f32_e32 v1, v1, v3
	v_mul_f32_e32 v1, v2, v1
	v_bfe_u32 v2, v1, 16, 1
	v_cmp_o_f32_e32 vcc_lo, v1, v1
	v_add3_u32 v1, v1, v2, 0x7fff
	v_mov_b32_e32 v2, 0x7fc0
	v_cndmask_b32_sdwa v1, v2, v1, vcc_lo dst_sel:DWORD dst_unused:UNUSED_PAD src0_sel:DWORD src1_sel:WORD_1
	global_store_short v0, v1, s[4:5]
	s_or_b32 exec_lo, exec_lo, s30
	s_mov_b32 s30, exec_lo
	v_cmpx_gt_i32_e64 s27, v7
	s_cbranch_execnz .LBB75_238
.LBB75_259:
	s_or_b32 exec_lo, exec_lo, s30
	s_mov_b32 s30, exec_lo
	v_cmpx_gt_i32_e64 s27, v7
	s_cbranch_execz .LBB75_281
.LBB75_260:
	s_andn2_b32 vcc_lo, exec_lo, s24
	s_cbranch_vccnz .LBB75_265
; %bb.261:
	s_andn2_b32 vcc_lo, exec_lo, s29
	s_cbranch_vccnz .LBB75_266
; %bb.262:
	s_add_i32 s33, s28, 1
	s_cmp_eq_u32 s23, 2
	s_cbranch_scc1 .LBB75_289
; %bb.263:
	v_mov_b32_e32 v2, 0
	v_mov_b32_e32 v0, 0
	;; [unrolled: 1-line block ×3, first 2 shown]
	s_and_b32 s31, s33, 28
	s_mov_b32 s34, 0
	s_mov_b64 s[0:1], s[16:17]
	s_mov_b64 s[2:3], s[20:21]
.LBB75_264:                             ; =>This Inner Loop Header: Depth=1
	s_clause 0x1
	s_load_dwordx8 s[36:43], s[0:1], 0x4
	s_load_dwordx4 s[52:55], s[0:1], 0x24
	s_load_dwordx8 s[44:51], s[2:3], 0x0
	s_add_u32 s0, s0, 48
	s_addc_u32 s1, s1, 0
	s_add_i32 s34, s34, 4
	s_add_u32 s2, s2, 32
	s_addc_u32 s3, s3, 0
	s_cmp_eq_u32 s31, s34
	s_waitcnt lgkmcnt(0)
	v_mul_hi_u32 v3, s37, v1
	v_add_nc_u32_e32 v3, v1, v3
	v_lshrrev_b32_e32 v3, s38, v3
	v_mul_hi_u32 v4, s40, v3
	v_mul_lo_u32 v6, v3, s36
	v_add_nc_u32_e32 v4, v3, v4
	v_sub_nc_u32_e32 v1, v1, v6
	v_lshrrev_b32_e32 v4, s41, v4
	v_mul_lo_u32 v6, v1, s44
	v_mul_lo_u32 v9, v1, s45
	v_mul_hi_u32 v5, s43, v4
	v_add_nc_u32_e32 v5, v4, v5
	v_lshrrev_b32_e32 v5, s52, v5
	v_mul_hi_u32 v8, s54, v5
	v_mul_lo_u32 v10, v5, s42
	v_add_nc_u32_e32 v1, v5, v8
	v_mul_lo_u32 v8, v4, s39
	v_sub_nc_u32_e32 v4, v4, v10
	v_lshrrev_b32_e32 v1, s55, v1
	v_mul_lo_u32 v10, v4, s48
	v_mul_lo_u32 v4, v4, s49
	v_sub_nc_u32_e32 v3, v3, v8
	v_mul_lo_u32 v11, v1, s53
	v_mul_lo_u32 v8, v3, s46
	;; [unrolled: 1-line block ×3, first 2 shown]
	v_sub_nc_u32_e32 v5, v5, v11
	v_add3_u32 v0, v6, v0, v8
	v_mul_lo_u32 v11, v5, s50
	v_mul_lo_u32 v5, v5, s51
	v_add3_u32 v2, v9, v2, v3
	v_add3_u32 v0, v10, v0, v11
	;; [unrolled: 1-line block ×3, first 2 shown]
	s_cbranch_scc0 .LBB75_264
	s_branch .LBB75_290
.LBB75_265:
                                        ; implicit-def: $vgpr0
                                        ; implicit-def: $vgpr2
	s_branch .LBB75_294
.LBB75_266:
	v_mov_b32_e32 v0, 0
	v_mov_b32_e32 v2, 0
	s_branch .LBB75_293
.LBB75_267:
	v_mov_b32_e32 v0, 0
	v_mov_b32_e32 v2, 0
	v_mov_b32_e32 v1, v7
	s_mov_b32 s31, 0
.LBB75_268:
	s_and_b32 s33, s33, 3
	s_cmp_eq_u32 s33, 0
	s_cbranch_scc1 .LBB75_271
; %bb.269:
	s_lshl_b32 s0, s31, 3
	s_mul_i32 s2, s31, 12
	s_add_u32 s0, s16, s0
	s_addc_u32 s1, s17, 0
	s_add_u32 s0, s0, 0xc4
	s_addc_u32 s1, s1, 0
	;; [unrolled: 2-line block ×3, first 2 shown]
	.p2align	6
.LBB75_270:                             ; =>This Inner Loop Header: Depth=1
	s_clause 0x1
	s_load_dwordx2 s[34:35], s[2:3], 0x4
	s_load_dword s31, s[2:3], 0xc
	s_load_dwordx2 s[36:37], s[0:1], 0x0
	s_add_u32 s2, s2, 12
	s_addc_u32 s3, s3, 0
	s_add_u32 s0, s0, 8
	s_addc_u32 s1, s1, 0
	s_add_i32 s33, s33, -1
	s_cmp_lg_u32 s33, 0
	s_waitcnt lgkmcnt(0)
	v_mul_hi_u32 v3, s35, v1
	v_add_nc_u32_e32 v3, v1, v3
	v_lshrrev_b32_e32 v4, s31, v3
	v_mul_lo_u32 v3, v4, s34
	v_sub_nc_u32_e32 v3, v1, v3
	v_mad_u64_u32 v[0:1], null, v3, s36, v[0:1]
	v_mad_u64_u32 v[2:3], null, v3, s37, v[2:3]
	v_mov_b32_e32 v1, v4
	s_cbranch_scc1 .LBB75_270
.LBB75_271:
	s_cbranch_execnz .LBB75_274
.LBB75_272:
	s_waitcnt lgkmcnt(0)
	v_mul_hi_u32 v0, s13, v7
	s_andn2_b32 vcc_lo, exec_lo, s26
	v_add_nc_u32_e32 v0, v7, v0
	v_lshrrev_b32_e32 v1, s14, v0
	v_mul_lo_u32 v0, v1, s12
	v_sub_nc_u32_e32 v2, v7, v0
	v_mul_lo_u32 v0, v2, s8
	v_mul_lo_u32 v2, v2, s9
	s_cbranch_vccnz .LBB75_274
; %bb.273:
	v_mul_hi_u32 v3, s18, v1
	v_add_nc_u32_e32 v3, v1, v3
	v_lshrrev_b32_e32 v3, s19, v3
	v_mul_lo_u32 v3, v3, s15
	v_sub_nc_u32_e32 v3, v1, v3
	v_mad_u64_u32 v[0:1], null, v3, s10, v[0:1]
	v_mad_u64_u32 v[2:3], null, v3, s11, v[2:3]
.LBB75_274:
	s_waitcnt lgkmcnt(0)
	global_load_ushort v1, v2, s[6:7]
	v_mov_b32_e32 v3, 0
	v_mov_b32_e32 v2, 1.0
	s_mov_b32 s2, exec_lo
	s_waitcnt vmcnt(0)
	v_lshlrev_b32_e32 v1, 16, v1
	v_cmpx_gt_f32_e32 0.5, v1
	s_cbranch_execz .LBB75_280
; %bb.275:
	v_mul_f32_e32 v2, 0x40490fdb, v1
                                        ; implicit-def: $vgpr5
                                        ; implicit-def: $vgpr4
	s_mov_b32 s1, exec_lo
	v_and_b32_e32 v3, 0x7fffffff, v2
	v_cmpx_ngt_f32_e64 0x48000000, |v2|
	s_xor_b32 s3, exec_lo, s1
	s_cbranch_execz .LBB75_277
; %bb.276:
	s_mov_b32 s0, 0x7fffff
	v_mov_b32_e32 v6, 0
	v_and_or_b32 v14, v3, s0, 0x800000
	v_lshrrev_b32_e32 v12, 23, v3
	v_mad_u64_u32 v[4:5], null, 0xfe5163ab, v14, 0
	v_add_nc_u32_e32 v13, 0xffffff88, v12
	v_cmp_lt_u32_e32 vcc_lo, 63, v13
	v_mad_u64_u32 v[8:9], null, 0x3c439041, v14, v[5:6]
	v_cndmask_b32_e64 v15, 0, 0xffffffc0, vcc_lo
	v_mov_b32_e32 v5, v9
	v_add_nc_u32_e32 v15, v15, v13
	v_mad_u64_u32 v[9:10], null, 0xdb629599, v14, v[5:6]
	v_cmp_lt_u32_e64 s0, 31, v15
	v_cndmask_b32_e64 v16, 0, 0xffffffe0, s0
	v_mov_b32_e32 v5, v10
	v_cndmask_b32_e32 v4, v9, v4, vcc_lo
	v_mad_u64_u32 v[10:11], null, 0xf534ddc0, v14, v[5:6]
	v_mov_b32_e32 v5, v11
	v_cndmask_b32_e32 v8, v10, v8, vcc_lo
	v_mad_u64_u32 v[11:12], null, 0xfc2757d1, v14, v[5:6]
	v_cndmask_b32_e64 v4, v8, v4, s0
	v_mov_b32_e32 v5, v12
	v_mad_u64_u32 v[12:13], null, 0x4e441529, v14, v[5:6]
	v_mov_b32_e32 v5, v13
	v_add_nc_u32_e32 v13, v16, v15
	v_cndmask_b32_e32 v15, v12, v10, vcc_lo
	v_mad_u64_u32 v[5:6], null, 0xa2f9836e, v14, v[5:6]
	v_cmp_lt_u32_e64 s1, 31, v13
	v_cndmask_b32_e64 v14, 0, 0xffffffe0, s1
	v_cndmask_b32_e32 v5, v5, v11, vcc_lo
	v_cndmask_b32_e32 v6, v6, v12, vcc_lo
	;; [unrolled: 1-line block ×3, first 2 shown]
	v_add_nc_u32_e32 v12, v14, v13
	v_cndmask_b32_e64 v10, v5, v15, s0
	v_cndmask_b32_e64 v5, v6, v5, s0
	;; [unrolled: 1-line block ×4, first 2 shown]
	v_sub_nc_u32_e32 v13, 32, v12
	v_cmp_eq_u32_e32 vcc_lo, 0, v12
	v_cndmask_b32_e64 v5, v5, v10, s1
	v_cndmask_b32_e64 v10, v10, v6, s1
	;; [unrolled: 1-line block ×4, first 2 shown]
	v_alignbit_b32 v14, v5, v10, v13
	v_alignbit_b32 v9, v10, v6, v13
	v_alignbit_b32 v12, v6, v4, v13
	v_cndmask_b32_e32 v5, v14, v5, vcc_lo
	v_cndmask_b32_e32 v8, v9, v10, vcc_lo
	v_cndmask_b32_e32 v6, v12, v6, vcc_lo
	v_bfe_u32 v9, v5, 29, 1
	v_alignbit_b32 v10, v5, v8, 30
	v_alignbit_b32 v8, v8, v6, 30
	v_alignbit_b32 v4, v6, v4, 30
	v_sub_nc_u32_e32 v11, 0, v9
	v_xor_b32_e32 v10, v10, v11
	v_xor_b32_e32 v6, v8, v11
	;; [unrolled: 1-line block ×3, first 2 shown]
	v_lshrrev_b32_e32 v11, 29, v5
	v_lshrrev_b32_e32 v5, 30, v5
	v_ffbh_u32_e32 v12, v10
	v_add_nc_u32_e32 v5, v9, v5
	v_min_u32_e32 v12, 32, v12
	v_sub_nc_u32_e32 v8, 31, v12
	v_lshlrev_b32_e32 v13, 23, v12
	v_alignbit_b32 v10, v10, v6, v8
	v_alignbit_b32 v4, v6, v4, v8
	v_lshlrev_b32_e32 v6, 31, v11
	v_alignbit_b32 v8, v10, v4, 9
	v_or_b32_e32 v11, 0.5, v6
	v_lshrrev_b32_e32 v10, 9, v10
	v_or_b32_e32 v6, 0x33000000, v6
	v_ffbh_u32_e32 v14, v8
	v_sub_nc_u32_e32 v11, v11, v13
	v_min_u32_e32 v13, 32, v14
	v_or_b32_e32 v10, v10, v11
	v_not_b32_e32 v11, v13
	v_mul_f32_e32 v14, 0x3fc90fda, v10
	v_add_lshl_u32 v12, v13, v12, 23
	v_alignbit_b32 v4, v8, v4, v11
	v_fma_f32 v8, 0x3fc90fda, v10, -v14
	v_sub_nc_u32_e32 v6, v6, v12
	v_lshrrev_b32_e32 v4, 9, v4
	v_fmamk_f32 v8, v10, 0x33a22168, v8
	v_or_b32_e32 v4, v6, v4
	v_fmac_f32_e32 v8, 0x3fc90fda, v4
	v_add_f32_e32 v4, v14, v8
.LBB75_277:
	s_andn2_saveexec_b32 s0, s3
; %bb.278:
	v_mul_f32_e64 v4, 0x3f22f983, |v2|
	v_rndne_f32_e32 v5, v4
	v_fma_f32 v4, 0xbfc90fda, v5, |v2|
	v_fmamk_f32 v4, v5, 0xb3a22168, v4
	v_fmamk_f32 v4, v5, 0xa7c234c4, v4
	v_cvt_i32_f32_e32 v5, v5
; %bb.279:
	s_or_b32 exec_lo, exec_lo, s0
	v_mul_f32_e32 v6, v4, v4
	s_mov_b32 s0, 0xb94c1982
	s_mov_b32 s1, 0x37d75334
	v_and_b32_e32 v10, 1, v5
	v_lshlrev_b32_e32 v5, 30, v5
	v_fmaak_f32 v8, s0, v6, 0x3c0881c4
	v_fmaak_f32 v9, s1, v6, 0xbab64f3b
	v_xor_b32_e32 v3, v3, v2
	v_cmp_eq_u32_e32 vcc_lo, 0, v10
	v_and_b32_e32 v5, 0x80000000, v5
	v_fmaak_f32 v8, v6, v8, 0xbe2aaa9d
	v_fmaak_f32 v9, v6, v9, 0x3d2aabf7
	v_sub_f32_e32 v1, 1.0, v1
	v_mul_f32_e32 v8, v6, v8
	v_fmaak_f32 v9, v6, v9, 0xbf000004
	v_fmac_f32_e32 v4, v4, v8
	v_fma_f32 v6, v6, v9, 1.0
	v_cndmask_b32_e32 v4, v6, v4, vcc_lo
	v_cmp_class_f32_e64 vcc_lo, v2, 0x1f8
	v_xor3_b32 v3, v3, v5, v4
	v_cndmask_b32_e32 v2, 0x7fc00000, v3, vcc_lo
	v_mul_f32_e32 v2, v2, v2
	v_div_scale_f32 v3, null, v2, v2, 0xc11de9e7
	v_div_scale_f32 v6, vcc_lo, 0xc11de9e7, v2, 0xc11de9e7
	v_rcp_f32_e32 v4, v3
	v_fma_f32 v5, -v3, v4, 1.0
	v_fmac_f32_e32 v4, v5, v4
	v_mul_f32_e32 v5, v6, v4
	v_fma_f32 v8, -v3, v5, v6
	v_fmac_f32_e32 v5, v8, v4
	v_fma_f32 v3, -v3, v5, v6
	v_div_fmas_f32 v3, v3, v4, v5
	v_div_fixup_f32 v2, v3, v2, 0xc11de9e7
	v_add_f32_e32 v3, 0, v2
	v_mov_b32_e32 v2, -1.0
.LBB75_280:
	s_or_b32 exec_lo, exec_lo, s2
	v_add_f32_e32 v4, 1.0, v1
	v_mul_f32_e32 v1, v1, v1
	v_add_nc_u32_e32 v7, 0x80, v7
	v_mul_f32_e32 v5, v4, v4
	v_add_f32_e32 v4, 1.0, v4
	v_div_scale_f32 v6, null, v1, v1, 1.0
	v_div_scale_f32 v9, vcc_lo, 1.0, v1, 1.0
	v_mul_f32_e32 v10, v4, v4
	v_div_scale_f32 v8, null, v5, v5, 1.0
	v_rcp_f32_e32 v11, v6
	v_div_scale_f32 v14, s0, 1.0, v5, 1.0
	v_div_scale_f32 v13, null, v10, v10, 1.0
	v_rcp_f32_e32 v12, v8
	v_add_f32_e32 v4, 1.0, v4
	v_div_scale_f32 v15, s1, 1.0, v10, 1.0
	v_rcp_f32_e32 v16, v13
	v_fma_f32 v18, -v6, v11, 1.0
	v_mul_f32_e32 v17, v4, v4
	v_add_f32_e32 v4, 1.0, v4
	v_fma_f32 v19, -v8, v12, 1.0
	v_fmac_f32_e32 v11, v18, v11
	v_mul_f32_e32 v21, v4, v4
	v_add_f32_e32 v4, 1.0, v4
	v_fma_f32 v18, -v13, v16, 1.0
	v_fmac_f32_e32 v12, v19, v12
	v_mul_f32_e32 v22, v9, v11
	v_div_scale_f32 v20, null, v17, v17, 1.0
	v_fmac_f32_e32 v16, v18, v16
	v_mul_f32_e32 v23, v14, v12
	v_fma_f32 v24, -v6, v22, v9
	v_add_f32_e32 v27, 1.0, v4
	v_rcp_f32_e32 v19, v20
	v_mul_f32_e32 v26, v15, v16
	v_fma_f32 v25, -v8, v23, v14
	v_fmac_f32_e32 v22, v24, v11
	v_mul_f32_e32 v4, v4, v4
	v_div_scale_f32 v18, null, v21, v21, 1.0
	v_fma_f32 v24, -v13, v26, v15
	v_fmac_f32_e32 v23, v25, v12
	v_fma_f32 v6, -v6, v22, v9
	v_mul_f32_e32 v9, v27, v27
	v_rcp_f32_e32 v25, v18
	v_fmac_f32_e32 v26, v24, v16
	v_fma_f32 v8, -v8, v23, v14
	v_div_fmas_f32 v6, v6, v11, v22
	s_mov_b32 vcc_lo, s0
	v_fma_f32 v28, -v20, v19, 1.0
	v_fma_f32 v11, -v13, v26, v15
	v_div_fmas_f32 v8, v8, v12, v23
	s_mov_b32 vcc_lo, s1
	v_div_scale_f32 v12, null, v4, v4, 1.0
	v_div_fmas_f32 v11, v11, v16, v26
	v_div_scale_f32 v13, null, v9, v9, 1.0
	v_add_f32_e32 v16, v27, v27
	v_rcp_f32_e32 v15, v12
	v_fmac_f32_e32 v19, v28, v19
	v_rcp_f32_e32 v23, v13
	v_div_scale_f32 v14, vcc_lo, 1.0, v17, 1.0
	v_div_scale_f32 v26, null, v16, v16, 1.0
	v_fma_f32 v22, -v18, v25, 1.0
	v_mul_f32_e32 v24, v14, v19
	v_div_fixup_f32 v1, v6, v1, 1.0
	v_rcp_f32_e32 v29, v26
	v_fma_f32 v28, -v12, v15, 1.0
	v_fmac_f32_e32 v25, v22, v25
	v_div_scale_f32 v22, s0, 1.0, v21, 1.0
	v_fma_f32 v31, -v13, v23, 1.0
	v_fma_f32 v30, -v20, v24, v14
	v_fmac_f32_e32 v15, v28, v15
	v_div_scale_f32 v28, s1, 1.0, v4, 1.0
	v_mul_f32_e32 v32, v22, v25
	v_fmac_f32_e32 v23, v31, v23
	v_div_scale_f32 v31, s2, 1.0, v9, 1.0
	v_fma_f32 v33, -v26, v29, 1.0
	v_fmac_f32_e32 v24, v30, v19
	v_mul_f32_e32 v34, v28, v15
	v_fma_f32 v30, -v18, v32, v22
	v_mul_f32_e32 v35, v31, v23
	v_fmac_f32_e32 v29, v33, v29
	v_div_scale_f32 v33, s3, 1.0, v16, 1.0
	v_fma_f32 v14, -v20, v24, v14
	v_fma_f32 v20, -v12, v34, v28
	v_fmac_f32_e32 v32, v30, v25
	v_fma_f32 v30, -v13, v35, v31
	v_mul_f32_e32 v36, v33, v29
	v_div_fmas_f32 v14, v14, v19, v24
	v_fmac_f32_e32 v34, v20, v15
	v_fma_f32 v18, -v18, v32, v22
	v_fmac_f32_e32 v35, v30, v23
	v_fma_f32 v19, -v26, v36, v33
	s_mov_b32 vcc_lo, s0
	v_fma_f32 v12, -v12, v34, v28
	v_div_fmas_f32 v18, v18, v25, v32
	v_fma_f32 v13, -v13, v35, v31
	v_fmac_f32_e32 v36, v19, v29
	s_mov_b32 vcc_lo, s1
	s_mov_b32 s0, 0xbcc30c31
	v_div_fmas_f32 v12, v12, v15, v34
	s_mov_b32 vcc_lo, s2
	v_fma_f32 v15, -v26, v36, v33
	v_div_fmas_f32 v13, v13, v23, v35
	s_mov_b32 vcc_lo, s3
	v_add_f32_e32 v1, v3, v1
	v_div_fixup_f32 v3, v8, v5, 1.0
	v_div_fmas_f32 v15, v15, v29, v36
	v_div_fixup_f32 v9, v13, v9, 1.0
	v_add_f32_e32 v1, v1, v3
	v_div_fixup_f32 v13, v15, v16, 1.0
	v_fmaak_f32 v15, s0, v9, 0x3d088889
	v_div_fixup_f32 v3, v11, v10, 1.0
	v_add_f32_e32 v13, 1.0, v13
	v_fma_f32 v15, -v9, v15, 0x3e2aaaab
	v_add_f32_e32 v1, v1, v3
	v_div_fixup_f32 v3, v14, v17, 1.0
	v_fmac_f32_e32 v13, v9, v15
	v_add_f32_e32 v1, v1, v3
	v_div_fixup_f32 v3, v18, v21, 1.0
	v_div_scale_f32 v9, null, v27, v27, v13
	v_div_scale_f32 v5, vcc_lo, v13, v27, v13
	v_add_f32_e32 v1, v1, v3
	v_rcp_f32_e32 v15, v9
	v_div_fixup_f32 v3, v12, v4, 1.0
	v_add_f32_e32 v1, v1, v3
	v_fma_f32 v6, -v9, v15, 1.0
	v_fmac_f32_e32 v15, v6, v15
	v_mul_f32_e32 v6, v5, v15
	v_fma_f32 v8, -v9, v6, v5
	v_fmac_f32_e32 v6, v8, v15
	v_fma_f32 v5, -v9, v6, v5
	v_div_fmas_f32 v4, v5, v15, v6
	v_div_fixup_f32 v3, v4, v27, v13
	v_add_f32_e32 v1, v1, v3
	v_mul_f32_e32 v1, v2, v1
	v_bfe_u32 v2, v1, 16, 1
	v_cmp_o_f32_e32 vcc_lo, v1, v1
	v_add3_u32 v1, v1, v2, 0x7fff
	v_mov_b32_e32 v2, 0x7fc0
	v_cndmask_b32_sdwa v1, v2, v1, vcc_lo dst_sel:DWORD dst_unused:UNUSED_PAD src0_sel:DWORD src1_sel:WORD_1
	global_store_short v0, v1, s[4:5]
	s_or_b32 exec_lo, exec_lo, s30
	s_mov_b32 s30, exec_lo
	v_cmpx_gt_i32_e64 s27, v7
	s_cbranch_execnz .LBB75_260
.LBB75_281:
	s_or_b32 exec_lo, exec_lo, s30
	s_mov_b32 s30, exec_lo
	v_cmpx_gt_i32_e64 s27, v7
	s_cbranch_execz .LBB75_303
.LBB75_282:
	s_andn2_b32 vcc_lo, exec_lo, s24
	s_cbranch_vccnz .LBB75_287
; %bb.283:
	s_andn2_b32 vcc_lo, exec_lo, s29
	s_cbranch_vccnz .LBB75_288
; %bb.284:
	s_add_i32 s33, s28, 1
	s_cmp_eq_u32 s23, 2
	s_cbranch_scc1 .LBB75_306
; %bb.285:
	v_mov_b32_e32 v2, 0
	v_mov_b32_e32 v0, 0
	;; [unrolled: 1-line block ×3, first 2 shown]
	s_and_b32 s31, s33, 28
	s_mov_b32 s34, 0
	s_mov_b64 s[0:1], s[16:17]
	s_mov_b64 s[2:3], s[20:21]
.LBB75_286:                             ; =>This Inner Loop Header: Depth=1
	s_clause 0x1
	s_load_dwordx8 s[36:43], s[0:1], 0x4
	s_load_dwordx4 s[52:55], s[0:1], 0x24
	s_load_dwordx8 s[44:51], s[2:3], 0x0
	s_add_u32 s0, s0, 48
	s_addc_u32 s1, s1, 0
	s_add_i32 s34, s34, 4
	s_add_u32 s2, s2, 32
	s_addc_u32 s3, s3, 0
	s_cmp_eq_u32 s31, s34
	s_waitcnt lgkmcnt(0)
	v_mul_hi_u32 v3, s37, v1
	v_add_nc_u32_e32 v3, v1, v3
	v_lshrrev_b32_e32 v3, s38, v3
	v_mul_hi_u32 v4, s40, v3
	v_mul_lo_u32 v6, v3, s36
	v_add_nc_u32_e32 v4, v3, v4
	v_sub_nc_u32_e32 v1, v1, v6
	v_lshrrev_b32_e32 v4, s41, v4
	v_mul_lo_u32 v6, v1, s44
	v_mul_lo_u32 v9, v1, s45
	v_mul_hi_u32 v5, s43, v4
	v_add_nc_u32_e32 v5, v4, v5
	v_lshrrev_b32_e32 v5, s52, v5
	v_mul_hi_u32 v8, s54, v5
	v_mul_lo_u32 v10, v5, s42
	v_add_nc_u32_e32 v1, v5, v8
	v_mul_lo_u32 v8, v4, s39
	v_sub_nc_u32_e32 v4, v4, v10
	v_lshrrev_b32_e32 v1, s55, v1
	v_mul_lo_u32 v10, v4, s48
	v_mul_lo_u32 v4, v4, s49
	v_sub_nc_u32_e32 v3, v3, v8
	v_mul_lo_u32 v11, v1, s53
	v_mul_lo_u32 v8, v3, s46
	;; [unrolled: 1-line block ×3, first 2 shown]
	v_sub_nc_u32_e32 v5, v5, v11
	v_add3_u32 v0, v6, v0, v8
	v_mul_lo_u32 v11, v5, s50
	v_mul_lo_u32 v5, v5, s51
	v_add3_u32 v2, v9, v2, v3
	v_add3_u32 v0, v10, v0, v11
	;; [unrolled: 1-line block ×3, first 2 shown]
	s_cbranch_scc0 .LBB75_286
	s_branch .LBB75_307
.LBB75_287:
                                        ; implicit-def: $vgpr0
                                        ; implicit-def: $vgpr2
	s_branch .LBB75_311
.LBB75_288:
	v_mov_b32_e32 v0, 0
	v_mov_b32_e32 v2, 0
	s_branch .LBB75_310
.LBB75_289:
	v_mov_b32_e32 v0, 0
	v_mov_b32_e32 v2, 0
	;; [unrolled: 1-line block ×3, first 2 shown]
	s_mov_b32 s31, 0
.LBB75_290:
	s_and_b32 s33, s33, 3
	s_cmp_eq_u32 s33, 0
	s_cbranch_scc1 .LBB75_293
; %bb.291:
	s_lshl_b32 s0, s31, 3
	s_mul_i32 s2, s31, 12
	s_add_u32 s0, s16, s0
	s_addc_u32 s1, s17, 0
	s_add_u32 s0, s0, 0xc4
	s_addc_u32 s1, s1, 0
	;; [unrolled: 2-line block ×3, first 2 shown]
	.p2align	6
.LBB75_292:                             ; =>This Inner Loop Header: Depth=1
	s_clause 0x1
	s_load_dwordx2 s[34:35], s[2:3], 0x4
	s_load_dword s31, s[2:3], 0xc
	s_load_dwordx2 s[36:37], s[0:1], 0x0
	s_add_u32 s2, s2, 12
	s_addc_u32 s3, s3, 0
	s_add_u32 s0, s0, 8
	s_addc_u32 s1, s1, 0
	s_add_i32 s33, s33, -1
	s_cmp_lg_u32 s33, 0
	s_waitcnt lgkmcnt(0)
	v_mul_hi_u32 v3, s35, v1
	v_add_nc_u32_e32 v3, v1, v3
	v_lshrrev_b32_e32 v4, s31, v3
	v_mul_lo_u32 v3, v4, s34
	v_sub_nc_u32_e32 v3, v1, v3
	v_mad_u64_u32 v[0:1], null, v3, s36, v[0:1]
	v_mad_u64_u32 v[2:3], null, v3, s37, v[2:3]
	v_mov_b32_e32 v1, v4
	s_cbranch_scc1 .LBB75_292
.LBB75_293:
	s_cbranch_execnz .LBB75_296
.LBB75_294:
	s_waitcnt lgkmcnt(0)
	v_mul_hi_u32 v0, s13, v7
	s_andn2_b32 vcc_lo, exec_lo, s26
	v_add_nc_u32_e32 v0, v7, v0
	v_lshrrev_b32_e32 v1, s14, v0
	v_mul_lo_u32 v0, v1, s12
	v_sub_nc_u32_e32 v2, v7, v0
	v_mul_lo_u32 v0, v2, s8
	v_mul_lo_u32 v2, v2, s9
	s_cbranch_vccnz .LBB75_296
; %bb.295:
	v_mul_hi_u32 v3, s18, v1
	v_add_nc_u32_e32 v3, v1, v3
	v_lshrrev_b32_e32 v3, s19, v3
	v_mul_lo_u32 v3, v3, s15
	v_sub_nc_u32_e32 v3, v1, v3
	v_mad_u64_u32 v[0:1], null, v3, s10, v[0:1]
	v_mad_u64_u32 v[2:3], null, v3, s11, v[2:3]
.LBB75_296:
	s_waitcnt lgkmcnt(0)
	global_load_ushort v1, v2, s[6:7]
	v_mov_b32_e32 v3, 0
	v_mov_b32_e32 v2, 1.0
	s_mov_b32 s2, exec_lo
	s_waitcnt vmcnt(0)
	v_lshlrev_b32_e32 v1, 16, v1
	v_cmpx_gt_f32_e32 0.5, v1
	s_cbranch_execz .LBB75_302
; %bb.297:
	v_mul_f32_e32 v2, 0x40490fdb, v1
                                        ; implicit-def: $vgpr5
                                        ; implicit-def: $vgpr4
	s_mov_b32 s1, exec_lo
	v_and_b32_e32 v3, 0x7fffffff, v2
	v_cmpx_ngt_f32_e64 0x48000000, |v2|
	s_xor_b32 s3, exec_lo, s1
	s_cbranch_execz .LBB75_299
; %bb.298:
	s_mov_b32 s0, 0x7fffff
	v_mov_b32_e32 v6, 0
	v_and_or_b32 v14, v3, s0, 0x800000
	v_lshrrev_b32_e32 v12, 23, v3
	v_mad_u64_u32 v[4:5], null, 0xfe5163ab, v14, 0
	v_add_nc_u32_e32 v13, 0xffffff88, v12
	v_cmp_lt_u32_e32 vcc_lo, 63, v13
	v_mad_u64_u32 v[8:9], null, 0x3c439041, v14, v[5:6]
	v_cndmask_b32_e64 v15, 0, 0xffffffc0, vcc_lo
	v_mov_b32_e32 v5, v9
	v_add_nc_u32_e32 v15, v15, v13
	v_mad_u64_u32 v[9:10], null, 0xdb629599, v14, v[5:6]
	v_cmp_lt_u32_e64 s0, 31, v15
	v_cndmask_b32_e64 v16, 0, 0xffffffe0, s0
	v_mov_b32_e32 v5, v10
	v_cndmask_b32_e32 v4, v9, v4, vcc_lo
	v_mad_u64_u32 v[10:11], null, 0xf534ddc0, v14, v[5:6]
	v_mov_b32_e32 v5, v11
	v_cndmask_b32_e32 v8, v10, v8, vcc_lo
	v_mad_u64_u32 v[11:12], null, 0xfc2757d1, v14, v[5:6]
	v_cndmask_b32_e64 v4, v8, v4, s0
	v_mov_b32_e32 v5, v12
	v_mad_u64_u32 v[12:13], null, 0x4e441529, v14, v[5:6]
	v_mov_b32_e32 v5, v13
	v_add_nc_u32_e32 v13, v16, v15
	v_cndmask_b32_e32 v15, v12, v10, vcc_lo
	v_mad_u64_u32 v[5:6], null, 0xa2f9836e, v14, v[5:6]
	v_cmp_lt_u32_e64 s1, 31, v13
	v_cndmask_b32_e64 v14, 0, 0xffffffe0, s1
	v_cndmask_b32_e32 v5, v5, v11, vcc_lo
	v_cndmask_b32_e32 v6, v6, v12, vcc_lo
	;; [unrolled: 1-line block ×3, first 2 shown]
	v_add_nc_u32_e32 v12, v14, v13
	v_cndmask_b32_e64 v10, v5, v15, s0
	v_cndmask_b32_e64 v5, v6, v5, s0
	;; [unrolled: 1-line block ×4, first 2 shown]
	v_sub_nc_u32_e32 v13, 32, v12
	v_cmp_eq_u32_e32 vcc_lo, 0, v12
	v_cndmask_b32_e64 v5, v5, v10, s1
	v_cndmask_b32_e64 v10, v10, v6, s1
	;; [unrolled: 1-line block ×4, first 2 shown]
	v_alignbit_b32 v14, v5, v10, v13
	v_alignbit_b32 v9, v10, v6, v13
	;; [unrolled: 1-line block ×3, first 2 shown]
	v_cndmask_b32_e32 v5, v14, v5, vcc_lo
	v_cndmask_b32_e32 v8, v9, v10, vcc_lo
	v_cndmask_b32_e32 v6, v12, v6, vcc_lo
	v_bfe_u32 v9, v5, 29, 1
	v_alignbit_b32 v10, v5, v8, 30
	v_alignbit_b32 v8, v8, v6, 30
	;; [unrolled: 1-line block ×3, first 2 shown]
	v_sub_nc_u32_e32 v11, 0, v9
	v_xor_b32_e32 v10, v10, v11
	v_xor_b32_e32 v6, v8, v11
	;; [unrolled: 1-line block ×3, first 2 shown]
	v_lshrrev_b32_e32 v11, 29, v5
	v_lshrrev_b32_e32 v5, 30, v5
	v_ffbh_u32_e32 v12, v10
	v_add_nc_u32_e32 v5, v9, v5
	v_min_u32_e32 v12, 32, v12
	v_sub_nc_u32_e32 v8, 31, v12
	v_lshlrev_b32_e32 v13, 23, v12
	v_alignbit_b32 v10, v10, v6, v8
	v_alignbit_b32 v4, v6, v4, v8
	v_lshlrev_b32_e32 v6, 31, v11
	v_alignbit_b32 v8, v10, v4, 9
	v_or_b32_e32 v11, 0.5, v6
	v_lshrrev_b32_e32 v10, 9, v10
	v_or_b32_e32 v6, 0x33000000, v6
	v_ffbh_u32_e32 v14, v8
	v_sub_nc_u32_e32 v11, v11, v13
	v_min_u32_e32 v13, 32, v14
	v_or_b32_e32 v10, v10, v11
	v_not_b32_e32 v11, v13
	v_mul_f32_e32 v14, 0x3fc90fda, v10
	v_add_lshl_u32 v12, v13, v12, 23
	v_alignbit_b32 v4, v8, v4, v11
	v_fma_f32 v8, 0x3fc90fda, v10, -v14
	v_sub_nc_u32_e32 v6, v6, v12
	v_lshrrev_b32_e32 v4, 9, v4
	v_fmamk_f32 v8, v10, 0x33a22168, v8
	v_or_b32_e32 v4, v6, v4
	v_fmac_f32_e32 v8, 0x3fc90fda, v4
	v_add_f32_e32 v4, v14, v8
.LBB75_299:
	s_andn2_saveexec_b32 s0, s3
; %bb.300:
	v_mul_f32_e64 v4, 0x3f22f983, |v2|
	v_rndne_f32_e32 v5, v4
	v_fma_f32 v4, 0xbfc90fda, v5, |v2|
	v_fmamk_f32 v4, v5, 0xb3a22168, v4
	v_fmamk_f32 v4, v5, 0xa7c234c4, v4
	v_cvt_i32_f32_e32 v5, v5
; %bb.301:
	s_or_b32 exec_lo, exec_lo, s0
	v_mul_f32_e32 v6, v4, v4
	s_mov_b32 s0, 0xb94c1982
	s_mov_b32 s1, 0x37d75334
	v_and_b32_e32 v10, 1, v5
	v_lshlrev_b32_e32 v5, 30, v5
	v_fmaak_f32 v8, s0, v6, 0x3c0881c4
	v_fmaak_f32 v9, s1, v6, 0xbab64f3b
	v_xor_b32_e32 v3, v3, v2
	v_cmp_eq_u32_e32 vcc_lo, 0, v10
	v_and_b32_e32 v5, 0x80000000, v5
	v_fmaak_f32 v8, v6, v8, 0xbe2aaa9d
	v_fmaak_f32 v9, v6, v9, 0x3d2aabf7
	v_sub_f32_e32 v1, 1.0, v1
	v_mul_f32_e32 v8, v6, v8
	v_fmaak_f32 v9, v6, v9, 0xbf000004
	v_fmac_f32_e32 v4, v4, v8
	v_fma_f32 v6, v6, v9, 1.0
	v_cndmask_b32_e32 v4, v6, v4, vcc_lo
	v_cmp_class_f32_e64 vcc_lo, v2, 0x1f8
	v_xor3_b32 v3, v3, v5, v4
	v_cndmask_b32_e32 v2, 0x7fc00000, v3, vcc_lo
	v_mul_f32_e32 v2, v2, v2
	v_div_scale_f32 v3, null, v2, v2, 0xc11de9e7
	v_div_scale_f32 v6, vcc_lo, 0xc11de9e7, v2, 0xc11de9e7
	v_rcp_f32_e32 v4, v3
	v_fma_f32 v5, -v3, v4, 1.0
	v_fmac_f32_e32 v4, v5, v4
	v_mul_f32_e32 v5, v6, v4
	v_fma_f32 v8, -v3, v5, v6
	v_fmac_f32_e32 v5, v8, v4
	v_fma_f32 v3, -v3, v5, v6
	v_div_fmas_f32 v3, v3, v4, v5
	v_div_fixup_f32 v2, v3, v2, 0xc11de9e7
	v_add_f32_e32 v3, 0, v2
	v_mov_b32_e32 v2, -1.0
.LBB75_302:
	s_or_b32 exec_lo, exec_lo, s2
	v_add_f32_e32 v4, 1.0, v1
	v_mul_f32_e32 v1, v1, v1
	v_add_nc_u32_e32 v7, 0x80, v7
	v_mul_f32_e32 v5, v4, v4
	v_add_f32_e32 v4, 1.0, v4
	v_div_scale_f32 v6, null, v1, v1, 1.0
	v_div_scale_f32 v9, vcc_lo, 1.0, v1, 1.0
	v_mul_f32_e32 v10, v4, v4
	v_div_scale_f32 v8, null, v5, v5, 1.0
	v_rcp_f32_e32 v11, v6
	v_div_scale_f32 v14, s0, 1.0, v5, 1.0
	v_div_scale_f32 v13, null, v10, v10, 1.0
	v_rcp_f32_e32 v12, v8
	v_add_f32_e32 v4, 1.0, v4
	v_div_scale_f32 v15, s1, 1.0, v10, 1.0
	v_rcp_f32_e32 v16, v13
	v_fma_f32 v18, -v6, v11, 1.0
	v_mul_f32_e32 v17, v4, v4
	v_add_f32_e32 v4, 1.0, v4
	v_fma_f32 v19, -v8, v12, 1.0
	v_fmac_f32_e32 v11, v18, v11
	v_mul_f32_e32 v21, v4, v4
	v_add_f32_e32 v4, 1.0, v4
	v_fma_f32 v18, -v13, v16, 1.0
	v_fmac_f32_e32 v12, v19, v12
	v_mul_f32_e32 v22, v9, v11
	v_div_scale_f32 v20, null, v17, v17, 1.0
	v_fmac_f32_e32 v16, v18, v16
	v_mul_f32_e32 v23, v14, v12
	v_fma_f32 v24, -v6, v22, v9
	v_add_f32_e32 v27, 1.0, v4
	v_rcp_f32_e32 v19, v20
	v_mul_f32_e32 v26, v15, v16
	v_fma_f32 v25, -v8, v23, v14
	v_fmac_f32_e32 v22, v24, v11
	v_mul_f32_e32 v4, v4, v4
	v_div_scale_f32 v18, null, v21, v21, 1.0
	v_fma_f32 v24, -v13, v26, v15
	v_fmac_f32_e32 v23, v25, v12
	v_fma_f32 v6, -v6, v22, v9
	v_mul_f32_e32 v9, v27, v27
	v_rcp_f32_e32 v25, v18
	v_fmac_f32_e32 v26, v24, v16
	v_fma_f32 v8, -v8, v23, v14
	v_div_fmas_f32 v6, v6, v11, v22
	s_mov_b32 vcc_lo, s0
	v_fma_f32 v28, -v20, v19, 1.0
	v_fma_f32 v11, -v13, v26, v15
	v_div_fmas_f32 v8, v8, v12, v23
	s_mov_b32 vcc_lo, s1
	v_div_scale_f32 v12, null, v4, v4, 1.0
	v_div_fmas_f32 v11, v11, v16, v26
	v_div_scale_f32 v13, null, v9, v9, 1.0
	v_add_f32_e32 v16, v27, v27
	v_rcp_f32_e32 v15, v12
	v_fmac_f32_e32 v19, v28, v19
	v_rcp_f32_e32 v23, v13
	v_div_scale_f32 v14, vcc_lo, 1.0, v17, 1.0
	v_div_scale_f32 v26, null, v16, v16, 1.0
	v_fma_f32 v22, -v18, v25, 1.0
	v_mul_f32_e32 v24, v14, v19
	v_div_fixup_f32 v1, v6, v1, 1.0
	v_rcp_f32_e32 v29, v26
	v_fma_f32 v28, -v12, v15, 1.0
	v_fmac_f32_e32 v25, v22, v25
	v_div_scale_f32 v22, s0, 1.0, v21, 1.0
	v_fma_f32 v31, -v13, v23, 1.0
	v_fma_f32 v30, -v20, v24, v14
	v_fmac_f32_e32 v15, v28, v15
	v_div_scale_f32 v28, s1, 1.0, v4, 1.0
	v_mul_f32_e32 v32, v22, v25
	v_fmac_f32_e32 v23, v31, v23
	v_div_scale_f32 v31, s2, 1.0, v9, 1.0
	v_fma_f32 v33, -v26, v29, 1.0
	v_fmac_f32_e32 v24, v30, v19
	v_mul_f32_e32 v34, v28, v15
	v_fma_f32 v30, -v18, v32, v22
	v_mul_f32_e32 v35, v31, v23
	v_fmac_f32_e32 v29, v33, v29
	v_div_scale_f32 v33, s3, 1.0, v16, 1.0
	v_fma_f32 v14, -v20, v24, v14
	v_fma_f32 v20, -v12, v34, v28
	v_fmac_f32_e32 v32, v30, v25
	v_fma_f32 v30, -v13, v35, v31
	v_mul_f32_e32 v36, v33, v29
	v_div_fmas_f32 v14, v14, v19, v24
	v_fmac_f32_e32 v34, v20, v15
	v_fma_f32 v18, -v18, v32, v22
	v_fmac_f32_e32 v35, v30, v23
	v_fma_f32 v19, -v26, v36, v33
	s_mov_b32 vcc_lo, s0
	v_fma_f32 v12, -v12, v34, v28
	v_div_fmas_f32 v18, v18, v25, v32
	v_fma_f32 v13, -v13, v35, v31
	v_fmac_f32_e32 v36, v19, v29
	s_mov_b32 vcc_lo, s1
	s_mov_b32 s0, 0xbcc30c31
	v_div_fmas_f32 v12, v12, v15, v34
	s_mov_b32 vcc_lo, s2
	v_fma_f32 v15, -v26, v36, v33
	v_div_fmas_f32 v13, v13, v23, v35
	s_mov_b32 vcc_lo, s3
	v_add_f32_e32 v1, v3, v1
	v_div_fixup_f32 v3, v8, v5, 1.0
	v_div_fmas_f32 v15, v15, v29, v36
	v_div_fixup_f32 v9, v13, v9, 1.0
	v_add_f32_e32 v1, v1, v3
	v_div_fixup_f32 v13, v15, v16, 1.0
	v_fmaak_f32 v15, s0, v9, 0x3d088889
	v_div_fixup_f32 v3, v11, v10, 1.0
	v_add_f32_e32 v13, 1.0, v13
	v_fma_f32 v15, -v9, v15, 0x3e2aaaab
	v_add_f32_e32 v1, v1, v3
	v_div_fixup_f32 v3, v14, v17, 1.0
	v_fmac_f32_e32 v13, v9, v15
	v_add_f32_e32 v1, v1, v3
	v_div_fixup_f32 v3, v18, v21, 1.0
	v_div_scale_f32 v9, null, v27, v27, v13
	v_div_scale_f32 v5, vcc_lo, v13, v27, v13
	v_add_f32_e32 v1, v1, v3
	v_rcp_f32_e32 v15, v9
	v_div_fixup_f32 v3, v12, v4, 1.0
	v_add_f32_e32 v1, v1, v3
	v_fma_f32 v6, -v9, v15, 1.0
	v_fmac_f32_e32 v15, v6, v15
	v_mul_f32_e32 v6, v5, v15
	v_fma_f32 v8, -v9, v6, v5
	v_fmac_f32_e32 v6, v8, v15
	v_fma_f32 v5, -v9, v6, v5
	v_div_fmas_f32 v4, v5, v15, v6
	v_div_fixup_f32 v3, v4, v27, v13
	v_add_f32_e32 v1, v1, v3
	v_mul_f32_e32 v1, v2, v1
	v_bfe_u32 v2, v1, 16, 1
	v_cmp_o_f32_e32 vcc_lo, v1, v1
	v_add3_u32 v1, v1, v2, 0x7fff
	v_mov_b32_e32 v2, 0x7fc0
	v_cndmask_b32_sdwa v1, v2, v1, vcc_lo dst_sel:DWORD dst_unused:UNUSED_PAD src0_sel:DWORD src1_sel:WORD_1
	global_store_short v0, v1, s[4:5]
	s_or_b32 exec_lo, exec_lo, s30
	s_mov_b32 s30, exec_lo
	v_cmpx_gt_i32_e64 s27, v7
	s_cbranch_execnz .LBB75_282
.LBB75_303:
	s_or_b32 exec_lo, exec_lo, s30
	v_cmp_gt_i32_e32 vcc_lo, s27, v7
	s_and_saveexec_b32 s27, vcc_lo
	s_cbranch_execnz .LBB75_320
.LBB75_304:
	s_or_b32 exec_lo, exec_lo, s27
                                        ; implicit-def: $vgpr18
                                        ; implicit-def: $vgpr7
	s_andn2_saveexec_b32 s0, s25
	s_cbranch_execnz .LBB75_8
.LBB75_305:
	s_endpgm
.LBB75_306:
	v_mov_b32_e32 v0, 0
	v_mov_b32_e32 v2, 0
	;; [unrolled: 1-line block ×3, first 2 shown]
	s_mov_b32 s31, 0
.LBB75_307:
	s_and_b32 s33, s33, 3
	s_cmp_eq_u32 s33, 0
	s_cbranch_scc1 .LBB75_310
; %bb.308:
	s_lshl_b32 s0, s31, 3
	s_mul_i32 s2, s31, 12
	s_add_u32 s0, s16, s0
	s_addc_u32 s1, s17, 0
	s_add_u32 s0, s0, 0xc4
	s_addc_u32 s1, s1, 0
	s_add_u32 s2, s16, s2
	s_addc_u32 s3, s17, 0
	.p2align	6
.LBB75_309:                             ; =>This Inner Loop Header: Depth=1
	s_clause 0x1
	s_load_dwordx2 s[34:35], s[2:3], 0x4
	s_load_dword s31, s[2:3], 0xc
	s_load_dwordx2 s[36:37], s[0:1], 0x0
	s_add_u32 s2, s2, 12
	s_addc_u32 s3, s3, 0
	s_add_u32 s0, s0, 8
	s_addc_u32 s1, s1, 0
	s_add_i32 s33, s33, -1
	s_cmp_lg_u32 s33, 0
	s_waitcnt lgkmcnt(0)
	v_mul_hi_u32 v3, s35, v1
	v_add_nc_u32_e32 v3, v1, v3
	v_lshrrev_b32_e32 v4, s31, v3
	v_mul_lo_u32 v3, v4, s34
	v_sub_nc_u32_e32 v3, v1, v3
	v_mad_u64_u32 v[0:1], null, v3, s36, v[0:1]
	v_mad_u64_u32 v[2:3], null, v3, s37, v[2:3]
	v_mov_b32_e32 v1, v4
	s_cbranch_scc1 .LBB75_309
.LBB75_310:
	s_cbranch_execnz .LBB75_313
.LBB75_311:
	s_waitcnt lgkmcnt(0)
	v_mul_hi_u32 v0, s13, v7
	s_andn2_b32 vcc_lo, exec_lo, s26
	v_add_nc_u32_e32 v0, v7, v0
	v_lshrrev_b32_e32 v1, s14, v0
	v_mul_lo_u32 v0, v1, s12
	v_sub_nc_u32_e32 v2, v7, v0
	v_mul_lo_u32 v0, v2, s8
	v_mul_lo_u32 v2, v2, s9
	s_cbranch_vccnz .LBB75_313
; %bb.312:
	v_mul_hi_u32 v3, s18, v1
	v_add_nc_u32_e32 v3, v1, v3
	v_lshrrev_b32_e32 v3, s19, v3
	v_mul_lo_u32 v3, v3, s15
	v_sub_nc_u32_e32 v3, v1, v3
	v_mad_u64_u32 v[0:1], null, v3, s10, v[0:1]
	v_mad_u64_u32 v[2:3], null, v3, s11, v[2:3]
.LBB75_313:
	s_waitcnt lgkmcnt(0)
	global_load_ushort v1, v2, s[6:7]
	v_mov_b32_e32 v3, 0
	v_mov_b32_e32 v2, 1.0
	s_mov_b32 s2, exec_lo
	s_waitcnt vmcnt(0)
	v_lshlrev_b32_e32 v1, 16, v1
	v_cmpx_gt_f32_e32 0.5, v1
	s_cbranch_execz .LBB75_319
; %bb.314:
	v_mul_f32_e32 v2, 0x40490fdb, v1
                                        ; implicit-def: $vgpr5
                                        ; implicit-def: $vgpr4
	s_mov_b32 s1, exec_lo
	v_and_b32_e32 v3, 0x7fffffff, v2
	v_cmpx_ngt_f32_e64 0x48000000, |v2|
	s_xor_b32 s3, exec_lo, s1
	s_cbranch_execz .LBB75_316
; %bb.315:
	s_mov_b32 s0, 0x7fffff
	v_mov_b32_e32 v6, 0
	v_and_or_b32 v14, v3, s0, 0x800000
	v_lshrrev_b32_e32 v12, 23, v3
	v_mad_u64_u32 v[4:5], null, 0xfe5163ab, v14, 0
	v_add_nc_u32_e32 v13, 0xffffff88, v12
	v_cmp_lt_u32_e32 vcc_lo, 63, v13
	v_mad_u64_u32 v[8:9], null, 0x3c439041, v14, v[5:6]
	v_cndmask_b32_e64 v15, 0, 0xffffffc0, vcc_lo
	v_mov_b32_e32 v5, v9
	v_add_nc_u32_e32 v15, v15, v13
	v_mad_u64_u32 v[9:10], null, 0xdb629599, v14, v[5:6]
	v_cmp_lt_u32_e64 s0, 31, v15
	v_cndmask_b32_e64 v16, 0, 0xffffffe0, s0
	v_mov_b32_e32 v5, v10
	v_cndmask_b32_e32 v4, v9, v4, vcc_lo
	v_mad_u64_u32 v[10:11], null, 0xf534ddc0, v14, v[5:6]
	v_mov_b32_e32 v5, v11
	v_cndmask_b32_e32 v8, v10, v8, vcc_lo
	v_mad_u64_u32 v[11:12], null, 0xfc2757d1, v14, v[5:6]
	v_cndmask_b32_e64 v4, v8, v4, s0
	v_mov_b32_e32 v5, v12
	v_mad_u64_u32 v[12:13], null, 0x4e441529, v14, v[5:6]
	v_mov_b32_e32 v5, v13
	v_add_nc_u32_e32 v13, v16, v15
	v_cndmask_b32_e32 v15, v12, v10, vcc_lo
	v_mad_u64_u32 v[5:6], null, 0xa2f9836e, v14, v[5:6]
	v_cmp_lt_u32_e64 s1, 31, v13
	v_cndmask_b32_e64 v14, 0, 0xffffffe0, s1
	v_cndmask_b32_e32 v5, v5, v11, vcc_lo
	v_cndmask_b32_e32 v6, v6, v12, vcc_lo
	;; [unrolled: 1-line block ×3, first 2 shown]
	v_add_nc_u32_e32 v12, v14, v13
	v_cndmask_b32_e64 v10, v5, v15, s0
	v_cndmask_b32_e64 v5, v6, v5, s0
	;; [unrolled: 1-line block ×4, first 2 shown]
	v_sub_nc_u32_e32 v13, 32, v12
	v_cmp_eq_u32_e32 vcc_lo, 0, v12
	v_cndmask_b32_e64 v5, v5, v10, s1
	v_cndmask_b32_e64 v10, v10, v6, s1
	;; [unrolled: 1-line block ×4, first 2 shown]
	v_alignbit_b32 v14, v5, v10, v13
	v_alignbit_b32 v9, v10, v6, v13
	;; [unrolled: 1-line block ×3, first 2 shown]
	v_cndmask_b32_e32 v5, v14, v5, vcc_lo
	v_cndmask_b32_e32 v8, v9, v10, vcc_lo
	;; [unrolled: 1-line block ×3, first 2 shown]
	v_bfe_u32 v9, v5, 29, 1
	v_alignbit_b32 v10, v5, v8, 30
	v_alignbit_b32 v8, v8, v6, 30
	;; [unrolled: 1-line block ×3, first 2 shown]
	v_sub_nc_u32_e32 v11, 0, v9
	v_xor_b32_e32 v10, v10, v11
	v_xor_b32_e32 v6, v8, v11
	;; [unrolled: 1-line block ×3, first 2 shown]
	v_lshrrev_b32_e32 v11, 29, v5
	v_lshrrev_b32_e32 v5, 30, v5
	v_ffbh_u32_e32 v12, v10
	v_add_nc_u32_e32 v5, v9, v5
	v_min_u32_e32 v12, 32, v12
	v_sub_nc_u32_e32 v8, 31, v12
	v_lshlrev_b32_e32 v13, 23, v12
	v_alignbit_b32 v10, v10, v6, v8
	v_alignbit_b32 v4, v6, v4, v8
	v_lshlrev_b32_e32 v6, 31, v11
	v_alignbit_b32 v8, v10, v4, 9
	v_or_b32_e32 v11, 0.5, v6
	v_lshrrev_b32_e32 v10, 9, v10
	v_or_b32_e32 v6, 0x33000000, v6
	v_ffbh_u32_e32 v14, v8
	v_sub_nc_u32_e32 v11, v11, v13
	v_min_u32_e32 v13, 32, v14
	v_or_b32_e32 v10, v10, v11
	v_not_b32_e32 v11, v13
	v_mul_f32_e32 v14, 0x3fc90fda, v10
	v_add_lshl_u32 v12, v13, v12, 23
	v_alignbit_b32 v4, v8, v4, v11
	v_fma_f32 v8, 0x3fc90fda, v10, -v14
	v_sub_nc_u32_e32 v6, v6, v12
	v_lshrrev_b32_e32 v4, 9, v4
	v_fmamk_f32 v8, v10, 0x33a22168, v8
	v_or_b32_e32 v4, v6, v4
	v_fmac_f32_e32 v8, 0x3fc90fda, v4
	v_add_f32_e32 v4, v14, v8
.LBB75_316:
	s_andn2_saveexec_b32 s0, s3
; %bb.317:
	v_mul_f32_e64 v4, 0x3f22f983, |v2|
	v_rndne_f32_e32 v5, v4
	v_fma_f32 v4, 0xbfc90fda, v5, |v2|
	v_fmamk_f32 v4, v5, 0xb3a22168, v4
	v_fmamk_f32 v4, v5, 0xa7c234c4, v4
	v_cvt_i32_f32_e32 v5, v5
; %bb.318:
	s_or_b32 exec_lo, exec_lo, s0
	v_mul_f32_e32 v6, v4, v4
	s_mov_b32 s0, 0xb94c1982
	s_mov_b32 s1, 0x37d75334
	v_and_b32_e32 v10, 1, v5
	v_lshlrev_b32_e32 v5, 30, v5
	v_fmaak_f32 v8, s0, v6, 0x3c0881c4
	v_fmaak_f32 v9, s1, v6, 0xbab64f3b
	v_xor_b32_e32 v3, v3, v2
	v_cmp_eq_u32_e32 vcc_lo, 0, v10
	v_and_b32_e32 v5, 0x80000000, v5
	v_fmaak_f32 v8, v6, v8, 0xbe2aaa9d
	v_fmaak_f32 v9, v6, v9, 0x3d2aabf7
	v_sub_f32_e32 v1, 1.0, v1
	v_mul_f32_e32 v8, v6, v8
	v_fmaak_f32 v9, v6, v9, 0xbf000004
	v_fmac_f32_e32 v4, v4, v8
	v_fma_f32 v6, v6, v9, 1.0
	v_cndmask_b32_e32 v4, v6, v4, vcc_lo
	v_cmp_class_f32_e64 vcc_lo, v2, 0x1f8
	v_xor3_b32 v3, v3, v5, v4
	v_cndmask_b32_e32 v2, 0x7fc00000, v3, vcc_lo
	v_mul_f32_e32 v2, v2, v2
	v_div_scale_f32 v3, null, v2, v2, 0xc11de9e7
	v_div_scale_f32 v6, vcc_lo, 0xc11de9e7, v2, 0xc11de9e7
	v_rcp_f32_e32 v4, v3
	v_fma_f32 v5, -v3, v4, 1.0
	v_fmac_f32_e32 v4, v5, v4
	v_mul_f32_e32 v5, v6, v4
	v_fma_f32 v8, -v3, v5, v6
	v_fmac_f32_e32 v5, v8, v4
	v_fma_f32 v3, -v3, v5, v6
	v_div_fmas_f32 v3, v3, v4, v5
	v_div_fixup_f32 v2, v3, v2, 0xc11de9e7
	v_add_f32_e32 v3, 0, v2
	v_mov_b32_e32 v2, -1.0
.LBB75_319:
	s_or_b32 exec_lo, exec_lo, s2
	v_add_f32_e32 v4, 1.0, v1
	v_mul_f32_e32 v1, v1, v1
	v_add_nc_u32_e32 v7, 0x80, v7
	v_mul_f32_e32 v5, v4, v4
	v_add_f32_e32 v4, 1.0, v4
	v_div_scale_f32 v6, null, v1, v1, 1.0
	v_div_scale_f32 v9, vcc_lo, 1.0, v1, 1.0
	v_mul_f32_e32 v10, v4, v4
	v_div_scale_f32 v8, null, v5, v5, 1.0
	v_rcp_f32_e32 v11, v6
	v_div_scale_f32 v14, s0, 1.0, v5, 1.0
	v_div_scale_f32 v13, null, v10, v10, 1.0
	v_rcp_f32_e32 v12, v8
	v_add_f32_e32 v4, 1.0, v4
	v_div_scale_f32 v15, s1, 1.0, v10, 1.0
	v_rcp_f32_e32 v16, v13
	v_fma_f32 v18, -v6, v11, 1.0
	v_mul_f32_e32 v17, v4, v4
	v_add_f32_e32 v4, 1.0, v4
	v_fma_f32 v19, -v8, v12, 1.0
	v_fmac_f32_e32 v11, v18, v11
	v_mul_f32_e32 v21, v4, v4
	v_add_f32_e32 v4, 1.0, v4
	v_fma_f32 v18, -v13, v16, 1.0
	v_fmac_f32_e32 v12, v19, v12
	v_mul_f32_e32 v22, v9, v11
	v_div_scale_f32 v20, null, v17, v17, 1.0
	v_fmac_f32_e32 v16, v18, v16
	v_mul_f32_e32 v23, v14, v12
	v_fma_f32 v24, -v6, v22, v9
	v_add_f32_e32 v27, 1.0, v4
	v_rcp_f32_e32 v19, v20
	v_mul_f32_e32 v26, v15, v16
	v_fma_f32 v25, -v8, v23, v14
	v_fmac_f32_e32 v22, v24, v11
	v_mul_f32_e32 v4, v4, v4
	v_div_scale_f32 v18, null, v21, v21, 1.0
	v_fma_f32 v24, -v13, v26, v15
	v_fmac_f32_e32 v23, v25, v12
	v_fma_f32 v6, -v6, v22, v9
	v_mul_f32_e32 v9, v27, v27
	v_rcp_f32_e32 v25, v18
	v_fmac_f32_e32 v26, v24, v16
	v_fma_f32 v8, -v8, v23, v14
	v_div_fmas_f32 v6, v6, v11, v22
	s_mov_b32 vcc_lo, s0
	v_fma_f32 v28, -v20, v19, 1.0
	v_fma_f32 v11, -v13, v26, v15
	v_div_fmas_f32 v8, v8, v12, v23
	s_mov_b32 vcc_lo, s1
	v_div_scale_f32 v12, null, v4, v4, 1.0
	v_div_fmas_f32 v11, v11, v16, v26
	v_div_scale_f32 v13, null, v9, v9, 1.0
	v_add_f32_e32 v16, v27, v27
	v_rcp_f32_e32 v15, v12
	v_fmac_f32_e32 v19, v28, v19
	v_rcp_f32_e32 v23, v13
	v_div_scale_f32 v14, vcc_lo, 1.0, v17, 1.0
	v_div_scale_f32 v26, null, v16, v16, 1.0
	v_fma_f32 v22, -v18, v25, 1.0
	v_mul_f32_e32 v24, v14, v19
	v_div_fixup_f32 v1, v6, v1, 1.0
	v_rcp_f32_e32 v29, v26
	v_fma_f32 v28, -v12, v15, 1.0
	v_fmac_f32_e32 v25, v22, v25
	v_div_scale_f32 v22, s0, 1.0, v21, 1.0
	v_fma_f32 v31, -v13, v23, 1.0
	v_fma_f32 v30, -v20, v24, v14
	v_fmac_f32_e32 v15, v28, v15
	v_div_scale_f32 v28, s1, 1.0, v4, 1.0
	v_mul_f32_e32 v32, v22, v25
	v_fmac_f32_e32 v23, v31, v23
	v_div_scale_f32 v31, s2, 1.0, v9, 1.0
	v_fma_f32 v33, -v26, v29, 1.0
	v_fmac_f32_e32 v24, v30, v19
	v_mul_f32_e32 v34, v28, v15
	v_fma_f32 v30, -v18, v32, v22
	v_mul_f32_e32 v35, v31, v23
	v_fmac_f32_e32 v29, v33, v29
	v_div_scale_f32 v33, s3, 1.0, v16, 1.0
	v_fma_f32 v14, -v20, v24, v14
	v_fma_f32 v20, -v12, v34, v28
	v_fmac_f32_e32 v32, v30, v25
	v_fma_f32 v30, -v13, v35, v31
	v_mul_f32_e32 v36, v33, v29
	v_div_fmas_f32 v14, v14, v19, v24
	v_fmac_f32_e32 v34, v20, v15
	v_fma_f32 v18, -v18, v32, v22
	v_fmac_f32_e32 v35, v30, v23
	v_fma_f32 v19, -v26, v36, v33
	s_mov_b32 vcc_lo, s0
	v_fma_f32 v12, -v12, v34, v28
	v_div_fmas_f32 v18, v18, v25, v32
	v_fma_f32 v13, -v13, v35, v31
	v_fmac_f32_e32 v36, v19, v29
	s_mov_b32 vcc_lo, s1
	s_mov_b32 s0, 0xbcc30c31
	v_div_fmas_f32 v12, v12, v15, v34
	s_mov_b32 vcc_lo, s2
	v_fma_f32 v15, -v26, v36, v33
	v_div_fmas_f32 v13, v13, v23, v35
	s_mov_b32 vcc_lo, s3
	v_add_f32_e32 v1, v3, v1
	v_div_fixup_f32 v3, v8, v5, 1.0
	v_div_fmas_f32 v15, v15, v29, v36
	v_div_fixup_f32 v9, v13, v9, 1.0
	v_add_f32_e32 v1, v1, v3
	v_div_fixup_f32 v13, v15, v16, 1.0
	v_fmaak_f32 v15, s0, v9, 0x3d088889
	v_div_fixup_f32 v3, v11, v10, 1.0
	v_add_f32_e32 v13, 1.0, v13
	v_fma_f32 v15, -v9, v15, 0x3e2aaaab
	v_add_f32_e32 v1, v1, v3
	v_div_fixup_f32 v3, v14, v17, 1.0
	v_fmac_f32_e32 v13, v9, v15
	v_add_f32_e32 v1, v1, v3
	v_div_fixup_f32 v3, v18, v21, 1.0
	v_div_scale_f32 v9, null, v27, v27, v13
	v_div_scale_f32 v5, vcc_lo, v13, v27, v13
	v_add_f32_e32 v1, v1, v3
	v_rcp_f32_e32 v15, v9
	v_div_fixup_f32 v3, v12, v4, 1.0
	v_add_f32_e32 v1, v1, v3
	v_fma_f32 v6, -v9, v15, 1.0
	v_fmac_f32_e32 v15, v6, v15
	v_mul_f32_e32 v6, v5, v15
	v_fma_f32 v8, -v9, v6, v5
	v_fmac_f32_e32 v6, v8, v15
	v_fma_f32 v5, -v9, v6, v5
	v_div_fmas_f32 v4, v5, v15, v6
	v_div_fixup_f32 v3, v4, v27, v13
	v_add_f32_e32 v1, v1, v3
	v_mul_f32_e32 v1, v2, v1
	v_bfe_u32 v2, v1, 16, 1
	v_cmp_o_f32_e32 vcc_lo, v1, v1
	v_add3_u32 v1, v1, v2, 0x7fff
	v_mov_b32_e32 v2, 0x7fc0
	v_cndmask_b32_sdwa v1, v2, v1, vcc_lo dst_sel:DWORD dst_unused:UNUSED_PAD src0_sel:DWORD src1_sel:WORD_1
	global_store_short v0, v1, s[4:5]
	s_or_b32 exec_lo, exec_lo, s30
	v_cmp_gt_i32_e32 vcc_lo, s27, v7
	s_and_saveexec_b32 s27, vcc_lo
	s_cbranch_execz .LBB75_304
.LBB75_320:
	s_andn2_b32 vcc_lo, exec_lo, s24
	s_cbranch_vccnz .LBB75_325
; %bb.321:
	s_andn2_b32 vcc_lo, exec_lo, s29
	s_cbranch_vccnz .LBB75_326
; %bb.322:
	s_add_i32 s28, s28, 1
	s_cmp_eq_u32 s23, 2
	s_cbranch_scc1 .LBB75_327
; %bb.323:
	v_mov_b32_e32 v2, 0
	v_mov_b32_e32 v0, 0
	;; [unrolled: 1-line block ×3, first 2 shown]
	s_and_b32 s2, s28, 28
	s_mov_b32 s3, 0
	s_mov_b64 s[0:1], s[16:17]
.LBB75_324:                             ; =>This Inner Loop Header: Depth=1
	s_clause 0x1
	s_load_dwordx8 s[36:43], s[0:1], 0x4
	s_load_dwordx4 s[52:55], s[0:1], 0x24
	s_load_dwordx8 s[44:51], s[20:21], 0x0
	s_add_u32 s0, s0, 48
	s_addc_u32 s1, s1, 0
	s_add_i32 s3, s3, 4
	s_add_u32 s20, s20, 32
	s_addc_u32 s21, s21, 0
	s_cmp_eq_u32 s2, s3
	s_waitcnt lgkmcnt(0)
	v_mul_hi_u32 v3, s37, v1
	v_add_nc_u32_e32 v3, v1, v3
	v_lshrrev_b32_e32 v3, s38, v3
	v_mul_hi_u32 v4, s40, v3
	v_mul_lo_u32 v6, v3, s36
	v_add_nc_u32_e32 v4, v3, v4
	v_sub_nc_u32_e32 v1, v1, v6
	v_lshrrev_b32_e32 v4, s41, v4
	v_mul_lo_u32 v6, v1, s44
	v_mul_lo_u32 v9, v1, s45
	v_mul_hi_u32 v5, s43, v4
	v_add_nc_u32_e32 v5, v4, v5
	v_lshrrev_b32_e32 v5, s52, v5
	v_mul_hi_u32 v8, s54, v5
	v_mul_lo_u32 v10, v5, s42
	v_add_nc_u32_e32 v1, v5, v8
	v_mul_lo_u32 v8, v4, s39
	v_sub_nc_u32_e32 v4, v4, v10
	v_lshrrev_b32_e32 v1, s55, v1
	v_mul_lo_u32 v10, v4, s48
	v_mul_lo_u32 v4, v4, s49
	v_sub_nc_u32_e32 v3, v3, v8
	v_mul_lo_u32 v11, v1, s53
	v_mul_lo_u32 v8, v3, s46
	;; [unrolled: 1-line block ×3, first 2 shown]
	v_sub_nc_u32_e32 v5, v5, v11
	v_add3_u32 v0, v6, v0, v8
	v_mul_lo_u32 v11, v5, s50
	v_mul_lo_u32 v5, v5, s51
	v_add3_u32 v2, v9, v2, v3
	v_add3_u32 v0, v10, v0, v11
	;; [unrolled: 1-line block ×3, first 2 shown]
	s_cbranch_scc0 .LBB75_324
	s_branch .LBB75_328
.LBB75_325:
                                        ; implicit-def: $vgpr0
                                        ; implicit-def: $vgpr2
	s_branch .LBB75_332
.LBB75_326:
	v_mov_b32_e32 v0, 0
	v_mov_b32_e32 v2, 0
	s_branch .LBB75_331
.LBB75_327:
	v_mov_b32_e32 v0, 0
	v_mov_b32_e32 v2, 0
	;; [unrolled: 1-line block ×3, first 2 shown]
	s_mov_b32 s2, 0
.LBB75_328:
	s_and_b32 s20, s28, 3
	s_cmp_eq_u32 s20, 0
	s_cbranch_scc1 .LBB75_331
; %bb.329:
	s_lshl_b32 s0, s2, 3
	s_mul_i32 s2, s2, 12
	s_add_u32 s0, s16, s0
	s_addc_u32 s1, s17, 0
	s_add_u32 s0, s0, 0xc4
	s_addc_u32 s1, s1, 0
	;; [unrolled: 2-line block ×3, first 2 shown]
	.p2align	6
.LBB75_330:                             ; =>This Inner Loop Header: Depth=1
	s_clause 0x1
	s_load_dwordx2 s[28:29], s[2:3], 0x4
	s_load_dword s21, s[2:3], 0xc
	s_load_dwordx2 s[30:31], s[0:1], 0x0
	s_add_u32 s2, s2, 12
	s_addc_u32 s3, s3, 0
	s_add_u32 s0, s0, 8
	s_addc_u32 s1, s1, 0
	s_add_i32 s20, s20, -1
	s_cmp_lg_u32 s20, 0
	s_waitcnt lgkmcnt(0)
	v_mul_hi_u32 v3, s29, v1
	v_add_nc_u32_e32 v3, v1, v3
	v_lshrrev_b32_e32 v4, s21, v3
	v_mul_lo_u32 v3, v4, s28
	v_sub_nc_u32_e32 v3, v1, v3
	v_mad_u64_u32 v[0:1], null, v3, s30, v[0:1]
	v_mad_u64_u32 v[2:3], null, v3, s31, v[2:3]
	v_mov_b32_e32 v1, v4
	s_cbranch_scc1 .LBB75_330
.LBB75_331:
	s_cbranch_execnz .LBB75_334
.LBB75_332:
	s_waitcnt lgkmcnt(0)
	v_mul_hi_u32 v0, s13, v7
	s_andn2_b32 vcc_lo, exec_lo, s26
	v_add_nc_u32_e32 v0, v7, v0
	v_lshrrev_b32_e32 v1, s14, v0
	v_mul_lo_u32 v0, v1, s12
	v_sub_nc_u32_e32 v2, v7, v0
	v_mul_lo_u32 v0, v2, s8
	v_mul_lo_u32 v2, v2, s9
	s_cbranch_vccnz .LBB75_334
; %bb.333:
	v_mul_hi_u32 v3, s18, v1
	v_add_nc_u32_e32 v3, v1, v3
	v_lshrrev_b32_e32 v3, s19, v3
	v_mul_lo_u32 v3, v3, s15
	v_sub_nc_u32_e32 v3, v1, v3
	v_mad_u64_u32 v[0:1], null, v3, s10, v[0:1]
	v_mad_u64_u32 v[2:3], null, v3, s11, v[2:3]
.LBB75_334:
	s_waitcnt lgkmcnt(0)
	global_load_ushort v1, v2, s[6:7]
	v_mov_b32_e32 v3, 0
	v_mov_b32_e32 v2, 1.0
	s_mov_b32 s2, exec_lo
	s_waitcnt vmcnt(0)
	v_lshlrev_b32_e32 v1, 16, v1
	v_cmpx_gt_f32_e32 0.5, v1
	s_cbranch_execz .LBB75_340
; %bb.335:
	v_mul_f32_e32 v2, 0x40490fdb, v1
                                        ; implicit-def: $vgpr5
                                        ; implicit-def: $vgpr4
	s_mov_b32 s1, exec_lo
	v_and_b32_e32 v3, 0x7fffffff, v2
	v_cmpx_ngt_f32_e64 0x48000000, |v2|
	s_xor_b32 s3, exec_lo, s1
	s_cbranch_execz .LBB75_337
; %bb.336:
	s_mov_b32 s0, 0x7fffff
	v_mov_b32_e32 v6, 0
	v_and_or_b32 v13, v3, s0, 0x800000
	v_lshrrev_b32_e32 v11, 23, v3
	v_mad_u64_u32 v[4:5], null, 0xfe5163ab, v13, 0
	v_add_nc_u32_e32 v12, 0xffffff88, v11
	v_cmp_lt_u32_e32 vcc_lo, 63, v12
	v_mad_u64_u32 v[7:8], null, 0x3c439041, v13, v[5:6]
	v_cndmask_b32_e64 v14, 0, 0xffffffc0, vcc_lo
	v_mov_b32_e32 v5, v8
	v_add_nc_u32_e32 v14, v14, v12
	v_mad_u64_u32 v[8:9], null, 0xdb629599, v13, v[5:6]
	v_cmp_lt_u32_e64 s0, 31, v14
	v_cndmask_b32_e64 v15, 0, 0xffffffe0, s0
	v_mov_b32_e32 v5, v9
	v_cndmask_b32_e32 v4, v8, v4, vcc_lo
	v_mad_u64_u32 v[9:10], null, 0xf534ddc0, v13, v[5:6]
	v_mov_b32_e32 v5, v10
	v_cndmask_b32_e32 v7, v9, v7, vcc_lo
	v_mad_u64_u32 v[10:11], null, 0xfc2757d1, v13, v[5:6]
	v_cndmask_b32_e64 v4, v7, v4, s0
	v_mov_b32_e32 v5, v11
	v_mad_u64_u32 v[11:12], null, 0x4e441529, v13, v[5:6]
	v_mov_b32_e32 v5, v12
	v_add_nc_u32_e32 v12, v15, v14
	v_cndmask_b32_e32 v14, v11, v9, vcc_lo
	v_mad_u64_u32 v[5:6], null, 0xa2f9836e, v13, v[5:6]
	v_cmp_lt_u32_e64 s1, 31, v12
	v_cndmask_b32_e64 v13, 0, 0xffffffe0, s1
	v_cndmask_b32_e32 v5, v5, v10, vcc_lo
	v_cndmask_b32_e32 v6, v6, v11, vcc_lo
	;; [unrolled: 1-line block ×3, first 2 shown]
	v_add_nc_u32_e32 v11, v13, v12
	v_cndmask_b32_e64 v9, v5, v14, s0
	v_cndmask_b32_e64 v5, v6, v5, s0
	;; [unrolled: 1-line block ×4, first 2 shown]
	v_sub_nc_u32_e32 v12, 32, v11
	v_cmp_eq_u32_e32 vcc_lo, 0, v11
	v_cndmask_b32_e64 v5, v5, v9, s1
	v_cndmask_b32_e64 v9, v9, v6, s1
	;; [unrolled: 1-line block ×4, first 2 shown]
	v_alignbit_b32 v13, v5, v9, v12
	v_alignbit_b32 v8, v9, v6, v12
	v_alignbit_b32 v11, v6, v4, v12
	v_cndmask_b32_e32 v5, v13, v5, vcc_lo
	v_cndmask_b32_e32 v7, v8, v9, vcc_lo
	;; [unrolled: 1-line block ×3, first 2 shown]
	v_bfe_u32 v8, v5, 29, 1
	v_alignbit_b32 v9, v5, v7, 30
	v_alignbit_b32 v7, v7, v6, 30
	;; [unrolled: 1-line block ×3, first 2 shown]
	v_sub_nc_u32_e32 v10, 0, v8
	v_xor_b32_e32 v9, v9, v10
	v_xor_b32_e32 v6, v7, v10
	;; [unrolled: 1-line block ×3, first 2 shown]
	v_lshrrev_b32_e32 v10, 29, v5
	v_lshrrev_b32_e32 v5, 30, v5
	v_ffbh_u32_e32 v11, v9
	v_add_nc_u32_e32 v5, v8, v5
	v_min_u32_e32 v11, 32, v11
	v_sub_nc_u32_e32 v7, 31, v11
	v_lshlrev_b32_e32 v12, 23, v11
	v_alignbit_b32 v9, v9, v6, v7
	v_alignbit_b32 v4, v6, v4, v7
	v_lshlrev_b32_e32 v6, 31, v10
	v_alignbit_b32 v7, v9, v4, 9
	v_or_b32_e32 v10, 0.5, v6
	v_lshrrev_b32_e32 v9, 9, v9
	v_or_b32_e32 v6, 0x33000000, v6
	v_ffbh_u32_e32 v13, v7
	v_sub_nc_u32_e32 v10, v10, v12
	v_min_u32_e32 v12, 32, v13
	v_or_b32_e32 v9, v9, v10
	v_not_b32_e32 v10, v12
	v_mul_f32_e32 v13, 0x3fc90fda, v9
	v_add_lshl_u32 v11, v12, v11, 23
	v_alignbit_b32 v4, v7, v4, v10
	v_fma_f32 v7, 0x3fc90fda, v9, -v13
	v_sub_nc_u32_e32 v6, v6, v11
	v_lshrrev_b32_e32 v4, 9, v4
	v_fmamk_f32 v7, v9, 0x33a22168, v7
	v_or_b32_e32 v4, v6, v4
	v_fmac_f32_e32 v7, 0x3fc90fda, v4
	v_add_f32_e32 v4, v13, v7
.LBB75_337:
	s_andn2_saveexec_b32 s0, s3
; %bb.338:
	v_mul_f32_e64 v4, 0x3f22f983, |v2|
	v_rndne_f32_e32 v5, v4
	v_fma_f32 v4, 0xbfc90fda, v5, |v2|
	v_fmamk_f32 v4, v5, 0xb3a22168, v4
	v_fmamk_f32 v4, v5, 0xa7c234c4, v4
	v_cvt_i32_f32_e32 v5, v5
; %bb.339:
	s_or_b32 exec_lo, exec_lo, s0
	v_mul_f32_e32 v6, v4, v4
	s_mov_b32 s0, 0xb94c1982
	s_mov_b32 s1, 0x37d75334
	v_and_b32_e32 v9, 1, v5
	v_lshlrev_b32_e32 v5, 30, v5
	v_fmaak_f32 v7, s0, v6, 0x3c0881c4
	v_fmaak_f32 v8, s1, v6, 0xbab64f3b
	v_xor_b32_e32 v3, v3, v2
	v_cmp_eq_u32_e32 vcc_lo, 0, v9
	v_and_b32_e32 v5, 0x80000000, v5
	v_fmaak_f32 v7, v6, v7, 0xbe2aaa9d
	v_fmaak_f32 v8, v6, v8, 0x3d2aabf7
	v_sub_f32_e32 v1, 1.0, v1
	v_mul_f32_e32 v7, v6, v7
	v_fmaak_f32 v8, v6, v8, 0xbf000004
	v_fmac_f32_e32 v4, v4, v7
	v_fma_f32 v6, v6, v8, 1.0
	v_cndmask_b32_e32 v4, v6, v4, vcc_lo
	v_cmp_class_f32_e64 vcc_lo, v2, 0x1f8
	v_xor3_b32 v3, v3, v5, v4
	v_cndmask_b32_e32 v2, 0x7fc00000, v3, vcc_lo
	v_mul_f32_e32 v2, v2, v2
	v_div_scale_f32 v3, null, v2, v2, 0xc11de9e7
	v_div_scale_f32 v6, vcc_lo, 0xc11de9e7, v2, 0xc11de9e7
	v_rcp_f32_e32 v4, v3
	v_fma_f32 v5, -v3, v4, 1.0
	v_fmac_f32_e32 v4, v5, v4
	v_mul_f32_e32 v5, v6, v4
	v_fma_f32 v7, -v3, v5, v6
	v_fmac_f32_e32 v5, v7, v4
	v_fma_f32 v3, -v3, v5, v6
	v_div_fmas_f32 v3, v3, v4, v5
	v_div_fixup_f32 v2, v3, v2, 0xc11de9e7
	v_add_f32_e32 v3, 0, v2
	v_mov_b32_e32 v2, -1.0
.LBB75_340:
	s_or_b32 exec_lo, exec_lo, s2
	v_add_f32_e32 v4, 1.0, v1
	v_mul_f32_e32 v1, v1, v1
	v_mul_f32_e32 v5, v4, v4
	v_add_f32_e32 v4, 1.0, v4
	v_div_scale_f32 v6, null, v1, v1, 1.0
	v_div_scale_f32 v8, vcc_lo, 1.0, v1, 1.0
	v_mul_f32_e32 v9, v4, v4
	v_div_scale_f32 v7, null, v5, v5, 1.0
	v_rcp_f32_e32 v10, v6
	v_div_scale_f32 v13, s0, 1.0, v5, 1.0
	v_div_scale_f32 v12, null, v9, v9, 1.0
	v_rcp_f32_e32 v11, v7
	v_add_f32_e32 v4, 1.0, v4
	v_div_scale_f32 v14, s1, 1.0, v9, 1.0
	v_rcp_f32_e32 v15, v12
	v_fma_f32 v17, -v6, v10, 1.0
	v_mul_f32_e32 v16, v4, v4
	v_add_f32_e32 v4, 1.0, v4
	v_fma_f32 v18, -v7, v11, 1.0
	v_fmac_f32_e32 v10, v17, v10
	v_mul_f32_e32 v20, v4, v4
	v_add_f32_e32 v4, 1.0, v4
	v_fma_f32 v17, -v12, v15, 1.0
	v_fmac_f32_e32 v11, v18, v11
	v_mul_f32_e32 v21, v8, v10
	v_div_scale_f32 v19, null, v16, v16, 1.0
	v_fmac_f32_e32 v15, v17, v15
	v_mul_f32_e32 v22, v13, v11
	v_fma_f32 v23, -v6, v21, v8
	v_add_f32_e32 v26, 1.0, v4
	v_rcp_f32_e32 v18, v19
	v_mul_f32_e32 v25, v14, v15
	v_fma_f32 v24, -v7, v22, v13
	v_fmac_f32_e32 v21, v23, v10
	v_mul_f32_e32 v4, v4, v4
	v_div_scale_f32 v17, null, v20, v20, 1.0
	v_fma_f32 v23, -v12, v25, v14
	v_fmac_f32_e32 v22, v24, v11
	v_fma_f32 v6, -v6, v21, v8
	v_mul_f32_e32 v8, v26, v26
	v_rcp_f32_e32 v24, v17
	v_fmac_f32_e32 v25, v23, v15
	v_fma_f32 v7, -v7, v22, v13
	v_div_fmas_f32 v6, v6, v10, v21
	s_mov_b32 vcc_lo, s0
	v_fma_f32 v27, -v19, v18, 1.0
	v_fma_f32 v10, -v12, v25, v14
	v_div_fmas_f32 v7, v7, v11, v22
	s_mov_b32 vcc_lo, s1
	v_div_scale_f32 v11, null, v4, v4, 1.0
	v_div_fmas_f32 v10, v10, v15, v25
	v_div_scale_f32 v12, null, v8, v8, 1.0
	v_add_f32_e32 v15, v26, v26
	v_rcp_f32_e32 v14, v11
	v_fmac_f32_e32 v18, v27, v18
	v_rcp_f32_e32 v22, v12
	v_div_scale_f32 v13, vcc_lo, 1.0, v16, 1.0
	v_div_scale_f32 v25, null, v15, v15, 1.0
	v_fma_f32 v21, -v17, v24, 1.0
	v_mul_f32_e32 v23, v13, v18
	v_div_fixup_f32 v1, v6, v1, 1.0
	v_rcp_f32_e32 v28, v25
	v_fma_f32 v27, -v11, v14, 1.0
	v_fmac_f32_e32 v24, v21, v24
	v_div_scale_f32 v21, s0, 1.0, v20, 1.0
	v_fma_f32 v30, -v12, v22, 1.0
	v_fma_f32 v29, -v19, v23, v13
	v_fmac_f32_e32 v14, v27, v14
	v_div_scale_f32 v27, s1, 1.0, v4, 1.0
	v_mul_f32_e32 v31, v21, v24
	v_fmac_f32_e32 v22, v30, v22
	v_div_scale_f32 v30, s2, 1.0, v8, 1.0
	v_fma_f32 v32, -v25, v28, 1.0
	v_fmac_f32_e32 v23, v29, v18
	v_mul_f32_e32 v33, v27, v14
	v_fma_f32 v29, -v17, v31, v21
	v_mul_f32_e32 v34, v30, v22
	v_fmac_f32_e32 v28, v32, v28
	v_div_scale_f32 v32, s3, 1.0, v15, 1.0
	v_fma_f32 v13, -v19, v23, v13
	v_fma_f32 v19, -v11, v33, v27
	v_fmac_f32_e32 v31, v29, v24
	v_fma_f32 v29, -v12, v34, v30
	v_mul_f32_e32 v35, v32, v28
	v_div_fmas_f32 v13, v13, v18, v23
	v_fmac_f32_e32 v33, v19, v14
	v_fma_f32 v17, -v17, v31, v21
	v_fmac_f32_e32 v34, v29, v22
	v_fma_f32 v18, -v25, v35, v32
	s_mov_b32 vcc_lo, s0
	v_fma_f32 v11, -v11, v33, v27
	v_div_fmas_f32 v17, v17, v24, v31
	v_fma_f32 v12, -v12, v34, v30
	v_fmac_f32_e32 v35, v18, v28
	s_mov_b32 vcc_lo, s1
	s_mov_b32 s0, 0xbcc30c31
	v_div_fmas_f32 v11, v11, v14, v33
	s_mov_b32 vcc_lo, s2
	v_fma_f32 v14, -v25, v35, v32
	v_div_fmas_f32 v12, v12, v22, v34
	s_mov_b32 vcc_lo, s3
	v_add_f32_e32 v1, v3, v1
	v_div_fixup_f32 v3, v7, v5, 1.0
	v_div_fmas_f32 v14, v14, v28, v35
	v_div_fixup_f32 v8, v12, v8, 1.0
	v_add_f32_e32 v1, v1, v3
	v_div_fixup_f32 v12, v14, v15, 1.0
	v_fmaak_f32 v14, s0, v8, 0x3d088889
	v_div_fixup_f32 v3, v10, v9, 1.0
	v_add_f32_e32 v12, 1.0, v12
	v_fma_f32 v14, -v8, v14, 0x3e2aaaab
	v_add_f32_e32 v1, v1, v3
	v_div_fixup_f32 v3, v13, v16, 1.0
	v_fmac_f32_e32 v12, v8, v14
	v_add_f32_e32 v1, v1, v3
	v_div_fixup_f32 v3, v17, v20, 1.0
	v_div_scale_f32 v8, null, v26, v26, v12
	v_div_scale_f32 v5, vcc_lo, v12, v26, v12
	v_add_f32_e32 v1, v1, v3
	v_rcp_f32_e32 v14, v8
	v_div_fixup_f32 v3, v11, v4, 1.0
	v_add_f32_e32 v1, v1, v3
	v_fma_f32 v6, -v8, v14, 1.0
	v_fmac_f32_e32 v14, v6, v14
	v_mul_f32_e32 v6, v5, v14
	v_fma_f32 v7, -v8, v6, v5
	v_fmac_f32_e32 v6, v7, v14
	v_fma_f32 v5, -v8, v6, v5
	v_div_fmas_f32 v4, v5, v14, v6
	v_div_fixup_f32 v3, v4, v26, v12
	v_add_f32_e32 v1, v1, v3
	v_mul_f32_e32 v1, v2, v1
	v_bfe_u32 v2, v1, 16, 1
	v_cmp_o_f32_e32 vcc_lo, v1, v1
	v_add3_u32 v1, v1, v2, 0x7fff
	v_mov_b32_e32 v2, 0x7fc0
	v_cndmask_b32_sdwa v1, v2, v1, vcc_lo dst_sel:DWORD dst_unused:UNUSED_PAD src0_sel:DWORD src1_sel:WORD_1
	global_store_short v0, v1, s[4:5]
	s_or_b32 exec_lo, exec_lo, s27
                                        ; implicit-def: $vgpr18
                                        ; implicit-def: $vgpr7
	s_andn2_saveexec_b32 s0, s25
	s_cbranch_execz .LBB75_305
	s_branch .LBB75_8
	.section	.rodata,"a",@progbits
	.p2align	6, 0x0
	.amdhsa_kernel _ZN2at6native32elementwise_kernel_manual_unrollILi128ELi8EZNS0_22gpu_kernel_impl_nocastIZZZNS0_20trigamma_kernel_cudaERNS_18TensorIteratorBaseEENKUlvE_clEvENKUlvE2_clEvEUlN3c108BFloat16EE_EEvS4_RKT_EUlibE_EEviT1_
		.amdhsa_group_segment_fixed_size 0
		.amdhsa_private_segment_fixed_size 0
		.amdhsa_kernarg_size 360
		.amdhsa_user_sgpr_count 6
		.amdhsa_user_sgpr_private_segment_buffer 1
		.amdhsa_user_sgpr_dispatch_ptr 0
		.amdhsa_user_sgpr_queue_ptr 0
		.amdhsa_user_sgpr_kernarg_segment_ptr 1
		.amdhsa_user_sgpr_dispatch_id 0
		.amdhsa_user_sgpr_flat_scratch_init 0
		.amdhsa_user_sgpr_private_segment_size 0
		.amdhsa_wavefront_size32 1
		.amdhsa_uses_dynamic_stack 0
		.amdhsa_system_sgpr_private_segment_wavefront_offset 0
		.amdhsa_system_sgpr_workgroup_id_x 1
		.amdhsa_system_sgpr_workgroup_id_y 0
		.amdhsa_system_sgpr_workgroup_id_z 0
		.amdhsa_system_sgpr_workgroup_info 0
		.amdhsa_system_vgpr_workitem_id 0
		.amdhsa_next_free_vgpr 148
		.amdhsa_next_free_sgpr 56
		.amdhsa_reserve_vcc 1
		.amdhsa_reserve_flat_scratch 0
		.amdhsa_float_round_mode_32 0
		.amdhsa_float_round_mode_16_64 0
		.amdhsa_float_denorm_mode_32 3
		.amdhsa_float_denorm_mode_16_64 3
		.amdhsa_dx10_clamp 1
		.amdhsa_ieee_mode 1
		.amdhsa_fp16_overflow 0
		.amdhsa_workgroup_processor_mode 1
		.amdhsa_memory_ordered 1
		.amdhsa_forward_progress 1
		.amdhsa_shared_vgpr_count 0
		.amdhsa_exception_fp_ieee_invalid_op 0
		.amdhsa_exception_fp_denorm_src 0
		.amdhsa_exception_fp_ieee_div_zero 0
		.amdhsa_exception_fp_ieee_overflow 0
		.amdhsa_exception_fp_ieee_underflow 0
		.amdhsa_exception_fp_ieee_inexact 0
		.amdhsa_exception_int_div_zero 0
	.end_amdhsa_kernel
	.section	.text._ZN2at6native32elementwise_kernel_manual_unrollILi128ELi8EZNS0_22gpu_kernel_impl_nocastIZZZNS0_20trigamma_kernel_cudaERNS_18TensorIteratorBaseEENKUlvE_clEvENKUlvE2_clEvEUlN3c108BFloat16EE_EEvS4_RKT_EUlibE_EEviT1_,"axG",@progbits,_ZN2at6native32elementwise_kernel_manual_unrollILi128ELi8EZNS0_22gpu_kernel_impl_nocastIZZZNS0_20trigamma_kernel_cudaERNS_18TensorIteratorBaseEENKUlvE_clEvENKUlvE2_clEvEUlN3c108BFloat16EE_EEvS4_RKT_EUlibE_EEviT1_,comdat
.Lfunc_end75:
	.size	_ZN2at6native32elementwise_kernel_manual_unrollILi128ELi8EZNS0_22gpu_kernel_impl_nocastIZZZNS0_20trigamma_kernel_cudaERNS_18TensorIteratorBaseEENKUlvE_clEvENKUlvE2_clEvEUlN3c108BFloat16EE_EEvS4_RKT_EUlibE_EEviT1_, .Lfunc_end75-_ZN2at6native32elementwise_kernel_manual_unrollILi128ELi8EZNS0_22gpu_kernel_impl_nocastIZZZNS0_20trigamma_kernel_cudaERNS_18TensorIteratorBaseEENKUlvE_clEvENKUlvE2_clEvEUlN3c108BFloat16EE_EEvS4_RKT_EUlibE_EEviT1_
                                        ; -- End function
	.set _ZN2at6native32elementwise_kernel_manual_unrollILi128ELi8EZNS0_22gpu_kernel_impl_nocastIZZZNS0_20trigamma_kernel_cudaERNS_18TensorIteratorBaseEENKUlvE_clEvENKUlvE2_clEvEUlN3c108BFloat16EE_EEvS4_RKT_EUlibE_EEviT1_.num_vgpr, 148
	.set _ZN2at6native32elementwise_kernel_manual_unrollILi128ELi8EZNS0_22gpu_kernel_impl_nocastIZZZNS0_20trigamma_kernel_cudaERNS_18TensorIteratorBaseEENKUlvE_clEvENKUlvE2_clEvEUlN3c108BFloat16EE_EEvS4_RKT_EUlibE_EEviT1_.num_agpr, 0
	.set _ZN2at6native32elementwise_kernel_manual_unrollILi128ELi8EZNS0_22gpu_kernel_impl_nocastIZZZNS0_20trigamma_kernel_cudaERNS_18TensorIteratorBaseEENKUlvE_clEvENKUlvE2_clEvEUlN3c108BFloat16EE_EEvS4_RKT_EUlibE_EEviT1_.numbered_sgpr, 56
	.set _ZN2at6native32elementwise_kernel_manual_unrollILi128ELi8EZNS0_22gpu_kernel_impl_nocastIZZZNS0_20trigamma_kernel_cudaERNS_18TensorIteratorBaseEENKUlvE_clEvENKUlvE2_clEvEUlN3c108BFloat16EE_EEvS4_RKT_EUlibE_EEviT1_.num_named_barrier, 0
	.set _ZN2at6native32elementwise_kernel_manual_unrollILi128ELi8EZNS0_22gpu_kernel_impl_nocastIZZZNS0_20trigamma_kernel_cudaERNS_18TensorIteratorBaseEENKUlvE_clEvENKUlvE2_clEvEUlN3c108BFloat16EE_EEvS4_RKT_EUlibE_EEviT1_.private_seg_size, 0
	.set _ZN2at6native32elementwise_kernel_manual_unrollILi128ELi8EZNS0_22gpu_kernel_impl_nocastIZZZNS0_20trigamma_kernel_cudaERNS_18TensorIteratorBaseEENKUlvE_clEvENKUlvE2_clEvEUlN3c108BFloat16EE_EEvS4_RKT_EUlibE_EEviT1_.uses_vcc, 1
	.set _ZN2at6native32elementwise_kernel_manual_unrollILi128ELi8EZNS0_22gpu_kernel_impl_nocastIZZZNS0_20trigamma_kernel_cudaERNS_18TensorIteratorBaseEENKUlvE_clEvENKUlvE2_clEvEUlN3c108BFloat16EE_EEvS4_RKT_EUlibE_EEviT1_.uses_flat_scratch, 0
	.set _ZN2at6native32elementwise_kernel_manual_unrollILi128ELi8EZNS0_22gpu_kernel_impl_nocastIZZZNS0_20trigamma_kernel_cudaERNS_18TensorIteratorBaseEENKUlvE_clEvENKUlvE2_clEvEUlN3c108BFloat16EE_EEvS4_RKT_EUlibE_EEviT1_.has_dyn_sized_stack, 0
	.set _ZN2at6native32elementwise_kernel_manual_unrollILi128ELi8EZNS0_22gpu_kernel_impl_nocastIZZZNS0_20trigamma_kernel_cudaERNS_18TensorIteratorBaseEENKUlvE_clEvENKUlvE2_clEvEUlN3c108BFloat16EE_EEvS4_RKT_EUlibE_EEviT1_.has_recursion, 0
	.set _ZN2at6native32elementwise_kernel_manual_unrollILi128ELi8EZNS0_22gpu_kernel_impl_nocastIZZZNS0_20trigamma_kernel_cudaERNS_18TensorIteratorBaseEENKUlvE_clEvENKUlvE2_clEvEUlN3c108BFloat16EE_EEvS4_RKT_EUlibE_EEviT1_.has_indirect_call, 0
	.section	.AMDGPU.csdata,"",@progbits
; Kernel info:
; codeLenInByte = 40208
; TotalNumSgprs: 58
; NumVgprs: 148
; ScratchSize: 0
; MemoryBound: 0
; FloatMode: 240
; IeeeMode: 1
; LDSByteSize: 0 bytes/workgroup (compile time only)
; SGPRBlocks: 0
; VGPRBlocks: 18
; NumSGPRsForWavesPerEU: 58
; NumVGPRsForWavesPerEU: 148
; Occupancy: 6
; WaveLimiterHint : 1
; COMPUTE_PGM_RSRC2:SCRATCH_EN: 0
; COMPUTE_PGM_RSRC2:USER_SGPR: 6
; COMPUTE_PGM_RSRC2:TRAP_HANDLER: 0
; COMPUTE_PGM_RSRC2:TGID_X_EN: 1
; COMPUTE_PGM_RSRC2:TGID_Y_EN: 0
; COMPUTE_PGM_RSRC2:TGID_Z_EN: 0
; COMPUTE_PGM_RSRC2:TIDIG_COMP_CNT: 0
	.section	.text._ZN2at6native32elementwise_kernel_manual_unrollILi128ELi4EZNS0_15gpu_kernel_implIZZZNS0_20trigamma_kernel_cudaERNS_18TensorIteratorBaseEENKUlvE_clEvENKUlvE2_clEvEUlN3c108BFloat16EE_EEvS4_RKT_EUlibE_EEviT1_,"axG",@progbits,_ZN2at6native32elementwise_kernel_manual_unrollILi128ELi4EZNS0_15gpu_kernel_implIZZZNS0_20trigamma_kernel_cudaERNS_18TensorIteratorBaseEENKUlvE_clEvENKUlvE2_clEvEUlN3c108BFloat16EE_EEvS4_RKT_EUlibE_EEviT1_,comdat
	.globl	_ZN2at6native32elementwise_kernel_manual_unrollILi128ELi4EZNS0_15gpu_kernel_implIZZZNS0_20trigamma_kernel_cudaERNS_18TensorIteratorBaseEENKUlvE_clEvENKUlvE2_clEvEUlN3c108BFloat16EE_EEvS4_RKT_EUlibE_EEviT1_ ; -- Begin function _ZN2at6native32elementwise_kernel_manual_unrollILi128ELi4EZNS0_15gpu_kernel_implIZZZNS0_20trigamma_kernel_cudaERNS_18TensorIteratorBaseEENKUlvE_clEvENKUlvE2_clEvEUlN3c108BFloat16EE_EEvS4_RKT_EUlibE_EEviT1_
	.p2align	8
	.type	_ZN2at6native32elementwise_kernel_manual_unrollILi128ELi4EZNS0_15gpu_kernel_implIZZZNS0_20trigamma_kernel_cudaERNS_18TensorIteratorBaseEENKUlvE_clEvENKUlvE2_clEvEUlN3c108BFloat16EE_EEvS4_RKT_EUlibE_EEviT1_,@function
_ZN2at6native32elementwise_kernel_manual_unrollILi128ELi4EZNS0_15gpu_kernel_implIZZZNS0_20trigamma_kernel_cudaERNS_18TensorIteratorBaseEENKUlvE_clEvENKUlvE2_clEvEUlN3c108BFloat16EE_EEvS4_RKT_EUlibE_EEviT1_: ; @_ZN2at6native32elementwise_kernel_manual_unrollILi128ELi4EZNS0_15gpu_kernel_implIZZZNS0_20trigamma_kernel_cudaERNS_18TensorIteratorBaseEENKUlvE_clEvENKUlvE2_clEvEUlN3c108BFloat16EE_EEvS4_RKT_EUlibE_EEviT1_
; %bb.0:
	v_mov_b32_e32 v1, 0
	s_clause 0x2
	s_load_dword s15, s[4:5], 0x0
	s_load_dwordx2 s[12:13], s[4:5], 0x18
	s_load_dwordx4 s[8:11], s[4:5], 0x8
	v_lshl_or_b32 v2, s6, 9, v0
	s_mov_b32 s14, 0
	global_load_ushort v1, v1, s[4:5] offset:33
	s_mov_b32 s5, 0
	v_or_b32_e32 v0, 0x180, v2
	s_waitcnt vmcnt(0)
	v_readfirstlane_b32 s4, v1
	s_and_b32 s0, 0xffff, s4
	s_lshr_b32 s6, s0, 8
	s_mov_b32 s0, exec_lo
	s_waitcnt lgkmcnt(0)
	v_cmpx_le_i32_e64 s15, v0
	s_xor_b32 s7, exec_lo, s0
	s_cbranch_execz .LBB76_1055
; %bb.1:
	s_mov_b32 s1, -1
	s_mov_b32 s18, 0
	s_mov_b32 s16, 0
	s_mov_b32 s17, exec_lo
	v_cmpx_gt_i32_e64 s15, v2
	s_cbranch_execz .LBB76_258
; %bb.2:
	v_mul_lo_u32 v0, v2, s13
	s_and_b32 s0, 0xffff, s6
	s_cmp_lt_i32 s0, 11
	v_ashrrev_i32_e32 v1, 31, v0
	v_add_co_u32 v0, vcc_lo, s10, v0
	v_add_co_ci_u32_e64 v1, null, s11, v1, vcc_lo
	s_cbranch_scc1 .LBB76_9
; %bb.3:
	s_cmp_gt_i32 s0, 25
	s_cbranch_scc0 .LBB76_24
; %bb.4:
	s_cmp_gt_i32 s0, 28
	s_cbranch_scc0 .LBB76_27
	;; [unrolled: 3-line block ×4, first 2 shown]
; %bb.7:
	s_cmp_eq_u32 s0, 46
	s_mov_b32 s2, 0
	s_cbranch_scc0 .LBB76_33
; %bb.8:
	global_load_dword v3, v[0:1], off
	s_branch .LBB76_35
.LBB76_9:
	s_mov_b32 s1, 0
                                        ; implicit-def: $vgpr3
	s_cbranch_execnz .LBB76_208
.LBB76_10:
	s_andn2_b32 vcc_lo, exec_lo, s1
	s_cbranch_vccnz .LBB76_255
.LBB76_11:
	s_waitcnt vmcnt(0)
	v_lshlrev_b32_e32 v0, 16, v3
	v_mov_b32_e32 v3, 0
	v_mov_b32_e32 v1, 1.0
	s_mov_b32 s2, exec_lo
	v_cmpx_gt_f32_e32 0.5, v0
	s_cbranch_execz .LBB76_17
; %bb.12:
	v_mul_f32_e32 v1, 0x40490fdb, v0
                                        ; implicit-def: $vgpr5
                                        ; implicit-def: $vgpr4
	s_mov_b32 s1, exec_lo
	v_and_b32_e32 v3, 0x7fffffff, v1
	v_cmpx_ngt_f32_e64 0x48000000, |v1|
	s_xor_b32 s3, exec_lo, s1
	s_cbranch_execz .LBB76_14
; %bb.13:
	s_mov_b32 s0, 0x7fffff
	v_mov_b32_e32 v6, 0
	v_and_or_b32 v13, v3, s0, 0x800000
	v_lshrrev_b32_e32 v11, 23, v3
	v_mad_u64_u32 v[4:5], null, 0xfe5163ab, v13, 0
	v_add_nc_u32_e32 v12, 0xffffff88, v11
	v_cmp_lt_u32_e32 vcc_lo, 63, v12
	v_mad_u64_u32 v[7:8], null, 0x3c439041, v13, v[5:6]
	v_cndmask_b32_e64 v14, 0, 0xffffffc0, vcc_lo
	v_mov_b32_e32 v5, v8
	v_add_nc_u32_e32 v14, v14, v12
	v_mad_u64_u32 v[8:9], null, 0xdb629599, v13, v[5:6]
	v_cmp_lt_u32_e64 s0, 31, v14
	v_cndmask_b32_e64 v15, 0, 0xffffffe0, s0
	v_mov_b32_e32 v5, v9
	v_cndmask_b32_e32 v4, v8, v4, vcc_lo
	v_mad_u64_u32 v[9:10], null, 0xf534ddc0, v13, v[5:6]
	v_mov_b32_e32 v5, v10
	v_cndmask_b32_e32 v7, v9, v7, vcc_lo
	v_mad_u64_u32 v[10:11], null, 0xfc2757d1, v13, v[5:6]
	v_cndmask_b32_e64 v4, v7, v4, s0
	v_mov_b32_e32 v5, v11
	v_mad_u64_u32 v[11:12], null, 0x4e441529, v13, v[5:6]
	v_mov_b32_e32 v5, v12
	v_add_nc_u32_e32 v12, v15, v14
	v_cndmask_b32_e32 v14, v11, v9, vcc_lo
	v_mad_u64_u32 v[5:6], null, 0xa2f9836e, v13, v[5:6]
	v_cmp_lt_u32_e64 s1, 31, v12
	v_cndmask_b32_e64 v13, 0, 0xffffffe0, s1
	v_cndmask_b32_e32 v5, v5, v10, vcc_lo
	v_cndmask_b32_e32 v6, v6, v11, vcc_lo
	;; [unrolled: 1-line block ×3, first 2 shown]
	v_add_nc_u32_e32 v11, v13, v12
	v_cndmask_b32_e64 v9, v5, v14, s0
	v_cndmask_b32_e64 v5, v6, v5, s0
	;; [unrolled: 1-line block ×4, first 2 shown]
	v_sub_nc_u32_e32 v12, 32, v11
	v_cmp_eq_u32_e32 vcc_lo, 0, v11
	v_cndmask_b32_e64 v5, v5, v9, s1
	v_cndmask_b32_e64 v9, v9, v6, s1
	;; [unrolled: 1-line block ×4, first 2 shown]
	v_alignbit_b32 v13, v5, v9, v12
	v_alignbit_b32 v8, v9, v6, v12
	;; [unrolled: 1-line block ×3, first 2 shown]
	v_cndmask_b32_e32 v5, v13, v5, vcc_lo
	v_cndmask_b32_e32 v7, v8, v9, vcc_lo
	v_cndmask_b32_e32 v6, v11, v6, vcc_lo
	v_bfe_u32 v8, v5, 29, 1
	v_alignbit_b32 v9, v5, v7, 30
	v_alignbit_b32 v7, v7, v6, 30
	;; [unrolled: 1-line block ×3, first 2 shown]
	v_sub_nc_u32_e32 v10, 0, v8
	v_xor_b32_e32 v9, v9, v10
	v_xor_b32_e32 v6, v7, v10
	;; [unrolled: 1-line block ×3, first 2 shown]
	v_lshrrev_b32_e32 v10, 29, v5
	v_lshrrev_b32_e32 v5, 30, v5
	v_ffbh_u32_e32 v11, v9
	v_add_nc_u32_e32 v5, v8, v5
	v_min_u32_e32 v11, 32, v11
	v_sub_nc_u32_e32 v7, 31, v11
	v_lshlrev_b32_e32 v12, 23, v11
	v_alignbit_b32 v9, v9, v6, v7
	v_alignbit_b32 v4, v6, v4, v7
	v_lshlrev_b32_e32 v6, 31, v10
	v_alignbit_b32 v7, v9, v4, 9
	v_or_b32_e32 v10, 0.5, v6
	v_lshrrev_b32_e32 v9, 9, v9
	v_or_b32_e32 v6, 0x33000000, v6
	v_ffbh_u32_e32 v13, v7
	v_sub_nc_u32_e32 v10, v10, v12
	v_min_u32_e32 v12, 32, v13
	v_or_b32_e32 v9, v9, v10
	v_not_b32_e32 v10, v12
	v_mul_f32_e32 v13, 0x3fc90fda, v9
	v_add_lshl_u32 v11, v12, v11, 23
	v_alignbit_b32 v4, v7, v4, v10
	v_fma_f32 v7, 0x3fc90fda, v9, -v13
	v_sub_nc_u32_e32 v6, v6, v11
	v_lshrrev_b32_e32 v4, 9, v4
	v_fmamk_f32 v7, v9, 0x33a22168, v7
	v_or_b32_e32 v4, v6, v4
	v_fmac_f32_e32 v7, 0x3fc90fda, v4
	v_add_f32_e32 v4, v13, v7
.LBB76_14:
	s_andn2_saveexec_b32 s0, s3
; %bb.15:
	v_mul_f32_e64 v4, 0x3f22f983, |v1|
	v_rndne_f32_e32 v5, v4
	v_fma_f32 v4, 0xbfc90fda, v5, |v1|
	v_fmamk_f32 v4, v5, 0xb3a22168, v4
	v_fmamk_f32 v4, v5, 0xa7c234c4, v4
	v_cvt_i32_f32_e32 v5, v5
; %bb.16:
	s_or_b32 exec_lo, exec_lo, s0
	v_mul_f32_e32 v6, v4, v4
	s_mov_b32 s0, 0xb94c1982
	s_mov_b32 s1, 0x37d75334
	v_and_b32_e32 v9, 1, v5
	v_lshlrev_b32_e32 v5, 30, v5
	v_fmaak_f32 v7, s0, v6, 0x3c0881c4
	v_fmaak_f32 v8, s1, v6, 0xbab64f3b
	v_xor_b32_e32 v3, v3, v1
	v_cmp_eq_u32_e32 vcc_lo, 0, v9
	v_and_b32_e32 v5, 0x80000000, v5
	v_fmaak_f32 v7, v6, v7, 0xbe2aaa9d
	v_fmaak_f32 v8, v6, v8, 0x3d2aabf7
	v_sub_f32_e32 v0, 1.0, v0
	v_mul_f32_e32 v7, v6, v7
	v_fmaak_f32 v8, v6, v8, 0xbf000004
	v_fmac_f32_e32 v4, v4, v7
	v_fma_f32 v6, v6, v8, 1.0
	v_cndmask_b32_e32 v4, v6, v4, vcc_lo
	v_cmp_class_f32_e64 vcc_lo, v1, 0x1f8
	v_xor3_b32 v3, v3, v5, v4
	v_cndmask_b32_e32 v1, 0x7fc00000, v3, vcc_lo
	v_mul_f32_e32 v1, v1, v1
	v_div_scale_f32 v3, null, v1, v1, 0xc11de9e7
	v_div_scale_f32 v6, vcc_lo, 0xc11de9e7, v1, 0xc11de9e7
	v_rcp_f32_e32 v4, v3
	v_fma_f32 v5, -v3, v4, 1.0
	v_fmac_f32_e32 v4, v5, v4
	v_mul_f32_e32 v5, v6, v4
	v_fma_f32 v7, -v3, v5, v6
	v_fmac_f32_e32 v5, v7, v4
	v_fma_f32 v3, -v3, v5, v6
	v_div_fmas_f32 v3, v3, v4, v5
	v_div_fixup_f32 v1, v3, v1, 0xc11de9e7
	v_add_f32_e32 v3, 0, v1
	v_mov_b32_e32 v1, -1.0
.LBB76_17:
	s_or_b32 exec_lo, exec_lo, s2
	v_add_f32_e32 v4, 1.0, v0
	v_mul_f32_e32 v0, v0, v0
	v_mul_f32_e32 v5, v4, v4
	v_add_f32_e32 v4, 1.0, v4
	v_div_scale_f32 v6, null, v0, v0, 1.0
	v_div_scale_f32 v8, vcc_lo, 1.0, v0, 1.0
	v_mul_f32_e32 v9, v4, v4
	v_div_scale_f32 v7, null, v5, v5, 1.0
	v_rcp_f32_e32 v10, v6
	v_div_scale_f32 v13, s0, 1.0, v5, 1.0
	v_div_scale_f32 v12, null, v9, v9, 1.0
	v_rcp_f32_e32 v11, v7
	v_add_f32_e32 v4, 1.0, v4
	v_div_scale_f32 v14, s1, 1.0, v9, 1.0
	v_rcp_f32_e32 v15, v12
	v_fma_f32 v17, -v6, v10, 1.0
	v_mul_f32_e32 v16, v4, v4
	v_add_f32_e32 v4, 1.0, v4
	v_fma_f32 v18, -v7, v11, 1.0
	v_fmac_f32_e32 v10, v17, v10
	v_mul_f32_e32 v20, v4, v4
	v_add_f32_e32 v4, 1.0, v4
	v_fma_f32 v17, -v12, v15, 1.0
	v_fmac_f32_e32 v11, v18, v11
	v_mul_f32_e32 v21, v8, v10
	v_div_scale_f32 v19, null, v16, v16, 1.0
	v_fmac_f32_e32 v15, v17, v15
	v_mul_f32_e32 v22, v13, v11
	v_fma_f32 v23, -v6, v21, v8
	v_add_f32_e32 v26, 1.0, v4
	v_rcp_f32_e32 v18, v19
	v_mul_f32_e32 v25, v14, v15
	v_fma_f32 v24, -v7, v22, v13
	v_fmac_f32_e32 v21, v23, v10
	v_mul_f32_e32 v4, v4, v4
	v_div_scale_f32 v17, null, v20, v20, 1.0
	v_fma_f32 v23, -v12, v25, v14
	v_fmac_f32_e32 v22, v24, v11
	v_fma_f32 v6, -v6, v21, v8
	v_mul_f32_e32 v8, v26, v26
	v_rcp_f32_e32 v24, v17
	v_fmac_f32_e32 v25, v23, v15
	v_fma_f32 v7, -v7, v22, v13
	v_div_fmas_f32 v6, v6, v10, v21
	s_mov_b32 vcc_lo, s0
	v_fma_f32 v27, -v19, v18, 1.0
	v_fma_f32 v10, -v12, v25, v14
	v_div_fmas_f32 v7, v7, v11, v22
	s_mov_b32 vcc_lo, s1
	v_div_scale_f32 v11, null, v4, v4, 1.0
	v_div_fmas_f32 v10, v10, v15, v25
	v_div_scale_f32 v12, null, v8, v8, 1.0
	v_add_f32_e32 v15, v26, v26
	v_rcp_f32_e32 v14, v11
	v_fmac_f32_e32 v18, v27, v18
	v_rcp_f32_e32 v22, v12
	v_div_scale_f32 v13, vcc_lo, 1.0, v16, 1.0
	v_div_scale_f32 v25, null, v15, v15, 1.0
	v_fma_f32 v21, -v17, v24, 1.0
	v_mul_f32_e32 v23, v13, v18
	v_div_fixup_f32 v0, v6, v0, 1.0
	v_rcp_f32_e32 v28, v25
	v_fma_f32 v27, -v11, v14, 1.0
	v_fmac_f32_e32 v24, v21, v24
	v_div_scale_f32 v21, s0, 1.0, v20, 1.0
	v_fma_f32 v30, -v12, v22, 1.0
	v_fma_f32 v29, -v19, v23, v13
	v_fmac_f32_e32 v14, v27, v14
	v_div_scale_f32 v27, s1, 1.0, v4, 1.0
	v_mul_f32_e32 v31, v21, v24
	v_fmac_f32_e32 v22, v30, v22
	v_div_scale_f32 v30, s2, 1.0, v8, 1.0
	v_fma_f32 v32, -v25, v28, 1.0
	v_fmac_f32_e32 v23, v29, v18
	v_mul_f32_e32 v33, v27, v14
	v_fma_f32 v29, -v17, v31, v21
	v_mul_f32_e32 v34, v30, v22
	v_fmac_f32_e32 v28, v32, v28
	v_div_scale_f32 v32, s3, 1.0, v15, 1.0
	v_fma_f32 v13, -v19, v23, v13
	v_fma_f32 v19, -v11, v33, v27
	v_fmac_f32_e32 v31, v29, v24
	v_fma_f32 v29, -v12, v34, v30
	v_mul_f32_e32 v35, v32, v28
	v_div_fmas_f32 v13, v13, v18, v23
	v_fmac_f32_e32 v33, v19, v14
	v_fma_f32 v17, -v17, v31, v21
	v_fmac_f32_e32 v34, v29, v22
	v_fma_f32 v18, -v25, v35, v32
	s_mov_b32 vcc_lo, s0
	v_fma_f32 v11, -v11, v33, v27
	v_div_fmas_f32 v17, v17, v24, v31
	v_fma_f32 v12, -v12, v34, v30
	v_fmac_f32_e32 v35, v18, v28
	s_mov_b32 vcc_lo, s1
	s_mov_b32 s0, 0xbcc30c31
	v_div_fmas_f32 v11, v11, v14, v33
	s_mov_b32 vcc_lo, s2
	v_fma_f32 v14, -v25, v35, v32
	v_div_fmas_f32 v12, v12, v22, v34
	s_mov_b32 vcc_lo, s3
	v_add_f32_e32 v0, v3, v0
	v_div_fixup_f32 v3, v7, v5, 1.0
	v_div_fmas_f32 v14, v14, v28, v35
	v_div_fixup_f32 v8, v12, v8, 1.0
	s_and_b32 s1, s4, 0xff
	v_add_f32_e32 v0, v0, v3
	v_div_fixup_f32 v12, v14, v15, 1.0
	v_fmaak_f32 v14, s0, v8, 0x3d088889
	v_div_fixup_f32 v3, v10, v9, 1.0
	s_cmp_lt_i32 s1, 11
	v_add_f32_e32 v12, 1.0, v12
	v_fma_f32 v14, -v8, v14, 0x3e2aaaab
	v_add_f32_e32 v0, v0, v3
	v_div_fixup_f32 v3, v13, v16, 1.0
	v_fmac_f32_e32 v12, v8, v14
	v_add_f32_e32 v0, v0, v3
	v_div_fixup_f32 v3, v17, v20, 1.0
	v_div_scale_f32 v8, null, v26, v26, v12
	v_div_scale_f32 v5, vcc_lo, v12, v26, v12
	v_add_f32_e32 v0, v0, v3
	v_rcp_f32_e32 v14, v8
	v_div_fixup_f32 v3, v11, v4, 1.0
	v_add_f32_e32 v0, v0, v3
	v_fma_f32 v6, -v8, v14, 1.0
	v_fmac_f32_e32 v14, v6, v14
	v_mul_f32_e32 v6, v5, v14
	v_fma_f32 v7, -v8, v6, v5
	v_fmac_f32_e32 v6, v7, v14
	v_fma_f32 v5, -v8, v6, v5
	v_div_fmas_f32 v4, v5, v14, v6
	v_div_fixup_f32 v3, v4, v26, v12
	v_mov_b32_e32 v4, 0x7fc0
	v_add_f32_e32 v0, v0, v3
	v_mul_f32_e32 v0, v1, v0
	v_mul_lo_u32 v1, v2, s12
	v_bfe_u32 v3, v0, 16, 1
	v_cmp_o_f32_e32 vcc_lo, v0, v0
	v_ashrrev_i32_e32 v5, 31, v1
	v_add3_u32 v3, v0, v3, 0x7fff
	v_add_co_u32 v0, s0, s8, v1
	v_add_co_ci_u32_e64 v1, null, s9, v5, s0
	v_cndmask_b32_sdwa v3, v4, v3, vcc_lo dst_sel:DWORD dst_unused:UNUSED_PAD src0_sel:DWORD src1_sel:WORD_1
	s_cbranch_scc1 .LBB76_25
; %bb.18:
	s_and_b32 s2, 0xffff, s1
	s_cmp_gt_i32 s2, 25
	s_cbranch_scc0 .LBB76_28
; %bb.19:
	s_cmp_gt_i32 s2, 28
	s_cbranch_scc0 .LBB76_30
; %bb.20:
	;; [unrolled: 3-line block ×4, first 2 shown]
	s_mov_b32 s0, -1
	s_cmp_eq_u32 s2, 46
	s_mov_b32 s3, 0
	s_cbranch_scc0 .LBB76_39
; %bb.23:
	v_and_b32_e32 v4, 0xffff, v3
	s_mov_b32 s3, -1
	s_mov_b32 s0, 0
	global_store_dword v[0:1], v4, off
	s_branch .LBB76_39
.LBB76_24:
	s_mov_b32 s1, 0
                                        ; implicit-def: $vgpr3
	s_cbranch_execnz .LBB76_173
	s_branch .LBB76_207
.LBB76_25:
	s_mov_b32 s0, 0
	s_mov_b32 s3, 0
	s_cbranch_execnz .LBB76_108
.LBB76_26:
	s_andn2_b32 vcc_lo, exec_lo, s3
	s_cbranch_vccnz .LBB76_256
	s_branch .LBB76_146
.LBB76_27:
	s_mov_b32 s2, -1
	s_mov_b32 s1, 0
                                        ; implicit-def: $vgpr3
	s_branch .LBB76_154
.LBB76_28:
	s_mov_b32 s14, -1
	s_mov_b32 s0, 0
	s_mov_b32 s3, 0
	s_branch .LBB76_66
.LBB76_29:
	s_mov_b32 s2, -1
	s_mov_b32 s1, 0
                                        ; implicit-def: $vgpr3
	s_branch .LBB76_149
.LBB76_30:
	s_mov_b32 s14, -1
	s_mov_b32 s0, 0
	s_mov_b32 s3, 0
	s_branch .LBB76_49
.LBB76_31:
	s_mov_b32 s2, -1
	s_branch .LBB76_34
.LBB76_32:
	s_mov_b32 s14, -1
	s_mov_b32 s0, 0
	s_mov_b32 s3, 0
	s_branch .LBB76_45
.LBB76_33:
	s_mov_b32 s16, -1
.LBB76_34:
	s_mov_b32 s1, 0
                                        ; implicit-def: $vgpr3
.LBB76_35:
	s_and_b32 vcc_lo, exec_lo, s2
	s_cbranch_vccz .LBB76_148
; %bb.36:
	s_cmp_eq_u32 s0, 44
	s_cbranch_scc0 .LBB76_147
; %bb.37:
	global_load_ubyte v3, v[0:1], off
	s_mov_b32 s16, 0
	s_mov_b32 s1, -1
	s_waitcnt vmcnt(0)
	v_lshlrev_b32_e32 v4, 23, v3
	v_cmp_ne_u32_e32 vcc_lo, 0xff, v3
	v_cndmask_b32_e32 v4, 0x7f800001, v4, vcc_lo
	v_cmp_ne_u32_e32 vcc_lo, 0, v3
	v_cndmask_b32_e32 v3, 0x400000, v4, vcc_lo
	v_mov_b32_e32 v4, 0x7fc0
	v_cmp_o_f32_e32 vcc_lo, v3, v3
	v_add_nc_u32_e32 v3, 0x7fff, v3
	v_cndmask_b32_sdwa v3, v4, v3, vcc_lo dst_sel:DWORD dst_unused:UNUSED_PAD src0_sel:DWORD src1_sel:WORD_1
	s_branch .LBB76_148
.LBB76_38:
	s_mov_b32 s14, -1
	s_mov_b32 s0, 0
	s_mov_b32 s3, 0
.LBB76_39:
	s_and_b32 vcc_lo, exec_lo, s14
	s_cbranch_vccz .LBB76_44
; %bb.40:
	s_cmp_eq_u32 s2, 44
	s_mov_b32 s0, -1
	s_cbranch_scc0 .LBB76_44
; %bb.41:
	v_and_b32_e32 v4, 0xffff, v3
	v_mov_b32_e32 v5, 0xff
	s_mov_b32 s3, exec_lo
	v_bfe_u32 v6, v4, 7, 8
	v_cmpx_ne_u32_e32 0xff, v6
	s_cbranch_execz .LBB76_43
; %bb.42:
	v_lshlrev_b32_e32 v5, 16, v4
	v_and_b32_e32 v7, 64, v4
	v_lshrrev_b32_e32 v4, 7, v4
	v_and_or_b32 v5, 0x3f0000, v5, v6
	v_cmp_ne_u32_e32 vcc_lo, 0, v7
	v_cmp_ne_u32_e64 s0, 0, v5
	s_and_b32 s0, vcc_lo, s0
	v_cndmask_b32_e64 v5, 0, 1, s0
	v_add_nc_u32_e32 v5, v4, v5
.LBB76_43:
	s_or_b32 exec_lo, exec_lo, s3
	s_mov_b32 s3, -1
	s_mov_b32 s0, 0
	global_store_byte v[0:1], v5, off
.LBB76_44:
	s_mov_b32 s14, 0
.LBB76_45:
	s_and_b32 vcc_lo, exec_lo, s14
	s_cbranch_vccz .LBB76_48
; %bb.46:
	s_cmp_eq_u32 s2, 29
	s_mov_b32 s0, -1
	s_cbranch_scc0 .LBB76_48
; %bb.47:
	v_lshlrev_b32_e32 v4, 16, v3
	s_mov_b32 s3, -1
	s_mov_b32 s0, 0
	s_mov_b32 s14, 0
	v_trunc_f32_e32 v4, v4
	v_mul_f32_e32 v5, 0x2f800000, v4
	v_floor_f32_e32 v5, v5
	v_fmamk_f32 v4, v5, 0xcf800000, v4
	v_cvt_u32_f32_e32 v5, v5
	v_cvt_u32_f32_e32 v4, v4
	global_store_dwordx2 v[0:1], v[4:5], off
	s_branch .LBB76_49
.LBB76_48:
	s_mov_b32 s14, 0
.LBB76_49:
	s_and_b32 vcc_lo, exec_lo, s14
	s_cbranch_vccz .LBB76_65
; %bb.50:
	s_cmp_lt_i32 s2, 27
	s_mov_b32 s3, -1
	s_cbranch_scc1 .LBB76_56
; %bb.51:
	s_cmp_gt_i32 s2, 27
	s_cbranch_scc0 .LBB76_53
; %bb.52:
	v_lshlrev_b32_e32 v4, 16, v3
	s_mov_b32 s3, 0
	v_cvt_u32_f32_e32 v4, v4
	global_store_dword v[0:1], v4, off
.LBB76_53:
	s_andn2_b32 vcc_lo, exec_lo, s3
	s_cbranch_vccnz .LBB76_55
; %bb.54:
	v_lshlrev_b32_e32 v4, 16, v3
	v_cvt_u32_f32_e32 v4, v4
	global_store_short v[0:1], v4, off
.LBB76_55:
	s_mov_b32 s3, 0
.LBB76_56:
	s_andn2_b32 vcc_lo, exec_lo, s3
	s_cbranch_vccnz .LBB76_64
; %bb.57:
	v_lshlrev_b32_e32 v6, 16, v3
	v_mov_b32_e32 v7, 0x80
	s_mov_b32 s3, exec_lo
	v_and_b32_e32 v5, 0x7fffffff, v6
	v_cmpx_gt_u32_e32 0x43800000, v5
	s_cbranch_execz .LBB76_63
; %bb.58:
	v_and_b32_e32 v4, 0xffff, v3
	v_cmp_lt_u32_e32 vcc_lo, 0x3bffffff, v5
	s_mov_b32 s14, 0
                                        ; implicit-def: $vgpr5
	s_and_saveexec_b32 s19, vcc_lo
	s_xor_b32 s19, exec_lo, s19
	s_cbranch_execz .LBB76_291
; %bb.59:
	v_bfe_u32 v5, v4, 4, 1
	s_mov_b32 s14, exec_lo
	v_add3_u32 v5, v6, v5, 0x487ffff
                                        ; implicit-def: $vgpr6
	v_lshrrev_b32_e32 v5, 20, v5
	s_andn2_saveexec_b32 s19, s19
	s_cbranch_execnz .LBB76_292
.LBB76_60:
	s_or_b32 exec_lo, exec_lo, s19
	v_mov_b32_e32 v7, 0
	s_and_saveexec_b32 s19, s14
.LBB76_61:
	v_lshrrev_b32_e32 v4, 8, v4
	v_and_or_b32 v7, 0x80, v4, v5
.LBB76_62:
	s_or_b32 exec_lo, exec_lo, s19
.LBB76_63:
	s_or_b32 exec_lo, exec_lo, s3
	global_store_byte v[0:1], v7, off
.LBB76_64:
	s_mov_b32 s3, -1
.LBB76_65:
	s_mov_b32 s14, 0
.LBB76_66:
	s_and_b32 vcc_lo, exec_lo, s14
	s_cbranch_vccz .LBB76_107
; %bb.67:
	s_cmp_gt_i32 s2, 22
	s_mov_b32 s14, -1
	s_cbranch_scc0 .LBB76_99
; %bb.68:
	s_cmp_lt_i32 s2, 24
	s_mov_b32 s3, -1
	s_cbranch_scc1 .LBB76_88
; %bb.69:
	s_cmp_gt_i32 s2, 24
	s_cbranch_scc0 .LBB76_77
; %bb.70:
	v_lshlrev_b32_e32 v6, 16, v3
	v_mov_b32_e32 v7, 0x80
	s_mov_b32 s3, exec_lo
	v_and_b32_e32 v5, 0x7fffffff, v6
	v_cmpx_gt_u32_e32 0x47800000, v5
	s_cbranch_execz .LBB76_76
; %bb.71:
	v_and_b32_e32 v4, 0xffff, v3
	v_cmp_lt_u32_e32 vcc_lo, 0x37ffffff, v5
	s_mov_b32 s14, 0
                                        ; implicit-def: $vgpr5
	s_and_saveexec_b32 s19, vcc_lo
	s_xor_b32 s19, exec_lo, s19
	s_cbranch_execz .LBB76_295
; %bb.72:
	v_bfe_u32 v5, v4, 5, 1
	s_mov_b32 s14, exec_lo
	v_add3_u32 v5, v6, v5, 0x88fffff
                                        ; implicit-def: $vgpr6
	v_lshrrev_b32_e32 v5, 21, v5
	s_andn2_saveexec_b32 s19, s19
	s_cbranch_execnz .LBB76_296
.LBB76_73:
	s_or_b32 exec_lo, exec_lo, s19
	v_mov_b32_e32 v7, 0
	s_and_saveexec_b32 s19, s14
.LBB76_74:
	v_lshrrev_b32_e32 v4, 8, v4
	v_and_or_b32 v7, 0x80, v4, v5
.LBB76_75:
	s_or_b32 exec_lo, exec_lo, s19
.LBB76_76:
	s_or_b32 exec_lo, exec_lo, s3
	s_mov_b32 s3, 0
	global_store_byte v[0:1], v7, off
.LBB76_77:
	s_and_b32 vcc_lo, exec_lo, s3
	s_cbranch_vccz .LBB76_87
; %bb.78:
	v_lshlrev_b32_e32 v6, 16, v3
	v_and_b32_e32 v4, 0xffff, v3
	s_mov_b32 s3, exec_lo
                                        ; implicit-def: $vgpr5
	v_and_b32_e32 v7, 0x7fffffff, v6
	v_cmpx_gt_u32_e32 0x43f00000, v7
	s_xor_b32 s3, exec_lo, s3
	s_cbranch_execz .LBB76_84
; %bb.79:
	s_mov_b32 s14, exec_lo
                                        ; implicit-def: $vgpr5
	v_cmpx_lt_u32_e32 0x3c7fffff, v7
	s_xor_b32 s14, exec_lo, s14
; %bb.80:
	v_bfe_u32 v5, v4, 4, 1
	v_add3_u32 v5, v6, v5, 0x407ffff
	v_and_b32_e32 v6, 0xff00000, v5
	v_lshrrev_b32_e32 v5, 20, v5
	v_cmp_ne_u32_e32 vcc_lo, 0x7f00000, v6
                                        ; implicit-def: $vgpr6
	v_cndmask_b32_e32 v5, 0x7e, v5, vcc_lo
; %bb.81:
	s_andn2_saveexec_b32 s14, s14
; %bb.82:
	v_add_f32_e64 v5, 0x46800000, |v6|
; %bb.83:
	s_or_b32 exec_lo, exec_lo, s14
                                        ; implicit-def: $vgpr7
.LBB76_84:
	s_andn2_saveexec_b32 s3, s3
; %bb.85:
	v_mov_b32_e32 v5, 0x7f
	v_cmp_lt_u32_e32 vcc_lo, 0x7f800000, v7
	v_cndmask_b32_e32 v5, 0x7e, v5, vcc_lo
; %bb.86:
	s_or_b32 exec_lo, exec_lo, s3
	v_lshrrev_b32_e32 v4, 8, v4
	v_and_or_b32 v4, 0x80, v4, v5
	global_store_byte v[0:1], v4, off
.LBB76_87:
	s_mov_b32 s3, 0
.LBB76_88:
	s_andn2_b32 vcc_lo, exec_lo, s3
	s_cbranch_vccnz .LBB76_98
; %bb.89:
	v_lshlrev_b32_e32 v6, 16, v3
	v_and_b32_e32 v4, 0xffff, v3
	s_mov_b32 s3, exec_lo
                                        ; implicit-def: $vgpr5
	v_and_b32_e32 v7, 0x7fffffff, v6
	v_cmpx_gt_u32_e32 0x47800000, v7
	s_xor_b32 s3, exec_lo, s3
	s_cbranch_execz .LBB76_95
; %bb.90:
	s_mov_b32 s14, exec_lo
                                        ; implicit-def: $vgpr5
	v_cmpx_lt_u32_e32 0x387fffff, v7
	s_xor_b32 s14, exec_lo, s14
; %bb.91:
	v_bfe_u32 v5, v4, 5, 1
	v_add3_u32 v5, v6, v5, 0x80fffff
                                        ; implicit-def: $vgpr6
	v_lshrrev_b32_e32 v5, 21, v5
; %bb.92:
	s_andn2_saveexec_b32 s14, s14
; %bb.93:
	v_add_f32_e64 v5, 0x43000000, |v6|
; %bb.94:
	s_or_b32 exec_lo, exec_lo, s14
                                        ; implicit-def: $vgpr7
.LBB76_95:
	s_andn2_saveexec_b32 s3, s3
; %bb.96:
	v_mov_b32_e32 v5, 0x7f
	v_cmp_lt_u32_e32 vcc_lo, 0x7f800000, v7
	v_cndmask_b32_e32 v5, 0x7c, v5, vcc_lo
; %bb.97:
	s_or_b32 exec_lo, exec_lo, s3
	v_lshrrev_b32_e32 v4, 8, v4
	v_and_or_b32 v4, 0x80, v4, v5
	global_store_byte v[0:1], v4, off
.LBB76_98:
	s_mov_b32 s14, 0
	s_mov_b32 s3, -1
.LBB76_99:
	s_andn2_b32 vcc_lo, exec_lo, s14
	s_cbranch_vccnz .LBB76_107
; %bb.100:
	s_cmp_gt_i32 s2, 14
	s_mov_b32 s14, -1
	s_cbranch_scc0 .LBB76_104
; %bb.101:
	s_cmp_eq_u32 s2, 15
	s_mov_b32 s0, -1
	s_cbranch_scc0 .LBB76_103
; %bb.102:
	s_mov_b32 s3, -1
	s_mov_b32 s0, 0
	global_store_short v[0:1], v3, off
.LBB76_103:
	s_mov_b32 s14, 0
.LBB76_104:
	s_and_b32 vcc_lo, exec_lo, s14
	s_cbranch_vccz .LBB76_107
; %bb.105:
	s_cmp_eq_u32 s2, 11
	s_mov_b32 s0, -1
	s_cbranch_scc0 .LBB76_107
; %bb.106:
	v_and_b32_e32 v4, 0x7fff, v3
	s_mov_b32 s0, 0
	s_mov_b32 s3, -1
	v_cmp_ne_u16_e32 vcc_lo, 0, v4
	v_cndmask_b32_e64 v4, 0, 1, vcc_lo
	global_store_byte v[0:1], v4, off
.LBB76_107:
	s_branch .LBB76_26
.LBB76_108:
	s_and_b32 s1, 0xffff, s1
	s_mov_b32 s2, -1
	s_cmp_lt_i32 s1, 5
	s_cbranch_scc1 .LBB76_129
; %bb.109:
	s_cmp_lt_i32 s1, 8
	s_cbranch_scc1 .LBB76_119
; %bb.110:
	;; [unrolled: 3-line block ×3, first 2 shown]
	s_cmp_gt_i32 s1, 9
	s_cbranch_scc0 .LBB76_113
; %bb.112:
	v_lshlrev_b32_e32 v4, 16, v3
	v_mov_b32_e32 v6, 0
	s_mov_b32 s2, 0
	v_cvt_f64_f32_e32 v[4:5], v4
	v_mov_b32_e32 v7, v6
	global_store_dwordx4 v[0:1], v[4:7], off
.LBB76_113:
	s_andn2_b32 vcc_lo, exec_lo, s2
	s_cbranch_vccnz .LBB76_115
; %bb.114:
	v_lshlrev_b32_e32 v4, 16, v3
	v_mov_b32_e32 v5, 0
	global_store_dwordx2 v[0:1], v[4:5], off
.LBB76_115:
	s_mov_b32 s2, 0
.LBB76_116:
	s_andn2_b32 vcc_lo, exec_lo, s2
	s_cbranch_vccnz .LBB76_118
; %bb.117:
	v_lshlrev_b32_e32 v4, 16, v3
	v_cvt_f16_f32_e32 v4, v4
	v_and_b32_e32 v4, 0xffff, v4
	global_store_dword v[0:1], v4, off
.LBB76_118:
	s_mov_b32 s2, 0
.LBB76_119:
	s_andn2_b32 vcc_lo, exec_lo, s2
	s_cbranch_vccnz .LBB76_128
; %bb.120:
	s_cmp_lt_i32 s1, 6
	s_mov_b32 s2, -1
	s_cbranch_scc1 .LBB76_126
; %bb.121:
	s_cmp_gt_i32 s1, 6
	s_cbranch_scc0 .LBB76_123
; %bb.122:
	v_lshlrev_b32_e32 v4, 16, v3
	s_mov_b32 s2, 0
	v_cvt_f64_f32_e32 v[4:5], v4
	global_store_dwordx2 v[0:1], v[4:5], off
.LBB76_123:
	s_andn2_b32 vcc_lo, exec_lo, s2
	s_cbranch_vccnz .LBB76_125
; %bb.124:
	v_lshlrev_b32_e32 v4, 16, v3
	global_store_dword v[0:1], v4, off
.LBB76_125:
	s_mov_b32 s2, 0
.LBB76_126:
	s_andn2_b32 vcc_lo, exec_lo, s2
	s_cbranch_vccnz .LBB76_128
; %bb.127:
	v_lshlrev_b32_e32 v4, 16, v3
	v_cvt_f16_f32_e32 v4, v4
	global_store_short v[0:1], v4, off
.LBB76_128:
	s_mov_b32 s2, 0
.LBB76_129:
	s_andn2_b32 vcc_lo, exec_lo, s2
	s_cbranch_vccnz .LBB76_145
; %bb.130:
	s_cmp_lt_i32 s1, 2
	s_mov_b32 s2, -1
	s_cbranch_scc1 .LBB76_140
; %bb.131:
	s_cmp_lt_i32 s1, 3
	s_cbranch_scc1 .LBB76_137
; %bb.132:
	s_cmp_gt_i32 s1, 3
	s_cbranch_scc0 .LBB76_134
; %bb.133:
	v_lshlrev_b32_e32 v4, 16, v3
	s_mov_b32 s2, 0
	v_trunc_f32_e32 v4, v4
	v_mul_f32_e64 v5, 0x2f800000, |v4|
	v_ashrrev_i32_e32 v7, 31, v4
	v_floor_f32_e32 v5, v5
	v_fma_f32 v6, 0xcf800000, v5, |v4|
	v_cvt_u32_f32_e32 v5, v5
	v_cvt_u32_f32_e32 v4, v6
	v_xor_b32_e32 v5, v5, v7
	v_xor_b32_e32 v4, v4, v7
	v_sub_co_u32 v4, vcc_lo, v4, v7
	v_sub_co_ci_u32_e64 v5, null, v5, v7, vcc_lo
	global_store_dwordx2 v[0:1], v[4:5], off
.LBB76_134:
	s_andn2_b32 vcc_lo, exec_lo, s2
	s_cbranch_vccnz .LBB76_136
; %bb.135:
	v_lshlrev_b32_e32 v4, 16, v3
	v_cvt_i32_f32_e32 v4, v4
	global_store_dword v[0:1], v4, off
.LBB76_136:
	s_mov_b32 s2, 0
.LBB76_137:
	s_andn2_b32 vcc_lo, exec_lo, s2
	s_cbranch_vccnz .LBB76_139
; %bb.138:
	v_lshlrev_b32_e32 v4, 16, v3
	v_cvt_i32_f32_e32 v4, v4
	global_store_short v[0:1], v4, off
.LBB76_139:
	s_mov_b32 s2, 0
.LBB76_140:
	s_andn2_b32 vcc_lo, exec_lo, s2
	s_cbranch_vccnz .LBB76_145
; %bb.141:
	v_lshlrev_b32_e32 v3, 16, v3
	s_cmp_gt_i32 s1, 0
	s_mov_b32 s1, -1
	s_cbranch_scc0 .LBB76_143
; %bb.142:
	v_cvt_i32_f32_e32 v4, v3
	s_mov_b32 s1, 0
	global_store_byte v[0:1], v4, off
.LBB76_143:
	s_andn2_b32 vcc_lo, exec_lo, s1
	s_cbranch_vccnz .LBB76_145
; %bb.144:
	v_trunc_f32_e32 v3, v3
	v_mul_f32_e64 v4, 0x2f800000, |v3|
	v_floor_f32_e32 v4, v4
	v_fma_f32 v4, 0xcf800000, v4, |v3|
	v_ashrrev_i32_e32 v3, 31, v3
	v_cvt_u32_f32_e32 v4, v4
	v_xor_b32_e32 v4, v4, v3
	v_sub_nc_u32_e32 v3, v4, v3
	global_store_byte v[0:1], v3, off
.LBB76_145:
.LBB76_146:
	v_add_nc_u32_e32 v2, 0x80, v2
	s_mov_b32 s1, -1
	s_branch .LBB76_257
.LBB76_147:
	s_mov_b32 s16, -1
                                        ; implicit-def: $vgpr3
.LBB76_148:
	s_mov_b32 s2, 0
.LBB76_149:
	s_and_b32 vcc_lo, exec_lo, s2
	s_cbranch_vccz .LBB76_153
; %bb.150:
	s_cmp_eq_u32 s0, 29
	s_cbranch_scc0 .LBB76_152
; %bb.151:
	global_load_dwordx2 v[3:4], v[0:1], off
	s_mov_b32 s1, -1
	s_mov_b32 s16, 0
	s_mov_b32 s2, 0
	s_waitcnt vmcnt(0)
	v_ffbh_u32_e32 v5, v4
	v_min_u32_e32 v5, 32, v5
	v_lshlrev_b64 v[3:4], v5, v[3:4]
	v_min_u32_e32 v3, 1, v3
	v_or_b32_e32 v3, v4, v3
	v_sub_nc_u32_e32 v4, 32, v5
	v_cvt_f32_u32_e32 v3, v3
	v_ldexp_f32 v3, v3, v4
	v_bfe_u32 v4, v3, 16, 1
	v_add3_u32 v3, v3, v4, 0x7fff
	v_lshrrev_b32_e32 v3, 16, v3
	s_branch .LBB76_154
.LBB76_152:
	s_mov_b32 s16, -1
                                        ; implicit-def: $vgpr3
.LBB76_153:
	s_mov_b32 s2, 0
.LBB76_154:
	s_and_b32 vcc_lo, exec_lo, s2
	s_cbranch_vccz .LBB76_172
; %bb.155:
	s_cmp_lt_i32 s0, 27
	s_cbranch_scc1 .LBB76_158
; %bb.156:
	s_cmp_gt_i32 s0, 27
	s_cbranch_scc0 .LBB76_159
; %bb.157:
	global_load_dword v3, v[0:1], off
	s_mov_b32 s1, 0
	s_waitcnt vmcnt(0)
	v_cvt_f32_u32_e32 v3, v3
	v_bfe_u32 v4, v3, 16, 1
	v_add3_u32 v3, v3, v4, 0x7fff
	v_lshrrev_b32_e32 v3, 16, v3
	s_branch .LBB76_160
.LBB76_158:
	s_mov_b32 s1, -1
                                        ; implicit-def: $vgpr3
	s_branch .LBB76_163
.LBB76_159:
	s_mov_b32 s1, -1
                                        ; implicit-def: $vgpr3
.LBB76_160:
	s_andn2_b32 vcc_lo, exec_lo, s1
	s_cbranch_vccnz .LBB76_162
; %bb.161:
	global_load_ushort v3, v[0:1], off
	s_waitcnt vmcnt(0)
	v_cvt_f32_u32_e32 v3, v3
	v_bfe_u32 v4, v3, 16, 1
	v_add3_u32 v3, v3, v4, 0x7fff
	v_lshrrev_b32_e32 v3, 16, v3
.LBB76_162:
	s_mov_b32 s1, 0
.LBB76_163:
	s_andn2_b32 vcc_lo, exec_lo, s1
	s_cbranch_vccnz .LBB76_171
; %bb.164:
	global_load_ubyte v3, v[0:1], off
	s_mov_b32 s1, 0
	s_mov_b32 s2, exec_lo
	s_waitcnt vmcnt(0)
	v_cmpx_lt_i16_e32 0x7f, v3
	s_xor_b32 s2, exec_lo, s2
	s_cbranch_execz .LBB76_184
; %bb.165:
	s_mov_b32 s1, -1
	s_mov_b32 s3, exec_lo
	v_cmpx_eq_u16_e32 0x80, v3
; %bb.166:
	s_xor_b32 s1, exec_lo, -1
; %bb.167:
	s_or_b32 exec_lo, exec_lo, s3
	s_and_b32 s1, s1, exec_lo
	s_or_saveexec_b32 s2, s2
	v_mov_b32_e32 v4, 0x7f800001
	s_xor_b32 exec_lo, exec_lo, s2
	s_cbranch_execnz .LBB76_185
.LBB76_168:
	s_or_b32 exec_lo, exec_lo, s2
	s_and_saveexec_b32 s2, s1
	s_cbranch_execz .LBB76_170
.LBB76_169:
	v_and_b32_e32 v4, 0xffff, v3
	v_lshlrev_b32_e32 v3, 24, v3
	v_and_b32_e32 v5, 7, v4
	v_bfe_u32 v8, v4, 3, 4
	v_and_b32_e32 v3, 0x80000000, v3
	v_ffbh_u32_e32 v6, v5
	v_cmp_eq_u32_e32 vcc_lo, 0, v8
	v_min_u32_e32 v6, 32, v6
	v_subrev_nc_u32_e32 v7, 28, v6
	v_sub_nc_u32_e32 v6, 29, v6
	v_lshlrev_b32_e32 v4, v7, v4
	v_cndmask_b32_e32 v6, v8, v6, vcc_lo
	v_and_b32_e32 v4, 7, v4
	v_cndmask_b32_e32 v4, v5, v4, vcc_lo
	v_lshl_add_u32 v5, v6, 23, 0x3b800000
	v_lshlrev_b32_e32 v4, 20, v4
	v_or3_b32 v4, v3, v5, v4
.LBB76_170:
	s_or_b32 exec_lo, exec_lo, s2
	v_bfe_u32 v3, v4, 16, 1
	v_cmp_o_f32_e32 vcc_lo, v4, v4
	v_add3_u32 v3, v4, v3, 0x7fff
	v_mov_b32_e32 v4, 0x7fc0
	v_cndmask_b32_sdwa v3, v4, v3, vcc_lo dst_sel:DWORD dst_unused:UNUSED_PAD src0_sel:DWORD src1_sel:WORD_1
.LBB76_171:
	s_mov_b32 s1, -1
.LBB76_172:
	s_branch .LBB76_207
.LBB76_173:
	s_cmp_gt_i32 s0, 22
	s_cbranch_scc0 .LBB76_183
; %bb.174:
	s_cmp_lt_i32 s0, 24
	s_cbranch_scc1 .LBB76_186
; %bb.175:
	s_cmp_gt_i32 s0, 24
	s_cbranch_scc0 .LBB76_187
; %bb.176:
	global_load_ubyte v3, v[0:1], off
	s_mov_b32 s1, 0
	s_mov_b32 s2, exec_lo
	s_waitcnt vmcnt(0)
	v_cmpx_lt_i16_e32 0x7f, v3
	s_xor_b32 s2, exec_lo, s2
	s_cbranch_execz .LBB76_199
; %bb.177:
	s_mov_b32 s1, -1
	s_mov_b32 s3, exec_lo
	v_cmpx_eq_u16_e32 0x80, v3
; %bb.178:
	s_xor_b32 s1, exec_lo, -1
; %bb.179:
	s_or_b32 exec_lo, exec_lo, s3
	s_and_b32 s1, s1, exec_lo
	s_or_saveexec_b32 s2, s2
	v_mov_b32_e32 v4, 0x7f800001
	s_xor_b32 exec_lo, exec_lo, s2
	s_cbranch_execnz .LBB76_200
.LBB76_180:
	s_or_b32 exec_lo, exec_lo, s2
	s_and_saveexec_b32 s2, s1
	s_cbranch_execz .LBB76_182
.LBB76_181:
	v_and_b32_e32 v4, 0xffff, v3
	v_lshlrev_b32_e32 v3, 24, v3
	v_and_b32_e32 v5, 3, v4
	v_bfe_u32 v8, v4, 2, 5
	v_and_b32_e32 v3, 0x80000000, v3
	v_ffbh_u32_e32 v6, v5
	v_cmp_eq_u32_e32 vcc_lo, 0, v8
	v_min_u32_e32 v6, 32, v6
	v_subrev_nc_u32_e32 v7, 29, v6
	v_sub_nc_u32_e32 v6, 30, v6
	v_lshlrev_b32_e32 v4, v7, v4
	v_cndmask_b32_e32 v6, v8, v6, vcc_lo
	v_and_b32_e32 v4, 3, v4
	v_cndmask_b32_e32 v4, v5, v4, vcc_lo
	v_lshl_add_u32 v5, v6, 23, 0x37800000
	v_lshlrev_b32_e32 v4, 21, v4
	v_or3_b32 v4, v3, v5, v4
.LBB76_182:
	s_or_b32 exec_lo, exec_lo, s2
	v_bfe_u32 v3, v4, 16, 1
	v_cmp_o_f32_e32 vcc_lo, v4, v4
	s_mov_b32 s1, 0
	v_add3_u32 v3, v4, v3, 0x7fff
	v_mov_b32_e32 v4, 0x7fc0
	v_cndmask_b32_sdwa v3, v4, v3, vcc_lo dst_sel:DWORD dst_unused:UNUSED_PAD src0_sel:DWORD src1_sel:WORD_1
	s_branch .LBB76_188
.LBB76_183:
	s_mov_b32 s2, -1
                                        ; implicit-def: $vgpr3
	s_branch .LBB76_194
.LBB76_184:
	s_or_saveexec_b32 s2, s2
	v_mov_b32_e32 v4, 0x7f800001
	s_xor_b32 exec_lo, exec_lo, s2
	s_cbranch_execz .LBB76_168
.LBB76_185:
	v_cmp_ne_u16_e32 vcc_lo, 0, v3
	v_mov_b32_e32 v4, 0
	s_andn2_b32 s1, s1, exec_lo
	s_and_b32 s3, vcc_lo, exec_lo
	s_or_b32 s1, s1, s3
	s_or_b32 exec_lo, exec_lo, s2
	s_and_saveexec_b32 s2, s1
	s_cbranch_execnz .LBB76_169
	s_branch .LBB76_170
.LBB76_186:
	s_mov_b32 s1, -1
                                        ; implicit-def: $vgpr3
	s_branch .LBB76_191
.LBB76_187:
	s_mov_b32 s1, -1
                                        ; implicit-def: $vgpr3
.LBB76_188:
	s_and_b32 vcc_lo, exec_lo, s1
	s_cbranch_vccz .LBB76_190
; %bb.189:
	global_load_ubyte v3, v[0:1], off
	s_waitcnt vmcnt(0)
	v_lshlrev_b32_e32 v3, 24, v3
	v_and_b32_e32 v4, 0x7f000000, v3
	v_ffbh_u32_e32 v5, v4
	v_add_nc_u32_e32 v7, 0x1000000, v4
	v_cmp_ne_u32_e32 vcc_lo, 0, v4
	v_min_u32_e32 v5, 32, v5
	v_sub_nc_u32_e64 v5, v5, 4 clamp
	v_lshlrev_b32_e32 v6, v5, v4
	v_lshlrev_b32_e32 v5, 23, v5
	v_lshrrev_b32_e32 v6, 4, v6
	v_sub_nc_u32_e32 v5, v6, v5
	v_ashrrev_i32_e32 v6, 8, v7
	v_add_nc_u32_e32 v5, 0x3c000000, v5
	v_and_or_b32 v5, 0x7f800000, v6, v5
	v_cndmask_b32_e32 v4, 0, v5, vcc_lo
	v_and_or_b32 v3, 0x80000000, v3, v4
	v_bfe_u32 v4, v4, 16, 1
	v_cmp_o_f32_e32 vcc_lo, v3, v3
	v_add3_u32 v3, v3, v4, 0x7fff
	v_mov_b32_e32 v4, 0x7fc0
	v_cndmask_b32_sdwa v3, v4, v3, vcc_lo dst_sel:DWORD dst_unused:UNUSED_PAD src0_sel:DWORD src1_sel:WORD_1
.LBB76_190:
	s_mov_b32 s1, 0
.LBB76_191:
	s_andn2_b32 vcc_lo, exec_lo, s1
	s_cbranch_vccnz .LBB76_193
; %bb.192:
	global_load_ubyte v3, v[0:1], off
	s_waitcnt vmcnt(0)
	v_lshlrev_b32_e32 v4, 25, v3
	v_lshlrev_b16 v3, 8, v3
	v_lshrrev_b32_e32 v5, 4, v4
	v_and_or_b32 v6, 0x7f00, v3, 0.5
	v_cmp_gt_u32_e32 vcc_lo, 0x8000000, v4
	v_bfe_i32 v3, v3, 0, 16
	v_or_b32_e32 v5, 0x70000000, v5
	v_add_f32_e32 v6, -0.5, v6
	v_mul_f32_e32 v5, 0x7800000, v5
	v_cndmask_b32_e32 v4, v5, v6, vcc_lo
	v_and_or_b32 v3, 0x80000000, v3, v4
	v_bfe_u32 v4, v4, 16, 1
	v_cmp_o_f32_e32 vcc_lo, v3, v3
	v_add3_u32 v3, v3, v4, 0x7fff
	v_mov_b32_e32 v4, 0x7fc0
	v_cndmask_b32_sdwa v3, v4, v3, vcc_lo dst_sel:DWORD dst_unused:UNUSED_PAD src0_sel:DWORD src1_sel:WORD_1
.LBB76_193:
	s_mov_b32 s2, 0
	s_mov_b32 s1, -1
.LBB76_194:
	s_andn2_b32 vcc_lo, exec_lo, s2
	s_cbranch_vccnz .LBB76_207
; %bb.195:
	s_cmp_gt_i32 s0, 14
	s_cbranch_scc0 .LBB76_198
; %bb.196:
	s_cmp_eq_u32 s0, 15
	s_cbranch_scc0 .LBB76_201
; %bb.197:
	global_load_ushort v3, v[0:1], off
	s_mov_b32 s1, -1
	s_mov_b32 s16, 0
	s_branch .LBB76_202
.LBB76_198:
	s_mov_b32 s2, -1
                                        ; implicit-def: $vgpr3
	s_branch .LBB76_203
.LBB76_199:
	s_or_saveexec_b32 s2, s2
	v_mov_b32_e32 v4, 0x7f800001
	s_xor_b32 exec_lo, exec_lo, s2
	s_cbranch_execz .LBB76_180
.LBB76_200:
	v_cmp_ne_u16_e32 vcc_lo, 0, v3
	v_mov_b32_e32 v4, 0
	s_andn2_b32 s1, s1, exec_lo
	s_and_b32 s3, vcc_lo, exec_lo
	s_or_b32 s1, s1, s3
	s_or_b32 exec_lo, exec_lo, s2
	s_and_saveexec_b32 s2, s1
	s_cbranch_execnz .LBB76_181
	s_branch .LBB76_182
.LBB76_201:
	s_mov_b32 s16, -1
                                        ; implicit-def: $vgpr3
.LBB76_202:
	s_mov_b32 s2, 0
.LBB76_203:
	s_and_b32 vcc_lo, exec_lo, s2
	s_cbranch_vccz .LBB76_207
; %bb.204:
	s_cmp_eq_u32 s0, 11
	s_cbranch_scc0 .LBB76_206
; %bb.205:
	global_load_ubyte v3, v[0:1], off
	s_mov_b32 s16, 0
	s_mov_b32 s1, -1
	s_waitcnt vmcnt(0)
	v_cmp_ne_u16_e32 vcc_lo, 0, v3
	v_cndmask_b32_e64 v3, 0, 1.0, vcc_lo
	v_lshrrev_b32_e32 v3, 16, v3
	s_branch .LBB76_207
.LBB76_206:
	s_mov_b32 s16, -1
                                        ; implicit-def: $vgpr3
.LBB76_207:
	s_branch .LBB76_10
.LBB76_208:
	s_cmp_lt_i32 s0, 5
	s_cbranch_scc1 .LBB76_213
; %bb.209:
	s_cmp_lt_i32 s0, 8
	s_cbranch_scc1 .LBB76_214
; %bb.210:
	;; [unrolled: 3-line block ×3, first 2 shown]
	s_cmp_gt_i32 s0, 9
	s_cbranch_scc0 .LBB76_216
; %bb.212:
	global_load_dwordx2 v[3:4], v[0:1], off
	s_mov_b32 s1, 0
	s_waitcnt vmcnt(0)
	v_cvt_f32_f64_e32 v3, v[3:4]
	v_bfe_u32 v4, v3, 16, 1
	v_cmp_o_f32_e32 vcc_lo, v3, v3
	v_add3_u32 v3, v3, v4, 0x7fff
	v_mov_b32_e32 v4, 0x7fc0
	v_cndmask_b32_sdwa v3, v4, v3, vcc_lo dst_sel:DWORD dst_unused:UNUSED_PAD src0_sel:DWORD src1_sel:WORD_1
	s_branch .LBB76_217
.LBB76_213:
                                        ; implicit-def: $vgpr3
	s_branch .LBB76_235
.LBB76_214:
	s_mov_b32 s1, -1
                                        ; implicit-def: $vgpr3
	s_branch .LBB76_223
.LBB76_215:
	s_mov_b32 s1, -1
                                        ; implicit-def: $vgpr3
	s_branch .LBB76_220
.LBB76_216:
	s_mov_b32 s1, -1
                                        ; implicit-def: $vgpr3
.LBB76_217:
	s_andn2_b32 vcc_lo, exec_lo, s1
	s_cbranch_vccnz .LBB76_219
; %bb.218:
	global_load_dword v3, v[0:1], off
	s_waitcnt vmcnt(0)
	v_bfe_u32 v4, v3, 16, 1
	v_cmp_o_f32_e32 vcc_lo, v3, v3
	v_add3_u32 v3, v3, v4, 0x7fff
	v_mov_b32_e32 v4, 0x7fc0
	v_cndmask_b32_sdwa v3, v4, v3, vcc_lo dst_sel:DWORD dst_unused:UNUSED_PAD src0_sel:DWORD src1_sel:WORD_1
.LBB76_219:
	s_mov_b32 s1, 0
.LBB76_220:
	s_andn2_b32 vcc_lo, exec_lo, s1
	s_cbranch_vccnz .LBB76_222
; %bb.221:
	global_load_dword v3, v[0:1], off
	s_waitcnt vmcnt(0)
	v_cvt_f32_f16_e32 v4, v3
	v_cmp_o_f16_e32 vcc_lo, v3, v3
	v_bfe_u32 v5, v4, 16, 1
	v_add3_u32 v3, v4, v5, 0x7fff
	v_mov_b32_e32 v4, 0x7fc0
	v_cndmask_b32_sdwa v3, v4, v3, vcc_lo dst_sel:DWORD dst_unused:UNUSED_PAD src0_sel:DWORD src1_sel:WORD_1
.LBB76_222:
	s_mov_b32 s1, 0
.LBB76_223:
	s_andn2_b32 vcc_lo, exec_lo, s1
	s_cbranch_vccnz .LBB76_234
; %bb.224:
	s_cmp_lt_i32 s0, 6
	s_cbranch_scc1 .LBB76_227
; %bb.225:
	s_cmp_gt_i32 s0, 6
	s_cbranch_scc0 .LBB76_228
; %bb.226:
	global_load_dwordx2 v[3:4], v[0:1], off
	s_mov_b32 s1, 0
	s_waitcnt vmcnt(0)
	v_cvt_f32_f64_e32 v3, v[3:4]
	v_bfe_u32 v4, v3, 16, 1
	v_cmp_o_f32_e32 vcc_lo, v3, v3
	v_add3_u32 v3, v3, v4, 0x7fff
	v_mov_b32_e32 v4, 0x7fc0
	v_cndmask_b32_sdwa v3, v4, v3, vcc_lo dst_sel:DWORD dst_unused:UNUSED_PAD src0_sel:DWORD src1_sel:WORD_1
	s_branch .LBB76_229
.LBB76_227:
	s_mov_b32 s1, -1
                                        ; implicit-def: $vgpr3
	s_branch .LBB76_232
.LBB76_228:
	s_mov_b32 s1, -1
                                        ; implicit-def: $vgpr3
.LBB76_229:
	s_andn2_b32 vcc_lo, exec_lo, s1
	s_cbranch_vccnz .LBB76_231
; %bb.230:
	global_load_dword v3, v[0:1], off
	s_waitcnt vmcnt(0)
	v_bfe_u32 v4, v3, 16, 1
	v_cmp_o_f32_e32 vcc_lo, v3, v3
	v_add3_u32 v3, v3, v4, 0x7fff
	v_mov_b32_e32 v4, 0x7fc0
	v_cndmask_b32_sdwa v3, v4, v3, vcc_lo dst_sel:DWORD dst_unused:UNUSED_PAD src0_sel:DWORD src1_sel:WORD_1
.LBB76_231:
	s_mov_b32 s1, 0
.LBB76_232:
	s_andn2_b32 vcc_lo, exec_lo, s1
	s_cbranch_vccnz .LBB76_234
; %bb.233:
	global_load_ushort v3, v[0:1], off
	s_waitcnt vmcnt(0)
	v_cvt_f32_f16_e32 v4, v3
	v_cmp_o_f16_e32 vcc_lo, v3, v3
	v_bfe_u32 v5, v4, 16, 1
	v_add3_u32 v3, v4, v5, 0x7fff
	v_mov_b32_e32 v4, 0x7fc0
	v_cndmask_b32_sdwa v3, v4, v3, vcc_lo dst_sel:DWORD dst_unused:UNUSED_PAD src0_sel:DWORD src1_sel:WORD_1
.LBB76_234:
	s_cbranch_execnz .LBB76_254
.LBB76_235:
	s_cmp_lt_i32 s0, 2
	s_cbranch_scc1 .LBB76_239
; %bb.236:
	s_cmp_lt_i32 s0, 3
	s_cbranch_scc1 .LBB76_240
; %bb.237:
	s_cmp_gt_i32 s0, 3
	s_cbranch_scc0 .LBB76_241
; %bb.238:
	global_load_dwordx2 v[3:4], v[0:1], off
	s_mov_b32 s1, 0
	s_waitcnt vmcnt(0)
	v_xor_b32_e32 v5, v3, v4
	v_ffbh_i32_e32 v6, v4
	v_ashrrev_i32_e32 v5, 31, v5
	v_add_nc_u32_e32 v6, -1, v6
	v_add_nc_u32_e32 v5, 32, v5
	v_min_u32_e32 v5, v6, v5
	v_lshlrev_b64 v[3:4], v5, v[3:4]
	v_min_u32_e32 v3, 1, v3
	v_or_b32_e32 v3, v4, v3
	v_sub_nc_u32_e32 v4, 32, v5
	v_cvt_f32_i32_e32 v3, v3
	v_ldexp_f32 v3, v3, v4
	v_bfe_u32 v4, v3, 16, 1
	v_add3_u32 v3, v3, v4, 0x7fff
	v_lshrrev_b32_e32 v3, 16, v3
	s_branch .LBB76_242
.LBB76_239:
	s_mov_b32 s1, -1
                                        ; implicit-def: $vgpr3
	s_branch .LBB76_248
.LBB76_240:
	s_mov_b32 s1, -1
                                        ; implicit-def: $vgpr3
	s_branch .LBB76_245
.LBB76_241:
	s_mov_b32 s1, -1
                                        ; implicit-def: $vgpr3
.LBB76_242:
	s_andn2_b32 vcc_lo, exec_lo, s1
	s_cbranch_vccnz .LBB76_244
; %bb.243:
	global_load_dword v3, v[0:1], off
	s_waitcnt vmcnt(0)
	v_cvt_f32_i32_e32 v3, v3
	v_bfe_u32 v4, v3, 16, 1
	v_add3_u32 v3, v3, v4, 0x7fff
	v_lshrrev_b32_e32 v3, 16, v3
.LBB76_244:
	s_mov_b32 s1, 0
.LBB76_245:
	s_andn2_b32 vcc_lo, exec_lo, s1
	s_cbranch_vccnz .LBB76_247
; %bb.246:
	global_load_sshort v3, v[0:1], off
	s_waitcnt vmcnt(0)
	v_cvt_f32_i32_e32 v3, v3
	v_bfe_u32 v4, v3, 16, 1
	v_add3_u32 v3, v3, v4, 0x7fff
	v_lshrrev_b32_e32 v3, 16, v3
.LBB76_247:
	s_mov_b32 s1, 0
.LBB76_248:
	s_andn2_b32 vcc_lo, exec_lo, s1
	s_cbranch_vccnz .LBB76_254
; %bb.249:
	s_cmp_gt_i32 s0, 0
	s_mov_b32 s0, 0
	s_cbranch_scc0 .LBB76_251
; %bb.250:
	global_load_sbyte v3, v[0:1], off
	s_waitcnt vmcnt(0)
	v_cvt_f32_i32_e32 v3, v3
	v_bfe_u32 v4, v3, 16, 1
	v_add3_u32 v3, v3, v4, 0x7fff
	v_lshrrev_b32_e32 v3, 16, v3
	s_branch .LBB76_252
.LBB76_251:
	s_mov_b32 s0, -1
                                        ; implicit-def: $vgpr3
.LBB76_252:
	s_andn2_b32 vcc_lo, exec_lo, s0
	s_cbranch_vccnz .LBB76_254
; %bb.253:
	global_load_ubyte v0, v[0:1], off
	s_waitcnt vmcnt(0)
	v_cvt_f32_ubyte0_e32 v0, v0
	v_bfe_u32 v1, v0, 16, 1
	v_add3_u32 v0, v0, v1, 0x7fff
	v_lshrrev_b32_e32 v3, 16, v0
.LBB76_254:
	s_branch .LBB76_11
.LBB76_255:
	s_mov_b32 s0, 0
.LBB76_256:
	s_mov_b32 s1, 0
                                        ; implicit-def: $vgpr2
.LBB76_257:
	s_and_b32 s14, s0, exec_lo
	s_and_b32 s16, s16, exec_lo
	s_orn2_b32 s1, s1, exec_lo
.LBB76_258:
	s_or_b32 exec_lo, exec_lo, s17
	s_mov_b32 s2, 0
	s_mov_b32 s0, 0
                                        ; implicit-def: $vgpr0_vgpr1
                                        ; implicit-def: $vgpr4
	s_and_saveexec_b32 s17, s1
	s_cbranch_execz .LBB76_267
; %bb.259:
	s_mov_b32 s0, -1
	s_mov_b32 s18, s16
	s_mov_b32 s19, s14
	s_mov_b32 s20, exec_lo
	v_cmpx_gt_i32_e64 s15, v2
	s_cbranch_execz .LBB76_527
; %bb.260:
	v_mul_lo_u32 v0, v2, s13
	s_and_b32 s0, 0xffff, s6
	s_cmp_lt_i32 s0, 11
	v_ashrrev_i32_e32 v1, 31, v0
	v_add_co_u32 v0, vcc_lo, s10, v0
	v_add_co_ci_u32_e64 v1, null, s11, v1, vcc_lo
	s_cbranch_scc1 .LBB76_270
; %bb.261:
	s_cmp_gt_i32 s0, 25
	s_cbranch_scc0 .LBB76_285
; %bb.262:
	s_cmp_gt_i32 s0, 28
	s_cbranch_scc0 .LBB76_287
	;; [unrolled: 3-line block ×4, first 2 shown]
; %bb.265:
	s_cmp_eq_u32 s0, 46
	s_cbranch_scc0 .LBB76_297
; %bb.266:
	global_load_dword v3, v[0:1], off
	s_mov_b32 s1, -1
	s_mov_b32 s18, 0
	s_branch .LBB76_299
.LBB76_267:
	s_or_b32 exec_lo, exec_lo, s17
	s_mov_b32 s15, 0
	s_and_saveexec_b32 s1, s16
	s_cbranch_execnz .LBB76_881
.LBB76_268:
	s_or_b32 exec_lo, exec_lo, s1
	s_and_saveexec_b32 s1, s18
	s_xor_b32 s1, exec_lo, s1
	s_cbranch_execz .LBB76_882
.LBB76_269:
	global_load_ubyte v3, v[0:1], off
	s_or_b32 s0, s0, exec_lo
	s_waitcnt vmcnt(0)
	v_cmp_ne_u16_e32 vcc_lo, 0, v3
	v_cndmask_b32_e64 v3, 0, 1.0, vcc_lo
	v_lshrrev_b32_e32 v4, 16, v3
	s_or_b32 exec_lo, exec_lo, s1
	s_and_saveexec_b32 s1, s2
	s_cbranch_execz .LBB76_928
	s_branch .LBB76_883
.LBB76_270:
	s_mov_b32 s1, 0
	s_mov_b32 s18, s16
                                        ; implicit-def: $vgpr3
	s_cbranch_execnz .LBB76_476
.LBB76_271:
	s_andn2_b32 vcc_lo, exec_lo, s1
	s_cbranch_vccnz .LBB76_524
.LBB76_272:
	s_waitcnt vmcnt(0)
	v_lshlrev_b32_e32 v0, 16, v3
	v_mov_b32_e32 v3, 0
	v_mov_b32_e32 v1, 1.0
	s_mov_b32 s2, exec_lo
	v_cmpx_gt_f32_e32 0.5, v0
	s_cbranch_execz .LBB76_278
; %bb.273:
	v_mul_f32_e32 v1, 0x40490fdb, v0
                                        ; implicit-def: $vgpr5
                                        ; implicit-def: $vgpr4
	s_mov_b32 s1, exec_lo
	v_and_b32_e32 v3, 0x7fffffff, v1
	v_cmpx_ngt_f32_e64 0x48000000, |v1|
	s_xor_b32 s3, exec_lo, s1
	s_cbranch_execz .LBB76_275
; %bb.274:
	s_mov_b32 s0, 0x7fffff
	v_mov_b32_e32 v6, 0
	v_and_or_b32 v13, v3, s0, 0x800000
	v_lshrrev_b32_e32 v11, 23, v3
	v_mad_u64_u32 v[4:5], null, 0xfe5163ab, v13, 0
	v_add_nc_u32_e32 v12, 0xffffff88, v11
	v_cmp_lt_u32_e32 vcc_lo, 63, v12
	v_mad_u64_u32 v[7:8], null, 0x3c439041, v13, v[5:6]
	v_cndmask_b32_e64 v14, 0, 0xffffffc0, vcc_lo
	v_mov_b32_e32 v5, v8
	v_add_nc_u32_e32 v14, v14, v12
	v_mad_u64_u32 v[8:9], null, 0xdb629599, v13, v[5:6]
	v_cmp_lt_u32_e64 s0, 31, v14
	v_cndmask_b32_e64 v15, 0, 0xffffffe0, s0
	v_mov_b32_e32 v5, v9
	v_cndmask_b32_e32 v4, v8, v4, vcc_lo
	v_mad_u64_u32 v[9:10], null, 0xf534ddc0, v13, v[5:6]
	v_mov_b32_e32 v5, v10
	v_cndmask_b32_e32 v7, v9, v7, vcc_lo
	v_mad_u64_u32 v[10:11], null, 0xfc2757d1, v13, v[5:6]
	v_cndmask_b32_e64 v4, v7, v4, s0
	v_mov_b32_e32 v5, v11
	v_mad_u64_u32 v[11:12], null, 0x4e441529, v13, v[5:6]
	v_mov_b32_e32 v5, v12
	v_add_nc_u32_e32 v12, v15, v14
	v_cndmask_b32_e32 v14, v11, v9, vcc_lo
	v_mad_u64_u32 v[5:6], null, 0xa2f9836e, v13, v[5:6]
	v_cmp_lt_u32_e64 s1, 31, v12
	v_cndmask_b32_e64 v13, 0, 0xffffffe0, s1
	v_cndmask_b32_e32 v5, v5, v10, vcc_lo
	v_cndmask_b32_e32 v6, v6, v11, vcc_lo
	;; [unrolled: 1-line block ×3, first 2 shown]
	v_add_nc_u32_e32 v11, v13, v12
	v_cndmask_b32_e64 v9, v5, v14, s0
	v_cndmask_b32_e64 v5, v6, v5, s0
	;; [unrolled: 1-line block ×4, first 2 shown]
	v_sub_nc_u32_e32 v12, 32, v11
	v_cmp_eq_u32_e32 vcc_lo, 0, v11
	v_cndmask_b32_e64 v5, v5, v9, s1
	v_cndmask_b32_e64 v9, v9, v6, s1
	v_cndmask_b32_e64 v6, v6, v10, s1
	v_cndmask_b32_e64 v4, v10, v4, s1
	v_alignbit_b32 v13, v5, v9, v12
	v_alignbit_b32 v8, v9, v6, v12
	;; [unrolled: 1-line block ×3, first 2 shown]
	v_cndmask_b32_e32 v5, v13, v5, vcc_lo
	v_cndmask_b32_e32 v7, v8, v9, vcc_lo
	;; [unrolled: 1-line block ×3, first 2 shown]
	v_bfe_u32 v8, v5, 29, 1
	v_alignbit_b32 v9, v5, v7, 30
	v_alignbit_b32 v7, v7, v6, 30
	;; [unrolled: 1-line block ×3, first 2 shown]
	v_sub_nc_u32_e32 v10, 0, v8
	v_xor_b32_e32 v9, v9, v10
	v_xor_b32_e32 v6, v7, v10
	;; [unrolled: 1-line block ×3, first 2 shown]
	v_lshrrev_b32_e32 v10, 29, v5
	v_lshrrev_b32_e32 v5, 30, v5
	v_ffbh_u32_e32 v11, v9
	v_add_nc_u32_e32 v5, v8, v5
	v_min_u32_e32 v11, 32, v11
	v_sub_nc_u32_e32 v7, 31, v11
	v_lshlrev_b32_e32 v12, 23, v11
	v_alignbit_b32 v9, v9, v6, v7
	v_alignbit_b32 v4, v6, v4, v7
	v_lshlrev_b32_e32 v6, 31, v10
	v_alignbit_b32 v7, v9, v4, 9
	v_or_b32_e32 v10, 0.5, v6
	v_lshrrev_b32_e32 v9, 9, v9
	v_or_b32_e32 v6, 0x33000000, v6
	v_ffbh_u32_e32 v13, v7
	v_sub_nc_u32_e32 v10, v10, v12
	v_min_u32_e32 v12, 32, v13
	v_or_b32_e32 v9, v9, v10
	v_not_b32_e32 v10, v12
	v_mul_f32_e32 v13, 0x3fc90fda, v9
	v_add_lshl_u32 v11, v12, v11, 23
	v_alignbit_b32 v4, v7, v4, v10
	v_fma_f32 v7, 0x3fc90fda, v9, -v13
	v_sub_nc_u32_e32 v6, v6, v11
	v_lshrrev_b32_e32 v4, 9, v4
	v_fmamk_f32 v7, v9, 0x33a22168, v7
	v_or_b32_e32 v4, v6, v4
	v_fmac_f32_e32 v7, 0x3fc90fda, v4
	v_add_f32_e32 v4, v13, v7
.LBB76_275:
	s_andn2_saveexec_b32 s0, s3
; %bb.276:
	v_mul_f32_e64 v4, 0x3f22f983, |v1|
	v_rndne_f32_e32 v5, v4
	v_fma_f32 v4, 0xbfc90fda, v5, |v1|
	v_fmamk_f32 v4, v5, 0xb3a22168, v4
	v_fmamk_f32 v4, v5, 0xa7c234c4, v4
	v_cvt_i32_f32_e32 v5, v5
; %bb.277:
	s_or_b32 exec_lo, exec_lo, s0
	v_mul_f32_e32 v6, v4, v4
	s_mov_b32 s0, 0xb94c1982
	s_mov_b32 s1, 0x37d75334
	v_and_b32_e32 v9, 1, v5
	v_lshlrev_b32_e32 v5, 30, v5
	v_fmaak_f32 v7, s0, v6, 0x3c0881c4
	v_fmaak_f32 v8, s1, v6, 0xbab64f3b
	v_xor_b32_e32 v3, v3, v1
	v_cmp_eq_u32_e32 vcc_lo, 0, v9
	v_and_b32_e32 v5, 0x80000000, v5
	v_fmaak_f32 v7, v6, v7, 0xbe2aaa9d
	v_fmaak_f32 v8, v6, v8, 0x3d2aabf7
	v_sub_f32_e32 v0, 1.0, v0
	v_mul_f32_e32 v7, v6, v7
	v_fmaak_f32 v8, v6, v8, 0xbf000004
	v_fmac_f32_e32 v4, v4, v7
	v_fma_f32 v6, v6, v8, 1.0
	v_cndmask_b32_e32 v4, v6, v4, vcc_lo
	v_cmp_class_f32_e64 vcc_lo, v1, 0x1f8
	v_xor3_b32 v3, v3, v5, v4
	v_cndmask_b32_e32 v1, 0x7fc00000, v3, vcc_lo
	v_mul_f32_e32 v1, v1, v1
	v_div_scale_f32 v3, null, v1, v1, 0xc11de9e7
	v_div_scale_f32 v6, vcc_lo, 0xc11de9e7, v1, 0xc11de9e7
	v_rcp_f32_e32 v4, v3
	v_fma_f32 v5, -v3, v4, 1.0
	v_fmac_f32_e32 v4, v5, v4
	v_mul_f32_e32 v5, v6, v4
	v_fma_f32 v7, -v3, v5, v6
	v_fmac_f32_e32 v5, v7, v4
	v_fma_f32 v3, -v3, v5, v6
	v_div_fmas_f32 v3, v3, v4, v5
	v_div_fixup_f32 v1, v3, v1, 0xc11de9e7
	v_add_f32_e32 v3, 0, v1
	v_mov_b32_e32 v1, -1.0
.LBB76_278:
	s_or_b32 exec_lo, exec_lo, s2
	v_add_f32_e32 v4, 1.0, v0
	v_mul_f32_e32 v0, v0, v0
	v_mul_f32_e32 v5, v4, v4
	v_add_f32_e32 v4, 1.0, v4
	v_div_scale_f32 v6, null, v0, v0, 1.0
	v_div_scale_f32 v8, vcc_lo, 1.0, v0, 1.0
	v_mul_f32_e32 v9, v4, v4
	v_div_scale_f32 v7, null, v5, v5, 1.0
	v_rcp_f32_e32 v10, v6
	v_div_scale_f32 v13, s0, 1.0, v5, 1.0
	v_div_scale_f32 v12, null, v9, v9, 1.0
	v_rcp_f32_e32 v11, v7
	v_add_f32_e32 v4, 1.0, v4
	v_div_scale_f32 v14, s1, 1.0, v9, 1.0
	v_rcp_f32_e32 v15, v12
	v_fma_f32 v17, -v6, v10, 1.0
	v_mul_f32_e32 v16, v4, v4
	v_add_f32_e32 v4, 1.0, v4
	v_fma_f32 v18, -v7, v11, 1.0
	v_fmac_f32_e32 v10, v17, v10
	v_mul_f32_e32 v20, v4, v4
	v_add_f32_e32 v4, 1.0, v4
	v_fma_f32 v17, -v12, v15, 1.0
	v_fmac_f32_e32 v11, v18, v11
	v_mul_f32_e32 v21, v8, v10
	v_div_scale_f32 v19, null, v16, v16, 1.0
	v_fmac_f32_e32 v15, v17, v15
	v_mul_f32_e32 v22, v13, v11
	v_fma_f32 v23, -v6, v21, v8
	v_add_f32_e32 v26, 1.0, v4
	v_rcp_f32_e32 v18, v19
	v_mul_f32_e32 v25, v14, v15
	v_fma_f32 v24, -v7, v22, v13
	v_fmac_f32_e32 v21, v23, v10
	v_mul_f32_e32 v4, v4, v4
	v_div_scale_f32 v17, null, v20, v20, 1.0
	v_fma_f32 v23, -v12, v25, v14
	v_fmac_f32_e32 v22, v24, v11
	v_fma_f32 v6, -v6, v21, v8
	v_mul_f32_e32 v8, v26, v26
	v_rcp_f32_e32 v24, v17
	v_fmac_f32_e32 v25, v23, v15
	v_fma_f32 v7, -v7, v22, v13
	v_div_fmas_f32 v6, v6, v10, v21
	s_mov_b32 vcc_lo, s0
	v_fma_f32 v27, -v19, v18, 1.0
	v_fma_f32 v10, -v12, v25, v14
	v_div_fmas_f32 v7, v7, v11, v22
	s_mov_b32 vcc_lo, s1
	v_div_scale_f32 v11, null, v4, v4, 1.0
	v_div_fmas_f32 v10, v10, v15, v25
	v_div_scale_f32 v12, null, v8, v8, 1.0
	v_add_f32_e32 v15, v26, v26
	v_rcp_f32_e32 v14, v11
	v_fmac_f32_e32 v18, v27, v18
	v_rcp_f32_e32 v22, v12
	v_div_scale_f32 v13, vcc_lo, 1.0, v16, 1.0
	v_div_scale_f32 v25, null, v15, v15, 1.0
	v_fma_f32 v21, -v17, v24, 1.0
	v_mul_f32_e32 v23, v13, v18
	v_div_fixup_f32 v0, v6, v0, 1.0
	v_rcp_f32_e32 v28, v25
	v_fma_f32 v27, -v11, v14, 1.0
	v_fmac_f32_e32 v24, v21, v24
	v_div_scale_f32 v21, s0, 1.0, v20, 1.0
	v_fma_f32 v30, -v12, v22, 1.0
	v_fma_f32 v29, -v19, v23, v13
	v_fmac_f32_e32 v14, v27, v14
	v_div_scale_f32 v27, s1, 1.0, v4, 1.0
	v_mul_f32_e32 v31, v21, v24
	v_fmac_f32_e32 v22, v30, v22
	v_div_scale_f32 v30, s2, 1.0, v8, 1.0
	v_fma_f32 v32, -v25, v28, 1.0
	v_fmac_f32_e32 v23, v29, v18
	v_mul_f32_e32 v33, v27, v14
	v_fma_f32 v29, -v17, v31, v21
	v_mul_f32_e32 v34, v30, v22
	v_fmac_f32_e32 v28, v32, v28
	v_div_scale_f32 v32, s3, 1.0, v15, 1.0
	v_fma_f32 v13, -v19, v23, v13
	v_fma_f32 v19, -v11, v33, v27
	v_fmac_f32_e32 v31, v29, v24
	v_fma_f32 v29, -v12, v34, v30
	v_mul_f32_e32 v35, v32, v28
	v_div_fmas_f32 v13, v13, v18, v23
	v_fmac_f32_e32 v33, v19, v14
	v_fma_f32 v17, -v17, v31, v21
	v_fmac_f32_e32 v34, v29, v22
	v_fma_f32 v18, -v25, v35, v32
	s_mov_b32 vcc_lo, s0
	v_fma_f32 v11, -v11, v33, v27
	v_div_fmas_f32 v17, v17, v24, v31
	v_fma_f32 v12, -v12, v34, v30
	v_fmac_f32_e32 v35, v18, v28
	s_mov_b32 vcc_lo, s1
	s_mov_b32 s0, 0xbcc30c31
	v_div_fmas_f32 v11, v11, v14, v33
	s_mov_b32 vcc_lo, s2
	v_fma_f32 v14, -v25, v35, v32
	v_div_fmas_f32 v12, v12, v22, v34
	s_mov_b32 vcc_lo, s3
	v_add_f32_e32 v0, v3, v0
	v_div_fixup_f32 v3, v7, v5, 1.0
	v_div_fmas_f32 v14, v14, v28, v35
	v_div_fixup_f32 v8, v12, v8, 1.0
	s_and_b32 s1, s4, 0xff
	v_add_f32_e32 v0, v0, v3
	v_div_fixup_f32 v12, v14, v15, 1.0
	v_fmaak_f32 v14, s0, v8, 0x3d088889
	v_div_fixup_f32 v3, v10, v9, 1.0
	s_cmp_lt_i32 s1, 11
	v_add_f32_e32 v12, 1.0, v12
	v_fma_f32 v14, -v8, v14, 0x3e2aaaab
	v_add_f32_e32 v0, v0, v3
	v_div_fixup_f32 v3, v13, v16, 1.0
	v_fmac_f32_e32 v12, v8, v14
	v_add_f32_e32 v0, v0, v3
	v_div_fixup_f32 v3, v17, v20, 1.0
	v_div_scale_f32 v8, null, v26, v26, v12
	v_div_scale_f32 v5, vcc_lo, v12, v26, v12
	v_add_f32_e32 v0, v0, v3
	v_rcp_f32_e32 v14, v8
	v_div_fixup_f32 v3, v11, v4, 1.0
	v_add_f32_e32 v0, v0, v3
	v_fma_f32 v6, -v8, v14, 1.0
	v_fmac_f32_e32 v14, v6, v14
	v_mul_f32_e32 v6, v5, v14
	v_fma_f32 v7, -v8, v6, v5
	v_fmac_f32_e32 v6, v7, v14
	v_fma_f32 v5, -v8, v6, v5
	v_div_fmas_f32 v4, v5, v14, v6
	v_div_fixup_f32 v3, v4, v26, v12
	v_mov_b32_e32 v4, 0x7fc0
	v_add_f32_e32 v0, v0, v3
	v_mul_f32_e32 v0, v1, v0
	v_mul_lo_u32 v1, v2, s12
	v_bfe_u32 v3, v0, 16, 1
	v_cmp_o_f32_e32 vcc_lo, v0, v0
	v_ashrrev_i32_e32 v5, 31, v1
	v_add3_u32 v3, v0, v3, 0x7fff
	v_add_co_u32 v0, s0, s8, v1
	v_add_co_ci_u32_e64 v1, null, s9, v5, s0
	v_cndmask_b32_sdwa v3, v4, v3, vcc_lo dst_sel:DWORD dst_unused:UNUSED_PAD src0_sel:DWORD src1_sel:WORD_1
	s_cbranch_scc1 .LBB76_286
; %bb.279:
	s_and_b32 s2, 0xffff, s1
	s_cmp_gt_i32 s2, 25
	s_cbranch_scc0 .LBB76_288
; %bb.280:
	s_cmp_gt_i32 s2, 28
	s_cbranch_scc0 .LBB76_290
; %bb.281:
	;; [unrolled: 3-line block ×4, first 2 shown]
	s_mov_b32 s19, 0
	s_mov_b32 s0, -1
	s_cmp_eq_u32 s2, 46
	s_mov_b32 s3, 0
	s_cbranch_scc0 .LBB76_303
; %bb.284:
	v_and_b32_e32 v4, 0xffff, v3
	s_mov_b32 s3, -1
	s_mov_b32 s0, 0
	global_store_dword v[0:1], v4, off
	s_branch .LBB76_303
.LBB76_285:
	s_mov_b32 s2, -1
	s_mov_b32 s1, 0
	s_mov_b32 s18, s16
                                        ; implicit-def: $vgpr3
	s_branch .LBB76_440
.LBB76_286:
	s_mov_b32 s2, -1
	s_mov_b32 s3, 0
	s_mov_b32 s0, s14
	s_branch .LBB76_372
.LBB76_287:
	s_mov_b32 s2, -1
	s_mov_b32 s1, 0
	s_mov_b32 s18, s16
                                        ; implicit-def: $vgpr3
	s_branch .LBB76_421
.LBB76_288:
	s_mov_b32 s19, -1
	s_mov_b32 s3, 0
	s_mov_b32 s0, s14
	s_branch .LBB76_330
.LBB76_289:
	s_mov_b32 s2, -1
	s_mov_b32 s1, 0
	s_mov_b32 s18, s16
                                        ; implicit-def: $vgpr3
	s_branch .LBB76_416
.LBB76_290:
	s_mov_b32 s19, -1
	s_mov_b32 s3, 0
	s_mov_b32 s0, s14
	s_branch .LBB76_313
.LBB76_291:
	s_andn2_saveexec_b32 s19, s19
	s_cbranch_execz .LBB76_60
.LBB76_292:
	v_add_f32_e64 v5, 0x46000000, |v6|
	s_andn2_b32 s14, s14, exec_lo
	v_and_b32_e32 v5, 0xff, v5
	v_cmp_ne_u32_e32 vcc_lo, 0, v5
	s_and_b32 s20, vcc_lo, exec_lo
	s_or_b32 s14, s14, s20
	s_or_b32 exec_lo, exec_lo, s19
	v_mov_b32_e32 v7, 0
	s_and_saveexec_b32 s19, s14
	s_cbranch_execnz .LBB76_61
	s_branch .LBB76_62
.LBB76_293:
	s_mov_b32 s2, -1
	s_mov_b32 s1, 0
	s_mov_b32 s18, s16
	s_branch .LBB76_298
.LBB76_294:
	s_mov_b32 s19, -1
	s_mov_b32 s3, 0
	s_mov_b32 s0, s14
	s_branch .LBB76_309
.LBB76_295:
	s_andn2_saveexec_b32 s19, s19
	s_cbranch_execz .LBB76_73
.LBB76_296:
	v_add_f32_e64 v5, 0x42800000, |v6|
	s_andn2_b32 s14, s14, exec_lo
	v_and_b32_e32 v5, 0xff, v5
	v_cmp_ne_u32_e32 vcc_lo, 0, v5
	s_and_b32 s20, vcc_lo, exec_lo
	s_or_b32 s14, s14, s20
	s_or_b32 exec_lo, exec_lo, s19
	v_mov_b32_e32 v7, 0
	s_and_saveexec_b32 s19, s14
	s_cbranch_execnz .LBB76_74
	s_branch .LBB76_75
.LBB76_297:
	s_mov_b32 s18, -1
	s_mov_b32 s1, 0
.LBB76_298:
                                        ; implicit-def: $vgpr3
.LBB76_299:
	s_and_b32 vcc_lo, exec_lo, s2
	s_cbranch_vccz .LBB76_415
; %bb.300:
	s_cmp_eq_u32 s0, 44
	s_cbranch_scc0 .LBB76_414
; %bb.301:
	global_load_ubyte v3, v[0:1], off
	s_mov_b32 s18, 0
	s_mov_b32 s1, -1
	s_waitcnt vmcnt(0)
	v_lshlrev_b32_e32 v4, 23, v3
	v_cmp_ne_u32_e32 vcc_lo, 0xff, v3
	v_cndmask_b32_e32 v4, 0x7f800001, v4, vcc_lo
	v_cmp_ne_u32_e32 vcc_lo, 0, v3
	v_cndmask_b32_e32 v3, 0x400000, v4, vcc_lo
	v_mov_b32_e32 v4, 0x7fc0
	v_cmp_o_f32_e32 vcc_lo, v3, v3
	v_add_nc_u32_e32 v3, 0x7fff, v3
	v_cndmask_b32_sdwa v3, v4, v3, vcc_lo dst_sel:DWORD dst_unused:UNUSED_PAD src0_sel:DWORD src1_sel:WORD_1
	s_branch .LBB76_415
.LBB76_302:
	s_mov_b32 s19, -1
	s_mov_b32 s3, 0
	s_mov_b32 s0, s14
.LBB76_303:
	s_and_b32 vcc_lo, exec_lo, s19
	s_cbranch_vccz .LBB76_308
; %bb.304:
	s_cmp_eq_u32 s2, 44
	s_mov_b32 s0, -1
	s_cbranch_scc0 .LBB76_308
; %bb.305:
	v_and_b32_e32 v4, 0xffff, v3
	v_mov_b32_e32 v5, 0xff
	s_mov_b32 s3, exec_lo
	v_bfe_u32 v6, v4, 7, 8
	v_cmpx_ne_u32_e32 0xff, v6
	s_cbranch_execz .LBB76_307
; %bb.306:
	v_lshlrev_b32_e32 v5, 16, v4
	v_and_b32_e32 v7, 64, v4
	v_lshrrev_b32_e32 v4, 7, v4
	v_and_or_b32 v5, 0x3f0000, v5, v6
	v_cmp_ne_u32_e32 vcc_lo, 0, v7
	v_cmp_ne_u32_e64 s0, 0, v5
	s_and_b32 s0, vcc_lo, s0
	v_cndmask_b32_e64 v5, 0, 1, s0
	v_add_nc_u32_e32 v5, v4, v5
.LBB76_307:
	s_or_b32 exec_lo, exec_lo, s3
	s_mov_b32 s3, -1
	s_mov_b32 s0, 0
	global_store_byte v[0:1], v5, off
.LBB76_308:
	s_mov_b32 s19, 0
.LBB76_309:
	s_and_b32 vcc_lo, exec_lo, s19
	s_cbranch_vccz .LBB76_312
; %bb.310:
	s_cmp_eq_u32 s2, 29
	s_mov_b32 s0, -1
	s_cbranch_scc0 .LBB76_312
; %bb.311:
	v_lshlrev_b32_e32 v4, 16, v3
	s_mov_b32 s3, -1
	s_mov_b32 s0, 0
	s_mov_b32 s19, 0
	v_trunc_f32_e32 v4, v4
	v_mul_f32_e32 v5, 0x2f800000, v4
	v_floor_f32_e32 v5, v5
	v_fmamk_f32 v4, v5, 0xcf800000, v4
	v_cvt_u32_f32_e32 v5, v5
	v_cvt_u32_f32_e32 v4, v4
	global_store_dwordx2 v[0:1], v[4:5], off
	s_branch .LBB76_313
.LBB76_312:
	s_mov_b32 s19, 0
.LBB76_313:
	s_and_b32 vcc_lo, exec_lo, s19
	s_cbranch_vccz .LBB76_329
; %bb.314:
	s_cmp_lt_i32 s2, 27
	s_mov_b32 s3, -1
	s_cbranch_scc1 .LBB76_320
; %bb.315:
	s_cmp_gt_i32 s2, 27
	s_cbranch_scc0 .LBB76_317
; %bb.316:
	v_lshlrev_b32_e32 v4, 16, v3
	s_mov_b32 s3, 0
	v_cvt_u32_f32_e32 v4, v4
	global_store_dword v[0:1], v4, off
.LBB76_317:
	s_andn2_b32 vcc_lo, exec_lo, s3
	s_cbranch_vccnz .LBB76_319
; %bb.318:
	v_lshlrev_b32_e32 v4, 16, v3
	v_cvt_u32_f32_e32 v4, v4
	global_store_short v[0:1], v4, off
.LBB76_319:
	s_mov_b32 s3, 0
.LBB76_320:
	s_andn2_b32 vcc_lo, exec_lo, s3
	s_cbranch_vccnz .LBB76_328
; %bb.321:
	v_lshlrev_b32_e32 v6, 16, v3
	v_mov_b32_e32 v7, 0x80
	s_mov_b32 s3, exec_lo
	v_and_b32_e32 v5, 0x7fffffff, v6
	v_cmpx_gt_u32_e32 0x43800000, v5
	s_cbranch_execz .LBB76_327
; %bb.322:
	v_and_b32_e32 v4, 0xffff, v3
	v_cmp_lt_u32_e32 vcc_lo, 0x3bffffff, v5
	s_mov_b32 s19, 0
                                        ; implicit-def: $vgpr5
	s_and_saveexec_b32 s21, vcc_lo
	s_xor_b32 s21, exec_lo, s21
	s_cbranch_execz .LBB76_540
; %bb.323:
	v_bfe_u32 v5, v4, 4, 1
	s_mov_b32 s19, exec_lo
	v_add3_u32 v5, v6, v5, 0x487ffff
                                        ; implicit-def: $vgpr6
	v_lshrrev_b32_e32 v5, 20, v5
	s_andn2_saveexec_b32 s21, s21
	s_cbranch_execnz .LBB76_541
.LBB76_324:
	s_or_b32 exec_lo, exec_lo, s21
	v_mov_b32_e32 v7, 0
	s_and_saveexec_b32 s21, s19
.LBB76_325:
	v_lshrrev_b32_e32 v4, 8, v4
	v_and_or_b32 v7, 0x80, v4, v5
.LBB76_326:
	s_or_b32 exec_lo, exec_lo, s21
.LBB76_327:
	s_or_b32 exec_lo, exec_lo, s3
	global_store_byte v[0:1], v7, off
.LBB76_328:
	s_mov_b32 s3, -1
.LBB76_329:
	s_mov_b32 s19, 0
.LBB76_330:
	s_and_b32 vcc_lo, exec_lo, s19
	s_cbranch_vccz .LBB76_371
; %bb.331:
	s_cmp_gt_i32 s2, 22
	s_mov_b32 s19, -1
	s_cbranch_scc0 .LBB76_363
; %bb.332:
	s_cmp_lt_i32 s2, 24
	s_mov_b32 s3, -1
	s_cbranch_scc1 .LBB76_352
; %bb.333:
	s_cmp_gt_i32 s2, 24
	s_cbranch_scc0 .LBB76_341
; %bb.334:
	v_lshlrev_b32_e32 v6, 16, v3
	v_mov_b32_e32 v7, 0x80
	s_mov_b32 s3, exec_lo
	v_and_b32_e32 v5, 0x7fffffff, v6
	v_cmpx_gt_u32_e32 0x47800000, v5
	s_cbranch_execz .LBB76_340
; %bb.335:
	v_and_b32_e32 v4, 0xffff, v3
	v_cmp_lt_u32_e32 vcc_lo, 0x37ffffff, v5
	s_mov_b32 s19, 0
                                        ; implicit-def: $vgpr5
	s_and_saveexec_b32 s21, vcc_lo
	s_xor_b32 s21, exec_lo, s21
	s_cbranch_execz .LBB76_543
; %bb.336:
	v_bfe_u32 v5, v4, 5, 1
	s_mov_b32 s19, exec_lo
	v_add3_u32 v5, v6, v5, 0x88fffff
                                        ; implicit-def: $vgpr6
	v_lshrrev_b32_e32 v5, 21, v5
	s_andn2_saveexec_b32 s21, s21
	s_cbranch_execnz .LBB76_544
.LBB76_337:
	s_or_b32 exec_lo, exec_lo, s21
	v_mov_b32_e32 v7, 0
	s_and_saveexec_b32 s21, s19
.LBB76_338:
	v_lshrrev_b32_e32 v4, 8, v4
	v_and_or_b32 v7, 0x80, v4, v5
.LBB76_339:
	s_or_b32 exec_lo, exec_lo, s21
.LBB76_340:
	s_or_b32 exec_lo, exec_lo, s3
	s_mov_b32 s3, 0
	global_store_byte v[0:1], v7, off
.LBB76_341:
	s_and_b32 vcc_lo, exec_lo, s3
	s_cbranch_vccz .LBB76_351
; %bb.342:
	v_lshlrev_b32_e32 v6, 16, v3
	v_and_b32_e32 v4, 0xffff, v3
	s_mov_b32 s3, exec_lo
                                        ; implicit-def: $vgpr5
	v_and_b32_e32 v7, 0x7fffffff, v6
	v_cmpx_gt_u32_e32 0x43f00000, v7
	s_xor_b32 s3, exec_lo, s3
	s_cbranch_execz .LBB76_348
; %bb.343:
	s_mov_b32 s19, exec_lo
                                        ; implicit-def: $vgpr5
	v_cmpx_lt_u32_e32 0x3c7fffff, v7
	s_xor_b32 s19, exec_lo, s19
; %bb.344:
	v_bfe_u32 v5, v4, 4, 1
	v_add3_u32 v5, v6, v5, 0x407ffff
	v_and_b32_e32 v6, 0xff00000, v5
	v_lshrrev_b32_e32 v5, 20, v5
	v_cmp_ne_u32_e32 vcc_lo, 0x7f00000, v6
                                        ; implicit-def: $vgpr6
	v_cndmask_b32_e32 v5, 0x7e, v5, vcc_lo
; %bb.345:
	s_andn2_saveexec_b32 s19, s19
; %bb.346:
	v_add_f32_e64 v5, 0x46800000, |v6|
; %bb.347:
	s_or_b32 exec_lo, exec_lo, s19
                                        ; implicit-def: $vgpr7
.LBB76_348:
	s_andn2_saveexec_b32 s3, s3
; %bb.349:
	v_mov_b32_e32 v5, 0x7f
	v_cmp_lt_u32_e32 vcc_lo, 0x7f800000, v7
	v_cndmask_b32_e32 v5, 0x7e, v5, vcc_lo
; %bb.350:
	s_or_b32 exec_lo, exec_lo, s3
	v_lshrrev_b32_e32 v4, 8, v4
	v_and_or_b32 v4, 0x80, v4, v5
	global_store_byte v[0:1], v4, off
.LBB76_351:
	s_mov_b32 s3, 0
.LBB76_352:
	s_andn2_b32 vcc_lo, exec_lo, s3
	s_cbranch_vccnz .LBB76_362
; %bb.353:
	v_lshlrev_b32_e32 v6, 16, v3
	v_and_b32_e32 v4, 0xffff, v3
	s_mov_b32 s3, exec_lo
                                        ; implicit-def: $vgpr5
	v_and_b32_e32 v7, 0x7fffffff, v6
	v_cmpx_gt_u32_e32 0x47800000, v7
	s_xor_b32 s3, exec_lo, s3
	s_cbranch_execz .LBB76_359
; %bb.354:
	s_mov_b32 s19, exec_lo
                                        ; implicit-def: $vgpr5
	v_cmpx_lt_u32_e32 0x387fffff, v7
	s_xor_b32 s19, exec_lo, s19
; %bb.355:
	v_bfe_u32 v5, v4, 5, 1
	v_add3_u32 v5, v6, v5, 0x80fffff
                                        ; implicit-def: $vgpr6
	v_lshrrev_b32_e32 v5, 21, v5
; %bb.356:
	s_andn2_saveexec_b32 s19, s19
; %bb.357:
	v_add_f32_e64 v5, 0x43000000, |v6|
; %bb.358:
	s_or_b32 exec_lo, exec_lo, s19
                                        ; implicit-def: $vgpr7
.LBB76_359:
	s_andn2_saveexec_b32 s3, s3
; %bb.360:
	v_mov_b32_e32 v5, 0x7f
	v_cmp_lt_u32_e32 vcc_lo, 0x7f800000, v7
	v_cndmask_b32_e32 v5, 0x7c, v5, vcc_lo
; %bb.361:
	s_or_b32 exec_lo, exec_lo, s3
	v_lshrrev_b32_e32 v4, 8, v4
	v_and_or_b32 v4, 0x80, v4, v5
	global_store_byte v[0:1], v4, off
.LBB76_362:
	s_mov_b32 s19, 0
	s_mov_b32 s3, -1
.LBB76_363:
	s_andn2_b32 vcc_lo, exec_lo, s19
	s_cbranch_vccnz .LBB76_371
; %bb.364:
	s_cmp_gt_i32 s2, 14
	s_mov_b32 s19, -1
	s_cbranch_scc0 .LBB76_368
; %bb.365:
	s_cmp_eq_u32 s2, 15
	s_mov_b32 s0, -1
	s_cbranch_scc0 .LBB76_367
; %bb.366:
	s_mov_b32 s3, -1
	s_mov_b32 s0, 0
	global_store_short v[0:1], v3, off
.LBB76_367:
	s_mov_b32 s19, 0
.LBB76_368:
	s_and_b32 vcc_lo, exec_lo, s19
	s_cbranch_vccz .LBB76_371
; %bb.369:
	s_cmp_eq_u32 s2, 11
	s_mov_b32 s0, -1
	s_cbranch_scc0 .LBB76_371
; %bb.370:
	v_and_b32_e32 v4, 0x7fff, v3
	s_mov_b32 s0, 0
	s_mov_b32 s3, -1
	v_cmp_ne_u16_e32 vcc_lo, 0, v4
	v_cndmask_b32_e64 v4, 0, 1, vcc_lo
	global_store_byte v[0:1], v4, off
.LBB76_371:
	s_mov_b32 s2, 0
.LBB76_372:
	s_and_b32 vcc_lo, exec_lo, s2
	s_cbranch_vccz .LBB76_411
; %bb.373:
	s_and_b32 s1, 0xffff, s1
	s_mov_b32 s2, -1
	s_cmp_lt_i32 s1, 5
	s_cbranch_scc1 .LBB76_394
; %bb.374:
	s_cmp_lt_i32 s1, 8
	s_cbranch_scc1 .LBB76_384
; %bb.375:
	;; [unrolled: 3-line block ×3, first 2 shown]
	s_cmp_gt_i32 s1, 9
	s_cbranch_scc0 .LBB76_378
; %bb.377:
	v_lshlrev_b32_e32 v4, 16, v3
	v_mov_b32_e32 v6, 0
	s_mov_b32 s2, 0
	v_cvt_f64_f32_e32 v[4:5], v4
	v_mov_b32_e32 v7, v6
	global_store_dwordx4 v[0:1], v[4:7], off
.LBB76_378:
	s_andn2_b32 vcc_lo, exec_lo, s2
	s_cbranch_vccnz .LBB76_380
; %bb.379:
	v_lshlrev_b32_e32 v4, 16, v3
	v_mov_b32_e32 v5, 0
	global_store_dwordx2 v[0:1], v[4:5], off
.LBB76_380:
	s_mov_b32 s2, 0
.LBB76_381:
	s_andn2_b32 vcc_lo, exec_lo, s2
	s_cbranch_vccnz .LBB76_383
; %bb.382:
	v_lshlrev_b32_e32 v4, 16, v3
	v_cvt_f16_f32_e32 v4, v4
	v_and_b32_e32 v4, 0xffff, v4
	global_store_dword v[0:1], v4, off
.LBB76_383:
	s_mov_b32 s2, 0
.LBB76_384:
	s_andn2_b32 vcc_lo, exec_lo, s2
	s_cbranch_vccnz .LBB76_393
; %bb.385:
	s_cmp_lt_i32 s1, 6
	s_mov_b32 s2, -1
	s_cbranch_scc1 .LBB76_391
; %bb.386:
	s_cmp_gt_i32 s1, 6
	s_cbranch_scc0 .LBB76_388
; %bb.387:
	v_lshlrev_b32_e32 v4, 16, v3
	s_mov_b32 s2, 0
	v_cvt_f64_f32_e32 v[4:5], v4
	global_store_dwordx2 v[0:1], v[4:5], off
.LBB76_388:
	s_andn2_b32 vcc_lo, exec_lo, s2
	s_cbranch_vccnz .LBB76_390
; %bb.389:
	v_lshlrev_b32_e32 v4, 16, v3
	global_store_dword v[0:1], v4, off
.LBB76_390:
	s_mov_b32 s2, 0
.LBB76_391:
	s_andn2_b32 vcc_lo, exec_lo, s2
	s_cbranch_vccnz .LBB76_393
; %bb.392:
	v_lshlrev_b32_e32 v4, 16, v3
	v_cvt_f16_f32_e32 v4, v4
	global_store_short v[0:1], v4, off
.LBB76_393:
	s_mov_b32 s2, 0
.LBB76_394:
	s_andn2_b32 vcc_lo, exec_lo, s2
	s_cbranch_vccnz .LBB76_410
; %bb.395:
	s_cmp_lt_i32 s1, 2
	s_mov_b32 s2, -1
	s_cbranch_scc1 .LBB76_405
; %bb.396:
	s_cmp_lt_i32 s1, 3
	s_cbranch_scc1 .LBB76_402
; %bb.397:
	s_cmp_gt_i32 s1, 3
	s_cbranch_scc0 .LBB76_399
; %bb.398:
	v_lshlrev_b32_e32 v4, 16, v3
	s_mov_b32 s2, 0
	v_trunc_f32_e32 v4, v4
	v_mul_f32_e64 v5, 0x2f800000, |v4|
	v_ashrrev_i32_e32 v7, 31, v4
	v_floor_f32_e32 v5, v5
	v_fma_f32 v6, 0xcf800000, v5, |v4|
	v_cvt_u32_f32_e32 v5, v5
	v_cvt_u32_f32_e32 v4, v6
	v_xor_b32_e32 v5, v5, v7
	v_xor_b32_e32 v4, v4, v7
	v_sub_co_u32 v4, vcc_lo, v4, v7
	v_sub_co_ci_u32_e64 v5, null, v5, v7, vcc_lo
	global_store_dwordx2 v[0:1], v[4:5], off
.LBB76_399:
	s_andn2_b32 vcc_lo, exec_lo, s2
	s_cbranch_vccnz .LBB76_401
; %bb.400:
	v_lshlrev_b32_e32 v4, 16, v3
	v_cvt_i32_f32_e32 v4, v4
	global_store_dword v[0:1], v4, off
.LBB76_401:
	s_mov_b32 s2, 0
.LBB76_402:
	s_andn2_b32 vcc_lo, exec_lo, s2
	s_cbranch_vccnz .LBB76_404
; %bb.403:
	v_lshlrev_b32_e32 v4, 16, v3
	v_cvt_i32_f32_e32 v4, v4
	global_store_short v[0:1], v4, off
.LBB76_404:
	s_mov_b32 s2, 0
.LBB76_405:
	s_andn2_b32 vcc_lo, exec_lo, s2
	s_cbranch_vccnz .LBB76_410
; %bb.406:
	v_lshlrev_b32_e32 v3, 16, v3
	s_cmp_gt_i32 s1, 0
	s_mov_b32 s1, -1
	s_cbranch_scc0 .LBB76_408
; %bb.407:
	v_cvt_i32_f32_e32 v4, v3
	s_mov_b32 s1, 0
	global_store_byte v[0:1], v4, off
.LBB76_408:
	s_andn2_b32 vcc_lo, exec_lo, s1
	s_cbranch_vccnz .LBB76_410
; %bb.409:
	v_trunc_f32_e32 v3, v3
	v_mul_f32_e64 v4, 0x2f800000, |v3|
	v_floor_f32_e32 v4, v4
	v_fma_f32 v4, 0xcf800000, v4, |v3|
	v_ashrrev_i32_e32 v3, 31, v3
	v_cvt_u32_f32_e32 v4, v4
	v_xor_b32_e32 v4, v4, v3
	v_sub_nc_u32_e32 v3, v4, v3
	global_store_byte v[0:1], v3, off
.LBB76_410:
	s_mov_b32 s3, -1
.LBB76_411:
	s_andn2_b32 vcc_lo, exec_lo, s3
	s_cbranch_vccnz .LBB76_413
; %bb.412:
	v_add_nc_u32_e32 v2, 0x80, v2
	s_mov_b32 s1, -1
	s_branch .LBB76_526
.LBB76_413:
	s_mov_b32 s1, 0
	s_branch .LBB76_525
.LBB76_414:
	s_mov_b32 s18, -1
                                        ; implicit-def: $vgpr3
.LBB76_415:
	s_mov_b32 s2, 0
.LBB76_416:
	s_and_b32 vcc_lo, exec_lo, s2
	s_cbranch_vccz .LBB76_420
; %bb.417:
	s_cmp_eq_u32 s0, 29
	s_cbranch_scc0 .LBB76_419
; %bb.418:
	global_load_dwordx2 v[3:4], v[0:1], off
	s_mov_b32 s1, -1
	s_mov_b32 s18, 0
	s_mov_b32 s2, 0
	s_waitcnt vmcnt(0)
	v_ffbh_u32_e32 v5, v4
	v_min_u32_e32 v5, 32, v5
	v_lshlrev_b64 v[3:4], v5, v[3:4]
	v_min_u32_e32 v3, 1, v3
	v_or_b32_e32 v3, v4, v3
	v_sub_nc_u32_e32 v4, 32, v5
	v_cvt_f32_u32_e32 v3, v3
	v_ldexp_f32 v3, v3, v4
	v_bfe_u32 v4, v3, 16, 1
	v_add3_u32 v3, v3, v4, 0x7fff
	v_lshrrev_b32_e32 v3, 16, v3
	s_branch .LBB76_421
.LBB76_419:
	s_mov_b32 s18, -1
                                        ; implicit-def: $vgpr3
.LBB76_420:
	s_mov_b32 s2, 0
.LBB76_421:
	s_and_b32 vcc_lo, exec_lo, s2
	s_cbranch_vccz .LBB76_439
; %bb.422:
	s_cmp_lt_i32 s0, 27
	s_cbranch_scc1 .LBB76_425
; %bb.423:
	s_cmp_gt_i32 s0, 27
	s_cbranch_scc0 .LBB76_426
; %bb.424:
	global_load_dword v3, v[0:1], off
	s_mov_b32 s1, 0
	s_waitcnt vmcnt(0)
	v_cvt_f32_u32_e32 v3, v3
	v_bfe_u32 v4, v3, 16, 1
	v_add3_u32 v3, v3, v4, 0x7fff
	v_lshrrev_b32_e32 v3, 16, v3
	s_branch .LBB76_427
.LBB76_425:
	s_mov_b32 s1, -1
                                        ; implicit-def: $vgpr3
	s_branch .LBB76_430
.LBB76_426:
	s_mov_b32 s1, -1
                                        ; implicit-def: $vgpr3
.LBB76_427:
	s_andn2_b32 vcc_lo, exec_lo, s1
	s_cbranch_vccnz .LBB76_429
; %bb.428:
	global_load_ushort v3, v[0:1], off
	s_waitcnt vmcnt(0)
	v_cvt_f32_u32_e32 v3, v3
	v_bfe_u32 v4, v3, 16, 1
	v_add3_u32 v3, v3, v4, 0x7fff
	v_lshrrev_b32_e32 v3, 16, v3
.LBB76_429:
	s_mov_b32 s1, 0
.LBB76_430:
	s_andn2_b32 vcc_lo, exec_lo, s1
	s_cbranch_vccnz .LBB76_438
; %bb.431:
	global_load_ubyte v3, v[0:1], off
	s_mov_b32 s1, 0
	s_mov_b32 s2, exec_lo
	s_waitcnt vmcnt(0)
	v_cmpx_lt_i16_e32 0x7f, v3
	s_xor_b32 s2, exec_lo, s2
	s_cbranch_execz .LBB76_452
; %bb.432:
	s_mov_b32 s1, -1
	s_mov_b32 s3, exec_lo
	v_cmpx_eq_u16_e32 0x80, v3
; %bb.433:
	s_xor_b32 s1, exec_lo, -1
; %bb.434:
	s_or_b32 exec_lo, exec_lo, s3
	s_and_b32 s1, s1, exec_lo
	s_or_saveexec_b32 s2, s2
	v_mov_b32_e32 v4, 0x7f800001
	s_xor_b32 exec_lo, exec_lo, s2
	s_cbranch_execnz .LBB76_453
.LBB76_435:
	s_or_b32 exec_lo, exec_lo, s2
	s_and_saveexec_b32 s2, s1
	s_cbranch_execz .LBB76_437
.LBB76_436:
	v_and_b32_e32 v4, 0xffff, v3
	v_lshlrev_b32_e32 v3, 24, v3
	v_and_b32_e32 v5, 7, v4
	v_bfe_u32 v8, v4, 3, 4
	v_and_b32_e32 v3, 0x80000000, v3
	v_ffbh_u32_e32 v6, v5
	v_cmp_eq_u32_e32 vcc_lo, 0, v8
	v_min_u32_e32 v6, 32, v6
	v_subrev_nc_u32_e32 v7, 28, v6
	v_sub_nc_u32_e32 v6, 29, v6
	v_lshlrev_b32_e32 v4, v7, v4
	v_cndmask_b32_e32 v6, v8, v6, vcc_lo
	v_and_b32_e32 v4, 7, v4
	v_cndmask_b32_e32 v4, v5, v4, vcc_lo
	v_lshl_add_u32 v5, v6, 23, 0x3b800000
	v_lshlrev_b32_e32 v4, 20, v4
	v_or3_b32 v4, v3, v5, v4
.LBB76_437:
	s_or_b32 exec_lo, exec_lo, s2
	v_bfe_u32 v3, v4, 16, 1
	v_cmp_o_f32_e32 vcc_lo, v4, v4
	v_add3_u32 v3, v4, v3, 0x7fff
	v_mov_b32_e32 v4, 0x7fc0
	v_cndmask_b32_sdwa v3, v4, v3, vcc_lo dst_sel:DWORD dst_unused:UNUSED_PAD src0_sel:DWORD src1_sel:WORD_1
.LBB76_438:
	s_mov_b32 s1, -1
.LBB76_439:
	s_mov_b32 s2, 0
.LBB76_440:
	s_and_b32 vcc_lo, exec_lo, s2
	s_cbranch_vccz .LBB76_475
; %bb.441:
	s_cmp_gt_i32 s0, 22
	s_cbranch_scc0 .LBB76_451
; %bb.442:
	s_cmp_lt_i32 s0, 24
	s_cbranch_scc1 .LBB76_454
; %bb.443:
	s_cmp_gt_i32 s0, 24
	s_cbranch_scc0 .LBB76_455
; %bb.444:
	global_load_ubyte v3, v[0:1], off
	s_mov_b32 s1, 0
	s_mov_b32 s2, exec_lo
	s_waitcnt vmcnt(0)
	v_cmpx_lt_i16_e32 0x7f, v3
	s_xor_b32 s2, exec_lo, s2
	s_cbranch_execz .LBB76_467
; %bb.445:
	s_mov_b32 s1, -1
	s_mov_b32 s3, exec_lo
	v_cmpx_eq_u16_e32 0x80, v3
; %bb.446:
	s_xor_b32 s1, exec_lo, -1
; %bb.447:
	s_or_b32 exec_lo, exec_lo, s3
	s_and_b32 s1, s1, exec_lo
	s_or_saveexec_b32 s2, s2
	v_mov_b32_e32 v4, 0x7f800001
	s_xor_b32 exec_lo, exec_lo, s2
	s_cbranch_execnz .LBB76_468
.LBB76_448:
	s_or_b32 exec_lo, exec_lo, s2
	s_and_saveexec_b32 s2, s1
	s_cbranch_execz .LBB76_450
.LBB76_449:
	v_and_b32_e32 v4, 0xffff, v3
	v_lshlrev_b32_e32 v3, 24, v3
	v_and_b32_e32 v5, 3, v4
	v_bfe_u32 v8, v4, 2, 5
	v_and_b32_e32 v3, 0x80000000, v3
	v_ffbh_u32_e32 v6, v5
	v_cmp_eq_u32_e32 vcc_lo, 0, v8
	v_min_u32_e32 v6, 32, v6
	v_subrev_nc_u32_e32 v7, 29, v6
	v_sub_nc_u32_e32 v6, 30, v6
	v_lshlrev_b32_e32 v4, v7, v4
	v_cndmask_b32_e32 v6, v8, v6, vcc_lo
	v_and_b32_e32 v4, 3, v4
	v_cndmask_b32_e32 v4, v5, v4, vcc_lo
	v_lshl_add_u32 v5, v6, 23, 0x37800000
	v_lshlrev_b32_e32 v4, 21, v4
	v_or3_b32 v4, v3, v5, v4
.LBB76_450:
	s_or_b32 exec_lo, exec_lo, s2
	v_bfe_u32 v3, v4, 16, 1
	v_cmp_o_f32_e32 vcc_lo, v4, v4
	s_mov_b32 s1, 0
	v_add3_u32 v3, v4, v3, 0x7fff
	v_mov_b32_e32 v4, 0x7fc0
	v_cndmask_b32_sdwa v3, v4, v3, vcc_lo dst_sel:DWORD dst_unused:UNUSED_PAD src0_sel:DWORD src1_sel:WORD_1
	s_branch .LBB76_456
.LBB76_451:
	s_mov_b32 s2, -1
                                        ; implicit-def: $vgpr3
	s_branch .LBB76_462
.LBB76_452:
	s_or_saveexec_b32 s2, s2
	v_mov_b32_e32 v4, 0x7f800001
	s_xor_b32 exec_lo, exec_lo, s2
	s_cbranch_execz .LBB76_435
.LBB76_453:
	v_cmp_ne_u16_e32 vcc_lo, 0, v3
	v_mov_b32_e32 v4, 0
	s_andn2_b32 s1, s1, exec_lo
	s_and_b32 s3, vcc_lo, exec_lo
	s_or_b32 s1, s1, s3
	s_or_b32 exec_lo, exec_lo, s2
	s_and_saveexec_b32 s2, s1
	s_cbranch_execnz .LBB76_436
	s_branch .LBB76_437
.LBB76_454:
	s_mov_b32 s1, -1
                                        ; implicit-def: $vgpr3
	s_branch .LBB76_459
.LBB76_455:
	s_mov_b32 s1, -1
                                        ; implicit-def: $vgpr3
.LBB76_456:
	s_and_b32 vcc_lo, exec_lo, s1
	s_cbranch_vccz .LBB76_458
; %bb.457:
	global_load_ubyte v3, v[0:1], off
	s_waitcnt vmcnt(0)
	v_lshlrev_b32_e32 v3, 24, v3
	v_and_b32_e32 v4, 0x7f000000, v3
	v_ffbh_u32_e32 v5, v4
	v_add_nc_u32_e32 v7, 0x1000000, v4
	v_cmp_ne_u32_e32 vcc_lo, 0, v4
	v_min_u32_e32 v5, 32, v5
	v_sub_nc_u32_e64 v5, v5, 4 clamp
	v_lshlrev_b32_e32 v6, v5, v4
	v_lshlrev_b32_e32 v5, 23, v5
	v_lshrrev_b32_e32 v6, 4, v6
	v_sub_nc_u32_e32 v5, v6, v5
	v_ashrrev_i32_e32 v6, 8, v7
	v_add_nc_u32_e32 v5, 0x3c000000, v5
	v_and_or_b32 v5, 0x7f800000, v6, v5
	v_cndmask_b32_e32 v4, 0, v5, vcc_lo
	v_and_or_b32 v3, 0x80000000, v3, v4
	v_bfe_u32 v4, v4, 16, 1
	v_cmp_o_f32_e32 vcc_lo, v3, v3
	v_add3_u32 v3, v3, v4, 0x7fff
	v_mov_b32_e32 v4, 0x7fc0
	v_cndmask_b32_sdwa v3, v4, v3, vcc_lo dst_sel:DWORD dst_unused:UNUSED_PAD src0_sel:DWORD src1_sel:WORD_1
.LBB76_458:
	s_mov_b32 s1, 0
.LBB76_459:
	s_andn2_b32 vcc_lo, exec_lo, s1
	s_cbranch_vccnz .LBB76_461
; %bb.460:
	global_load_ubyte v3, v[0:1], off
	s_waitcnt vmcnt(0)
	v_lshlrev_b32_e32 v4, 25, v3
	v_lshlrev_b16 v3, 8, v3
	v_lshrrev_b32_e32 v5, 4, v4
	v_and_or_b32 v6, 0x7f00, v3, 0.5
	v_cmp_gt_u32_e32 vcc_lo, 0x8000000, v4
	v_bfe_i32 v3, v3, 0, 16
	v_or_b32_e32 v5, 0x70000000, v5
	v_add_f32_e32 v6, -0.5, v6
	v_mul_f32_e32 v5, 0x7800000, v5
	v_cndmask_b32_e32 v4, v5, v6, vcc_lo
	v_and_or_b32 v3, 0x80000000, v3, v4
	v_bfe_u32 v4, v4, 16, 1
	v_cmp_o_f32_e32 vcc_lo, v3, v3
	v_add3_u32 v3, v3, v4, 0x7fff
	v_mov_b32_e32 v4, 0x7fc0
	v_cndmask_b32_sdwa v3, v4, v3, vcc_lo dst_sel:DWORD dst_unused:UNUSED_PAD src0_sel:DWORD src1_sel:WORD_1
.LBB76_461:
	s_mov_b32 s2, 0
	s_mov_b32 s1, -1
.LBB76_462:
	s_andn2_b32 vcc_lo, exec_lo, s2
	s_cbranch_vccnz .LBB76_475
; %bb.463:
	s_cmp_gt_i32 s0, 14
	s_cbranch_scc0 .LBB76_466
; %bb.464:
	s_cmp_eq_u32 s0, 15
	s_cbranch_scc0 .LBB76_469
; %bb.465:
	global_load_ushort v3, v[0:1], off
	s_mov_b32 s1, -1
	s_mov_b32 s18, 0
	s_branch .LBB76_470
.LBB76_466:
	s_mov_b32 s2, -1
                                        ; implicit-def: $vgpr3
	s_branch .LBB76_471
.LBB76_467:
	s_or_saveexec_b32 s2, s2
	v_mov_b32_e32 v4, 0x7f800001
	s_xor_b32 exec_lo, exec_lo, s2
	s_cbranch_execz .LBB76_448
.LBB76_468:
	v_cmp_ne_u16_e32 vcc_lo, 0, v3
	v_mov_b32_e32 v4, 0
	s_andn2_b32 s1, s1, exec_lo
	s_and_b32 s3, vcc_lo, exec_lo
	s_or_b32 s1, s1, s3
	s_or_b32 exec_lo, exec_lo, s2
	s_and_saveexec_b32 s2, s1
	s_cbranch_execnz .LBB76_449
	s_branch .LBB76_450
.LBB76_469:
	s_mov_b32 s18, -1
                                        ; implicit-def: $vgpr3
.LBB76_470:
	s_mov_b32 s2, 0
.LBB76_471:
	s_and_b32 vcc_lo, exec_lo, s2
	s_cbranch_vccz .LBB76_475
; %bb.472:
	s_cmp_eq_u32 s0, 11
	s_cbranch_scc0 .LBB76_474
; %bb.473:
	global_load_ubyte v3, v[0:1], off
	s_mov_b32 s18, 0
	s_mov_b32 s1, -1
	s_waitcnt vmcnt(0)
	v_cmp_ne_u16_e32 vcc_lo, 0, v3
	v_cndmask_b32_e64 v3, 0, 1.0, vcc_lo
	v_lshrrev_b32_e32 v3, 16, v3
	s_branch .LBB76_475
.LBB76_474:
	s_mov_b32 s18, -1
                                        ; implicit-def: $vgpr3
.LBB76_475:
	s_branch .LBB76_271
.LBB76_476:
	s_cmp_lt_i32 s0, 5
	s_cbranch_scc1 .LBB76_481
; %bb.477:
	s_cmp_lt_i32 s0, 8
	s_cbranch_scc1 .LBB76_482
; %bb.478:
	;; [unrolled: 3-line block ×3, first 2 shown]
	s_cmp_gt_i32 s0, 9
	s_cbranch_scc0 .LBB76_484
; %bb.480:
	global_load_dwordx2 v[3:4], v[0:1], off
	s_mov_b32 s1, 0
	s_waitcnt vmcnt(0)
	v_cvt_f32_f64_e32 v3, v[3:4]
	v_bfe_u32 v4, v3, 16, 1
	v_cmp_o_f32_e32 vcc_lo, v3, v3
	v_add3_u32 v3, v3, v4, 0x7fff
	v_mov_b32_e32 v4, 0x7fc0
	v_cndmask_b32_sdwa v3, v4, v3, vcc_lo dst_sel:DWORD dst_unused:UNUSED_PAD src0_sel:DWORD src1_sel:WORD_1
	s_branch .LBB76_485
.LBB76_481:
	s_mov_b32 s1, -1
                                        ; implicit-def: $vgpr3
	s_branch .LBB76_503
.LBB76_482:
	s_mov_b32 s1, -1
                                        ; implicit-def: $vgpr3
	s_branch .LBB76_491
.LBB76_483:
	s_mov_b32 s1, -1
                                        ; implicit-def: $vgpr3
	s_branch .LBB76_488
.LBB76_484:
	s_mov_b32 s1, -1
                                        ; implicit-def: $vgpr3
.LBB76_485:
	s_andn2_b32 vcc_lo, exec_lo, s1
	s_cbranch_vccnz .LBB76_487
; %bb.486:
	global_load_dword v3, v[0:1], off
	s_waitcnt vmcnt(0)
	v_bfe_u32 v4, v3, 16, 1
	v_cmp_o_f32_e32 vcc_lo, v3, v3
	v_add3_u32 v3, v3, v4, 0x7fff
	v_mov_b32_e32 v4, 0x7fc0
	v_cndmask_b32_sdwa v3, v4, v3, vcc_lo dst_sel:DWORD dst_unused:UNUSED_PAD src0_sel:DWORD src1_sel:WORD_1
.LBB76_487:
	s_mov_b32 s1, 0
.LBB76_488:
	s_andn2_b32 vcc_lo, exec_lo, s1
	s_cbranch_vccnz .LBB76_490
; %bb.489:
	global_load_dword v3, v[0:1], off
	s_waitcnt vmcnt(0)
	v_cvt_f32_f16_e32 v4, v3
	v_cmp_o_f16_e32 vcc_lo, v3, v3
	v_bfe_u32 v5, v4, 16, 1
	v_add3_u32 v3, v4, v5, 0x7fff
	v_mov_b32_e32 v4, 0x7fc0
	v_cndmask_b32_sdwa v3, v4, v3, vcc_lo dst_sel:DWORD dst_unused:UNUSED_PAD src0_sel:DWORD src1_sel:WORD_1
.LBB76_490:
	s_mov_b32 s1, 0
.LBB76_491:
	s_andn2_b32 vcc_lo, exec_lo, s1
	s_cbranch_vccnz .LBB76_502
; %bb.492:
	s_cmp_lt_i32 s0, 6
	s_cbranch_scc1 .LBB76_495
; %bb.493:
	s_cmp_gt_i32 s0, 6
	s_cbranch_scc0 .LBB76_496
; %bb.494:
	global_load_dwordx2 v[3:4], v[0:1], off
	s_mov_b32 s1, 0
	s_waitcnt vmcnt(0)
	v_cvt_f32_f64_e32 v3, v[3:4]
	v_bfe_u32 v4, v3, 16, 1
	v_cmp_o_f32_e32 vcc_lo, v3, v3
	v_add3_u32 v3, v3, v4, 0x7fff
	v_mov_b32_e32 v4, 0x7fc0
	v_cndmask_b32_sdwa v3, v4, v3, vcc_lo dst_sel:DWORD dst_unused:UNUSED_PAD src0_sel:DWORD src1_sel:WORD_1
	s_branch .LBB76_497
.LBB76_495:
	s_mov_b32 s1, -1
                                        ; implicit-def: $vgpr3
	s_branch .LBB76_500
.LBB76_496:
	s_mov_b32 s1, -1
                                        ; implicit-def: $vgpr3
.LBB76_497:
	s_andn2_b32 vcc_lo, exec_lo, s1
	s_cbranch_vccnz .LBB76_499
; %bb.498:
	global_load_dword v3, v[0:1], off
	s_waitcnt vmcnt(0)
	v_bfe_u32 v4, v3, 16, 1
	v_cmp_o_f32_e32 vcc_lo, v3, v3
	v_add3_u32 v3, v3, v4, 0x7fff
	v_mov_b32_e32 v4, 0x7fc0
	v_cndmask_b32_sdwa v3, v4, v3, vcc_lo dst_sel:DWORD dst_unused:UNUSED_PAD src0_sel:DWORD src1_sel:WORD_1
.LBB76_499:
	s_mov_b32 s1, 0
.LBB76_500:
	s_andn2_b32 vcc_lo, exec_lo, s1
	s_cbranch_vccnz .LBB76_502
; %bb.501:
	global_load_ushort v3, v[0:1], off
	s_waitcnt vmcnt(0)
	v_cvt_f32_f16_e32 v4, v3
	v_cmp_o_f16_e32 vcc_lo, v3, v3
	v_bfe_u32 v5, v4, 16, 1
	v_add3_u32 v3, v4, v5, 0x7fff
	v_mov_b32_e32 v4, 0x7fc0
	v_cndmask_b32_sdwa v3, v4, v3, vcc_lo dst_sel:DWORD dst_unused:UNUSED_PAD src0_sel:DWORD src1_sel:WORD_1
.LBB76_502:
	s_mov_b32 s1, 0
.LBB76_503:
	s_andn2_b32 vcc_lo, exec_lo, s1
	s_cbranch_vccnz .LBB76_523
; %bb.504:
	s_cmp_lt_i32 s0, 2
	s_cbranch_scc1 .LBB76_508
; %bb.505:
	s_cmp_lt_i32 s0, 3
	s_cbranch_scc1 .LBB76_509
; %bb.506:
	s_cmp_gt_i32 s0, 3
	s_cbranch_scc0 .LBB76_510
; %bb.507:
	global_load_dwordx2 v[3:4], v[0:1], off
	s_mov_b32 s1, 0
	s_waitcnt vmcnt(0)
	v_xor_b32_e32 v5, v3, v4
	v_ffbh_i32_e32 v6, v4
	v_ashrrev_i32_e32 v5, 31, v5
	v_add_nc_u32_e32 v6, -1, v6
	v_add_nc_u32_e32 v5, 32, v5
	v_min_u32_e32 v5, v6, v5
	v_lshlrev_b64 v[3:4], v5, v[3:4]
	v_min_u32_e32 v3, 1, v3
	v_or_b32_e32 v3, v4, v3
	v_sub_nc_u32_e32 v4, 32, v5
	v_cvt_f32_i32_e32 v3, v3
	v_ldexp_f32 v3, v3, v4
	v_bfe_u32 v4, v3, 16, 1
	v_add3_u32 v3, v3, v4, 0x7fff
	v_lshrrev_b32_e32 v3, 16, v3
	s_branch .LBB76_511
.LBB76_508:
	s_mov_b32 s1, -1
                                        ; implicit-def: $vgpr3
	s_branch .LBB76_517
.LBB76_509:
	s_mov_b32 s1, -1
                                        ; implicit-def: $vgpr3
	s_branch .LBB76_514
.LBB76_510:
	s_mov_b32 s1, -1
                                        ; implicit-def: $vgpr3
.LBB76_511:
	s_andn2_b32 vcc_lo, exec_lo, s1
	s_cbranch_vccnz .LBB76_513
; %bb.512:
	global_load_dword v3, v[0:1], off
	s_waitcnt vmcnt(0)
	v_cvt_f32_i32_e32 v3, v3
	v_bfe_u32 v4, v3, 16, 1
	v_add3_u32 v3, v3, v4, 0x7fff
	v_lshrrev_b32_e32 v3, 16, v3
.LBB76_513:
	s_mov_b32 s1, 0
.LBB76_514:
	s_andn2_b32 vcc_lo, exec_lo, s1
	s_cbranch_vccnz .LBB76_516
; %bb.515:
	global_load_sshort v3, v[0:1], off
	s_waitcnt vmcnt(0)
	v_cvt_f32_i32_e32 v3, v3
	v_bfe_u32 v4, v3, 16, 1
	v_add3_u32 v3, v3, v4, 0x7fff
	v_lshrrev_b32_e32 v3, 16, v3
.LBB76_516:
	s_mov_b32 s1, 0
.LBB76_517:
	s_andn2_b32 vcc_lo, exec_lo, s1
	s_cbranch_vccnz .LBB76_523
; %bb.518:
	s_cmp_gt_i32 s0, 0
	s_mov_b32 s0, 0
	s_cbranch_scc0 .LBB76_520
; %bb.519:
	global_load_sbyte v3, v[0:1], off
	s_waitcnt vmcnt(0)
	v_cvt_f32_i32_e32 v3, v3
	v_bfe_u32 v4, v3, 16, 1
	v_add3_u32 v3, v3, v4, 0x7fff
	v_lshrrev_b32_e32 v3, 16, v3
	s_branch .LBB76_521
.LBB76_520:
	s_mov_b32 s0, -1
                                        ; implicit-def: $vgpr3
.LBB76_521:
	s_andn2_b32 vcc_lo, exec_lo, s0
	s_cbranch_vccnz .LBB76_523
; %bb.522:
	global_load_ubyte v0, v[0:1], off
	s_waitcnt vmcnt(0)
	v_cvt_f32_ubyte0_e32 v0, v0
	v_bfe_u32 v1, v0, 16, 1
	v_add3_u32 v0, v0, v1, 0x7fff
	v_lshrrev_b32_e32 v3, 16, v0
.LBB76_523:
	s_branch .LBB76_272
.LBB76_524:
	s_mov_b32 s1, 0
	s_mov_b32 s0, s14
.LBB76_525:
                                        ; implicit-def: $vgpr2
.LBB76_526:
	s_andn2_b32 s2, s14, exec_lo
	s_and_b32 s0, s0, exec_lo
	s_andn2_b32 s3, s16, exec_lo
	s_and_b32 s18, s18, exec_lo
	s_or_b32 s19, s2, s0
	s_or_b32 s18, s3, s18
	s_orn2_b32 s0, s1, exec_lo
.LBB76_527:
	s_or_b32 exec_lo, exec_lo, s20
	s_mov_b32 s1, 0
	s_mov_b32 s2, 0
	s_mov_b32 s3, 0
                                        ; implicit-def: $vgpr0_vgpr1
                                        ; implicit-def: $vgpr4
	s_and_saveexec_b32 s20, s0
	s_cbranch_execz .LBB76_880
; %bb.528:
	s_mov_b32 s23, -1
	s_mov_b32 s0, s18
	s_mov_b32 s1, s19
	s_mov_b32 s21, exec_lo
	v_cmpx_gt_i32_e64 s15, v2
	s_cbranch_execz .LBB76_794
; %bb.529:
	v_mul_lo_u32 v0, v2, s13
	s_and_b32 s0, 0xffff, s6
	s_cmp_lt_i32 s0, 11
	v_ashrrev_i32_e32 v1, 31, v0
	v_add_co_u32 v0, vcc_lo, s10, v0
	v_add_co_ci_u32_e64 v1, null, s11, v1, vcc_lo
	s_cbranch_scc1 .LBB76_536
; %bb.530:
	s_cmp_gt_i32 s0, 25
	s_cbranch_scc0 .LBB76_537
; %bb.531:
	s_cmp_gt_i32 s0, 28
	s_cbranch_scc0 .LBB76_538
	;; [unrolled: 3-line block ×4, first 2 shown]
; %bb.534:
	s_cmp_eq_u32 s0, 46
	s_cbranch_scc0 .LBB76_545
; %bb.535:
	global_load_dword v3, v[0:1], off
	s_mov_b32 s1, -1
	s_mov_b32 s22, 0
	s_branch .LBB76_547
.LBB76_536:
	s_mov_b32 s2, -1
	s_mov_b32 s1, 0
	s_mov_b32 s22, s18
                                        ; implicit-def: $vgpr3
	s_branch .LBB76_612
.LBB76_537:
	s_mov_b32 s2, -1
	s_mov_b32 s1, 0
	s_mov_b32 s22, s18
                                        ; implicit-def: $vgpr3
	s_branch .LBB76_576
.LBB76_538:
	s_mov_b32 s2, -1
	s_mov_b32 s1, 0
	s_mov_b32 s22, s18
                                        ; implicit-def: $vgpr3
	s_branch .LBB76_557
.LBB76_539:
	s_mov_b32 s2, -1
	s_mov_b32 s1, 0
	s_mov_b32 s22, s18
                                        ; implicit-def: $vgpr3
	s_branch .LBB76_552
.LBB76_540:
	s_andn2_saveexec_b32 s21, s21
	s_cbranch_execz .LBB76_324
.LBB76_541:
	v_add_f32_e64 v5, 0x46000000, |v6|
	s_andn2_b32 s19, s19, exec_lo
	v_and_b32_e32 v5, 0xff, v5
	v_cmp_ne_u32_e32 vcc_lo, 0, v5
	s_and_b32 s22, vcc_lo, exec_lo
	s_or_b32 s19, s19, s22
	s_or_b32 exec_lo, exec_lo, s21
	v_mov_b32_e32 v7, 0
	s_and_saveexec_b32 s21, s19
	s_cbranch_execnz .LBB76_325
	s_branch .LBB76_326
.LBB76_542:
	s_mov_b32 s2, -1
	s_mov_b32 s1, 0
	s_mov_b32 s22, s18
	s_branch .LBB76_546
.LBB76_543:
	s_andn2_saveexec_b32 s21, s21
	s_cbranch_execz .LBB76_337
.LBB76_544:
	v_add_f32_e64 v5, 0x42800000, |v6|
	s_andn2_b32 s19, s19, exec_lo
	v_and_b32_e32 v5, 0xff, v5
	v_cmp_ne_u32_e32 vcc_lo, 0, v5
	s_and_b32 s22, vcc_lo, exec_lo
	s_or_b32 s19, s19, s22
	s_or_b32 exec_lo, exec_lo, s21
	v_mov_b32_e32 v7, 0
	s_and_saveexec_b32 s21, s19
	s_cbranch_execnz .LBB76_338
	s_branch .LBB76_339
.LBB76_545:
	s_mov_b32 s22, -1
	s_mov_b32 s1, 0
.LBB76_546:
                                        ; implicit-def: $vgpr3
.LBB76_547:
	s_and_b32 vcc_lo, exec_lo, s2
	s_cbranch_vccz .LBB76_551
; %bb.548:
	s_cmp_eq_u32 s0, 44
	s_cbranch_scc0 .LBB76_550
; %bb.549:
	global_load_ubyte v3, v[0:1], off
	s_mov_b32 s22, 0
	s_mov_b32 s1, -1
	s_waitcnt vmcnt(0)
	v_lshlrev_b32_e32 v4, 23, v3
	v_cmp_ne_u32_e32 vcc_lo, 0xff, v3
	v_cndmask_b32_e32 v4, 0x7f800001, v4, vcc_lo
	v_cmp_ne_u32_e32 vcc_lo, 0, v3
	v_cndmask_b32_e32 v3, 0x400000, v4, vcc_lo
	v_mov_b32_e32 v4, 0x7fc0
	v_cmp_o_f32_e32 vcc_lo, v3, v3
	v_add_nc_u32_e32 v3, 0x7fff, v3
	v_cndmask_b32_sdwa v3, v4, v3, vcc_lo dst_sel:DWORD dst_unused:UNUSED_PAD src0_sel:DWORD src1_sel:WORD_1
	s_branch .LBB76_551
.LBB76_550:
	s_mov_b32 s22, -1
                                        ; implicit-def: $vgpr3
.LBB76_551:
	s_mov_b32 s2, 0
.LBB76_552:
	s_and_b32 vcc_lo, exec_lo, s2
	s_cbranch_vccz .LBB76_556
; %bb.553:
	s_cmp_eq_u32 s0, 29
	s_cbranch_scc0 .LBB76_555
; %bb.554:
	global_load_dwordx2 v[3:4], v[0:1], off
	s_mov_b32 s1, -1
	s_mov_b32 s22, 0
	s_mov_b32 s2, 0
	s_waitcnt vmcnt(0)
	v_ffbh_u32_e32 v5, v4
	v_min_u32_e32 v5, 32, v5
	v_lshlrev_b64 v[3:4], v5, v[3:4]
	v_min_u32_e32 v3, 1, v3
	v_or_b32_e32 v3, v4, v3
	v_sub_nc_u32_e32 v4, 32, v5
	v_cvt_f32_u32_e32 v3, v3
	v_ldexp_f32 v3, v3, v4
	v_bfe_u32 v4, v3, 16, 1
	v_add3_u32 v3, v3, v4, 0x7fff
	v_lshrrev_b32_e32 v3, 16, v3
	s_branch .LBB76_557
.LBB76_555:
	s_mov_b32 s22, -1
                                        ; implicit-def: $vgpr3
.LBB76_556:
	s_mov_b32 s2, 0
.LBB76_557:
	s_and_b32 vcc_lo, exec_lo, s2
	s_cbranch_vccz .LBB76_575
; %bb.558:
	s_cmp_lt_i32 s0, 27
	s_cbranch_scc1 .LBB76_561
; %bb.559:
	s_cmp_gt_i32 s0, 27
	s_cbranch_scc0 .LBB76_562
; %bb.560:
	global_load_dword v3, v[0:1], off
	s_mov_b32 s1, 0
	s_waitcnt vmcnt(0)
	v_cvt_f32_u32_e32 v3, v3
	v_bfe_u32 v4, v3, 16, 1
	v_add3_u32 v3, v3, v4, 0x7fff
	v_lshrrev_b32_e32 v3, 16, v3
	s_branch .LBB76_563
.LBB76_561:
	s_mov_b32 s1, -1
                                        ; implicit-def: $vgpr3
	s_branch .LBB76_566
.LBB76_562:
	s_mov_b32 s1, -1
                                        ; implicit-def: $vgpr3
.LBB76_563:
	s_andn2_b32 vcc_lo, exec_lo, s1
	s_cbranch_vccnz .LBB76_565
; %bb.564:
	global_load_ushort v3, v[0:1], off
	s_waitcnt vmcnt(0)
	v_cvt_f32_u32_e32 v3, v3
	v_bfe_u32 v4, v3, 16, 1
	v_add3_u32 v3, v3, v4, 0x7fff
	v_lshrrev_b32_e32 v3, 16, v3
.LBB76_565:
	s_mov_b32 s1, 0
.LBB76_566:
	s_andn2_b32 vcc_lo, exec_lo, s1
	s_cbranch_vccnz .LBB76_574
; %bb.567:
	global_load_ubyte v3, v[0:1], off
	s_mov_b32 s1, 0
	s_mov_b32 s2, exec_lo
	s_waitcnt vmcnt(0)
	v_cmpx_lt_i16_e32 0x7f, v3
	s_xor_b32 s2, exec_lo, s2
	s_cbranch_execz .LBB76_588
; %bb.568:
	s_mov_b32 s1, -1
	s_mov_b32 s3, exec_lo
	v_cmpx_eq_u16_e32 0x80, v3
; %bb.569:
	s_xor_b32 s1, exec_lo, -1
; %bb.570:
	s_or_b32 exec_lo, exec_lo, s3
	s_and_b32 s1, s1, exec_lo
	s_or_saveexec_b32 s2, s2
	v_mov_b32_e32 v4, 0x7f800001
	s_xor_b32 exec_lo, exec_lo, s2
	s_cbranch_execnz .LBB76_589
.LBB76_571:
	s_or_b32 exec_lo, exec_lo, s2
	s_and_saveexec_b32 s2, s1
	s_cbranch_execz .LBB76_573
.LBB76_572:
	v_and_b32_e32 v4, 0xffff, v3
	v_lshlrev_b32_e32 v3, 24, v3
	v_and_b32_e32 v5, 7, v4
	v_bfe_u32 v8, v4, 3, 4
	v_and_b32_e32 v3, 0x80000000, v3
	v_ffbh_u32_e32 v6, v5
	v_cmp_eq_u32_e32 vcc_lo, 0, v8
	v_min_u32_e32 v6, 32, v6
	v_subrev_nc_u32_e32 v7, 28, v6
	v_sub_nc_u32_e32 v6, 29, v6
	v_lshlrev_b32_e32 v4, v7, v4
	v_cndmask_b32_e32 v6, v8, v6, vcc_lo
	v_and_b32_e32 v4, 7, v4
	v_cndmask_b32_e32 v4, v5, v4, vcc_lo
	v_lshl_add_u32 v5, v6, 23, 0x3b800000
	v_lshlrev_b32_e32 v4, 20, v4
	v_or3_b32 v4, v3, v5, v4
.LBB76_573:
	s_or_b32 exec_lo, exec_lo, s2
	v_bfe_u32 v3, v4, 16, 1
	v_cmp_o_f32_e32 vcc_lo, v4, v4
	v_add3_u32 v3, v4, v3, 0x7fff
	v_mov_b32_e32 v4, 0x7fc0
	v_cndmask_b32_sdwa v3, v4, v3, vcc_lo dst_sel:DWORD dst_unused:UNUSED_PAD src0_sel:DWORD src1_sel:WORD_1
.LBB76_574:
	s_mov_b32 s1, -1
.LBB76_575:
	s_mov_b32 s2, 0
.LBB76_576:
	s_and_b32 vcc_lo, exec_lo, s2
	s_cbranch_vccz .LBB76_611
; %bb.577:
	s_cmp_gt_i32 s0, 22
	s_cbranch_scc0 .LBB76_587
; %bb.578:
	s_cmp_lt_i32 s0, 24
	s_cbranch_scc1 .LBB76_590
; %bb.579:
	s_cmp_gt_i32 s0, 24
	s_cbranch_scc0 .LBB76_591
; %bb.580:
	global_load_ubyte v3, v[0:1], off
	s_mov_b32 s1, 0
	s_mov_b32 s2, exec_lo
	s_waitcnt vmcnt(0)
	v_cmpx_lt_i16_e32 0x7f, v3
	s_xor_b32 s2, exec_lo, s2
	s_cbranch_execz .LBB76_603
; %bb.581:
	s_mov_b32 s1, -1
	s_mov_b32 s3, exec_lo
	v_cmpx_eq_u16_e32 0x80, v3
; %bb.582:
	s_xor_b32 s1, exec_lo, -1
; %bb.583:
	s_or_b32 exec_lo, exec_lo, s3
	s_and_b32 s1, s1, exec_lo
	s_or_saveexec_b32 s2, s2
	v_mov_b32_e32 v4, 0x7f800001
	s_xor_b32 exec_lo, exec_lo, s2
	s_cbranch_execnz .LBB76_604
.LBB76_584:
	s_or_b32 exec_lo, exec_lo, s2
	s_and_saveexec_b32 s2, s1
	s_cbranch_execz .LBB76_586
.LBB76_585:
	v_and_b32_e32 v4, 0xffff, v3
	v_lshlrev_b32_e32 v3, 24, v3
	v_and_b32_e32 v5, 3, v4
	v_bfe_u32 v8, v4, 2, 5
	v_and_b32_e32 v3, 0x80000000, v3
	v_ffbh_u32_e32 v6, v5
	v_cmp_eq_u32_e32 vcc_lo, 0, v8
	v_min_u32_e32 v6, 32, v6
	v_subrev_nc_u32_e32 v7, 29, v6
	v_sub_nc_u32_e32 v6, 30, v6
	v_lshlrev_b32_e32 v4, v7, v4
	v_cndmask_b32_e32 v6, v8, v6, vcc_lo
	v_and_b32_e32 v4, 3, v4
	v_cndmask_b32_e32 v4, v5, v4, vcc_lo
	v_lshl_add_u32 v5, v6, 23, 0x37800000
	v_lshlrev_b32_e32 v4, 21, v4
	v_or3_b32 v4, v3, v5, v4
.LBB76_586:
	s_or_b32 exec_lo, exec_lo, s2
	v_bfe_u32 v3, v4, 16, 1
	v_cmp_o_f32_e32 vcc_lo, v4, v4
	s_mov_b32 s1, 0
	v_add3_u32 v3, v4, v3, 0x7fff
	v_mov_b32_e32 v4, 0x7fc0
	v_cndmask_b32_sdwa v3, v4, v3, vcc_lo dst_sel:DWORD dst_unused:UNUSED_PAD src0_sel:DWORD src1_sel:WORD_1
	s_branch .LBB76_592
.LBB76_587:
	s_mov_b32 s2, -1
                                        ; implicit-def: $vgpr3
	s_branch .LBB76_598
.LBB76_588:
	s_or_saveexec_b32 s2, s2
	v_mov_b32_e32 v4, 0x7f800001
	s_xor_b32 exec_lo, exec_lo, s2
	s_cbranch_execz .LBB76_571
.LBB76_589:
	v_cmp_ne_u16_e32 vcc_lo, 0, v3
	v_mov_b32_e32 v4, 0
	s_andn2_b32 s1, s1, exec_lo
	s_and_b32 s3, vcc_lo, exec_lo
	s_or_b32 s1, s1, s3
	s_or_b32 exec_lo, exec_lo, s2
	s_and_saveexec_b32 s2, s1
	s_cbranch_execnz .LBB76_572
	s_branch .LBB76_573
.LBB76_590:
	s_mov_b32 s1, -1
                                        ; implicit-def: $vgpr3
	s_branch .LBB76_595
.LBB76_591:
	s_mov_b32 s1, -1
                                        ; implicit-def: $vgpr3
.LBB76_592:
	s_and_b32 vcc_lo, exec_lo, s1
	s_cbranch_vccz .LBB76_594
; %bb.593:
	global_load_ubyte v3, v[0:1], off
	s_waitcnt vmcnt(0)
	v_lshlrev_b32_e32 v3, 24, v3
	v_and_b32_e32 v4, 0x7f000000, v3
	v_ffbh_u32_e32 v5, v4
	v_add_nc_u32_e32 v7, 0x1000000, v4
	v_cmp_ne_u32_e32 vcc_lo, 0, v4
	v_min_u32_e32 v5, 32, v5
	v_sub_nc_u32_e64 v5, v5, 4 clamp
	v_lshlrev_b32_e32 v6, v5, v4
	v_lshlrev_b32_e32 v5, 23, v5
	v_lshrrev_b32_e32 v6, 4, v6
	v_sub_nc_u32_e32 v5, v6, v5
	v_ashrrev_i32_e32 v6, 8, v7
	v_add_nc_u32_e32 v5, 0x3c000000, v5
	v_and_or_b32 v5, 0x7f800000, v6, v5
	v_cndmask_b32_e32 v4, 0, v5, vcc_lo
	v_and_or_b32 v3, 0x80000000, v3, v4
	v_bfe_u32 v4, v4, 16, 1
	v_cmp_o_f32_e32 vcc_lo, v3, v3
	v_add3_u32 v3, v3, v4, 0x7fff
	v_mov_b32_e32 v4, 0x7fc0
	v_cndmask_b32_sdwa v3, v4, v3, vcc_lo dst_sel:DWORD dst_unused:UNUSED_PAD src0_sel:DWORD src1_sel:WORD_1
.LBB76_594:
	s_mov_b32 s1, 0
.LBB76_595:
	s_andn2_b32 vcc_lo, exec_lo, s1
	s_cbranch_vccnz .LBB76_597
; %bb.596:
	global_load_ubyte v3, v[0:1], off
	s_waitcnt vmcnt(0)
	v_lshlrev_b32_e32 v4, 25, v3
	v_lshlrev_b16 v3, 8, v3
	v_lshrrev_b32_e32 v5, 4, v4
	v_and_or_b32 v6, 0x7f00, v3, 0.5
	v_cmp_gt_u32_e32 vcc_lo, 0x8000000, v4
	v_bfe_i32 v3, v3, 0, 16
	v_or_b32_e32 v5, 0x70000000, v5
	v_add_f32_e32 v6, -0.5, v6
	v_mul_f32_e32 v5, 0x7800000, v5
	v_cndmask_b32_e32 v4, v5, v6, vcc_lo
	v_and_or_b32 v3, 0x80000000, v3, v4
	v_bfe_u32 v4, v4, 16, 1
	v_cmp_o_f32_e32 vcc_lo, v3, v3
	v_add3_u32 v3, v3, v4, 0x7fff
	v_mov_b32_e32 v4, 0x7fc0
	v_cndmask_b32_sdwa v3, v4, v3, vcc_lo dst_sel:DWORD dst_unused:UNUSED_PAD src0_sel:DWORD src1_sel:WORD_1
.LBB76_597:
	s_mov_b32 s2, 0
	s_mov_b32 s1, -1
.LBB76_598:
	s_andn2_b32 vcc_lo, exec_lo, s2
	s_cbranch_vccnz .LBB76_611
; %bb.599:
	s_cmp_gt_i32 s0, 14
	s_cbranch_scc0 .LBB76_602
; %bb.600:
	s_cmp_eq_u32 s0, 15
	s_cbranch_scc0 .LBB76_605
; %bb.601:
	global_load_ushort v3, v[0:1], off
	s_mov_b32 s1, -1
	s_mov_b32 s22, 0
	s_branch .LBB76_606
.LBB76_602:
	s_mov_b32 s2, -1
                                        ; implicit-def: $vgpr3
	s_branch .LBB76_607
.LBB76_603:
	s_or_saveexec_b32 s2, s2
	v_mov_b32_e32 v4, 0x7f800001
	s_xor_b32 exec_lo, exec_lo, s2
	s_cbranch_execz .LBB76_584
.LBB76_604:
	v_cmp_ne_u16_e32 vcc_lo, 0, v3
	v_mov_b32_e32 v4, 0
	s_andn2_b32 s1, s1, exec_lo
	s_and_b32 s3, vcc_lo, exec_lo
	s_or_b32 s1, s1, s3
	s_or_b32 exec_lo, exec_lo, s2
	s_and_saveexec_b32 s2, s1
	s_cbranch_execnz .LBB76_585
	s_branch .LBB76_586
.LBB76_605:
	s_mov_b32 s22, -1
                                        ; implicit-def: $vgpr3
.LBB76_606:
	s_mov_b32 s2, 0
.LBB76_607:
	s_and_b32 vcc_lo, exec_lo, s2
	s_cbranch_vccz .LBB76_611
; %bb.608:
	s_cmp_eq_u32 s0, 11
	s_cbranch_scc0 .LBB76_610
; %bb.609:
	global_load_ubyte v3, v[0:1], off
	s_mov_b32 s22, 0
	s_mov_b32 s1, -1
	s_waitcnt vmcnt(0)
	v_cmp_ne_u16_e32 vcc_lo, 0, v3
	v_cndmask_b32_e64 v3, 0, 1.0, vcc_lo
	v_lshrrev_b32_e32 v3, 16, v3
	s_branch .LBB76_611
.LBB76_610:
	s_mov_b32 s22, -1
                                        ; implicit-def: $vgpr3
.LBB76_611:
	s_mov_b32 s2, 0
.LBB76_612:
	s_and_b32 vcc_lo, exec_lo, s2
	s_cbranch_vccz .LBB76_661
; %bb.613:
	s_cmp_lt_i32 s0, 5
	s_cbranch_scc1 .LBB76_618
; %bb.614:
	s_cmp_lt_i32 s0, 8
	s_cbranch_scc1 .LBB76_619
; %bb.615:
	s_cmp_lt_i32 s0, 9
	s_cbranch_scc1 .LBB76_620
; %bb.616:
	s_cmp_gt_i32 s0, 9
	s_cbranch_scc0 .LBB76_621
; %bb.617:
	global_load_dwordx2 v[3:4], v[0:1], off
	s_mov_b32 s1, 0
	s_waitcnt vmcnt(0)
	v_cvt_f32_f64_e32 v3, v[3:4]
	v_bfe_u32 v4, v3, 16, 1
	v_cmp_o_f32_e32 vcc_lo, v3, v3
	v_add3_u32 v3, v3, v4, 0x7fff
	v_mov_b32_e32 v4, 0x7fc0
	v_cndmask_b32_sdwa v3, v4, v3, vcc_lo dst_sel:DWORD dst_unused:UNUSED_PAD src0_sel:DWORD src1_sel:WORD_1
	s_branch .LBB76_622
.LBB76_618:
	s_mov_b32 s1, -1
                                        ; implicit-def: $vgpr3
	s_branch .LBB76_640
.LBB76_619:
	s_mov_b32 s1, -1
                                        ; implicit-def: $vgpr3
	s_branch .LBB76_628
.LBB76_620:
	s_mov_b32 s1, -1
                                        ; implicit-def: $vgpr3
	s_branch .LBB76_625
.LBB76_621:
	s_mov_b32 s1, -1
                                        ; implicit-def: $vgpr3
.LBB76_622:
	s_andn2_b32 vcc_lo, exec_lo, s1
	s_cbranch_vccnz .LBB76_624
; %bb.623:
	global_load_dword v3, v[0:1], off
	s_waitcnt vmcnt(0)
	v_bfe_u32 v4, v3, 16, 1
	v_cmp_o_f32_e32 vcc_lo, v3, v3
	v_add3_u32 v3, v3, v4, 0x7fff
	v_mov_b32_e32 v4, 0x7fc0
	v_cndmask_b32_sdwa v3, v4, v3, vcc_lo dst_sel:DWORD dst_unused:UNUSED_PAD src0_sel:DWORD src1_sel:WORD_1
.LBB76_624:
	s_mov_b32 s1, 0
.LBB76_625:
	s_andn2_b32 vcc_lo, exec_lo, s1
	s_cbranch_vccnz .LBB76_627
; %bb.626:
	global_load_dword v3, v[0:1], off
	s_waitcnt vmcnt(0)
	v_cvt_f32_f16_e32 v4, v3
	v_cmp_o_f16_e32 vcc_lo, v3, v3
	v_bfe_u32 v5, v4, 16, 1
	v_add3_u32 v3, v4, v5, 0x7fff
	v_mov_b32_e32 v4, 0x7fc0
	v_cndmask_b32_sdwa v3, v4, v3, vcc_lo dst_sel:DWORD dst_unused:UNUSED_PAD src0_sel:DWORD src1_sel:WORD_1
.LBB76_627:
	s_mov_b32 s1, 0
.LBB76_628:
	s_andn2_b32 vcc_lo, exec_lo, s1
	s_cbranch_vccnz .LBB76_639
; %bb.629:
	s_cmp_lt_i32 s0, 6
	s_cbranch_scc1 .LBB76_632
; %bb.630:
	s_cmp_gt_i32 s0, 6
	s_cbranch_scc0 .LBB76_633
; %bb.631:
	global_load_dwordx2 v[3:4], v[0:1], off
	s_mov_b32 s1, 0
	s_waitcnt vmcnt(0)
	v_cvt_f32_f64_e32 v3, v[3:4]
	v_bfe_u32 v4, v3, 16, 1
	v_cmp_o_f32_e32 vcc_lo, v3, v3
	v_add3_u32 v3, v3, v4, 0x7fff
	v_mov_b32_e32 v4, 0x7fc0
	v_cndmask_b32_sdwa v3, v4, v3, vcc_lo dst_sel:DWORD dst_unused:UNUSED_PAD src0_sel:DWORD src1_sel:WORD_1
	s_branch .LBB76_634
.LBB76_632:
	s_mov_b32 s1, -1
                                        ; implicit-def: $vgpr3
	s_branch .LBB76_637
.LBB76_633:
	s_mov_b32 s1, -1
                                        ; implicit-def: $vgpr3
.LBB76_634:
	s_andn2_b32 vcc_lo, exec_lo, s1
	s_cbranch_vccnz .LBB76_636
; %bb.635:
	global_load_dword v3, v[0:1], off
	s_waitcnt vmcnt(0)
	v_bfe_u32 v4, v3, 16, 1
	v_cmp_o_f32_e32 vcc_lo, v3, v3
	v_add3_u32 v3, v3, v4, 0x7fff
	v_mov_b32_e32 v4, 0x7fc0
	v_cndmask_b32_sdwa v3, v4, v3, vcc_lo dst_sel:DWORD dst_unused:UNUSED_PAD src0_sel:DWORD src1_sel:WORD_1
.LBB76_636:
	s_mov_b32 s1, 0
.LBB76_637:
	s_andn2_b32 vcc_lo, exec_lo, s1
	s_cbranch_vccnz .LBB76_639
; %bb.638:
	global_load_ushort v3, v[0:1], off
	s_waitcnt vmcnt(0)
	v_cvt_f32_f16_e32 v4, v3
	v_cmp_o_f16_e32 vcc_lo, v3, v3
	v_bfe_u32 v5, v4, 16, 1
	v_add3_u32 v3, v4, v5, 0x7fff
	v_mov_b32_e32 v4, 0x7fc0
	v_cndmask_b32_sdwa v3, v4, v3, vcc_lo dst_sel:DWORD dst_unused:UNUSED_PAD src0_sel:DWORD src1_sel:WORD_1
.LBB76_639:
	s_mov_b32 s1, 0
.LBB76_640:
	s_andn2_b32 vcc_lo, exec_lo, s1
	s_cbranch_vccnz .LBB76_660
; %bb.641:
	s_cmp_lt_i32 s0, 2
	s_cbranch_scc1 .LBB76_645
; %bb.642:
	s_cmp_lt_i32 s0, 3
	s_cbranch_scc1 .LBB76_646
; %bb.643:
	s_cmp_gt_i32 s0, 3
	s_cbranch_scc0 .LBB76_647
; %bb.644:
	global_load_dwordx2 v[3:4], v[0:1], off
	s_mov_b32 s1, 0
	s_waitcnt vmcnt(0)
	v_xor_b32_e32 v5, v3, v4
	v_ffbh_i32_e32 v6, v4
	v_ashrrev_i32_e32 v5, 31, v5
	v_add_nc_u32_e32 v6, -1, v6
	v_add_nc_u32_e32 v5, 32, v5
	v_min_u32_e32 v5, v6, v5
	v_lshlrev_b64 v[3:4], v5, v[3:4]
	v_min_u32_e32 v3, 1, v3
	v_or_b32_e32 v3, v4, v3
	v_sub_nc_u32_e32 v4, 32, v5
	v_cvt_f32_i32_e32 v3, v3
	v_ldexp_f32 v3, v3, v4
	v_bfe_u32 v4, v3, 16, 1
	v_add3_u32 v3, v3, v4, 0x7fff
	v_lshrrev_b32_e32 v3, 16, v3
	s_branch .LBB76_648
.LBB76_645:
	s_mov_b32 s1, -1
                                        ; implicit-def: $vgpr3
	s_branch .LBB76_654
.LBB76_646:
	s_mov_b32 s1, -1
                                        ; implicit-def: $vgpr3
	s_branch .LBB76_651
.LBB76_647:
	s_mov_b32 s1, -1
                                        ; implicit-def: $vgpr3
.LBB76_648:
	s_andn2_b32 vcc_lo, exec_lo, s1
	s_cbranch_vccnz .LBB76_650
; %bb.649:
	global_load_dword v3, v[0:1], off
	s_waitcnt vmcnt(0)
	v_cvt_f32_i32_e32 v3, v3
	v_bfe_u32 v4, v3, 16, 1
	v_add3_u32 v3, v3, v4, 0x7fff
	v_lshrrev_b32_e32 v3, 16, v3
.LBB76_650:
	s_mov_b32 s1, 0
.LBB76_651:
	s_andn2_b32 vcc_lo, exec_lo, s1
	s_cbranch_vccnz .LBB76_653
; %bb.652:
	global_load_sshort v3, v[0:1], off
	s_waitcnt vmcnt(0)
	v_cvt_f32_i32_e32 v3, v3
	v_bfe_u32 v4, v3, 16, 1
	v_add3_u32 v3, v3, v4, 0x7fff
	v_lshrrev_b32_e32 v3, 16, v3
.LBB76_653:
	s_mov_b32 s1, 0
.LBB76_654:
	s_andn2_b32 vcc_lo, exec_lo, s1
	s_cbranch_vccnz .LBB76_660
; %bb.655:
	s_cmp_gt_i32 s0, 0
	s_mov_b32 s0, 0
	s_cbranch_scc0 .LBB76_657
; %bb.656:
	global_load_sbyte v3, v[0:1], off
	s_waitcnt vmcnt(0)
	v_cvt_f32_i32_e32 v3, v3
	v_bfe_u32 v4, v3, 16, 1
	v_add3_u32 v3, v3, v4, 0x7fff
	v_lshrrev_b32_e32 v3, 16, v3
	s_branch .LBB76_658
.LBB76_657:
	s_mov_b32 s0, -1
                                        ; implicit-def: $vgpr3
.LBB76_658:
	s_andn2_b32 vcc_lo, exec_lo, s0
	s_cbranch_vccnz .LBB76_660
; %bb.659:
	global_load_ubyte v0, v[0:1], off
	s_waitcnt vmcnt(0)
	v_cvt_f32_ubyte0_e32 v0, v0
	v_bfe_u32 v1, v0, 16, 1
	v_add3_u32 v0, v0, v1, 0x7fff
	v_lshrrev_b32_e32 v3, 16, v0
.LBB76_660:
	s_mov_b32 s1, -1
.LBB76_661:
	s_andn2_b32 vcc_lo, exec_lo, s1
	s_cbranch_vccnz .LBB76_675
; %bb.662:
	s_waitcnt vmcnt(0)
	v_lshlrev_b32_e32 v0, 16, v3
	v_mov_b32_e32 v3, 0
	v_mov_b32_e32 v1, 1.0
	s_mov_b32 s2, exec_lo
	v_cmpx_gt_f32_e32 0.5, v0
	s_cbranch_execz .LBB76_668
; %bb.663:
	v_mul_f32_e32 v1, 0x40490fdb, v0
                                        ; implicit-def: $vgpr5
                                        ; implicit-def: $vgpr4
	s_mov_b32 s1, exec_lo
	v_and_b32_e32 v3, 0x7fffffff, v1
	v_cmpx_ngt_f32_e64 0x48000000, |v1|
	s_xor_b32 s3, exec_lo, s1
	s_cbranch_execz .LBB76_665
; %bb.664:
	s_mov_b32 s0, 0x7fffff
	v_mov_b32_e32 v6, 0
	v_and_or_b32 v13, v3, s0, 0x800000
	v_lshrrev_b32_e32 v11, 23, v3
	v_mad_u64_u32 v[4:5], null, 0xfe5163ab, v13, 0
	v_add_nc_u32_e32 v12, 0xffffff88, v11
	v_cmp_lt_u32_e32 vcc_lo, 63, v12
	v_mad_u64_u32 v[7:8], null, 0x3c439041, v13, v[5:6]
	v_cndmask_b32_e64 v14, 0, 0xffffffc0, vcc_lo
	v_mov_b32_e32 v5, v8
	v_add_nc_u32_e32 v14, v14, v12
	v_mad_u64_u32 v[8:9], null, 0xdb629599, v13, v[5:6]
	v_cmp_lt_u32_e64 s0, 31, v14
	v_cndmask_b32_e64 v15, 0, 0xffffffe0, s0
	v_mov_b32_e32 v5, v9
	v_cndmask_b32_e32 v4, v8, v4, vcc_lo
	v_mad_u64_u32 v[9:10], null, 0xf534ddc0, v13, v[5:6]
	v_mov_b32_e32 v5, v10
	v_cndmask_b32_e32 v7, v9, v7, vcc_lo
	v_mad_u64_u32 v[10:11], null, 0xfc2757d1, v13, v[5:6]
	v_cndmask_b32_e64 v4, v7, v4, s0
	v_mov_b32_e32 v5, v11
	v_mad_u64_u32 v[11:12], null, 0x4e441529, v13, v[5:6]
	v_mov_b32_e32 v5, v12
	v_add_nc_u32_e32 v12, v15, v14
	v_cndmask_b32_e32 v14, v11, v9, vcc_lo
	v_mad_u64_u32 v[5:6], null, 0xa2f9836e, v13, v[5:6]
	v_cmp_lt_u32_e64 s1, 31, v12
	v_cndmask_b32_e64 v13, 0, 0xffffffe0, s1
	v_cndmask_b32_e32 v5, v5, v10, vcc_lo
	v_cndmask_b32_e32 v6, v6, v11, vcc_lo
	;; [unrolled: 1-line block ×3, first 2 shown]
	v_add_nc_u32_e32 v11, v13, v12
	v_cndmask_b32_e64 v9, v5, v14, s0
	v_cndmask_b32_e64 v5, v6, v5, s0
	;; [unrolled: 1-line block ×4, first 2 shown]
	v_sub_nc_u32_e32 v12, 32, v11
	v_cmp_eq_u32_e32 vcc_lo, 0, v11
	v_cndmask_b32_e64 v5, v5, v9, s1
	v_cndmask_b32_e64 v9, v9, v6, s1
	;; [unrolled: 1-line block ×4, first 2 shown]
	v_alignbit_b32 v13, v5, v9, v12
	v_alignbit_b32 v8, v9, v6, v12
	;; [unrolled: 1-line block ×3, first 2 shown]
	v_cndmask_b32_e32 v5, v13, v5, vcc_lo
	v_cndmask_b32_e32 v7, v8, v9, vcc_lo
	;; [unrolled: 1-line block ×3, first 2 shown]
	v_bfe_u32 v8, v5, 29, 1
	v_alignbit_b32 v9, v5, v7, 30
	v_alignbit_b32 v7, v7, v6, 30
	;; [unrolled: 1-line block ×3, first 2 shown]
	v_sub_nc_u32_e32 v10, 0, v8
	v_xor_b32_e32 v9, v9, v10
	v_xor_b32_e32 v6, v7, v10
	;; [unrolled: 1-line block ×3, first 2 shown]
	v_lshrrev_b32_e32 v10, 29, v5
	v_lshrrev_b32_e32 v5, 30, v5
	v_ffbh_u32_e32 v11, v9
	v_add_nc_u32_e32 v5, v8, v5
	v_min_u32_e32 v11, 32, v11
	v_sub_nc_u32_e32 v7, 31, v11
	v_lshlrev_b32_e32 v12, 23, v11
	v_alignbit_b32 v9, v9, v6, v7
	v_alignbit_b32 v4, v6, v4, v7
	v_lshlrev_b32_e32 v6, 31, v10
	v_alignbit_b32 v7, v9, v4, 9
	v_or_b32_e32 v10, 0.5, v6
	v_lshrrev_b32_e32 v9, 9, v9
	v_or_b32_e32 v6, 0x33000000, v6
	v_ffbh_u32_e32 v13, v7
	v_sub_nc_u32_e32 v10, v10, v12
	v_min_u32_e32 v12, 32, v13
	v_or_b32_e32 v9, v9, v10
	v_not_b32_e32 v10, v12
	v_mul_f32_e32 v13, 0x3fc90fda, v9
	v_add_lshl_u32 v11, v12, v11, 23
	v_alignbit_b32 v4, v7, v4, v10
	v_fma_f32 v7, 0x3fc90fda, v9, -v13
	v_sub_nc_u32_e32 v6, v6, v11
	v_lshrrev_b32_e32 v4, 9, v4
	v_fmamk_f32 v7, v9, 0x33a22168, v7
	v_or_b32_e32 v4, v6, v4
	v_fmac_f32_e32 v7, 0x3fc90fda, v4
	v_add_f32_e32 v4, v13, v7
.LBB76_665:
	s_andn2_saveexec_b32 s0, s3
; %bb.666:
	v_mul_f32_e64 v4, 0x3f22f983, |v1|
	v_rndne_f32_e32 v5, v4
	v_fma_f32 v4, 0xbfc90fda, v5, |v1|
	v_fmamk_f32 v4, v5, 0xb3a22168, v4
	v_fmamk_f32 v4, v5, 0xa7c234c4, v4
	v_cvt_i32_f32_e32 v5, v5
; %bb.667:
	s_or_b32 exec_lo, exec_lo, s0
	v_mul_f32_e32 v6, v4, v4
	s_mov_b32 s0, 0xb94c1982
	s_mov_b32 s1, 0x37d75334
	v_and_b32_e32 v9, 1, v5
	v_lshlrev_b32_e32 v5, 30, v5
	v_fmaak_f32 v7, s0, v6, 0x3c0881c4
	v_fmaak_f32 v8, s1, v6, 0xbab64f3b
	v_xor_b32_e32 v3, v3, v1
	v_cmp_eq_u32_e32 vcc_lo, 0, v9
	v_and_b32_e32 v5, 0x80000000, v5
	v_fmaak_f32 v7, v6, v7, 0xbe2aaa9d
	v_fmaak_f32 v8, v6, v8, 0x3d2aabf7
	v_sub_f32_e32 v0, 1.0, v0
	v_mul_f32_e32 v7, v6, v7
	v_fmaak_f32 v8, v6, v8, 0xbf000004
	v_fmac_f32_e32 v4, v4, v7
	v_fma_f32 v6, v6, v8, 1.0
	v_cndmask_b32_e32 v4, v6, v4, vcc_lo
	v_cmp_class_f32_e64 vcc_lo, v1, 0x1f8
	v_xor3_b32 v3, v3, v5, v4
	v_cndmask_b32_e32 v1, 0x7fc00000, v3, vcc_lo
	v_mul_f32_e32 v1, v1, v1
	v_div_scale_f32 v3, null, v1, v1, 0xc11de9e7
	v_div_scale_f32 v6, vcc_lo, 0xc11de9e7, v1, 0xc11de9e7
	v_rcp_f32_e32 v4, v3
	v_fma_f32 v5, -v3, v4, 1.0
	v_fmac_f32_e32 v4, v5, v4
	v_mul_f32_e32 v5, v6, v4
	v_fma_f32 v7, -v3, v5, v6
	v_fmac_f32_e32 v5, v7, v4
	v_fma_f32 v3, -v3, v5, v6
	v_div_fmas_f32 v3, v3, v4, v5
	v_div_fixup_f32 v1, v3, v1, 0xc11de9e7
	v_add_f32_e32 v3, 0, v1
	v_mov_b32_e32 v1, -1.0
.LBB76_668:
	s_or_b32 exec_lo, exec_lo, s2
	v_add_f32_e32 v4, 1.0, v0
	v_mul_f32_e32 v0, v0, v0
	v_mul_f32_e32 v5, v4, v4
	v_add_f32_e32 v4, 1.0, v4
	v_div_scale_f32 v6, null, v0, v0, 1.0
	v_div_scale_f32 v8, vcc_lo, 1.0, v0, 1.0
	v_mul_f32_e32 v9, v4, v4
	v_div_scale_f32 v7, null, v5, v5, 1.0
	v_rcp_f32_e32 v10, v6
	v_div_scale_f32 v13, s0, 1.0, v5, 1.0
	v_div_scale_f32 v12, null, v9, v9, 1.0
	v_rcp_f32_e32 v11, v7
	v_add_f32_e32 v4, 1.0, v4
	v_div_scale_f32 v14, s1, 1.0, v9, 1.0
	v_rcp_f32_e32 v15, v12
	v_fma_f32 v17, -v6, v10, 1.0
	v_mul_f32_e32 v16, v4, v4
	v_add_f32_e32 v4, 1.0, v4
	v_fma_f32 v18, -v7, v11, 1.0
	v_fmac_f32_e32 v10, v17, v10
	v_mul_f32_e32 v20, v4, v4
	v_add_f32_e32 v4, 1.0, v4
	v_fma_f32 v17, -v12, v15, 1.0
	v_fmac_f32_e32 v11, v18, v11
	v_mul_f32_e32 v21, v8, v10
	v_div_scale_f32 v19, null, v16, v16, 1.0
	v_fmac_f32_e32 v15, v17, v15
	v_mul_f32_e32 v22, v13, v11
	v_fma_f32 v23, -v6, v21, v8
	v_add_f32_e32 v26, 1.0, v4
	v_rcp_f32_e32 v18, v19
	v_mul_f32_e32 v25, v14, v15
	v_fma_f32 v24, -v7, v22, v13
	v_fmac_f32_e32 v21, v23, v10
	v_mul_f32_e32 v4, v4, v4
	v_div_scale_f32 v17, null, v20, v20, 1.0
	v_fma_f32 v23, -v12, v25, v14
	v_fmac_f32_e32 v22, v24, v11
	v_fma_f32 v6, -v6, v21, v8
	v_mul_f32_e32 v8, v26, v26
	v_rcp_f32_e32 v24, v17
	v_fmac_f32_e32 v25, v23, v15
	v_fma_f32 v7, -v7, v22, v13
	v_div_fmas_f32 v6, v6, v10, v21
	s_mov_b32 vcc_lo, s0
	v_fma_f32 v27, -v19, v18, 1.0
	v_fma_f32 v10, -v12, v25, v14
	v_div_fmas_f32 v7, v7, v11, v22
	s_mov_b32 vcc_lo, s1
	v_div_scale_f32 v11, null, v4, v4, 1.0
	v_div_fmas_f32 v10, v10, v15, v25
	v_div_scale_f32 v12, null, v8, v8, 1.0
	v_add_f32_e32 v15, v26, v26
	v_rcp_f32_e32 v14, v11
	v_fmac_f32_e32 v18, v27, v18
	v_rcp_f32_e32 v22, v12
	v_div_scale_f32 v13, vcc_lo, 1.0, v16, 1.0
	v_div_scale_f32 v25, null, v15, v15, 1.0
	v_fma_f32 v21, -v17, v24, 1.0
	v_mul_f32_e32 v23, v13, v18
	v_div_fixup_f32 v0, v6, v0, 1.0
	v_rcp_f32_e32 v28, v25
	v_fma_f32 v27, -v11, v14, 1.0
	v_fmac_f32_e32 v24, v21, v24
	v_div_scale_f32 v21, s0, 1.0, v20, 1.0
	v_fma_f32 v30, -v12, v22, 1.0
	v_fma_f32 v29, -v19, v23, v13
	v_fmac_f32_e32 v14, v27, v14
	v_div_scale_f32 v27, s1, 1.0, v4, 1.0
	v_mul_f32_e32 v31, v21, v24
	v_fmac_f32_e32 v22, v30, v22
	v_div_scale_f32 v30, s2, 1.0, v8, 1.0
	v_fma_f32 v32, -v25, v28, 1.0
	v_fmac_f32_e32 v23, v29, v18
	v_mul_f32_e32 v33, v27, v14
	v_fma_f32 v29, -v17, v31, v21
	v_mul_f32_e32 v34, v30, v22
	v_fmac_f32_e32 v28, v32, v28
	v_div_scale_f32 v32, s3, 1.0, v15, 1.0
	v_fma_f32 v13, -v19, v23, v13
	v_fma_f32 v19, -v11, v33, v27
	v_fmac_f32_e32 v31, v29, v24
	v_fma_f32 v29, -v12, v34, v30
	v_mul_f32_e32 v35, v32, v28
	v_div_fmas_f32 v13, v13, v18, v23
	v_fmac_f32_e32 v33, v19, v14
	v_fma_f32 v17, -v17, v31, v21
	v_fmac_f32_e32 v34, v29, v22
	v_fma_f32 v18, -v25, v35, v32
	s_mov_b32 vcc_lo, s0
	v_fma_f32 v11, -v11, v33, v27
	v_div_fmas_f32 v17, v17, v24, v31
	v_fma_f32 v12, -v12, v34, v30
	v_fmac_f32_e32 v35, v18, v28
	s_mov_b32 vcc_lo, s1
	s_mov_b32 s0, 0xbcc30c31
	v_div_fmas_f32 v11, v11, v14, v33
	s_mov_b32 vcc_lo, s2
	v_fma_f32 v14, -v25, v35, v32
	v_div_fmas_f32 v12, v12, v22, v34
	s_mov_b32 vcc_lo, s3
	v_add_f32_e32 v0, v3, v0
	v_div_fixup_f32 v3, v7, v5, 1.0
	v_div_fmas_f32 v14, v14, v28, v35
	v_div_fixup_f32 v8, v12, v8, 1.0
	s_and_b32 s1, s4, 0xff
	v_add_f32_e32 v0, v0, v3
	v_div_fixup_f32 v12, v14, v15, 1.0
	v_fmaak_f32 v14, s0, v8, 0x3d088889
	v_div_fixup_f32 v3, v10, v9, 1.0
	s_cmp_lt_i32 s1, 11
	v_add_f32_e32 v12, 1.0, v12
	v_fma_f32 v14, -v8, v14, 0x3e2aaaab
	v_add_f32_e32 v0, v0, v3
	v_div_fixup_f32 v3, v13, v16, 1.0
	v_fmac_f32_e32 v12, v8, v14
	v_add_f32_e32 v0, v0, v3
	v_div_fixup_f32 v3, v17, v20, 1.0
	v_div_scale_f32 v8, null, v26, v26, v12
	v_div_scale_f32 v5, vcc_lo, v12, v26, v12
	v_add_f32_e32 v0, v0, v3
	v_rcp_f32_e32 v14, v8
	v_div_fixup_f32 v3, v11, v4, 1.0
	v_add_f32_e32 v0, v0, v3
	v_fma_f32 v6, -v8, v14, 1.0
	v_fmac_f32_e32 v14, v6, v14
	v_mul_f32_e32 v6, v5, v14
	v_fma_f32 v7, -v8, v6, v5
	v_fmac_f32_e32 v6, v7, v14
	v_fma_f32 v5, -v8, v6, v5
	v_div_fmas_f32 v4, v5, v14, v6
	v_div_fixup_f32 v3, v4, v26, v12
	v_mov_b32_e32 v4, 0x7fc0
	v_add_f32_e32 v0, v0, v3
	v_mul_f32_e32 v0, v1, v0
	v_mul_lo_u32 v1, v2, s12
	v_bfe_u32 v3, v0, 16, 1
	v_cmp_o_f32_e32 vcc_lo, v0, v0
	v_ashrrev_i32_e32 v5, 31, v1
	v_add3_u32 v3, v0, v3, 0x7fff
	v_add_co_u32 v0, s0, s8, v1
	v_add_co_ci_u32_e64 v1, null, s9, v5, s0
	v_cndmask_b32_sdwa v3, v4, v3, vcc_lo dst_sel:DWORD dst_unused:UNUSED_PAD src0_sel:DWORD src1_sel:WORD_1
	s_cbranch_scc1 .LBB76_676
; %bb.669:
	s_and_b32 s2, 0xffff, s1
	s_cmp_gt_i32 s2, 25
	s_cbranch_scc0 .LBB76_677
; %bb.670:
	s_cmp_gt_i32 s2, 28
	s_cbranch_scc0 .LBB76_678
; %bb.671:
	;; [unrolled: 3-line block ×4, first 2 shown]
	s_mov_b32 s23, 0
	s_mov_b32 s0, -1
	s_cmp_eq_u32 s2, 46
	s_mov_b32 s3, 0
	s_cbranch_scc0 .LBB76_681
; %bb.674:
	v_and_b32_e32 v4, 0xffff, v3
	s_mov_b32 s3, -1
	s_mov_b32 s0, 0
	global_store_dword v[0:1], v4, off
	s_branch .LBB76_681
.LBB76_675:
	s_mov_b32 s2, 0
	s_mov_b32 s0, s19
	s_branch .LBB76_792
.LBB76_676:
	s_mov_b32 s2, -1
	s_mov_b32 s3, 0
	s_mov_b32 s0, s19
	s_branch .LBB76_750
.LBB76_677:
	s_mov_b32 s3, 0
	s_mov_b32 s0, s19
	s_branch .LBB76_708
.LBB76_678:
	s_mov_b32 s3, 0
	s_mov_b32 s0, s19
	s_branch .LBB76_691
.LBB76_679:
	s_mov_b32 s3, 0
	s_mov_b32 s0, s19
	s_branch .LBB76_687
.LBB76_680:
	s_mov_b32 s3, 0
	s_mov_b32 s0, s19
.LBB76_681:
	s_and_b32 vcc_lo, exec_lo, s23
	s_cbranch_vccz .LBB76_686
; %bb.682:
	s_cmp_eq_u32 s2, 44
	s_mov_b32 s0, -1
	s_cbranch_scc0 .LBB76_686
; %bb.683:
	v_and_b32_e32 v4, 0xffff, v3
	v_mov_b32_e32 v5, 0xff
	s_mov_b32 s3, exec_lo
	v_bfe_u32 v6, v4, 7, 8
	v_cmpx_ne_u32_e32 0xff, v6
	s_cbranch_execz .LBB76_685
; %bb.684:
	v_lshlrev_b32_e32 v5, 16, v4
	v_and_b32_e32 v7, 64, v4
	v_lshrrev_b32_e32 v4, 7, v4
	v_and_or_b32 v5, 0x3f0000, v5, v6
	v_cmp_ne_u32_e32 vcc_lo, 0, v7
	v_cmp_ne_u32_e64 s0, 0, v5
	s_and_b32 s0, vcc_lo, s0
	v_cndmask_b32_e64 v5, 0, 1, s0
	v_add_nc_u32_e32 v5, v4, v5
.LBB76_685:
	s_or_b32 exec_lo, exec_lo, s3
	s_mov_b32 s3, -1
	s_mov_b32 s0, 0
	global_store_byte v[0:1], v5, off
.LBB76_686:
	s_mov_b32 s23, 0
.LBB76_687:
	s_and_b32 vcc_lo, exec_lo, s23
	s_cbranch_vccz .LBB76_690
; %bb.688:
	s_cmp_eq_u32 s2, 29
	s_mov_b32 s0, -1
	s_cbranch_scc0 .LBB76_690
; %bb.689:
	v_lshlrev_b32_e32 v4, 16, v3
	s_mov_b32 s3, -1
	s_mov_b32 s0, 0
	s_mov_b32 s23, 0
	v_trunc_f32_e32 v4, v4
	v_mul_f32_e32 v5, 0x2f800000, v4
	v_floor_f32_e32 v5, v5
	v_fmamk_f32 v4, v5, 0xcf800000, v4
	v_cvt_u32_f32_e32 v5, v5
	v_cvt_u32_f32_e32 v4, v4
	global_store_dwordx2 v[0:1], v[4:5], off
	s_branch .LBB76_691
.LBB76_690:
	s_mov_b32 s23, 0
.LBB76_691:
	s_and_b32 vcc_lo, exec_lo, s23
	s_cbranch_vccz .LBB76_707
; %bb.692:
	s_cmp_lt_i32 s2, 27
	s_mov_b32 s3, -1
	s_cbranch_scc1 .LBB76_698
; %bb.693:
	s_cmp_gt_i32 s2, 27
	s_cbranch_scc0 .LBB76_695
; %bb.694:
	v_lshlrev_b32_e32 v4, 16, v3
	s_mov_b32 s3, 0
	v_cvt_u32_f32_e32 v4, v4
	global_store_dword v[0:1], v4, off
.LBB76_695:
	s_andn2_b32 vcc_lo, exec_lo, s3
	s_cbranch_vccnz .LBB76_697
; %bb.696:
	v_lshlrev_b32_e32 v4, 16, v3
	v_cvt_u32_f32_e32 v4, v4
	global_store_short v[0:1], v4, off
.LBB76_697:
	s_mov_b32 s3, 0
.LBB76_698:
	s_andn2_b32 vcc_lo, exec_lo, s3
	s_cbranch_vccnz .LBB76_706
; %bb.699:
	v_lshlrev_b32_e32 v6, 16, v3
	v_mov_b32_e32 v7, 0x80
	s_mov_b32 s3, exec_lo
	v_and_b32_e32 v5, 0x7fffffff, v6
	v_cmpx_gt_u32_e32 0x43800000, v5
	s_cbranch_execz .LBB76_705
; %bb.700:
	v_and_b32_e32 v4, 0xffff, v3
	v_cmp_lt_u32_e32 vcc_lo, 0x3bffffff, v5
	s_mov_b32 s23, 0
                                        ; implicit-def: $vgpr5
	s_and_saveexec_b32 s24, vcc_lo
	s_xor_b32 s24, exec_lo, s24
	s_cbranch_execz .LBB76_807
; %bb.701:
	v_bfe_u32 v5, v4, 4, 1
	s_mov_b32 s23, exec_lo
	v_add3_u32 v5, v6, v5, 0x487ffff
                                        ; implicit-def: $vgpr6
	v_lshrrev_b32_e32 v5, 20, v5
	s_andn2_saveexec_b32 s24, s24
	s_cbranch_execnz .LBB76_808
.LBB76_702:
	s_or_b32 exec_lo, exec_lo, s24
	v_mov_b32_e32 v7, 0
	s_and_saveexec_b32 s24, s23
.LBB76_703:
	v_lshrrev_b32_e32 v4, 8, v4
	v_and_or_b32 v7, 0x80, v4, v5
.LBB76_704:
	s_or_b32 exec_lo, exec_lo, s24
.LBB76_705:
	s_or_b32 exec_lo, exec_lo, s3
	global_store_byte v[0:1], v7, off
.LBB76_706:
	s_mov_b32 s3, -1
.LBB76_707:
	s_mov_b32 s23, 0
.LBB76_708:
	s_and_b32 vcc_lo, exec_lo, s23
	s_cbranch_vccz .LBB76_749
; %bb.709:
	s_cmp_gt_i32 s2, 22
	s_mov_b32 s23, -1
	s_cbranch_scc0 .LBB76_741
; %bb.710:
	s_cmp_lt_i32 s2, 24
	s_mov_b32 s3, -1
	s_cbranch_scc1 .LBB76_730
; %bb.711:
	s_cmp_gt_i32 s2, 24
	s_cbranch_scc0 .LBB76_719
; %bb.712:
	v_lshlrev_b32_e32 v6, 16, v3
	v_mov_b32_e32 v7, 0x80
	s_mov_b32 s3, exec_lo
	v_and_b32_e32 v5, 0x7fffffff, v6
	v_cmpx_gt_u32_e32 0x47800000, v5
	s_cbranch_execz .LBB76_718
; %bb.713:
	v_and_b32_e32 v4, 0xffff, v3
	v_cmp_lt_u32_e32 vcc_lo, 0x37ffffff, v5
	s_mov_b32 s23, 0
                                        ; implicit-def: $vgpr5
	s_and_saveexec_b32 s24, vcc_lo
	s_xor_b32 s24, exec_lo, s24
	s_cbranch_execz .LBB76_810
; %bb.714:
	v_bfe_u32 v5, v4, 5, 1
	s_mov_b32 s23, exec_lo
	v_add3_u32 v5, v6, v5, 0x88fffff
                                        ; implicit-def: $vgpr6
	v_lshrrev_b32_e32 v5, 21, v5
	s_andn2_saveexec_b32 s24, s24
	s_cbranch_execnz .LBB76_811
.LBB76_715:
	s_or_b32 exec_lo, exec_lo, s24
	v_mov_b32_e32 v7, 0
	s_and_saveexec_b32 s24, s23
.LBB76_716:
	v_lshrrev_b32_e32 v4, 8, v4
	v_and_or_b32 v7, 0x80, v4, v5
.LBB76_717:
	s_or_b32 exec_lo, exec_lo, s24
.LBB76_718:
	s_or_b32 exec_lo, exec_lo, s3
	s_mov_b32 s3, 0
	global_store_byte v[0:1], v7, off
.LBB76_719:
	s_and_b32 vcc_lo, exec_lo, s3
	s_cbranch_vccz .LBB76_729
; %bb.720:
	v_lshlrev_b32_e32 v6, 16, v3
	v_and_b32_e32 v4, 0xffff, v3
	s_mov_b32 s3, exec_lo
                                        ; implicit-def: $vgpr5
	v_and_b32_e32 v7, 0x7fffffff, v6
	v_cmpx_gt_u32_e32 0x43f00000, v7
	s_xor_b32 s3, exec_lo, s3
	s_cbranch_execz .LBB76_726
; %bb.721:
	s_mov_b32 s23, exec_lo
                                        ; implicit-def: $vgpr5
	v_cmpx_lt_u32_e32 0x3c7fffff, v7
	s_xor_b32 s23, exec_lo, s23
; %bb.722:
	v_bfe_u32 v5, v4, 4, 1
	v_add3_u32 v5, v6, v5, 0x407ffff
	v_and_b32_e32 v6, 0xff00000, v5
	v_lshrrev_b32_e32 v5, 20, v5
	v_cmp_ne_u32_e32 vcc_lo, 0x7f00000, v6
                                        ; implicit-def: $vgpr6
	v_cndmask_b32_e32 v5, 0x7e, v5, vcc_lo
; %bb.723:
	s_andn2_saveexec_b32 s23, s23
; %bb.724:
	v_add_f32_e64 v5, 0x46800000, |v6|
; %bb.725:
	s_or_b32 exec_lo, exec_lo, s23
                                        ; implicit-def: $vgpr7
.LBB76_726:
	s_andn2_saveexec_b32 s3, s3
; %bb.727:
	v_mov_b32_e32 v5, 0x7f
	v_cmp_lt_u32_e32 vcc_lo, 0x7f800000, v7
	v_cndmask_b32_e32 v5, 0x7e, v5, vcc_lo
; %bb.728:
	s_or_b32 exec_lo, exec_lo, s3
	v_lshrrev_b32_e32 v4, 8, v4
	v_and_or_b32 v4, 0x80, v4, v5
	global_store_byte v[0:1], v4, off
.LBB76_729:
	s_mov_b32 s3, 0
.LBB76_730:
	s_andn2_b32 vcc_lo, exec_lo, s3
	s_cbranch_vccnz .LBB76_740
; %bb.731:
	v_lshlrev_b32_e32 v6, 16, v3
	v_and_b32_e32 v4, 0xffff, v3
	s_mov_b32 s3, exec_lo
                                        ; implicit-def: $vgpr5
	v_and_b32_e32 v7, 0x7fffffff, v6
	v_cmpx_gt_u32_e32 0x47800000, v7
	s_xor_b32 s3, exec_lo, s3
	s_cbranch_execz .LBB76_737
; %bb.732:
	s_mov_b32 s23, exec_lo
                                        ; implicit-def: $vgpr5
	v_cmpx_lt_u32_e32 0x387fffff, v7
	s_xor_b32 s23, exec_lo, s23
; %bb.733:
	v_bfe_u32 v5, v4, 5, 1
	v_add3_u32 v5, v6, v5, 0x80fffff
                                        ; implicit-def: $vgpr6
	v_lshrrev_b32_e32 v5, 21, v5
; %bb.734:
	s_andn2_saveexec_b32 s23, s23
; %bb.735:
	v_add_f32_e64 v5, 0x43000000, |v6|
; %bb.736:
	s_or_b32 exec_lo, exec_lo, s23
                                        ; implicit-def: $vgpr7
.LBB76_737:
	s_andn2_saveexec_b32 s3, s3
; %bb.738:
	v_mov_b32_e32 v5, 0x7f
	v_cmp_lt_u32_e32 vcc_lo, 0x7f800000, v7
	v_cndmask_b32_e32 v5, 0x7c, v5, vcc_lo
; %bb.739:
	s_or_b32 exec_lo, exec_lo, s3
	v_lshrrev_b32_e32 v4, 8, v4
	v_and_or_b32 v4, 0x80, v4, v5
	global_store_byte v[0:1], v4, off
.LBB76_740:
	s_mov_b32 s23, 0
	s_mov_b32 s3, -1
.LBB76_741:
	s_andn2_b32 vcc_lo, exec_lo, s23
	s_cbranch_vccnz .LBB76_749
; %bb.742:
	s_cmp_gt_i32 s2, 14
	s_mov_b32 s23, -1
	s_cbranch_scc0 .LBB76_746
; %bb.743:
	s_cmp_eq_u32 s2, 15
	s_mov_b32 s0, -1
	s_cbranch_scc0 .LBB76_745
; %bb.744:
	s_mov_b32 s3, -1
	s_mov_b32 s0, 0
	global_store_short v[0:1], v3, off
.LBB76_745:
	s_mov_b32 s23, 0
.LBB76_746:
	s_and_b32 vcc_lo, exec_lo, s23
	s_cbranch_vccz .LBB76_749
; %bb.747:
	s_cmp_eq_u32 s2, 11
	s_mov_b32 s0, -1
	s_cbranch_scc0 .LBB76_749
; %bb.748:
	v_and_b32_e32 v4, 0x7fff, v3
	s_mov_b32 s0, 0
	s_mov_b32 s3, -1
	v_cmp_ne_u16_e32 vcc_lo, 0, v4
	v_cndmask_b32_e64 v4, 0, 1, vcc_lo
	global_store_byte v[0:1], v4, off
.LBB76_749:
	s_mov_b32 s2, 0
.LBB76_750:
	s_and_b32 vcc_lo, exec_lo, s2
	s_cbranch_vccz .LBB76_789
; %bb.751:
	s_and_b32 s1, 0xffff, s1
	s_mov_b32 s2, -1
	s_cmp_lt_i32 s1, 5
	s_cbranch_scc1 .LBB76_772
; %bb.752:
	s_cmp_lt_i32 s1, 8
	s_cbranch_scc1 .LBB76_762
; %bb.753:
	;; [unrolled: 3-line block ×3, first 2 shown]
	s_cmp_gt_i32 s1, 9
	s_cbranch_scc0 .LBB76_756
; %bb.755:
	v_lshlrev_b32_e32 v4, 16, v3
	v_mov_b32_e32 v6, 0
	s_mov_b32 s2, 0
	v_cvt_f64_f32_e32 v[4:5], v4
	v_mov_b32_e32 v7, v6
	global_store_dwordx4 v[0:1], v[4:7], off
.LBB76_756:
	s_andn2_b32 vcc_lo, exec_lo, s2
	s_cbranch_vccnz .LBB76_758
; %bb.757:
	v_lshlrev_b32_e32 v4, 16, v3
	v_mov_b32_e32 v5, 0
	global_store_dwordx2 v[0:1], v[4:5], off
.LBB76_758:
	s_mov_b32 s2, 0
.LBB76_759:
	s_andn2_b32 vcc_lo, exec_lo, s2
	s_cbranch_vccnz .LBB76_761
; %bb.760:
	v_lshlrev_b32_e32 v4, 16, v3
	v_cvt_f16_f32_e32 v4, v4
	v_and_b32_e32 v4, 0xffff, v4
	global_store_dword v[0:1], v4, off
.LBB76_761:
	s_mov_b32 s2, 0
.LBB76_762:
	s_andn2_b32 vcc_lo, exec_lo, s2
	s_cbranch_vccnz .LBB76_771
; %bb.763:
	s_cmp_lt_i32 s1, 6
	s_mov_b32 s2, -1
	s_cbranch_scc1 .LBB76_769
; %bb.764:
	s_cmp_gt_i32 s1, 6
	s_cbranch_scc0 .LBB76_766
; %bb.765:
	v_lshlrev_b32_e32 v4, 16, v3
	s_mov_b32 s2, 0
	v_cvt_f64_f32_e32 v[4:5], v4
	global_store_dwordx2 v[0:1], v[4:5], off
.LBB76_766:
	s_andn2_b32 vcc_lo, exec_lo, s2
	s_cbranch_vccnz .LBB76_768
; %bb.767:
	v_lshlrev_b32_e32 v4, 16, v3
	global_store_dword v[0:1], v4, off
.LBB76_768:
	s_mov_b32 s2, 0
.LBB76_769:
	s_andn2_b32 vcc_lo, exec_lo, s2
	s_cbranch_vccnz .LBB76_771
; %bb.770:
	v_lshlrev_b32_e32 v4, 16, v3
	v_cvt_f16_f32_e32 v4, v4
	global_store_short v[0:1], v4, off
.LBB76_771:
	s_mov_b32 s2, 0
.LBB76_772:
	s_andn2_b32 vcc_lo, exec_lo, s2
	s_cbranch_vccnz .LBB76_788
; %bb.773:
	s_cmp_lt_i32 s1, 2
	s_mov_b32 s2, -1
	s_cbranch_scc1 .LBB76_783
; %bb.774:
	s_cmp_lt_i32 s1, 3
	s_cbranch_scc1 .LBB76_780
; %bb.775:
	s_cmp_gt_i32 s1, 3
	s_cbranch_scc0 .LBB76_777
; %bb.776:
	v_lshlrev_b32_e32 v4, 16, v3
	s_mov_b32 s2, 0
	v_trunc_f32_e32 v4, v4
	v_mul_f32_e64 v5, 0x2f800000, |v4|
	v_ashrrev_i32_e32 v7, 31, v4
	v_floor_f32_e32 v5, v5
	v_fma_f32 v6, 0xcf800000, v5, |v4|
	v_cvt_u32_f32_e32 v5, v5
	v_cvt_u32_f32_e32 v4, v6
	v_xor_b32_e32 v5, v5, v7
	v_xor_b32_e32 v4, v4, v7
	v_sub_co_u32 v4, vcc_lo, v4, v7
	v_sub_co_ci_u32_e64 v5, null, v5, v7, vcc_lo
	global_store_dwordx2 v[0:1], v[4:5], off
.LBB76_777:
	s_andn2_b32 vcc_lo, exec_lo, s2
	s_cbranch_vccnz .LBB76_779
; %bb.778:
	v_lshlrev_b32_e32 v4, 16, v3
	v_cvt_i32_f32_e32 v4, v4
	global_store_dword v[0:1], v4, off
.LBB76_779:
	s_mov_b32 s2, 0
.LBB76_780:
	s_andn2_b32 vcc_lo, exec_lo, s2
	s_cbranch_vccnz .LBB76_782
; %bb.781:
	v_lshlrev_b32_e32 v4, 16, v3
	v_cvt_i32_f32_e32 v4, v4
	global_store_short v[0:1], v4, off
.LBB76_782:
	s_mov_b32 s2, 0
.LBB76_783:
	s_andn2_b32 vcc_lo, exec_lo, s2
	s_cbranch_vccnz .LBB76_788
; %bb.784:
	v_lshlrev_b32_e32 v3, 16, v3
	s_cmp_gt_i32 s1, 0
	s_mov_b32 s1, -1
	s_cbranch_scc0 .LBB76_786
; %bb.785:
	v_cvt_i32_f32_e32 v4, v3
	s_mov_b32 s1, 0
	global_store_byte v[0:1], v4, off
.LBB76_786:
	s_andn2_b32 vcc_lo, exec_lo, s1
	s_cbranch_vccnz .LBB76_788
; %bb.787:
	v_trunc_f32_e32 v3, v3
	v_mul_f32_e64 v4, 0x2f800000, |v3|
	v_floor_f32_e32 v4, v4
	v_fma_f32 v4, 0xcf800000, v4, |v3|
	v_ashrrev_i32_e32 v3, 31, v3
	v_cvt_u32_f32_e32 v4, v4
	v_xor_b32_e32 v4, v4, v3
	v_sub_nc_u32_e32 v3, v4, v3
	global_store_byte v[0:1], v3, off
.LBB76_788:
	s_mov_b32 s3, -1
.LBB76_789:
	s_andn2_b32 vcc_lo, exec_lo, s3
	s_cbranch_vccnz .LBB76_791
; %bb.790:
	v_add_nc_u32_e32 v2, 0x80, v2
	s_mov_b32 s2, -1
	s_branch .LBB76_793
.LBB76_791:
	s_mov_b32 s2, 0
.LBB76_792:
                                        ; implicit-def: $vgpr2
.LBB76_793:
	s_andn2_b32 s1, s19, exec_lo
	s_and_b32 s0, s0, exec_lo
	s_andn2_b32 s3, s18, exec_lo
	s_and_b32 s22, s22, exec_lo
	s_or_b32 s1, s1, s0
	s_or_b32 s0, s3, s22
	s_orn2_b32 s23, s2, exec_lo
.LBB76_794:
	s_or_b32 exec_lo, exec_lo, s21
	s_mov_b32 s21, 0
	s_mov_b32 s22, 0
	;; [unrolled: 1-line block ×3, first 2 shown]
                                        ; implicit-def: $vgpr0_vgpr1
                                        ; implicit-def: $vgpr4
	s_and_saveexec_b32 s2, s23
	s_cbranch_execz .LBB76_879
; %bb.795:
	v_cmp_gt_i32_e32 vcc_lo, s15, v2
	s_mov_b32 s15, 0
	s_mov_b32 s21, s0
	;; [unrolled: 1-line block ×4, first 2 shown]
                                        ; implicit-def: $vgpr0_vgpr1
                                        ; implicit-def: $vgpr4
	s_and_saveexec_b32 s3, vcc_lo
	s_cbranch_execz .LBB76_878
; %bb.796:
	v_mul_lo_u32 v0, v2, s13
	s_and_b32 s15, 0xffff, s6
	s_cmp_lt_i32 s15, 11
	v_ashrrev_i32_e32 v1, 31, v0
	v_add_co_u32 v0, vcc_lo, s10, v0
	v_add_co_ci_u32_e64 v1, null, s11, v1, vcc_lo
	s_cbranch_scc1 .LBB76_803
; %bb.797:
	s_cmp_gt_i32 s15, 25
	s_cbranch_scc0 .LBB76_804
; %bb.798:
	s_cmp_gt_i32 s15, 28
	s_cbranch_scc0 .LBB76_805
; %bb.799:
	s_cmp_gt_i32 s15, 43
	s_cbranch_scc0 .LBB76_806
; %bb.800:
	s_cmp_gt_i32 s15, 45
	s_cbranch_scc0 .LBB76_809
; %bb.801:
	s_cmp_eq_u32 s15, 46
	s_cbranch_scc0 .LBB76_812
; %bb.802:
	global_load_dword v4, v[0:1], off
	s_mov_b32 s21, 0
	s_mov_b32 s23, -1
	s_branch .LBB76_814
.LBB76_803:
	s_mov_b32 s15, -1
	s_mov_b32 s21, s0
                                        ; implicit-def: $vgpr4
	s_branch .LBB76_877
.LBB76_804:
	s_mov_b32 s24, -1
	s_mov_b32 s21, s0
                                        ; implicit-def: $vgpr4
	s_branch .LBB76_843
.LBB76_805:
	s_mov_b32 s24, -1
	s_mov_b32 s21, s0
                                        ; implicit-def: $vgpr4
	s_branch .LBB76_824
.LBB76_806:
	s_mov_b32 s24, -1
	s_mov_b32 s21, s0
                                        ; implicit-def: $vgpr4
	s_branch .LBB76_819
.LBB76_807:
	s_andn2_saveexec_b32 s24, s24
	s_cbranch_execz .LBB76_702
.LBB76_808:
	v_add_f32_e64 v5, 0x46000000, |v6|
	s_andn2_b32 s23, s23, exec_lo
	v_and_b32_e32 v5, 0xff, v5
	v_cmp_ne_u32_e32 vcc_lo, 0, v5
	s_and_b32 s25, vcc_lo, exec_lo
	s_or_b32 s23, s23, s25
	s_or_b32 exec_lo, exec_lo, s24
	v_mov_b32_e32 v7, 0
	s_and_saveexec_b32 s24, s23
	s_cbranch_execnz .LBB76_703
	s_branch .LBB76_704
.LBB76_809:
	s_mov_b32 s24, -1
	s_mov_b32 s21, s0
	s_branch .LBB76_813
.LBB76_810:
	s_andn2_saveexec_b32 s24, s24
	s_cbranch_execz .LBB76_715
.LBB76_811:
	v_add_f32_e64 v5, 0x42800000, |v6|
	s_andn2_b32 s23, s23, exec_lo
	v_and_b32_e32 v5, 0xff, v5
	v_cmp_ne_u32_e32 vcc_lo, 0, v5
	s_and_b32 s25, vcc_lo, exec_lo
	s_or_b32 s23, s23, s25
	s_or_b32 exec_lo, exec_lo, s24
	v_mov_b32_e32 v7, 0
	s_and_saveexec_b32 s24, s23
	s_cbranch_execnz .LBB76_716
	s_branch .LBB76_717
.LBB76_812:
	s_mov_b32 s21, -1
.LBB76_813:
                                        ; implicit-def: $vgpr4
.LBB76_814:
	s_and_b32 vcc_lo, exec_lo, s24
	s_cbranch_vccz .LBB76_818
; %bb.815:
	s_cmp_eq_u32 s15, 44
	s_cbranch_scc0 .LBB76_817
; %bb.816:
	global_load_ubyte v3, v[0:1], off
	s_mov_b32 s21, 0
	s_mov_b32 s23, -1
	s_waitcnt vmcnt(0)
	v_lshlrev_b32_e32 v4, 23, v3
	v_cmp_ne_u32_e32 vcc_lo, 0xff, v3
	v_cndmask_b32_e32 v4, 0x7f800001, v4, vcc_lo
	v_cmp_ne_u32_e32 vcc_lo, 0, v3
	v_cndmask_b32_e32 v3, 0x400000, v4, vcc_lo
	v_mov_b32_e32 v4, 0x7fc0
	v_cmp_o_f32_e32 vcc_lo, v3, v3
	v_add_nc_u32_e32 v3, 0x7fff, v3
	v_cndmask_b32_sdwa v4, v4, v3, vcc_lo dst_sel:DWORD dst_unused:UNUSED_PAD src0_sel:DWORD src1_sel:WORD_1
	s_branch .LBB76_818
.LBB76_817:
	s_mov_b32 s21, -1
                                        ; implicit-def: $vgpr4
.LBB76_818:
	s_mov_b32 s24, 0
.LBB76_819:
	s_and_b32 vcc_lo, exec_lo, s24
	s_cbranch_vccz .LBB76_823
; %bb.820:
	s_cmp_eq_u32 s15, 29
	s_cbranch_scc0 .LBB76_822
; %bb.821:
	global_load_dwordx2 v[3:4], v[0:1], off
	s_mov_b32 s21, 0
	s_mov_b32 s23, -1
	s_mov_b32 s24, 0
	s_waitcnt vmcnt(0)
	v_ffbh_u32_e32 v5, v4
	v_min_u32_e32 v5, 32, v5
	v_lshlrev_b64 v[3:4], v5, v[3:4]
	v_min_u32_e32 v3, 1, v3
	v_or_b32_e32 v3, v4, v3
	v_sub_nc_u32_e32 v4, 32, v5
	v_cvt_f32_u32_e32 v3, v3
	v_ldexp_f32 v3, v3, v4
	v_bfe_u32 v4, v3, 16, 1
	v_add3_u32 v3, v3, v4, 0x7fff
	v_lshrrev_b32_e32 v4, 16, v3
	s_branch .LBB76_824
.LBB76_822:
	s_mov_b32 s21, -1
                                        ; implicit-def: $vgpr4
.LBB76_823:
	s_mov_b32 s24, 0
.LBB76_824:
	s_and_b32 vcc_lo, exec_lo, s24
	s_cbranch_vccz .LBB76_842
; %bb.825:
	s_cmp_lt_i32 s15, 27
	s_cbranch_scc1 .LBB76_828
; %bb.826:
	s_cmp_gt_i32 s15, 27
	s_cbranch_scc0 .LBB76_829
; %bb.827:
	global_load_dword v3, v[0:1], off
	s_mov_b32 s23, 0
	s_waitcnt vmcnt(0)
	v_cvt_f32_u32_e32 v3, v3
	v_bfe_u32 v4, v3, 16, 1
	v_add3_u32 v3, v3, v4, 0x7fff
	v_lshrrev_b32_e32 v4, 16, v3
	s_branch .LBB76_830
.LBB76_828:
	s_mov_b32 s23, -1
                                        ; implicit-def: $vgpr4
	s_branch .LBB76_833
.LBB76_829:
	s_mov_b32 s23, -1
                                        ; implicit-def: $vgpr4
.LBB76_830:
	s_andn2_b32 vcc_lo, exec_lo, s23
	s_cbranch_vccnz .LBB76_832
; %bb.831:
	global_load_ushort v3, v[0:1], off
	s_waitcnt vmcnt(0)
	v_cvt_f32_u32_e32 v3, v3
	v_bfe_u32 v4, v3, 16, 1
	v_add3_u32 v3, v3, v4, 0x7fff
	v_lshrrev_b32_e32 v4, 16, v3
.LBB76_832:
	s_mov_b32 s23, 0
.LBB76_833:
	s_andn2_b32 vcc_lo, exec_lo, s23
	s_cbranch_vccnz .LBB76_841
; %bb.834:
	global_load_ubyte v3, v[0:1], off
	s_mov_b32 s23, 0
	s_mov_b32 s24, exec_lo
	s_waitcnt vmcnt(0)
	v_cmpx_lt_i16_e32 0x7f, v3
	s_xor_b32 s24, exec_lo, s24
	s_cbranch_execz .LBB76_855
; %bb.835:
	s_mov_b32 s23, -1
	s_mov_b32 s25, exec_lo
	v_cmpx_eq_u16_e32 0x80, v3
; %bb.836:
	s_xor_b32 s23, exec_lo, -1
; %bb.837:
	s_or_b32 exec_lo, exec_lo, s25
	s_and_b32 s23, s23, exec_lo
	s_or_saveexec_b32 s24, s24
	v_mov_b32_e32 v4, 0x7f800001
	s_xor_b32 exec_lo, exec_lo, s24
	s_cbranch_execnz .LBB76_856
.LBB76_838:
	s_or_b32 exec_lo, exec_lo, s24
	s_and_saveexec_b32 s24, s23
	s_cbranch_execz .LBB76_840
.LBB76_839:
	v_and_b32_e32 v4, 0xffff, v3
	v_lshlrev_b32_e32 v3, 24, v3
	v_and_b32_e32 v5, 7, v4
	v_bfe_u32 v8, v4, 3, 4
	v_and_b32_e32 v3, 0x80000000, v3
	v_ffbh_u32_e32 v6, v5
	v_cmp_eq_u32_e32 vcc_lo, 0, v8
	v_min_u32_e32 v6, 32, v6
	v_subrev_nc_u32_e32 v7, 28, v6
	v_sub_nc_u32_e32 v6, 29, v6
	v_lshlrev_b32_e32 v4, v7, v4
	v_cndmask_b32_e32 v6, v8, v6, vcc_lo
	v_and_b32_e32 v4, 7, v4
	v_cndmask_b32_e32 v4, v5, v4, vcc_lo
	v_lshl_add_u32 v5, v6, 23, 0x3b800000
	v_lshlrev_b32_e32 v4, 20, v4
	v_or3_b32 v4, v3, v5, v4
.LBB76_840:
	s_or_b32 exec_lo, exec_lo, s24
	v_bfe_u32 v3, v4, 16, 1
	v_cmp_o_f32_e32 vcc_lo, v4, v4
	v_add3_u32 v3, v4, v3, 0x7fff
	v_mov_b32_e32 v4, 0x7fc0
	v_cndmask_b32_sdwa v4, v4, v3, vcc_lo dst_sel:DWORD dst_unused:UNUSED_PAD src0_sel:DWORD src1_sel:WORD_1
.LBB76_841:
	s_mov_b32 s23, -1
.LBB76_842:
	s_mov_b32 s24, 0
.LBB76_843:
	s_and_b32 vcc_lo, exec_lo, s24
	s_cbranch_vccz .LBB76_876
; %bb.844:
	s_cmp_gt_i32 s15, 22
	s_cbranch_scc0 .LBB76_854
; %bb.845:
	s_cmp_lt_i32 s15, 24
	s_cbranch_scc1 .LBB76_857
; %bb.846:
	s_cmp_gt_i32 s15, 24
	s_cbranch_scc0 .LBB76_858
; %bb.847:
	global_load_ubyte v3, v[0:1], off
	s_mov_b32 s23, exec_lo
	s_waitcnt vmcnt(0)
	v_cmpx_lt_i16_e32 0x7f, v3
	s_xor_b32 s23, exec_lo, s23
	s_cbranch_execz .LBB76_870
; %bb.848:
	s_mov_b32 s22, -1
	s_mov_b32 s24, exec_lo
	v_cmpx_eq_u16_e32 0x80, v3
; %bb.849:
	s_xor_b32 s22, exec_lo, -1
; %bb.850:
	s_or_b32 exec_lo, exec_lo, s24
	s_and_b32 s22, s22, exec_lo
	s_or_saveexec_b32 s23, s23
	v_mov_b32_e32 v4, 0x7f800001
	s_xor_b32 exec_lo, exec_lo, s23
	s_cbranch_execnz .LBB76_871
.LBB76_851:
	s_or_b32 exec_lo, exec_lo, s23
	s_and_saveexec_b32 s23, s22
	s_cbranch_execz .LBB76_853
.LBB76_852:
	v_and_b32_e32 v4, 0xffff, v3
	v_lshlrev_b32_e32 v3, 24, v3
	v_and_b32_e32 v5, 3, v4
	v_bfe_u32 v8, v4, 2, 5
	v_and_b32_e32 v3, 0x80000000, v3
	v_ffbh_u32_e32 v6, v5
	v_cmp_eq_u32_e32 vcc_lo, 0, v8
	v_min_u32_e32 v6, 32, v6
	v_subrev_nc_u32_e32 v7, 29, v6
	v_sub_nc_u32_e32 v6, 30, v6
	v_lshlrev_b32_e32 v4, v7, v4
	v_cndmask_b32_e32 v6, v8, v6, vcc_lo
	v_and_b32_e32 v4, 3, v4
	v_cndmask_b32_e32 v4, v5, v4, vcc_lo
	v_lshl_add_u32 v5, v6, 23, 0x37800000
	v_lshlrev_b32_e32 v4, 21, v4
	v_or3_b32 v4, v3, v5, v4
.LBB76_853:
	s_or_b32 exec_lo, exec_lo, s23
	v_bfe_u32 v3, v4, 16, 1
	v_cmp_o_f32_e32 vcc_lo, v4, v4
	s_mov_b32 s22, 0
	v_add3_u32 v3, v4, v3, 0x7fff
	v_mov_b32_e32 v4, 0x7fc0
	v_cndmask_b32_sdwa v4, v4, v3, vcc_lo dst_sel:DWORD dst_unused:UNUSED_PAD src0_sel:DWORD src1_sel:WORD_1
	s_branch .LBB76_859
.LBB76_854:
	s_mov_b32 s22, -1
                                        ; implicit-def: $vgpr4
	s_branch .LBB76_865
.LBB76_855:
	s_or_saveexec_b32 s24, s24
	v_mov_b32_e32 v4, 0x7f800001
	s_xor_b32 exec_lo, exec_lo, s24
	s_cbranch_execz .LBB76_838
.LBB76_856:
	v_cmp_ne_u16_e32 vcc_lo, 0, v3
	v_mov_b32_e32 v4, 0
	s_andn2_b32 s23, s23, exec_lo
	s_and_b32 s25, vcc_lo, exec_lo
	s_or_b32 s23, s23, s25
	s_or_b32 exec_lo, exec_lo, s24
	s_and_saveexec_b32 s24, s23
	s_cbranch_execnz .LBB76_839
	s_branch .LBB76_840
.LBB76_857:
	s_mov_b32 s22, -1
                                        ; implicit-def: $vgpr4
	s_branch .LBB76_862
.LBB76_858:
	s_mov_b32 s22, -1
                                        ; implicit-def: $vgpr4
.LBB76_859:
	s_and_b32 vcc_lo, exec_lo, s22
	s_cbranch_vccz .LBB76_861
; %bb.860:
	global_load_ubyte v3, v[0:1], off
	s_waitcnt vmcnt(0)
	v_lshlrev_b32_e32 v3, 24, v3
	v_and_b32_e32 v4, 0x7f000000, v3
	v_ffbh_u32_e32 v5, v4
	v_add_nc_u32_e32 v7, 0x1000000, v4
	v_cmp_ne_u32_e32 vcc_lo, 0, v4
	v_min_u32_e32 v5, 32, v5
	v_sub_nc_u32_e64 v5, v5, 4 clamp
	v_lshlrev_b32_e32 v6, v5, v4
	v_lshlrev_b32_e32 v5, 23, v5
	v_lshrrev_b32_e32 v6, 4, v6
	v_sub_nc_u32_e32 v5, v6, v5
	v_ashrrev_i32_e32 v6, 8, v7
	v_add_nc_u32_e32 v5, 0x3c000000, v5
	v_and_or_b32 v5, 0x7f800000, v6, v5
	v_cndmask_b32_e32 v4, 0, v5, vcc_lo
	v_and_or_b32 v3, 0x80000000, v3, v4
	v_bfe_u32 v4, v4, 16, 1
	v_cmp_o_f32_e32 vcc_lo, v3, v3
	v_add3_u32 v3, v3, v4, 0x7fff
	v_mov_b32_e32 v4, 0x7fc0
	v_cndmask_b32_sdwa v4, v4, v3, vcc_lo dst_sel:DWORD dst_unused:UNUSED_PAD src0_sel:DWORD src1_sel:WORD_1
.LBB76_861:
	s_mov_b32 s22, 0
.LBB76_862:
	s_andn2_b32 vcc_lo, exec_lo, s22
	s_cbranch_vccnz .LBB76_864
; %bb.863:
	global_load_ubyte v3, v[0:1], off
	s_waitcnt vmcnt(0)
	v_lshlrev_b32_e32 v4, 25, v3
	v_lshlrev_b16 v3, 8, v3
	v_lshrrev_b32_e32 v5, 4, v4
	v_and_or_b32 v6, 0x7f00, v3, 0.5
	v_cmp_gt_u32_e32 vcc_lo, 0x8000000, v4
	v_bfe_i32 v3, v3, 0, 16
	v_or_b32_e32 v5, 0x70000000, v5
	v_add_f32_e32 v6, -0.5, v6
	v_mul_f32_e32 v5, 0x7800000, v5
	v_cndmask_b32_e32 v4, v5, v6, vcc_lo
	v_and_or_b32 v3, 0x80000000, v3, v4
	v_bfe_u32 v4, v4, 16, 1
	v_cmp_o_f32_e32 vcc_lo, v3, v3
	v_add3_u32 v3, v3, v4, 0x7fff
	v_mov_b32_e32 v4, 0x7fc0
	v_cndmask_b32_sdwa v4, v4, v3, vcc_lo dst_sel:DWORD dst_unused:UNUSED_PAD src0_sel:DWORD src1_sel:WORD_1
.LBB76_864:
	s_mov_b32 s22, 0
	s_mov_b32 s23, -1
.LBB76_865:
	s_andn2_b32 vcc_lo, exec_lo, s22
	s_mov_b32 s22, 0
	s_cbranch_vccnz .LBB76_876
; %bb.866:
	s_cmp_gt_i32 s15, 14
	s_cbranch_scc0 .LBB76_869
; %bb.867:
	s_cmp_eq_u32 s15, 15
	s_cbranch_scc0 .LBB76_872
; %bb.868:
	global_load_ushort v4, v[0:1], off
	s_mov_b32 s21, 0
	s_mov_b32 s23, -1
	s_branch .LBB76_874
.LBB76_869:
	s_mov_b32 s22, -1
	s_branch .LBB76_873
.LBB76_870:
	s_or_saveexec_b32 s23, s23
	v_mov_b32_e32 v4, 0x7f800001
	s_xor_b32 exec_lo, exec_lo, s23
	s_cbranch_execz .LBB76_851
.LBB76_871:
	v_cmp_ne_u16_e32 vcc_lo, 0, v3
	v_mov_b32_e32 v4, 0
	s_andn2_b32 s22, s22, exec_lo
	s_and_b32 s24, vcc_lo, exec_lo
	s_or_b32 s22, s22, s24
	s_or_b32 exec_lo, exec_lo, s23
	s_and_saveexec_b32 s23, s22
	s_cbranch_execnz .LBB76_852
	s_branch .LBB76_853
.LBB76_872:
	s_mov_b32 s21, -1
.LBB76_873:
                                        ; implicit-def: $vgpr4
.LBB76_874:
	s_and_b32 vcc_lo, exec_lo, s22
	s_mov_b32 s22, 0
	s_cbranch_vccz .LBB76_876
; %bb.875:
	s_cmp_lg_u32 s15, 11
	s_mov_b32 s22, -1
	s_cselect_b32 s15, -1, 0
	s_andn2_b32 s21, s21, exec_lo
	s_and_b32 s15, s15, exec_lo
	s_or_b32 s21, s21, s15
.LBB76_876:
	s_mov_b32 s15, 0
.LBB76_877:
	s_andn2_b32 s25, s0, exec_lo
	s_and_b32 s21, s21, exec_lo
	s_and_b32 s24, s23, exec_lo
	;; [unrolled: 1-line block ×4, first 2 shown]
	s_or_b32 s21, s25, s21
.LBB76_878:
	s_or_b32 exec_lo, exec_lo, s3
	s_and_b32 s22, s23, exec_lo
	s_andn2_b32 s0, s0, exec_lo
	s_and_b32 s23, s21, exec_lo
	s_and_b32 s3, s24, exec_lo
	;; [unrolled: 1-line block ×3, first 2 shown]
	s_or_b32 s0, s0, s23
.LBB76_879:
	s_or_b32 exec_lo, exec_lo, s2
	s_andn2_b32 s2, s19, exec_lo
	s_and_b32 s1, s1, exec_lo
	s_andn2_b32 s15, s18, exec_lo
	s_and_b32 s0, s0, exec_lo
	s_or_b32 s19, s2, s1
	s_and_b32 s3, s3, exec_lo
	s_and_b32 s2, s22, exec_lo
	;; [unrolled: 1-line block ×3, first 2 shown]
	s_or_b32 s18, s15, s0
.LBB76_880:
	s_or_b32 exec_lo, exec_lo, s20
	s_andn2_b32 s0, s14, exec_lo
	s_and_b32 s14, s19, exec_lo
	s_and_b32 s15, s18, exec_lo
	s_or_b32 s14, s0, s14
	s_and_b32 s0, s3, exec_lo
	s_andn2_b32 s3, s16, exec_lo
	s_and_b32 s2, s2, exec_lo
	s_and_b32 s18, s1, exec_lo
	s_or_b32 s16, s3, s15
	s_or_b32 exec_lo, exec_lo, s17
	s_mov_b32 s15, 0
	s_and_saveexec_b32 s1, s16
	s_cbranch_execz .LBB76_268
.LBB76_881:
	s_mov_b32 s15, exec_lo
	s_andn2_b32 s18, s18, exec_lo
	s_trap 2
	s_or_b32 exec_lo, exec_lo, s1
	s_and_saveexec_b32 s1, s18
	s_xor_b32 s1, exec_lo, s1
	s_cbranch_execnz .LBB76_269
.LBB76_882:
	s_or_b32 exec_lo, exec_lo, s1
	s_and_saveexec_b32 s1, s2
	s_cbranch_execz .LBB76_928
.LBB76_883:
	s_sext_i32_i16 s2, s6
	s_cmp_lt_i32 s2, 5
	s_cbranch_scc1 .LBB76_888
; %bb.884:
	s_cmp_lt_i32 s2, 8
	s_cbranch_scc1 .LBB76_889
; %bb.885:
	;; [unrolled: 3-line block ×3, first 2 shown]
	s_cmp_gt_i32 s2, 9
	s_cbranch_scc0 .LBB76_891
; %bb.887:
	global_load_dwordx2 v[3:4], v[0:1], off
	s_mov_b32 s2, 0
	s_waitcnt vmcnt(0)
	v_cvt_f32_f64_e32 v3, v[3:4]
	v_bfe_u32 v4, v3, 16, 1
	v_cmp_o_f32_e32 vcc_lo, v3, v3
	v_add3_u32 v3, v3, v4, 0x7fff
	v_mov_b32_e32 v4, 0x7fc0
	v_cndmask_b32_sdwa v4, v4, v3, vcc_lo dst_sel:DWORD dst_unused:UNUSED_PAD src0_sel:DWORD src1_sel:WORD_1
	s_branch .LBB76_892
.LBB76_888:
                                        ; implicit-def: $vgpr4
	s_branch .LBB76_909
.LBB76_889:
                                        ; implicit-def: $vgpr4
	s_branch .LBB76_898
.LBB76_890:
	s_mov_b32 s2, -1
                                        ; implicit-def: $vgpr4
	s_branch .LBB76_895
.LBB76_891:
	s_mov_b32 s2, -1
                                        ; implicit-def: $vgpr4
.LBB76_892:
	s_andn2_b32 vcc_lo, exec_lo, s2
	s_cbranch_vccnz .LBB76_894
; %bb.893:
	global_load_dword v3, v[0:1], off
	s_waitcnt vmcnt(0)
	v_bfe_u32 v4, v3, 16, 1
	v_cmp_o_f32_e32 vcc_lo, v3, v3
	v_add3_u32 v3, v3, v4, 0x7fff
	v_mov_b32_e32 v4, 0x7fc0
	v_cndmask_b32_sdwa v4, v4, v3, vcc_lo dst_sel:DWORD dst_unused:UNUSED_PAD src0_sel:DWORD src1_sel:WORD_1
.LBB76_894:
	s_mov_b32 s2, 0
.LBB76_895:
	s_andn2_b32 vcc_lo, exec_lo, s2
	s_cbranch_vccnz .LBB76_897
; %bb.896:
	global_load_dword v3, v[0:1], off
	s_waitcnt vmcnt(0)
	v_cvt_f32_f16_e32 v4, v3
	v_cmp_o_f16_e32 vcc_lo, v3, v3
	v_bfe_u32 v5, v4, 16, 1
	v_add3_u32 v3, v4, v5, 0x7fff
	v_mov_b32_e32 v4, 0x7fc0
	v_cndmask_b32_sdwa v4, v4, v3, vcc_lo dst_sel:DWORD dst_unused:UNUSED_PAD src0_sel:DWORD src1_sel:WORD_1
.LBB76_897:
	s_cbranch_execnz .LBB76_908
.LBB76_898:
	s_sext_i32_i16 s2, s6
	s_cmp_lt_i32 s2, 6
	s_cbranch_scc1 .LBB76_901
; %bb.899:
	s_cmp_gt_i32 s2, 6
	s_cbranch_scc0 .LBB76_902
; %bb.900:
	global_load_dwordx2 v[3:4], v[0:1], off
	s_mov_b32 s2, 0
	s_waitcnt vmcnt(0)
	v_cvt_f32_f64_e32 v3, v[3:4]
	v_bfe_u32 v4, v3, 16, 1
	v_cmp_o_f32_e32 vcc_lo, v3, v3
	v_add3_u32 v3, v3, v4, 0x7fff
	v_mov_b32_e32 v4, 0x7fc0
	v_cndmask_b32_sdwa v4, v4, v3, vcc_lo dst_sel:DWORD dst_unused:UNUSED_PAD src0_sel:DWORD src1_sel:WORD_1
	s_branch .LBB76_903
.LBB76_901:
	s_mov_b32 s2, -1
                                        ; implicit-def: $vgpr4
	s_branch .LBB76_906
.LBB76_902:
	s_mov_b32 s2, -1
                                        ; implicit-def: $vgpr4
.LBB76_903:
	s_andn2_b32 vcc_lo, exec_lo, s2
	s_cbranch_vccnz .LBB76_905
; %bb.904:
	global_load_dword v3, v[0:1], off
	s_waitcnt vmcnt(0)
	v_bfe_u32 v4, v3, 16, 1
	v_cmp_o_f32_e32 vcc_lo, v3, v3
	v_add3_u32 v3, v3, v4, 0x7fff
	v_mov_b32_e32 v4, 0x7fc0
	v_cndmask_b32_sdwa v4, v4, v3, vcc_lo dst_sel:DWORD dst_unused:UNUSED_PAD src0_sel:DWORD src1_sel:WORD_1
.LBB76_905:
	s_mov_b32 s2, 0
.LBB76_906:
	s_andn2_b32 vcc_lo, exec_lo, s2
	s_cbranch_vccnz .LBB76_908
; %bb.907:
	global_load_ushort v3, v[0:1], off
	s_waitcnt vmcnt(0)
	v_cvt_f32_f16_e32 v4, v3
	v_cmp_o_f16_e32 vcc_lo, v3, v3
	v_bfe_u32 v5, v4, 16, 1
	v_add3_u32 v3, v4, v5, 0x7fff
	v_mov_b32_e32 v4, 0x7fc0
	v_cndmask_b32_sdwa v4, v4, v3, vcc_lo dst_sel:DWORD dst_unused:UNUSED_PAD src0_sel:DWORD src1_sel:WORD_1
.LBB76_908:
	s_cbranch_execnz .LBB76_927
.LBB76_909:
	s_sext_i32_i16 s2, s6
	s_cmp_lt_i32 s2, 2
	s_cbranch_scc1 .LBB76_913
; %bb.910:
	s_cmp_lt_i32 s2, 3
	s_cbranch_scc1 .LBB76_914
; %bb.911:
	s_cmp_gt_i32 s2, 3
	s_cbranch_scc0 .LBB76_915
; %bb.912:
	global_load_dwordx2 v[3:4], v[0:1], off
	s_mov_b32 s2, 0
	s_waitcnt vmcnt(0)
	v_xor_b32_e32 v5, v3, v4
	v_ffbh_i32_e32 v6, v4
	v_ashrrev_i32_e32 v5, 31, v5
	v_add_nc_u32_e32 v6, -1, v6
	v_add_nc_u32_e32 v5, 32, v5
	v_min_u32_e32 v5, v6, v5
	v_lshlrev_b64 v[3:4], v5, v[3:4]
	v_min_u32_e32 v3, 1, v3
	v_or_b32_e32 v3, v4, v3
	v_sub_nc_u32_e32 v4, 32, v5
	v_cvt_f32_i32_e32 v3, v3
	v_ldexp_f32 v3, v3, v4
	v_bfe_u32 v4, v3, 16, 1
	v_add3_u32 v3, v3, v4, 0x7fff
	v_lshrrev_b32_e32 v4, 16, v3
	s_branch .LBB76_916
.LBB76_913:
                                        ; implicit-def: $vgpr4
	s_branch .LBB76_922
.LBB76_914:
	s_mov_b32 s2, -1
                                        ; implicit-def: $vgpr4
	s_branch .LBB76_919
.LBB76_915:
	s_mov_b32 s2, -1
                                        ; implicit-def: $vgpr4
.LBB76_916:
	s_andn2_b32 vcc_lo, exec_lo, s2
	s_cbranch_vccnz .LBB76_918
; %bb.917:
	global_load_dword v3, v[0:1], off
	s_waitcnt vmcnt(0)
	v_cvt_f32_i32_e32 v3, v3
	v_bfe_u32 v4, v3, 16, 1
	v_add3_u32 v3, v3, v4, 0x7fff
	v_lshrrev_b32_e32 v4, 16, v3
.LBB76_918:
	s_mov_b32 s2, 0
.LBB76_919:
	s_andn2_b32 vcc_lo, exec_lo, s2
	s_cbranch_vccnz .LBB76_921
; %bb.920:
	global_load_sshort v3, v[0:1], off
	s_waitcnt vmcnt(0)
	v_cvt_f32_i32_e32 v3, v3
	v_bfe_u32 v4, v3, 16, 1
	v_add3_u32 v3, v3, v4, 0x7fff
	v_lshrrev_b32_e32 v4, 16, v3
.LBB76_921:
	s_cbranch_execnz .LBB76_927
.LBB76_922:
	s_sext_i32_i16 s2, s6
	s_cmp_gt_i32 s2, 0
	s_mov_b32 s2, 0
	s_cbranch_scc0 .LBB76_924
; %bb.923:
	global_load_sbyte v3, v[0:1], off
	s_waitcnt vmcnt(0)
	v_cvt_f32_i32_e32 v3, v3
	v_bfe_u32 v4, v3, 16, 1
	v_add3_u32 v3, v3, v4, 0x7fff
	v_lshrrev_b32_e32 v4, 16, v3
	s_branch .LBB76_925
.LBB76_924:
	s_mov_b32 s2, -1
                                        ; implicit-def: $vgpr4
.LBB76_925:
	s_andn2_b32 vcc_lo, exec_lo, s2
	s_cbranch_vccnz .LBB76_927
; %bb.926:
	global_load_ubyte v0, v[0:1], off
	s_waitcnt vmcnt(0)
	v_cvt_f32_ubyte0_e32 v0, v0
	v_bfe_u32 v1, v0, 16, 1
	v_add3_u32 v0, v0, v1, 0x7fff
	v_lshrrev_b32_e32 v4, 16, v0
.LBB76_927:
	s_or_b32 s0, s0, exec_lo
.LBB76_928:
	s_or_b32 exec_lo, exec_lo, s1
	s_mov_b32 s3, 0
	s_mov_b32 s2, 0
                                        ; implicit-def: $sgpr1
                                        ; implicit-def: $vgpr0_vgpr1
                                        ; implicit-def: $vgpr3
	s_and_saveexec_b32 s16, s0
	s_cbranch_execz .LBB76_942
; %bb.929:
	s_waitcnt vmcnt(0)
	v_lshlrev_b32_e32 v0, 16, v4
	v_mov_b32_e32 v3, 0
	v_mov_b32_e32 v1, 1.0
	s_mov_b32 s2, exec_lo
	v_cmpx_gt_f32_e32 0.5, v0
	s_cbranch_execz .LBB76_935
; %bb.930:
	v_mul_f32_e32 v1, 0x40490fdb, v0
                                        ; implicit-def: $vgpr5
                                        ; implicit-def: $vgpr4
	s_mov_b32 s1, exec_lo
	v_and_b32_e32 v3, 0x7fffffff, v1
	v_cmpx_ngt_f32_e64 0x48000000, |v1|
	s_xor_b32 s3, exec_lo, s1
	s_cbranch_execz .LBB76_932
; %bb.931:
	s_mov_b32 s0, 0x7fffff
	v_mov_b32_e32 v6, 0
	v_and_or_b32 v13, v3, s0, 0x800000
	v_lshrrev_b32_e32 v11, 23, v3
	v_mad_u64_u32 v[4:5], null, 0xfe5163ab, v13, 0
	v_add_nc_u32_e32 v12, 0xffffff88, v11
	v_cmp_lt_u32_e32 vcc_lo, 63, v12
	v_mad_u64_u32 v[7:8], null, 0x3c439041, v13, v[5:6]
	v_cndmask_b32_e64 v14, 0, 0xffffffc0, vcc_lo
	v_mov_b32_e32 v5, v8
	v_add_nc_u32_e32 v14, v14, v12
	v_mad_u64_u32 v[8:9], null, 0xdb629599, v13, v[5:6]
	v_cmp_lt_u32_e64 s0, 31, v14
	v_cndmask_b32_e64 v15, 0, 0xffffffe0, s0
	v_mov_b32_e32 v5, v9
	v_cndmask_b32_e32 v4, v8, v4, vcc_lo
	v_mad_u64_u32 v[9:10], null, 0xf534ddc0, v13, v[5:6]
	v_mov_b32_e32 v5, v10
	v_cndmask_b32_e32 v7, v9, v7, vcc_lo
	v_mad_u64_u32 v[10:11], null, 0xfc2757d1, v13, v[5:6]
	v_cndmask_b32_e64 v4, v7, v4, s0
	v_mov_b32_e32 v5, v11
	v_mad_u64_u32 v[11:12], null, 0x4e441529, v13, v[5:6]
	v_mov_b32_e32 v5, v12
	v_add_nc_u32_e32 v12, v15, v14
	v_cndmask_b32_e32 v14, v11, v9, vcc_lo
	v_mad_u64_u32 v[5:6], null, 0xa2f9836e, v13, v[5:6]
	v_cmp_lt_u32_e64 s1, 31, v12
	v_cndmask_b32_e64 v13, 0, 0xffffffe0, s1
	v_cndmask_b32_e32 v5, v5, v10, vcc_lo
	v_cndmask_b32_e32 v6, v6, v11, vcc_lo
	v_cndmask_b32_e32 v10, v10, v8, vcc_lo
	v_add_nc_u32_e32 v11, v13, v12
	v_cndmask_b32_e64 v9, v5, v14, s0
	v_cndmask_b32_e64 v5, v6, v5, s0
	;; [unrolled: 1-line block ×4, first 2 shown]
	v_sub_nc_u32_e32 v12, 32, v11
	v_cmp_eq_u32_e32 vcc_lo, 0, v11
	v_cndmask_b32_e64 v5, v5, v9, s1
	v_cndmask_b32_e64 v9, v9, v6, s1
	;; [unrolled: 1-line block ×4, first 2 shown]
	v_alignbit_b32 v13, v5, v9, v12
	v_alignbit_b32 v8, v9, v6, v12
	;; [unrolled: 1-line block ×3, first 2 shown]
	v_cndmask_b32_e32 v5, v13, v5, vcc_lo
	v_cndmask_b32_e32 v7, v8, v9, vcc_lo
	v_cndmask_b32_e32 v6, v11, v6, vcc_lo
	v_bfe_u32 v8, v5, 29, 1
	v_alignbit_b32 v9, v5, v7, 30
	v_alignbit_b32 v7, v7, v6, 30
	;; [unrolled: 1-line block ×3, first 2 shown]
	v_sub_nc_u32_e32 v10, 0, v8
	v_xor_b32_e32 v9, v9, v10
	v_xor_b32_e32 v6, v7, v10
	;; [unrolled: 1-line block ×3, first 2 shown]
	v_lshrrev_b32_e32 v10, 29, v5
	v_lshrrev_b32_e32 v5, 30, v5
	v_ffbh_u32_e32 v11, v9
	v_add_nc_u32_e32 v5, v8, v5
	v_min_u32_e32 v11, 32, v11
	v_sub_nc_u32_e32 v7, 31, v11
	v_lshlrev_b32_e32 v12, 23, v11
	v_alignbit_b32 v9, v9, v6, v7
	v_alignbit_b32 v4, v6, v4, v7
	v_lshlrev_b32_e32 v6, 31, v10
	v_alignbit_b32 v7, v9, v4, 9
	v_or_b32_e32 v10, 0.5, v6
	v_lshrrev_b32_e32 v9, 9, v9
	v_or_b32_e32 v6, 0x33000000, v6
	v_ffbh_u32_e32 v13, v7
	v_sub_nc_u32_e32 v10, v10, v12
	v_min_u32_e32 v12, 32, v13
	v_or_b32_e32 v9, v9, v10
	v_not_b32_e32 v10, v12
	v_mul_f32_e32 v13, 0x3fc90fda, v9
	v_add_lshl_u32 v11, v12, v11, 23
	v_alignbit_b32 v4, v7, v4, v10
	v_fma_f32 v7, 0x3fc90fda, v9, -v13
	v_sub_nc_u32_e32 v6, v6, v11
	v_lshrrev_b32_e32 v4, 9, v4
	v_fmamk_f32 v7, v9, 0x33a22168, v7
	v_or_b32_e32 v4, v6, v4
	v_fmac_f32_e32 v7, 0x3fc90fda, v4
	v_add_f32_e32 v4, v13, v7
.LBB76_932:
	s_andn2_saveexec_b32 s0, s3
; %bb.933:
	v_mul_f32_e64 v4, 0x3f22f983, |v1|
	v_rndne_f32_e32 v5, v4
	v_fma_f32 v4, 0xbfc90fda, v5, |v1|
	v_fmamk_f32 v4, v5, 0xb3a22168, v4
	v_fmamk_f32 v4, v5, 0xa7c234c4, v4
	v_cvt_i32_f32_e32 v5, v5
; %bb.934:
	s_or_b32 exec_lo, exec_lo, s0
	v_mul_f32_e32 v6, v4, v4
	s_mov_b32 s0, 0xb94c1982
	s_mov_b32 s1, 0x37d75334
	v_and_b32_e32 v9, 1, v5
	v_lshlrev_b32_e32 v5, 30, v5
	v_fmaak_f32 v7, s0, v6, 0x3c0881c4
	v_fmaak_f32 v8, s1, v6, 0xbab64f3b
	v_xor_b32_e32 v3, v3, v1
	v_cmp_eq_u32_e32 vcc_lo, 0, v9
	v_and_b32_e32 v5, 0x80000000, v5
	v_fmaak_f32 v7, v6, v7, 0xbe2aaa9d
	v_fmaak_f32 v8, v6, v8, 0x3d2aabf7
	v_sub_f32_e32 v0, 1.0, v0
	v_mul_f32_e32 v7, v6, v7
	v_fmaak_f32 v8, v6, v8, 0xbf000004
	v_fmac_f32_e32 v4, v4, v7
	v_fma_f32 v6, v6, v8, 1.0
	v_cndmask_b32_e32 v4, v6, v4, vcc_lo
	v_cmp_class_f32_e64 vcc_lo, v1, 0x1f8
	v_xor3_b32 v3, v3, v5, v4
	v_cndmask_b32_e32 v1, 0x7fc00000, v3, vcc_lo
	v_mul_f32_e32 v1, v1, v1
	v_div_scale_f32 v3, null, v1, v1, 0xc11de9e7
	v_div_scale_f32 v6, vcc_lo, 0xc11de9e7, v1, 0xc11de9e7
	v_rcp_f32_e32 v4, v3
	v_fma_f32 v5, -v3, v4, 1.0
	v_fmac_f32_e32 v4, v5, v4
	v_mul_f32_e32 v5, v6, v4
	v_fma_f32 v7, -v3, v5, v6
	v_fmac_f32_e32 v5, v7, v4
	v_fma_f32 v3, -v3, v5, v6
	v_div_fmas_f32 v3, v3, v4, v5
	v_div_fixup_f32 v1, v3, v1, 0xc11de9e7
	v_add_f32_e32 v3, 0, v1
	v_mov_b32_e32 v1, -1.0
.LBB76_935:
	s_or_b32 exec_lo, exec_lo, s2
	v_add_f32_e32 v4, 1.0, v0
	v_mul_f32_e32 v0, v0, v0
	v_mul_f32_e32 v5, v4, v4
	v_add_f32_e32 v4, 1.0, v4
	v_div_scale_f32 v6, null, v0, v0, 1.0
	v_div_scale_f32 v8, vcc_lo, 1.0, v0, 1.0
	v_mul_f32_e32 v9, v4, v4
	v_div_scale_f32 v7, null, v5, v5, 1.0
	v_rcp_f32_e32 v10, v6
	v_div_scale_f32 v13, s0, 1.0, v5, 1.0
	v_div_scale_f32 v12, null, v9, v9, 1.0
	v_rcp_f32_e32 v11, v7
	v_add_f32_e32 v4, 1.0, v4
	v_div_scale_f32 v14, s1, 1.0, v9, 1.0
	v_rcp_f32_e32 v15, v12
	v_fma_f32 v17, -v6, v10, 1.0
	v_mul_f32_e32 v16, v4, v4
	v_add_f32_e32 v4, 1.0, v4
	v_fma_f32 v18, -v7, v11, 1.0
	v_fmac_f32_e32 v10, v17, v10
	v_mul_f32_e32 v20, v4, v4
	v_add_f32_e32 v4, 1.0, v4
	v_fma_f32 v17, -v12, v15, 1.0
	v_fmac_f32_e32 v11, v18, v11
	v_mul_f32_e32 v21, v8, v10
	v_div_scale_f32 v19, null, v16, v16, 1.0
	v_fmac_f32_e32 v15, v17, v15
	v_mul_f32_e32 v22, v13, v11
	v_fma_f32 v23, -v6, v21, v8
	v_add_f32_e32 v26, 1.0, v4
	v_rcp_f32_e32 v18, v19
	v_mul_f32_e32 v25, v14, v15
	v_fma_f32 v24, -v7, v22, v13
	v_fmac_f32_e32 v21, v23, v10
	v_mul_f32_e32 v4, v4, v4
	v_div_scale_f32 v17, null, v20, v20, 1.0
	v_fma_f32 v23, -v12, v25, v14
	v_fmac_f32_e32 v22, v24, v11
	v_fma_f32 v6, -v6, v21, v8
	v_mul_f32_e32 v8, v26, v26
	v_rcp_f32_e32 v24, v17
	v_fmac_f32_e32 v25, v23, v15
	v_fma_f32 v7, -v7, v22, v13
	v_div_fmas_f32 v6, v6, v10, v21
	s_mov_b32 vcc_lo, s0
	v_fma_f32 v27, -v19, v18, 1.0
	v_fma_f32 v10, -v12, v25, v14
	v_div_fmas_f32 v7, v7, v11, v22
	s_mov_b32 vcc_lo, s1
	v_div_scale_f32 v11, null, v4, v4, 1.0
	v_div_fmas_f32 v10, v10, v15, v25
	v_div_scale_f32 v12, null, v8, v8, 1.0
	v_add_f32_e32 v15, v26, v26
	v_rcp_f32_e32 v14, v11
	v_fmac_f32_e32 v18, v27, v18
	v_rcp_f32_e32 v22, v12
	v_div_scale_f32 v13, vcc_lo, 1.0, v16, 1.0
	v_div_scale_f32 v25, null, v15, v15, 1.0
	v_fma_f32 v21, -v17, v24, 1.0
	v_mul_f32_e32 v23, v13, v18
	v_div_fixup_f32 v0, v6, v0, 1.0
	v_rcp_f32_e32 v28, v25
	v_fma_f32 v27, -v11, v14, 1.0
	v_fmac_f32_e32 v24, v21, v24
	v_div_scale_f32 v21, s0, 1.0, v20, 1.0
	v_fma_f32 v30, -v12, v22, 1.0
	v_fma_f32 v29, -v19, v23, v13
	v_fmac_f32_e32 v14, v27, v14
	v_div_scale_f32 v27, s1, 1.0, v4, 1.0
	v_mul_f32_e32 v31, v21, v24
	v_fmac_f32_e32 v22, v30, v22
	v_div_scale_f32 v30, s2, 1.0, v8, 1.0
	v_fma_f32 v32, -v25, v28, 1.0
	v_fmac_f32_e32 v23, v29, v18
	v_mul_f32_e32 v33, v27, v14
	v_fma_f32 v29, -v17, v31, v21
	v_mul_f32_e32 v34, v30, v22
	v_fmac_f32_e32 v28, v32, v28
	v_div_scale_f32 v32, s3, 1.0, v15, 1.0
	v_fma_f32 v13, -v19, v23, v13
	v_fma_f32 v19, -v11, v33, v27
	v_fmac_f32_e32 v31, v29, v24
	v_fma_f32 v29, -v12, v34, v30
	v_mul_f32_e32 v35, v32, v28
	v_div_fmas_f32 v13, v13, v18, v23
	v_fmac_f32_e32 v33, v19, v14
	v_fma_f32 v17, -v17, v31, v21
	v_fmac_f32_e32 v34, v29, v22
	v_fma_f32 v18, -v25, v35, v32
	s_mov_b32 vcc_lo, s0
	v_fma_f32 v11, -v11, v33, v27
	v_div_fmas_f32 v17, v17, v24, v31
	v_fma_f32 v12, -v12, v34, v30
	v_fmac_f32_e32 v35, v18, v28
	s_mov_b32 vcc_lo, s1
	s_mov_b32 s0, 0xbcc30c31
	v_div_fmas_f32 v11, v11, v14, v33
	s_mov_b32 vcc_lo, s2
	v_fma_f32 v14, -v25, v35, v32
	v_div_fmas_f32 v12, v12, v22, v34
	s_mov_b32 vcc_lo, s3
	v_add_f32_e32 v0, v3, v0
	v_div_fixup_f32 v3, v7, v5, 1.0
	v_div_fmas_f32 v14, v14, v28, v35
	v_div_fixup_f32 v8, v12, v8, 1.0
	s_and_b32 s1, s4, 0xff
	v_add_f32_e32 v0, v0, v3
	v_div_fixup_f32 v12, v14, v15, 1.0
	v_fmaak_f32 v14, s0, v8, 0x3d088889
	v_div_fixup_f32 v3, v10, v9, 1.0
	s_cmp_lt_i32 s1, 11
	v_add_f32_e32 v12, 1.0, v12
	v_fma_f32 v14, -v8, v14, 0x3e2aaaab
	v_add_f32_e32 v0, v0, v3
	v_div_fixup_f32 v3, v13, v16, 1.0
	v_fmac_f32_e32 v12, v8, v14
	v_add_f32_e32 v0, v0, v3
	v_div_fixup_f32 v3, v17, v20, 1.0
	v_div_scale_f32 v8, null, v26, v26, v12
	v_div_scale_f32 v5, vcc_lo, v12, v26, v12
	v_add_f32_e32 v0, v0, v3
	v_rcp_f32_e32 v14, v8
	v_div_fixup_f32 v3, v11, v4, 1.0
	v_add_f32_e32 v0, v0, v3
	v_fma_f32 v6, -v8, v14, 1.0
	v_fmac_f32_e32 v14, v6, v14
	v_mul_f32_e32 v6, v5, v14
	v_fma_f32 v7, -v8, v6, v5
	v_fmac_f32_e32 v6, v7, v14
	v_fma_f32 v5, -v8, v6, v5
	v_div_fmas_f32 v4, v5, v14, v6
	v_div_fixup_f32 v3, v4, v26, v12
	v_add_f32_e32 v0, v0, v3
	v_mov_b32_e32 v3, 0x7fc0
	v_mul_f32_e32 v0, v1, v0
	v_mul_lo_u32 v1, v2, s12
	v_bfe_u32 v2, v0, 16, 1
	v_cmp_o_f32_e32 vcc_lo, v0, v0
	v_ashrrev_i32_e32 v4, 31, v1
	v_add3_u32 v2, v0, v2, 0x7fff
	v_add_co_u32 v0, s0, s8, v1
	v_add_co_ci_u32_e64 v1, null, s9, v4, s0
	v_cndmask_b32_sdwa v3, v3, v2, vcc_lo dst_sel:DWORD dst_unused:UNUSED_PAD src0_sel:DWORD src1_sel:WORD_1
	s_cbranch_scc1 .LBB76_945
; %bb.936:
	s_and_b32 s2, 0xffff, s1
	s_mov_b32 s3, -1
	s_cmp_gt_i32 s2, 25
	s_mov_b32 s0, s14
	s_cbranch_scc0 .LBB76_973
; %bb.937:
	s_cmp_gt_i32 s2, 28
	s_mov_b32 s0, s14
	s_cbranch_scc0 .LBB76_957
; %bb.938:
	;; [unrolled: 4-line block ×4, first 2 shown]
	s_cmp_eq_u32 s2, 46
	s_mov_b32 s0, -1
	s_cbranch_scc0 .LBB76_946
; %bb.941:
	v_and_b32_e32 v2, 0xffff, v3
	s_mov_b32 s0, 0
	s_mov_b32 s3, 0
	global_store_dword v[0:1], v2, off
	s_branch .LBB76_947
.LBB76_942:
	s_or_b32 exec_lo, exec_lo, s16
	s_and_saveexec_b32 s0, s14
	s_cbranch_execnz .LBB76_1015
.LBB76_943:
	s_or_b32 exec_lo, exec_lo, s0
	s_and_saveexec_b32 s0, s3
	s_xor_b32 s0, exec_lo, s0
	s_cbranch_execz .LBB76_1016
.LBB76_944:
	s_waitcnt vmcnt(0)
	v_and_b32_e32 v2, 0x7fff, v3
	v_cmp_ne_u16_e32 vcc_lo, 0, v2
	v_cndmask_b32_e64 v2, 0, 1, vcc_lo
	global_store_byte v[0:1], v2, off
	s_or_b32 exec_lo, exec_lo, s0
	s_and_saveexec_b32 s0, s2
	s_xor_b32 s0, exec_lo, s0
	s_cbranch_execz .LBB76_1054
	s_branch .LBB76_1017
.LBB76_945:
	s_mov_b32 s17, 0
	s_mov_b32 s3, -1
	s_mov_b32 s0, s14
	s_branch .LBB76_1014
.LBB76_946:
	s_mov_b32 s3, 0
.LBB76_947:
	s_and_b32 vcc_lo, exec_lo, s3
	s_cbranch_vccz .LBB76_952
; %bb.948:
	s_cmp_eq_u32 s2, 44
	s_mov_b32 s0, -1
	s_cbranch_scc0 .LBB76_952
; %bb.949:
	v_and_b32_e32 v2, 0xffff, v3
	v_mov_b32_e32 v4, 0xff
	s_mov_b32 s3, exec_lo
	v_bfe_u32 v5, v2, 7, 8
	v_cmpx_ne_u32_e32 0xff, v5
	s_cbranch_execz .LBB76_951
; %bb.950:
	v_lshlrev_b32_e32 v4, 16, v2
	v_and_b32_e32 v6, 64, v2
	v_lshrrev_b32_e32 v2, 7, v2
	v_and_or_b32 v4, 0x3f0000, v4, v5
	v_cmp_ne_u32_e32 vcc_lo, 0, v6
	v_cmp_ne_u32_e64 s0, 0, v4
	s_and_b32 s0, vcc_lo, s0
	v_cndmask_b32_e64 v4, 0, 1, s0
	v_add_nc_u32_e32 v4, v2, v4
.LBB76_951:
	s_or_b32 exec_lo, exec_lo, s3
	s_mov_b32 s0, 0
	global_store_byte v[0:1], v4, off
.LBB76_952:
	s_mov_b32 s3, 0
.LBB76_953:
	s_and_b32 vcc_lo, exec_lo, s3
	s_cbranch_vccz .LBB76_956
; %bb.954:
	s_cmp_eq_u32 s2, 29
	s_mov_b32 s0, -1
	s_cbranch_scc0 .LBB76_956
; %bb.955:
	v_lshlrev_b32_e32 v2, 16, v3
	s_mov_b32 s0, 0
	s_mov_b32 s3, 0
	v_trunc_f32_e32 v2, v2
	v_mul_f32_e32 v4, 0x2f800000, v2
	v_floor_f32_e32 v4, v4
	v_fmamk_f32 v2, v4, 0xcf800000, v2
	v_cvt_u32_f32_e32 v5, v4
	v_cvt_u32_f32_e32 v4, v2
	global_store_dwordx2 v[0:1], v[4:5], off
	s_branch .LBB76_957
.LBB76_956:
	s_mov_b32 s3, 0
.LBB76_957:
	s_and_b32 vcc_lo, exec_lo, s3
	s_cbranch_vccz .LBB76_972
; %bb.958:
	s_cmp_lt_i32 s2, 27
	s_mov_b32 s3, -1
	s_cbranch_scc1 .LBB76_964
; %bb.959:
	s_cmp_gt_i32 s2, 27
	s_cbranch_scc0 .LBB76_961
; %bb.960:
	v_lshlrev_b32_e32 v2, 16, v3
	s_mov_b32 s3, 0
	v_cvt_u32_f32_e32 v2, v2
	global_store_dword v[0:1], v2, off
.LBB76_961:
	s_andn2_b32 vcc_lo, exec_lo, s3
	s_cbranch_vccnz .LBB76_963
; %bb.962:
	v_lshlrev_b32_e32 v2, 16, v3
	v_cvt_u32_f32_e32 v2, v2
	global_store_short v[0:1], v2, off
.LBB76_963:
	s_mov_b32 s3, 0
.LBB76_964:
	s_andn2_b32 vcc_lo, exec_lo, s3
	s_cbranch_vccnz .LBB76_972
; %bb.965:
	v_lshlrev_b32_e32 v5, 16, v3
	v_mov_b32_e32 v6, 0x80
	s_mov_b32 s3, exec_lo
	v_and_b32_e32 v4, 0x7fffffff, v5
	v_cmpx_gt_u32_e32 0x43800000, v4
	s_cbranch_execz .LBB76_971
; %bb.966:
	v_and_b32_e32 v2, 0xffff, v3
	v_cmp_lt_u32_e32 vcc_lo, 0x3bffffff, v4
	s_mov_b32 s17, 0
                                        ; implicit-def: $vgpr4
	s_and_saveexec_b32 s18, vcc_lo
	s_xor_b32 s18, exec_lo, s18
	s_cbranch_execz .LBB76_1069
; %bb.967:
	v_bfe_u32 v4, v2, 4, 1
	s_mov_b32 s17, exec_lo
	v_add3_u32 v4, v5, v4, 0x487ffff
                                        ; implicit-def: $vgpr5
	v_lshrrev_b32_e32 v4, 20, v4
	s_andn2_saveexec_b32 s18, s18
	s_cbranch_execnz .LBB76_1070
.LBB76_968:
	s_or_b32 exec_lo, exec_lo, s18
	v_mov_b32_e32 v6, 0
	s_and_saveexec_b32 s18, s17
.LBB76_969:
	v_lshrrev_b32_e32 v2, 8, v2
	v_and_or_b32 v6, 0x80, v2, v4
.LBB76_970:
	s_or_b32 exec_lo, exec_lo, s18
.LBB76_971:
	s_or_b32 exec_lo, exec_lo, s3
	global_store_byte v[0:1], v6, off
.LBB76_972:
	s_mov_b32 s3, 0
.LBB76_973:
	s_and_b32 vcc_lo, exec_lo, s3
	s_mov_b32 s3, 0
	s_cbranch_vccz .LBB76_1013
; %bb.974:
	s_cmp_gt_i32 s2, 22
	s_mov_b32 s17, -1
	s_cbranch_scc0 .LBB76_1006
; %bb.975:
	s_cmp_lt_i32 s2, 24
	s_cbranch_scc1 .LBB76_995
; %bb.976:
	s_cmp_gt_i32 s2, 24
	s_cbranch_scc0 .LBB76_984
; %bb.977:
	v_lshlrev_b32_e32 v5, 16, v3
	v_mov_b32_e32 v6, 0x80
	s_mov_b32 s17, exec_lo
	v_and_b32_e32 v4, 0x7fffffff, v5
	v_cmpx_gt_u32_e32 0x47800000, v4
	s_cbranch_execz .LBB76_983
; %bb.978:
	v_and_b32_e32 v2, 0xffff, v3
	v_cmp_lt_u32_e32 vcc_lo, 0x37ffffff, v4
	s_mov_b32 s18, 0
                                        ; implicit-def: $vgpr4
	s_and_saveexec_b32 s19, vcc_lo
	s_xor_b32 s19, exec_lo, s19
	s_cbranch_execz .LBB76_1201
; %bb.979:
	v_bfe_u32 v4, v2, 5, 1
	s_mov_b32 s18, exec_lo
	v_add3_u32 v4, v5, v4, 0x88fffff
                                        ; implicit-def: $vgpr5
	v_lshrrev_b32_e32 v4, 21, v4
	s_andn2_saveexec_b32 s19, s19
	s_cbranch_execnz .LBB76_1202
.LBB76_980:
	s_or_b32 exec_lo, exec_lo, s19
	v_mov_b32_e32 v6, 0
	s_and_saveexec_b32 s19, s18
.LBB76_981:
	v_lshrrev_b32_e32 v2, 8, v2
	v_and_or_b32 v6, 0x80, v2, v4
.LBB76_982:
	s_or_b32 exec_lo, exec_lo, s19
.LBB76_983:
	s_or_b32 exec_lo, exec_lo, s17
	s_mov_b32 s17, 0
	global_store_byte v[0:1], v6, off
.LBB76_984:
	s_and_b32 vcc_lo, exec_lo, s17
	s_cbranch_vccz .LBB76_994
; %bb.985:
	v_lshlrev_b32_e32 v5, 16, v3
	v_and_b32_e32 v2, 0xffff, v3
	s_mov_b32 s17, exec_lo
                                        ; implicit-def: $vgpr4
	v_and_b32_e32 v6, 0x7fffffff, v5
	v_cmpx_gt_u32_e32 0x43f00000, v6
	s_xor_b32 s17, exec_lo, s17
	s_cbranch_execz .LBB76_991
; %bb.986:
	s_mov_b32 s18, exec_lo
                                        ; implicit-def: $vgpr4
	v_cmpx_lt_u32_e32 0x3c7fffff, v6
	s_xor_b32 s18, exec_lo, s18
; %bb.987:
	v_bfe_u32 v4, v2, 4, 1
	v_add3_u32 v4, v5, v4, 0x407ffff
	v_and_b32_e32 v5, 0xff00000, v4
	v_lshrrev_b32_e32 v4, 20, v4
	v_cmp_ne_u32_e32 vcc_lo, 0x7f00000, v5
                                        ; implicit-def: $vgpr5
	v_cndmask_b32_e32 v4, 0x7e, v4, vcc_lo
; %bb.988:
	s_andn2_saveexec_b32 s18, s18
; %bb.989:
	v_add_f32_e64 v4, 0x46800000, |v5|
; %bb.990:
	s_or_b32 exec_lo, exec_lo, s18
                                        ; implicit-def: $vgpr6
.LBB76_991:
	s_andn2_saveexec_b32 s17, s17
; %bb.992:
	v_mov_b32_e32 v4, 0x7f
	v_cmp_lt_u32_e32 vcc_lo, 0x7f800000, v6
	v_cndmask_b32_e32 v4, 0x7e, v4, vcc_lo
; %bb.993:
	s_or_b32 exec_lo, exec_lo, s17
	v_lshrrev_b32_e32 v2, 8, v2
	v_and_or_b32 v2, 0x80, v2, v4
	global_store_byte v[0:1], v2, off
.LBB76_994:
	s_mov_b32 s17, 0
.LBB76_995:
	s_andn2_b32 vcc_lo, exec_lo, s17
	s_cbranch_vccnz .LBB76_1005
; %bb.996:
	v_lshlrev_b32_e32 v5, 16, v3
	v_and_b32_e32 v2, 0xffff, v3
	s_mov_b32 s17, exec_lo
                                        ; implicit-def: $vgpr4
	v_and_b32_e32 v6, 0x7fffffff, v5
	v_cmpx_gt_u32_e32 0x47800000, v6
	s_xor_b32 s17, exec_lo, s17
	s_cbranch_execz .LBB76_1002
; %bb.997:
	s_mov_b32 s18, exec_lo
                                        ; implicit-def: $vgpr4
	v_cmpx_lt_u32_e32 0x387fffff, v6
	s_xor_b32 s18, exec_lo, s18
; %bb.998:
	v_bfe_u32 v4, v2, 5, 1
	v_add3_u32 v4, v5, v4, 0x80fffff
                                        ; implicit-def: $vgpr5
	v_lshrrev_b32_e32 v4, 21, v4
; %bb.999:
	s_andn2_saveexec_b32 s18, s18
; %bb.1000:
	v_add_f32_e64 v4, 0x43000000, |v5|
; %bb.1001:
	s_or_b32 exec_lo, exec_lo, s18
                                        ; implicit-def: $vgpr6
.LBB76_1002:
	s_andn2_saveexec_b32 s17, s17
; %bb.1003:
	v_mov_b32_e32 v4, 0x7f
	v_cmp_lt_u32_e32 vcc_lo, 0x7f800000, v6
	v_cndmask_b32_e32 v4, 0x7c, v4, vcc_lo
; %bb.1004:
	s_or_b32 exec_lo, exec_lo, s17
	v_lshrrev_b32_e32 v2, 8, v2
	v_and_or_b32 v2, 0x80, v2, v4
	global_store_byte v[0:1], v2, off
.LBB76_1005:
	s_mov_b32 s17, 0
.LBB76_1006:
	s_andn2_b32 vcc_lo, exec_lo, s17
	s_mov_b32 s17, 0
	s_cbranch_vccnz .LBB76_1014
; %bb.1007:
	s_cmp_gt_i32 s2, 14
	s_mov_b32 s17, -1
	s_cbranch_scc0 .LBB76_1011
; %bb.1008:
	s_cmp_eq_u32 s2, 15
	s_mov_b32 s0, -1
	s_cbranch_scc0 .LBB76_1010
; %bb.1009:
	s_mov_b32 s0, 0
	global_store_short v[0:1], v3, off
.LBB76_1010:
	s_mov_b32 s17, 0
.LBB76_1011:
	s_and_b32 vcc_lo, exec_lo, s17
	s_mov_b32 s17, 0
	s_cbranch_vccz .LBB76_1014
; %bb.1012:
	s_cmp_lg_u32 s2, 11
	s_mov_b32 s17, -1
	s_cselect_b32 s2, -1, 0
	s_andn2_b32 s0, s0, exec_lo
	s_and_b32 s2, s2, exec_lo
	s_or_b32 s0, s0, s2
	s_branch .LBB76_1014
.LBB76_1013:
	s_mov_b32 s17, 0
.LBB76_1014:
	s_andn2_b32 s14, s14, exec_lo
	s_and_b32 s0, s0, exec_lo
	s_and_b32 s2, s3, exec_lo
	;; [unrolled: 1-line block ×3, first 2 shown]
	s_or_b32 s14, s14, s0
	s_or_b32 exec_lo, exec_lo, s16
	s_and_saveexec_b32 s0, s14
	s_cbranch_execz .LBB76_943
.LBB76_1015:
	s_or_b32 s15, s15, exec_lo
	s_andn2_b32 s3, s3, exec_lo
	s_trap 2
	s_or_b32 exec_lo, exec_lo, s0
	s_and_saveexec_b32 s0, s3
	s_xor_b32 s0, exec_lo, s0
	s_cbranch_execnz .LBB76_944
.LBB76_1016:
	s_or_b32 exec_lo, exec_lo, s0
	s_and_saveexec_b32 s0, s2
	s_xor_b32 s0, exec_lo, s0
	s_cbranch_execz .LBB76_1054
.LBB76_1017:
	s_sext_i32_i16 s3, s1
	s_mov_b32 s2, -1
	s_cmp_lt_i32 s3, 5
	s_cbranch_scc1 .LBB76_1038
; %bb.1018:
	s_cmp_lt_i32 s3, 8
	s_cbranch_scc1 .LBB76_1028
; %bb.1019:
	;; [unrolled: 3-line block ×3, first 2 shown]
	s_cmp_gt_i32 s3, 9
	s_cbranch_scc0 .LBB76_1022
; %bb.1021:
	s_waitcnt vmcnt(0)
	v_lshlrev_b32_e32 v2, 16, v3
	v_mov_b32_e32 v6, 0
	s_mov_b32 s2, 0
	v_cvt_f64_f32_e32 v[4:5], v2
	v_mov_b32_e32 v7, v6
	global_store_dwordx4 v[0:1], v[4:7], off
.LBB76_1022:
	s_andn2_b32 vcc_lo, exec_lo, s2
	s_cbranch_vccnz .LBB76_1024
; %bb.1023:
	s_waitcnt vmcnt(0)
	v_lshlrev_b32_e32 v4, 16, v3
	v_mov_b32_e32 v5, 0
	global_store_dwordx2 v[0:1], v[4:5], off
.LBB76_1024:
	s_mov_b32 s2, 0
.LBB76_1025:
	s_andn2_b32 vcc_lo, exec_lo, s2
	s_cbranch_vccnz .LBB76_1027
; %bb.1026:
	s_waitcnt vmcnt(0)
	v_lshlrev_b32_e32 v2, 16, v3
	v_cvt_f16_f32_e32 v2, v2
	v_and_b32_e32 v2, 0xffff, v2
	global_store_dword v[0:1], v2, off
.LBB76_1027:
	s_mov_b32 s2, 0
.LBB76_1028:
	s_andn2_b32 vcc_lo, exec_lo, s2
	s_cbranch_vccnz .LBB76_1037
; %bb.1029:
	s_sext_i32_i16 s3, s1
	s_mov_b32 s2, -1
	s_cmp_lt_i32 s3, 6
	s_cbranch_scc1 .LBB76_1035
; %bb.1030:
	s_cmp_gt_i32 s3, 6
	s_cbranch_scc0 .LBB76_1032
; %bb.1031:
	s_waitcnt vmcnt(0)
	v_lshlrev_b32_e32 v2, 16, v3
	s_mov_b32 s2, 0
	v_cvt_f64_f32_e32 v[4:5], v2
	global_store_dwordx2 v[0:1], v[4:5], off
.LBB76_1032:
	s_andn2_b32 vcc_lo, exec_lo, s2
	s_cbranch_vccnz .LBB76_1034
; %bb.1033:
	s_waitcnt vmcnt(0)
	v_lshlrev_b32_e32 v2, 16, v3
	global_store_dword v[0:1], v2, off
.LBB76_1034:
	s_mov_b32 s2, 0
.LBB76_1035:
	s_andn2_b32 vcc_lo, exec_lo, s2
	s_cbranch_vccnz .LBB76_1037
; %bb.1036:
	s_waitcnt vmcnt(0)
	v_lshlrev_b32_e32 v2, 16, v3
	v_cvt_f16_f32_e32 v2, v2
	global_store_short v[0:1], v2, off
.LBB76_1037:
	s_mov_b32 s2, 0
.LBB76_1038:
	s_andn2_b32 vcc_lo, exec_lo, s2
	s_cbranch_vccnz .LBB76_1054
; %bb.1039:
	s_sext_i32_i16 s3, s1
	s_mov_b32 s2, -1
	s_cmp_lt_i32 s3, 2
	s_cbranch_scc1 .LBB76_1049
; %bb.1040:
	s_cmp_lt_i32 s3, 3
	s_cbranch_scc1 .LBB76_1046
; %bb.1041:
	s_cmp_gt_i32 s3, 3
	s_cbranch_scc0 .LBB76_1043
; %bb.1042:
	s_waitcnt vmcnt(0)
	v_lshlrev_b32_e32 v2, 16, v3
	s_mov_b32 s2, 0
	v_trunc_f32_e32 v2, v2
	v_mul_f32_e64 v4, 0x2f800000, |v2|
	v_floor_f32_e32 v4, v4
	v_fma_f32 v5, 0xcf800000, v4, |v2|
	v_ashrrev_i32_e32 v2, 31, v2
	v_cvt_u32_f32_e32 v4, v4
	v_cvt_u32_f32_e32 v5, v5
	v_xor_b32_e32 v6, v4, v2
	v_xor_b32_e32 v5, v5, v2
	v_sub_co_u32 v4, vcc_lo, v5, v2
	v_sub_co_ci_u32_e64 v5, null, v6, v2, vcc_lo
	global_store_dwordx2 v[0:1], v[4:5], off
.LBB76_1043:
	s_andn2_b32 vcc_lo, exec_lo, s2
	s_cbranch_vccnz .LBB76_1045
; %bb.1044:
	s_waitcnt vmcnt(0)
	v_lshlrev_b32_e32 v2, 16, v3
	v_cvt_i32_f32_e32 v2, v2
	global_store_dword v[0:1], v2, off
.LBB76_1045:
	s_mov_b32 s2, 0
.LBB76_1046:
	s_andn2_b32 vcc_lo, exec_lo, s2
	s_cbranch_vccnz .LBB76_1048
; %bb.1047:
	s_waitcnt vmcnt(0)
	v_lshlrev_b32_e32 v2, 16, v3
	v_cvt_i32_f32_e32 v2, v2
	global_store_short v[0:1], v2, off
.LBB76_1048:
	s_mov_b32 s2, 0
.LBB76_1049:
	s_andn2_b32 vcc_lo, exec_lo, s2
	s_cbranch_vccnz .LBB76_1054
; %bb.1050:
	s_waitcnt vmcnt(0)
	v_lshlrev_b32_e32 v2, 16, v3
	s_sext_i32_i16 s1, s1
	s_cmp_gt_i32 s1, 0
	s_mov_b32 s1, -1
	s_cbranch_scc0 .LBB76_1052
; %bb.1051:
	v_cvt_i32_f32_e32 v3, v2
	s_mov_b32 s1, 0
	global_store_byte v[0:1], v3, off
.LBB76_1052:
	s_andn2_b32 vcc_lo, exec_lo, s1
	s_cbranch_vccnz .LBB76_1054
; %bb.1053:
	v_trunc_f32_e32 v2, v2
	v_mul_f32_e64 v3, 0x2f800000, |v2|
	v_floor_f32_e32 v3, v3
	v_fma_f32 v3, 0xcf800000, v3, |v2|
	v_ashrrev_i32_e32 v2, 31, v2
	v_cvt_u32_f32_e32 v3, v3
	v_xor_b32_e32 v3, v3, v2
	v_sub_nc_u32_e32 v2, v3, v2
	global_store_byte v[0:1], v2, off
.LBB76_1054:
	s_or_b32 exec_lo, exec_lo, s0
	s_and_b32 s14, s15, exec_lo
                                        ; implicit-def: $vgpr2
.LBB76_1055:
	s_or_saveexec_b32 s7, s7
	s_mov_b32 s0, 0
                                        ; implicit-def: $sgpr15
                                        ; implicit-def: $vgpr0_vgpr1
                                        ; implicit-def: $vgpr3
	s_xor_b32 exec_lo, exec_lo, s7
	s_cbranch_execz .LBB76_2031
; %bb.1056:
	v_mul_lo_u32 v6, s13, v2
	s_and_b32 s2, 0xffff, s6
	s_cmp_lt_i32 s2, 11
	v_ashrrev_i32_e32 v1, 31, v6
	v_add_co_u32 v0, vcc_lo, s10, v6
	v_add_co_ci_u32_e64 v1, null, s11, v1, vcc_lo
	s_cbranch_scc1 .LBB76_1063
; %bb.1057:
	s_cmp_gt_i32 s2, 25
	s_mov_b32 s1, 0
	s_cbranch_scc0 .LBB76_1065
; %bb.1058:
	s_cmp_gt_i32 s2, 28
	s_cbranch_scc0 .LBB76_1066
; %bb.1059:
	s_cmp_gt_i32 s2, 43
	;; [unrolled: 3-line block ×3, first 2 shown]
	s_cbranch_scc0 .LBB76_1068
; %bb.1061:
	s_cmp_eq_u32 s2, 46
	s_cbranch_scc0 .LBB76_1071
; %bb.1062:
	global_load_dword v3, v[0:1], off
	s_mov_b32 s3, -1
	s_branch .LBB76_1073
.LBB76_1063:
	s_mov_b32 s3, 0
	s_mov_b32 s5, s14
                                        ; implicit-def: $vgpr3
	s_cbranch_execnz .LBB76_1136
.LBB76_1064:
	s_andn2_b32 vcc_lo, exec_lo, s3
	s_cbranch_vccz .LBB76_1181
	s_branch .LBB76_2029
.LBB76_1065:
	s_mov_b32 s3, 0
                                        ; implicit-def: $vgpr3
	s_cbranch_execnz .LBB76_1101
	s_branch .LBB76_1132
.LBB76_1066:
	s_mov_b32 s5, -1
	s_mov_b32 s3, 0
                                        ; implicit-def: $vgpr3
	s_branch .LBB76_1082
.LBB76_1067:
	s_mov_b32 s3, 0
                                        ; implicit-def: $vgpr3
	s_cbranch_execnz .LBB76_1078
	s_branch .LBB76_1081
.LBB76_1068:
	s_mov_b32 s5, -1
	s_branch .LBB76_1072
.LBB76_1069:
	s_andn2_saveexec_b32 s18, s18
	s_cbranch_execz .LBB76_968
.LBB76_1070:
	v_add_f32_e64 v4, 0x46000000, |v5|
	s_andn2_b32 s17, s17, exec_lo
	v_and_b32_e32 v4, 0xff, v4
	v_cmp_ne_u32_e32 vcc_lo, 0, v4
	s_and_b32 s19, vcc_lo, exec_lo
	s_or_b32 s17, s17, s19
	s_or_b32 exec_lo, exec_lo, s18
	v_mov_b32_e32 v6, 0
	s_and_saveexec_b32 s18, s17
	s_cbranch_execnz .LBB76_969
	s_branch .LBB76_970
.LBB76_1071:
	s_mov_b32 s0, -1
.LBB76_1072:
	s_mov_b32 s3, 0
                                        ; implicit-def: $vgpr3
.LBB76_1073:
	s_and_b32 vcc_lo, exec_lo, s5
	s_cbranch_vccz .LBB76_1076
; %bb.1074:
	s_cmp_eq_u32 s2, 44
	s_cbranch_scc0 .LBB76_1077
; %bb.1075:
	global_load_ubyte v3, v[0:1], off
	s_mov_b32 s0, 0
	s_mov_b32 s3, -1
	s_waitcnt vmcnt(0)
	v_lshlrev_b32_e32 v4, 23, v3
	v_cmp_ne_u32_e32 vcc_lo, 0xff, v3
	v_cndmask_b32_e32 v4, 0x7f800001, v4, vcc_lo
	v_cmp_ne_u32_e32 vcc_lo, 0, v3
	v_cndmask_b32_e32 v3, 0x400000, v4, vcc_lo
	v_mov_b32_e32 v4, 0x7fc0
	v_cmp_o_f32_e32 vcc_lo, v3, v3
	v_add_nc_u32_e32 v3, 0x7fff, v3
	v_cndmask_b32_sdwa v3, v4, v3, vcc_lo dst_sel:DWORD dst_unused:UNUSED_PAD src0_sel:DWORD src1_sel:WORD_1
.LBB76_1076:
	s_branch .LBB76_1081
.LBB76_1077:
	s_mov_b32 s0, -1
                                        ; implicit-def: $vgpr3
	s_branch .LBB76_1081
.LBB76_1078:
	s_cmp_eq_u32 s2, 29
	s_cbranch_scc0 .LBB76_1080
; %bb.1079:
	global_load_dwordx2 v[3:4], v[0:1], off
	s_mov_b32 s0, 0
	s_mov_b32 s3, -1
	s_mov_b32 s5, 0
	s_waitcnt vmcnt(0)
	v_ffbh_u32_e32 v5, v4
	v_min_u32_e32 v5, 32, v5
	v_lshlrev_b64 v[3:4], v5, v[3:4]
	v_min_u32_e32 v3, 1, v3
	v_or_b32_e32 v3, v4, v3
	v_sub_nc_u32_e32 v4, 32, v5
	v_cvt_f32_u32_e32 v3, v3
	v_ldexp_f32 v3, v3, v4
	v_bfe_u32 v4, v3, 16, 1
	v_add3_u32 v3, v3, v4, 0x7fff
	v_lshrrev_b32_e32 v3, 16, v3
	s_branch .LBB76_1082
.LBB76_1080:
	s_mov_b32 s0, -1
                                        ; implicit-def: $vgpr3
.LBB76_1081:
	s_mov_b32 s5, 0
.LBB76_1082:
	s_and_b32 vcc_lo, exec_lo, s5
	s_cbranch_vccz .LBB76_1100
; %bb.1083:
	s_cmp_lt_i32 s2, 27
	s_cbranch_scc1 .LBB76_1086
; %bb.1084:
	s_cmp_gt_i32 s2, 27
	s_cbranch_scc0 .LBB76_1087
; %bb.1085:
	global_load_dword v3, v[0:1], off
	s_mov_b32 s3, 0
	s_waitcnt vmcnt(0)
	v_cvt_f32_u32_e32 v3, v3
	v_bfe_u32 v4, v3, 16, 1
	v_add3_u32 v3, v3, v4, 0x7fff
	v_lshrrev_b32_e32 v3, 16, v3
	s_branch .LBB76_1088
.LBB76_1086:
	s_mov_b32 s3, -1
                                        ; implicit-def: $vgpr3
	s_branch .LBB76_1091
.LBB76_1087:
	s_mov_b32 s3, -1
                                        ; implicit-def: $vgpr3
.LBB76_1088:
	s_andn2_b32 vcc_lo, exec_lo, s3
	s_cbranch_vccnz .LBB76_1090
; %bb.1089:
	global_load_ushort v3, v[0:1], off
	s_waitcnt vmcnt(0)
	v_cvt_f32_u32_e32 v3, v3
	v_bfe_u32 v4, v3, 16, 1
	v_add3_u32 v3, v3, v4, 0x7fff
	v_lshrrev_b32_e32 v3, 16, v3
.LBB76_1090:
	s_mov_b32 s3, 0
.LBB76_1091:
	s_andn2_b32 vcc_lo, exec_lo, s3
	s_cbranch_vccnz .LBB76_1099
; %bb.1092:
	global_load_ubyte v3, v[0:1], off
	s_mov_b32 s3, 0
	s_mov_b32 s5, exec_lo
	s_waitcnt vmcnt(0)
	v_cmpx_lt_i16_e32 0x7f, v3
	s_xor_b32 s5, exec_lo, s5
	s_cbranch_execz .LBB76_1112
; %bb.1093:
	s_mov_b32 s3, -1
	s_mov_b32 s6, exec_lo
	v_cmpx_eq_u16_e32 0x80, v3
; %bb.1094:
	s_xor_b32 s3, exec_lo, -1
; %bb.1095:
	s_or_b32 exec_lo, exec_lo, s6
	s_and_b32 s3, s3, exec_lo
	s_or_saveexec_b32 s5, s5
	v_mov_b32_e32 v4, 0x7f800001
	s_xor_b32 exec_lo, exec_lo, s5
	s_cbranch_execnz .LBB76_1113
.LBB76_1096:
	s_or_b32 exec_lo, exec_lo, s5
	s_and_saveexec_b32 s5, s3
	s_cbranch_execz .LBB76_1098
.LBB76_1097:
	v_and_b32_e32 v4, 0xffff, v3
	v_lshlrev_b32_e32 v3, 24, v3
	v_and_b32_e32 v5, 7, v4
	v_bfe_u32 v9, v4, 3, 4
	v_and_b32_e32 v3, 0x80000000, v3
	v_ffbh_u32_e32 v7, v5
	v_cmp_eq_u32_e32 vcc_lo, 0, v9
	v_min_u32_e32 v7, 32, v7
	v_subrev_nc_u32_e32 v8, 28, v7
	v_sub_nc_u32_e32 v7, 29, v7
	v_lshlrev_b32_e32 v4, v8, v4
	v_cndmask_b32_e32 v7, v9, v7, vcc_lo
	v_and_b32_e32 v4, 7, v4
	v_cndmask_b32_e32 v4, v5, v4, vcc_lo
	v_lshl_add_u32 v5, v7, 23, 0x3b800000
	v_lshlrev_b32_e32 v4, 20, v4
	v_or3_b32 v4, v3, v5, v4
.LBB76_1098:
	s_or_b32 exec_lo, exec_lo, s5
	v_bfe_u32 v3, v4, 16, 1
	v_cmp_o_f32_e32 vcc_lo, v4, v4
	v_add3_u32 v3, v4, v3, 0x7fff
	v_mov_b32_e32 v4, 0x7fc0
	v_cndmask_b32_sdwa v3, v4, v3, vcc_lo dst_sel:DWORD dst_unused:UNUSED_PAD src0_sel:DWORD src1_sel:WORD_1
.LBB76_1099:
	s_mov_b32 s3, -1
.LBB76_1100:
	s_branch .LBB76_1132
.LBB76_1101:
	s_cmp_gt_i32 s2, 22
	s_cbranch_scc0 .LBB76_1111
; %bb.1102:
	s_cmp_lt_i32 s2, 24
	s_cbranch_scc1 .LBB76_1114
; %bb.1103:
	s_cmp_gt_i32 s2, 24
	s_cbranch_scc0 .LBB76_1115
; %bb.1104:
	global_load_ubyte v3, v[0:1], off
	s_mov_b32 s3, exec_lo
	s_waitcnt vmcnt(0)
	v_cmpx_lt_i16_e32 0x7f, v3
	s_xor_b32 s3, exec_lo, s3
	s_cbranch_execz .LBB76_1126
; %bb.1105:
	s_mov_b32 s1, -1
	s_mov_b32 s5, exec_lo
	v_cmpx_eq_u16_e32 0x80, v3
; %bb.1106:
	s_xor_b32 s1, exec_lo, -1
; %bb.1107:
	s_or_b32 exec_lo, exec_lo, s5
	s_and_b32 s1, s1, exec_lo
	s_or_saveexec_b32 s3, s3
	v_mov_b32_e32 v4, 0x7f800001
	s_xor_b32 exec_lo, exec_lo, s3
	s_cbranch_execnz .LBB76_1127
.LBB76_1108:
	s_or_b32 exec_lo, exec_lo, s3
	s_and_saveexec_b32 s3, s1
	s_cbranch_execz .LBB76_1110
.LBB76_1109:
	v_and_b32_e32 v4, 0xffff, v3
	v_lshlrev_b32_e32 v3, 24, v3
	v_and_b32_e32 v5, 3, v4
	v_bfe_u32 v9, v4, 2, 5
	v_and_b32_e32 v3, 0x80000000, v3
	v_ffbh_u32_e32 v7, v5
	v_cmp_eq_u32_e32 vcc_lo, 0, v9
	v_min_u32_e32 v7, 32, v7
	v_subrev_nc_u32_e32 v8, 29, v7
	v_sub_nc_u32_e32 v7, 30, v7
	v_lshlrev_b32_e32 v4, v8, v4
	v_cndmask_b32_e32 v7, v9, v7, vcc_lo
	v_and_b32_e32 v4, 3, v4
	v_cndmask_b32_e32 v4, v5, v4, vcc_lo
	v_lshl_add_u32 v5, v7, 23, 0x37800000
	v_lshlrev_b32_e32 v4, 21, v4
	v_or3_b32 v4, v3, v5, v4
.LBB76_1110:
	s_or_b32 exec_lo, exec_lo, s3
	v_bfe_u32 v3, v4, 16, 1
	v_cmp_o_f32_e32 vcc_lo, v4, v4
	s_mov_b32 s1, 0
	v_add3_u32 v3, v4, v3, 0x7fff
	v_mov_b32_e32 v4, 0x7fc0
	v_cndmask_b32_sdwa v3, v4, v3, vcc_lo dst_sel:DWORD dst_unused:UNUSED_PAD src0_sel:DWORD src1_sel:WORD_1
	s_branch .LBB76_1116
.LBB76_1111:
                                        ; implicit-def: $vgpr3
	s_mov_b32 s1, 0
	s_branch .LBB76_1122
.LBB76_1112:
	s_or_saveexec_b32 s5, s5
	v_mov_b32_e32 v4, 0x7f800001
	s_xor_b32 exec_lo, exec_lo, s5
	s_cbranch_execz .LBB76_1096
.LBB76_1113:
	v_cmp_ne_u16_e32 vcc_lo, 0, v3
	v_mov_b32_e32 v4, 0
	s_andn2_b32 s3, s3, exec_lo
	s_and_b32 s6, vcc_lo, exec_lo
	s_or_b32 s3, s3, s6
	s_or_b32 exec_lo, exec_lo, s5
	s_and_saveexec_b32 s5, s3
	s_cbranch_execnz .LBB76_1097
	s_branch .LBB76_1098
.LBB76_1114:
	s_mov_b32 s1, -1
                                        ; implicit-def: $vgpr3
	s_branch .LBB76_1119
.LBB76_1115:
	s_mov_b32 s1, -1
                                        ; implicit-def: $vgpr3
.LBB76_1116:
	s_and_b32 vcc_lo, exec_lo, s1
	s_cbranch_vccz .LBB76_1118
; %bb.1117:
	global_load_ubyte v3, v[0:1], off
	s_waitcnt vmcnt(0)
	v_lshlrev_b32_e32 v3, 24, v3
	v_and_b32_e32 v4, 0x7f000000, v3
	v_ffbh_u32_e32 v5, v4
	v_add_nc_u32_e32 v8, 0x1000000, v4
	v_cmp_ne_u32_e32 vcc_lo, 0, v4
	v_min_u32_e32 v5, 32, v5
	v_sub_nc_u32_e64 v5, v5, 4 clamp
	v_lshlrev_b32_e32 v7, v5, v4
	v_lshlrev_b32_e32 v5, 23, v5
	v_lshrrev_b32_e32 v7, 4, v7
	v_sub_nc_u32_e32 v5, v7, v5
	v_ashrrev_i32_e32 v7, 8, v8
	v_add_nc_u32_e32 v5, 0x3c000000, v5
	v_and_or_b32 v5, 0x7f800000, v7, v5
	v_cndmask_b32_e32 v4, 0, v5, vcc_lo
	v_and_or_b32 v3, 0x80000000, v3, v4
	v_bfe_u32 v4, v4, 16, 1
	v_cmp_o_f32_e32 vcc_lo, v3, v3
	v_add3_u32 v3, v3, v4, 0x7fff
	v_mov_b32_e32 v4, 0x7fc0
	v_cndmask_b32_sdwa v3, v4, v3, vcc_lo dst_sel:DWORD dst_unused:UNUSED_PAD src0_sel:DWORD src1_sel:WORD_1
.LBB76_1118:
	s_mov_b32 s1, 0
.LBB76_1119:
	s_andn2_b32 vcc_lo, exec_lo, s1
	s_cbranch_vccnz .LBB76_1121
; %bb.1120:
	global_load_ubyte v3, v[0:1], off
	s_waitcnt vmcnt(0)
	v_lshlrev_b32_e32 v4, 25, v3
	v_lshlrev_b16 v3, 8, v3
	v_lshrrev_b32_e32 v5, 4, v4
	v_and_or_b32 v7, 0x7f00, v3, 0.5
	v_cmp_gt_u32_e32 vcc_lo, 0x8000000, v4
	v_bfe_i32 v3, v3, 0, 16
	v_or_b32_e32 v5, 0x70000000, v5
	v_add_f32_e32 v7, -0.5, v7
	v_mul_f32_e32 v5, 0x7800000, v5
	v_cndmask_b32_e32 v4, v5, v7, vcc_lo
	v_and_or_b32 v3, 0x80000000, v3, v4
	v_bfe_u32 v4, v4, 16, 1
	v_cmp_o_f32_e32 vcc_lo, v3, v3
	v_add3_u32 v3, v3, v4, 0x7fff
	v_mov_b32_e32 v4, 0x7fc0
	v_cndmask_b32_sdwa v3, v4, v3, vcc_lo dst_sel:DWORD dst_unused:UNUSED_PAD src0_sel:DWORD src1_sel:WORD_1
.LBB76_1121:
	s_mov_b32 s3, -1
	s_mov_b32 s1, 0
	s_cbranch_execnz .LBB76_1132
.LBB76_1122:
	s_cmp_gt_i32 s2, 14
	s_cbranch_scc0 .LBB76_1125
; %bb.1123:
	s_cmp_eq_u32 s2, 15
	s_cbranch_scc0 .LBB76_1128
; %bb.1124:
	global_load_ushort v3, v[0:1], off
	s_mov_b32 s0, 0
	s_mov_b32 s3, -1
	s_branch .LBB76_1130
.LBB76_1125:
	s_mov_b32 s1, -1
	s_branch .LBB76_1129
.LBB76_1126:
	s_or_saveexec_b32 s3, s3
	v_mov_b32_e32 v4, 0x7f800001
	s_xor_b32 exec_lo, exec_lo, s3
	s_cbranch_execz .LBB76_1108
.LBB76_1127:
	v_cmp_ne_u16_e32 vcc_lo, 0, v3
	v_mov_b32_e32 v4, 0
	s_andn2_b32 s1, s1, exec_lo
	s_and_b32 s5, vcc_lo, exec_lo
	s_or_b32 s1, s1, s5
	s_or_b32 exec_lo, exec_lo, s3
	s_and_saveexec_b32 s3, s1
	s_cbranch_execnz .LBB76_1109
	s_branch .LBB76_1110
.LBB76_1128:
	s_mov_b32 s0, -1
.LBB76_1129:
                                        ; implicit-def: $vgpr3
.LBB76_1130:
	s_and_b32 vcc_lo, exec_lo, s1
	s_mov_b32 s1, 0
	s_cbranch_vccz .LBB76_1132
; %bb.1131:
	s_cmp_lg_u32 s2, 11
	s_mov_b32 s1, -1
	s_cselect_b32 s0, -1, 0
.LBB76_1132:
	s_and_b32 vcc_lo, exec_lo, s0
	s_mov_b32 s5, s14
	s_cbranch_vccnz .LBB76_1199
; %bb.1133:
	s_andn2_b32 vcc_lo, exec_lo, s1
	s_cbranch_vccnz .LBB76_1135
.LBB76_1134:
	global_load_ubyte v3, v[0:1], off
	s_mov_b32 s3, -1
	s_waitcnt vmcnt(0)
	v_cmp_ne_u16_e32 vcc_lo, 0, v3
	v_cndmask_b32_e64 v3, 0, 1.0, vcc_lo
	v_lshrrev_b32_e32 v3, 16, v3
.LBB76_1135:
	s_branch .LBB76_1064
.LBB76_1136:
	s_cmp_lt_i32 s2, 5
	s_cbranch_scc1 .LBB76_1141
; %bb.1137:
	s_cmp_lt_i32 s2, 8
	s_cbranch_scc1 .LBB76_1142
; %bb.1138:
	;; [unrolled: 3-line block ×3, first 2 shown]
	s_cmp_gt_i32 s2, 9
	s_cbranch_scc0 .LBB76_1144
; %bb.1140:
	global_load_dwordx2 v[3:4], v[0:1], off
	s_mov_b32 s0, 0
	s_waitcnt vmcnt(0)
	v_cvt_f32_f64_e32 v3, v[3:4]
	v_bfe_u32 v4, v3, 16, 1
	v_cmp_o_f32_e32 vcc_lo, v3, v3
	v_add3_u32 v3, v3, v4, 0x7fff
	v_mov_b32_e32 v4, 0x7fc0
	v_cndmask_b32_sdwa v3, v4, v3, vcc_lo dst_sel:DWORD dst_unused:UNUSED_PAD src0_sel:DWORD src1_sel:WORD_1
	s_branch .LBB76_1145
.LBB76_1141:
                                        ; implicit-def: $vgpr3
	s_branch .LBB76_1162
.LBB76_1142:
                                        ; implicit-def: $vgpr3
	s_branch .LBB76_1151
.LBB76_1143:
	s_mov_b32 s0, -1
                                        ; implicit-def: $vgpr3
	s_branch .LBB76_1148
.LBB76_1144:
	s_mov_b32 s0, -1
                                        ; implicit-def: $vgpr3
.LBB76_1145:
	s_andn2_b32 vcc_lo, exec_lo, s0
	s_cbranch_vccnz .LBB76_1147
; %bb.1146:
	global_load_dword v3, v[0:1], off
	s_waitcnt vmcnt(0)
	v_bfe_u32 v4, v3, 16, 1
	v_cmp_o_f32_e32 vcc_lo, v3, v3
	v_add3_u32 v3, v3, v4, 0x7fff
	v_mov_b32_e32 v4, 0x7fc0
	v_cndmask_b32_sdwa v3, v4, v3, vcc_lo dst_sel:DWORD dst_unused:UNUSED_PAD src0_sel:DWORD src1_sel:WORD_1
.LBB76_1147:
	s_mov_b32 s0, 0
.LBB76_1148:
	s_andn2_b32 vcc_lo, exec_lo, s0
	s_cbranch_vccnz .LBB76_1150
; %bb.1149:
	global_load_dword v3, v[0:1], off
	s_waitcnt vmcnt(0)
	v_cvt_f32_f16_e32 v4, v3
	v_cmp_o_f16_e32 vcc_lo, v3, v3
	v_bfe_u32 v5, v4, 16, 1
	v_add3_u32 v3, v4, v5, 0x7fff
	v_mov_b32_e32 v4, 0x7fc0
	v_cndmask_b32_sdwa v3, v4, v3, vcc_lo dst_sel:DWORD dst_unused:UNUSED_PAD src0_sel:DWORD src1_sel:WORD_1
.LBB76_1150:
	s_cbranch_execnz .LBB76_1161
.LBB76_1151:
	s_cmp_lt_i32 s2, 6
	s_cbranch_scc1 .LBB76_1154
; %bb.1152:
	s_cmp_gt_i32 s2, 6
	s_cbranch_scc0 .LBB76_1155
; %bb.1153:
	global_load_dwordx2 v[3:4], v[0:1], off
	s_mov_b32 s0, 0
	s_waitcnt vmcnt(0)
	v_cvt_f32_f64_e32 v3, v[3:4]
	v_bfe_u32 v4, v3, 16, 1
	v_cmp_o_f32_e32 vcc_lo, v3, v3
	v_add3_u32 v3, v3, v4, 0x7fff
	v_mov_b32_e32 v4, 0x7fc0
	v_cndmask_b32_sdwa v3, v4, v3, vcc_lo dst_sel:DWORD dst_unused:UNUSED_PAD src0_sel:DWORD src1_sel:WORD_1
	s_branch .LBB76_1156
.LBB76_1154:
	s_mov_b32 s0, -1
                                        ; implicit-def: $vgpr3
	s_branch .LBB76_1159
.LBB76_1155:
	s_mov_b32 s0, -1
                                        ; implicit-def: $vgpr3
.LBB76_1156:
	s_andn2_b32 vcc_lo, exec_lo, s0
	s_cbranch_vccnz .LBB76_1158
; %bb.1157:
	global_load_dword v3, v[0:1], off
	s_waitcnt vmcnt(0)
	v_bfe_u32 v4, v3, 16, 1
	v_cmp_o_f32_e32 vcc_lo, v3, v3
	v_add3_u32 v3, v3, v4, 0x7fff
	v_mov_b32_e32 v4, 0x7fc0
	v_cndmask_b32_sdwa v3, v4, v3, vcc_lo dst_sel:DWORD dst_unused:UNUSED_PAD src0_sel:DWORD src1_sel:WORD_1
.LBB76_1158:
	s_mov_b32 s0, 0
.LBB76_1159:
	s_andn2_b32 vcc_lo, exec_lo, s0
	s_cbranch_vccnz .LBB76_1161
; %bb.1160:
	global_load_ushort v3, v[0:1], off
	s_waitcnt vmcnt(0)
	v_cvt_f32_f16_e32 v4, v3
	v_cmp_o_f16_e32 vcc_lo, v3, v3
	v_bfe_u32 v5, v4, 16, 1
	v_add3_u32 v3, v4, v5, 0x7fff
	v_mov_b32_e32 v4, 0x7fc0
	v_cndmask_b32_sdwa v3, v4, v3, vcc_lo dst_sel:DWORD dst_unused:UNUSED_PAD src0_sel:DWORD src1_sel:WORD_1
.LBB76_1161:
	s_cbranch_execnz .LBB76_1180
.LBB76_1162:
	s_cmp_lt_i32 s2, 2
	s_cbranch_scc1 .LBB76_1166
; %bb.1163:
	s_cmp_lt_i32 s2, 3
	s_cbranch_scc1 .LBB76_1167
; %bb.1164:
	s_cmp_gt_i32 s2, 3
	s_cbranch_scc0 .LBB76_1168
; %bb.1165:
	global_load_dwordx2 v[3:4], v[0:1], off
	s_mov_b32 s0, 0
	s_waitcnt vmcnt(0)
	v_xor_b32_e32 v5, v3, v4
	v_ffbh_i32_e32 v7, v4
	v_ashrrev_i32_e32 v5, 31, v5
	v_add_nc_u32_e32 v7, -1, v7
	v_add_nc_u32_e32 v5, 32, v5
	v_min_u32_e32 v5, v7, v5
	v_lshlrev_b64 v[3:4], v5, v[3:4]
	v_min_u32_e32 v3, 1, v3
	v_or_b32_e32 v3, v4, v3
	v_sub_nc_u32_e32 v4, 32, v5
	v_cvt_f32_i32_e32 v3, v3
	v_ldexp_f32 v3, v3, v4
	v_bfe_u32 v4, v3, 16, 1
	v_add3_u32 v3, v3, v4, 0x7fff
	v_lshrrev_b32_e32 v3, 16, v3
	s_branch .LBB76_1169
.LBB76_1166:
                                        ; implicit-def: $vgpr3
	s_branch .LBB76_1175
.LBB76_1167:
	s_mov_b32 s0, -1
                                        ; implicit-def: $vgpr3
	s_branch .LBB76_1172
.LBB76_1168:
	s_mov_b32 s0, -1
                                        ; implicit-def: $vgpr3
.LBB76_1169:
	s_andn2_b32 vcc_lo, exec_lo, s0
	s_cbranch_vccnz .LBB76_1171
; %bb.1170:
	global_load_dword v3, v[0:1], off
	s_waitcnt vmcnt(0)
	v_cvt_f32_i32_e32 v3, v3
	v_bfe_u32 v4, v3, 16, 1
	v_add3_u32 v3, v3, v4, 0x7fff
	v_lshrrev_b32_e32 v3, 16, v3
.LBB76_1171:
	s_mov_b32 s0, 0
.LBB76_1172:
	s_andn2_b32 vcc_lo, exec_lo, s0
	s_cbranch_vccnz .LBB76_1174
; %bb.1173:
	global_load_sshort v3, v[0:1], off
	s_waitcnt vmcnt(0)
	v_cvt_f32_i32_e32 v3, v3
	v_bfe_u32 v4, v3, 16, 1
	v_add3_u32 v3, v3, v4, 0x7fff
	v_lshrrev_b32_e32 v3, 16, v3
.LBB76_1174:
	s_cbranch_execnz .LBB76_1180
.LBB76_1175:
	s_cmp_gt_i32 s2, 0
	s_mov_b32 s0, 0
	s_cbranch_scc0 .LBB76_1177
; %bb.1176:
	global_load_sbyte v3, v[0:1], off
	s_waitcnt vmcnt(0)
	v_cvt_f32_i32_e32 v3, v3
	v_bfe_u32 v4, v3, 16, 1
	v_add3_u32 v3, v3, v4, 0x7fff
	v_lshrrev_b32_e32 v3, 16, v3
	s_branch .LBB76_1178
.LBB76_1177:
	s_mov_b32 s0, -1
                                        ; implicit-def: $vgpr3
.LBB76_1178:
	s_andn2_b32 vcc_lo, exec_lo, s0
	s_cbranch_vccnz .LBB76_1180
; %bb.1179:
	global_load_ubyte v0, v[0:1], off
	s_waitcnt vmcnt(0)
	v_cvt_f32_ubyte0_e32 v0, v0
	v_bfe_u32 v1, v0, 16, 1
	v_add3_u32 v0, v0, v1, 0x7fff
	v_lshrrev_b32_e32 v3, 16, v0
.LBB76_1180:
.LBB76_1181:
	s_waitcnt vmcnt(0)
	v_lshlrev_b32_e32 v3, 16, v3
	v_mov_b32_e32 v5, 0
	v_mov_b32_e32 v4, 1.0
	s_mov_b32 s3, exec_lo
	v_cmpx_gt_f32_e32 0.5, v3
	s_cbranch_execz .LBB76_1187
; %bb.1182:
	v_mul_f32_e32 v0, 0x40490fdb, v3
                                        ; implicit-def: $vgpr5
                                        ; implicit-def: $vgpr4
	s_mov_b32 s1, exec_lo
	v_and_b32_e32 v1, 0x7fffffff, v0
	v_cmpx_ngt_f32_e64 0x48000000, |v0|
	s_xor_b32 s6, exec_lo, s1
	s_cbranch_execz .LBB76_1184
; %bb.1183:
	s_mov_b32 s0, 0x7fffff
	v_mov_b32_e32 v8, 0
	v_and_or_b32 v15, v1, s0, 0x800000
	v_mad_u64_u32 v[4:5], null, 0xfe5163ab, v15, 0
	v_mov_b32_e32 v7, v5
	v_lshrrev_b32_e32 v5, 23, v1
	v_mad_u64_u32 v[9:10], null, 0x3c439041, v15, v[7:8]
	v_add_nc_u32_e32 v5, 0xffffff88, v5
	v_cmp_lt_u32_e32 vcc_lo, 63, v5
	v_mov_b32_e32 v7, v10
	v_cndmask_b32_e64 v14, 0, 0xffffffc0, vcc_lo
	v_mad_u64_u32 v[10:11], null, 0xdb629599, v15, v[7:8]
	v_add_nc_u32_e32 v5, v14, v5
	v_mov_b32_e32 v7, v11
	v_cmp_lt_u32_e64 s0, 31, v5
	v_cndmask_b32_e32 v4, v10, v4, vcc_lo
	v_mad_u64_u32 v[11:12], null, 0xf534ddc0, v15, v[7:8]
	v_cndmask_b32_e64 v16, 0, 0xffffffe0, s0
	v_add_nc_u32_e32 v5, v16, v5
	v_mov_b32_e32 v7, v12
	v_cndmask_b32_e32 v9, v11, v9, vcc_lo
	v_cmp_lt_u32_e64 s1, 31, v5
	v_mad_u64_u32 v[12:13], null, 0xfc2757d1, v15, v[7:8]
	v_cndmask_b32_e64 v4, v9, v4, s0
	v_mov_b32_e32 v7, v13
	v_mad_u64_u32 v[13:14], null, 0x4e441529, v15, v[7:8]
	v_mov_b32_e32 v7, v14
	v_cndmask_b32_e64 v14, 0, 0xffffffe0, s1
	v_mad_u64_u32 v[7:8], null, 0xa2f9836e, v15, v[7:8]
	v_cndmask_b32_e32 v15, v13, v11, vcc_lo
	v_add_nc_u32_e32 v5, v14, v5
	v_cndmask_b32_e32 v7, v7, v12, vcc_lo
	v_cndmask_b32_e32 v8, v8, v13, vcc_lo
	;; [unrolled: 1-line block ×3, first 2 shown]
	v_sub_nc_u32_e32 v13, 32, v5
	v_cmp_eq_u32_e32 vcc_lo, 0, v5
	v_cndmask_b32_e64 v11, v7, v15, s0
	v_cndmask_b32_e64 v7, v8, v7, s0
	;; [unrolled: 1-line block ×8, first 2 shown]
	v_alignbit_b32 v14, v7, v11, v13
	v_alignbit_b32 v10, v11, v8, v13
	;; [unrolled: 1-line block ×3, first 2 shown]
	v_cndmask_b32_e32 v5, v14, v7, vcc_lo
	v_cndmask_b32_e32 v7, v10, v11, vcc_lo
	;; [unrolled: 1-line block ×3, first 2 shown]
	v_bfe_u32 v9, v5, 29, 1
	v_alignbit_b32 v10, v5, v7, 30
	v_alignbit_b32 v7, v7, v8, 30
	;; [unrolled: 1-line block ×3, first 2 shown]
	v_sub_nc_u32_e32 v11, 0, v9
	v_xor_b32_e32 v10, v10, v11
	v_xor_b32_e32 v7, v7, v11
	;; [unrolled: 1-line block ×3, first 2 shown]
	v_lshrrev_b32_e32 v11, 29, v5
	v_lshrrev_b32_e32 v5, 30, v5
	v_ffbh_u32_e32 v12, v10
	v_add_nc_u32_e32 v5, v9, v5
	v_min_u32_e32 v12, 32, v12
	v_sub_nc_u32_e32 v8, 31, v12
	v_lshlrev_b32_e32 v13, 23, v12
	v_alignbit_b32 v10, v10, v7, v8
	v_alignbit_b32 v4, v7, v4, v8
	v_lshlrev_b32_e32 v7, 31, v11
	v_alignbit_b32 v8, v10, v4, 9
	v_or_b32_e32 v11, 0.5, v7
	v_lshrrev_b32_e32 v10, 9, v10
	v_or_b32_e32 v7, 0x33000000, v7
	v_ffbh_u32_e32 v14, v8
	v_sub_nc_u32_e32 v11, v11, v13
	v_min_u32_e32 v13, 32, v14
	v_or_b32_e32 v10, v10, v11
	v_not_b32_e32 v11, v13
	v_mul_f32_e32 v14, 0x3fc90fda, v10
	v_add_lshl_u32 v12, v13, v12, 23
	v_alignbit_b32 v4, v8, v4, v11
	v_fma_f32 v8, 0x3fc90fda, v10, -v14
	v_sub_nc_u32_e32 v7, v7, v12
	v_lshrrev_b32_e32 v4, 9, v4
	v_fmamk_f32 v8, v10, 0x33a22168, v8
	v_or_b32_e32 v4, v7, v4
	v_fmac_f32_e32 v8, 0x3fc90fda, v4
	v_add_f32_e32 v4, v14, v8
.LBB76_1184:
	s_andn2_saveexec_b32 s0, s6
; %bb.1185:
	v_mul_f32_e64 v4, 0x3f22f983, |v0|
	v_rndne_f32_e32 v5, v4
	v_fma_f32 v4, 0xbfc90fda, v5, |v0|
	v_fmamk_f32 v4, v5, 0xb3a22168, v4
	v_fmamk_f32 v4, v5, 0xa7c234c4, v4
	v_cvt_i32_f32_e32 v5, v5
; %bb.1186:
	s_or_b32 exec_lo, exec_lo, s0
	v_mul_f32_e32 v7, v4, v4
	s_mov_b32 s0, 0xb94c1982
	s_mov_b32 s1, 0x37d75334
	v_and_b32_e32 v10, 1, v5
	v_lshlrev_b32_e32 v5, 30, v5
	v_fmaak_f32 v8, s0, v7, 0x3c0881c4
	v_fmaak_f32 v9, s1, v7, 0xbab64f3b
	v_xor_b32_e32 v1, v1, v0
	v_cmp_eq_u32_e32 vcc_lo, 0, v10
	v_and_b32_e32 v5, 0x80000000, v5
	v_fmaak_f32 v8, v7, v8, 0xbe2aaa9d
	v_fmaak_f32 v9, v7, v9, 0x3d2aabf7
	v_sub_f32_e32 v3, 1.0, v3
	v_mul_f32_e32 v8, v7, v8
	v_fmaak_f32 v9, v7, v9, 0xbf000004
	v_fmac_f32_e32 v4, v4, v8
	v_fma_f32 v7, v7, v9, 1.0
	v_cndmask_b32_e32 v4, v7, v4, vcc_lo
	v_cmp_class_f32_e64 vcc_lo, v0, 0x1f8
	v_xor3_b32 v1, v1, v5, v4
	v_cndmask_b32_e32 v0, 0x7fc00000, v1, vcc_lo
	v_mul_f32_e32 v0, v0, v0
	v_div_scale_f32 v1, null, v0, v0, 0xc11de9e7
	v_div_scale_f32 v7, vcc_lo, 0xc11de9e7, v0, 0xc11de9e7
	v_rcp_f32_e32 v4, v1
	v_fma_f32 v5, -v1, v4, 1.0
	v_fmac_f32_e32 v4, v5, v4
	v_mul_f32_e32 v5, v7, v4
	v_fma_f32 v8, -v1, v5, v7
	v_fmac_f32_e32 v5, v8, v4
	v_fma_f32 v1, -v1, v5, v7
	v_div_fmas_f32 v1, v1, v4, v5
	v_mov_b32_e32 v4, -1.0
	v_div_fixup_f32 v0, v1, v0, 0xc11de9e7
	v_add_f32_e32 v5, 0, v0
.LBB76_1187:
	s_or_b32 exec_lo, exec_lo, s3
	s_lshl_b32 s3, s13, 7
	s_cmp_lt_i32 s2, 11
	v_add_nc_u32_e32 v9, s3, v6
	v_ashrrev_i32_e32 v1, 31, v9
	v_add_co_u32 v0, vcc_lo, s10, v9
	v_add_co_ci_u32_e64 v1, null, s11, v1, vcc_lo
	s_cbranch_scc1 .LBB76_1194
; %bb.1188:
	s_cmp_gt_i32 s2, 25
	s_mov_b32 s1, 0
	s_cbranch_scc0 .LBB76_1196
; %bb.1189:
	s_cmp_gt_i32 s2, 28
	s_cbranch_scc0 .LBB76_1197
; %bb.1190:
	s_cmp_gt_i32 s2, 43
	;; [unrolled: 3-line block ×3, first 2 shown]
	s_cbranch_scc0 .LBB76_1200
; %bb.1192:
	s_cmp_eq_u32 s2, 46
	s_mov_b32 s13, 0
	s_cbranch_scc0 .LBB76_1203
; %bb.1193:
	global_load_dword v6, v[0:1], off
	s_mov_b32 s0, 0
	s_mov_b32 s6, -1
	s_branch .LBB76_1205
.LBB76_1194:
	s_mov_b32 s6, 0
                                        ; implicit-def: $vgpr6
	s_cbranch_execnz .LBB76_1270
.LBB76_1195:
	s_andn2_b32 vcc_lo, exec_lo, s6
	s_cbranch_vccnz .LBB76_2029
	s_branch .LBB76_1317
.LBB76_1196:
	s_mov_b32 s6, 0
	s_mov_b32 s0, 0
                                        ; implicit-def: $vgpr6
	s_cbranch_execnz .LBB76_1234
	s_branch .LBB76_1266
.LBB76_1197:
	s_mov_b32 s13, -1
	s_mov_b32 s6, 0
	s_mov_b32 s0, 0
                                        ; implicit-def: $vgpr6
	s_branch .LBB76_1215
.LBB76_1198:
	s_mov_b32 s13, -1
	s_mov_b32 s6, 0
	s_mov_b32 s0, 0
                                        ; implicit-def: $vgpr6
	s_branch .LBB76_1210
.LBB76_1199:
	s_or_b32 s5, s14, exec_lo
	s_trap 2
	s_cbranch_execz .LBB76_1134
	s_branch .LBB76_1135
.LBB76_1200:
	s_mov_b32 s13, -1
	s_mov_b32 s6, 0
	s_mov_b32 s0, 0
	s_branch .LBB76_1204
.LBB76_1201:
	s_andn2_saveexec_b32 s19, s19
	s_cbranch_execz .LBB76_980
.LBB76_1202:
	v_add_f32_e64 v4, 0x42800000, |v5|
	s_andn2_b32 s18, s18, exec_lo
	v_and_b32_e32 v4, 0xff, v4
	v_cmp_ne_u32_e32 vcc_lo, 0, v4
	s_and_b32 s20, vcc_lo, exec_lo
	s_or_b32 s18, s18, s20
	s_or_b32 exec_lo, exec_lo, s19
	v_mov_b32_e32 v6, 0
	s_and_saveexec_b32 s19, s18
	s_cbranch_execnz .LBB76_981
	s_branch .LBB76_982
.LBB76_1203:
	s_mov_b32 s0, -1
	s_mov_b32 s6, 0
.LBB76_1204:
                                        ; implicit-def: $vgpr6
.LBB76_1205:
	s_and_b32 vcc_lo, exec_lo, s13
	s_cbranch_vccz .LBB76_1209
; %bb.1206:
	s_cmp_eq_u32 s2, 44
	s_cbranch_scc0 .LBB76_1208
; %bb.1207:
	global_load_ubyte v6, v[0:1], off
	s_mov_b32 s0, 0
	s_mov_b32 s6, -1
	s_waitcnt vmcnt(0)
	v_lshlrev_b32_e32 v7, 23, v6
	v_cmp_ne_u32_e32 vcc_lo, 0xff, v6
	v_cndmask_b32_e32 v7, 0x7f800001, v7, vcc_lo
	v_cmp_ne_u32_e32 vcc_lo, 0, v6
	v_cndmask_b32_e32 v6, 0x400000, v7, vcc_lo
	v_mov_b32_e32 v7, 0x7fc0
	v_cmp_o_f32_e32 vcc_lo, v6, v6
	v_add_nc_u32_e32 v6, 0x7fff, v6
	v_cndmask_b32_sdwa v6, v7, v6, vcc_lo dst_sel:DWORD dst_unused:UNUSED_PAD src0_sel:DWORD src1_sel:WORD_1
	s_branch .LBB76_1209
.LBB76_1208:
	s_mov_b32 s0, -1
                                        ; implicit-def: $vgpr6
.LBB76_1209:
	s_mov_b32 s13, 0
.LBB76_1210:
	s_and_b32 vcc_lo, exec_lo, s13
	s_cbranch_vccz .LBB76_1214
; %bb.1211:
	s_cmp_eq_u32 s2, 29
	s_cbranch_scc0 .LBB76_1213
; %bb.1212:
	global_load_dwordx2 v[6:7], v[0:1], off
	s_mov_b32 s0, 0
	s_mov_b32 s6, -1
	s_mov_b32 s13, 0
	s_waitcnt vmcnt(0)
	v_ffbh_u32_e32 v8, v7
	v_min_u32_e32 v8, 32, v8
	v_lshlrev_b64 v[6:7], v8, v[6:7]
	v_min_u32_e32 v6, 1, v6
	v_or_b32_e32 v6, v7, v6
	v_sub_nc_u32_e32 v7, 32, v8
	v_cvt_f32_u32_e32 v6, v6
	v_ldexp_f32 v6, v6, v7
	v_bfe_u32 v7, v6, 16, 1
	v_add3_u32 v6, v6, v7, 0x7fff
	v_lshrrev_b32_e32 v6, 16, v6
	s_branch .LBB76_1215
.LBB76_1213:
	s_mov_b32 s0, -1
                                        ; implicit-def: $vgpr6
.LBB76_1214:
	s_mov_b32 s13, 0
.LBB76_1215:
	s_and_b32 vcc_lo, exec_lo, s13
	s_cbranch_vccz .LBB76_1233
; %bb.1216:
	s_cmp_lt_i32 s2, 27
	s_cbranch_scc1 .LBB76_1219
; %bb.1217:
	s_cmp_gt_i32 s2, 27
	s_cbranch_scc0 .LBB76_1220
; %bb.1218:
	global_load_dword v6, v[0:1], off
	s_mov_b32 s6, 0
	s_waitcnt vmcnt(0)
	v_cvt_f32_u32_e32 v6, v6
	v_bfe_u32 v7, v6, 16, 1
	v_add3_u32 v6, v6, v7, 0x7fff
	v_lshrrev_b32_e32 v6, 16, v6
	s_branch .LBB76_1221
.LBB76_1219:
	s_mov_b32 s6, -1
                                        ; implicit-def: $vgpr6
	s_branch .LBB76_1224
.LBB76_1220:
	s_mov_b32 s6, -1
                                        ; implicit-def: $vgpr6
.LBB76_1221:
	s_andn2_b32 vcc_lo, exec_lo, s6
	s_cbranch_vccnz .LBB76_1223
; %bb.1222:
	global_load_ushort v6, v[0:1], off
	s_waitcnt vmcnt(0)
	v_cvt_f32_u32_e32 v6, v6
	v_bfe_u32 v7, v6, 16, 1
	v_add3_u32 v6, v6, v7, 0x7fff
	v_lshrrev_b32_e32 v6, 16, v6
.LBB76_1223:
	s_mov_b32 s6, 0
.LBB76_1224:
	s_andn2_b32 vcc_lo, exec_lo, s6
	s_cbranch_vccnz .LBB76_1232
; %bb.1225:
	global_load_ubyte v6, v[0:1], off
	s_mov_b32 s6, 0
	s_mov_b32 s13, exec_lo
	s_waitcnt vmcnt(0)
	v_cmpx_lt_i16_e32 0x7f, v6
	s_xor_b32 s13, exec_lo, s13
	s_cbranch_execz .LBB76_1245
; %bb.1226:
	s_mov_b32 s6, -1
	s_mov_b32 s15, exec_lo
	v_cmpx_eq_u16_e32 0x80, v6
; %bb.1227:
	s_xor_b32 s6, exec_lo, -1
; %bb.1228:
	s_or_b32 exec_lo, exec_lo, s15
	s_and_b32 s6, s6, exec_lo
	s_or_saveexec_b32 s13, s13
	v_mov_b32_e32 v7, 0x7f800001
	s_xor_b32 exec_lo, exec_lo, s13
	s_cbranch_execnz .LBB76_1246
.LBB76_1229:
	s_or_b32 exec_lo, exec_lo, s13
	s_and_saveexec_b32 s13, s6
	s_cbranch_execz .LBB76_1231
.LBB76_1230:
	v_and_b32_e32 v7, 0xffff, v6
	v_lshlrev_b32_e32 v6, 24, v6
	v_and_b32_e32 v8, 7, v7
	v_bfe_u32 v12, v7, 3, 4
	v_and_b32_e32 v6, 0x80000000, v6
	v_ffbh_u32_e32 v10, v8
	v_cmp_eq_u32_e32 vcc_lo, 0, v12
	v_min_u32_e32 v10, 32, v10
	v_subrev_nc_u32_e32 v11, 28, v10
	v_sub_nc_u32_e32 v10, 29, v10
	v_lshlrev_b32_e32 v7, v11, v7
	v_cndmask_b32_e32 v10, v12, v10, vcc_lo
	v_and_b32_e32 v7, 7, v7
	v_cndmask_b32_e32 v7, v8, v7, vcc_lo
	v_lshl_add_u32 v8, v10, 23, 0x3b800000
	v_lshlrev_b32_e32 v7, 20, v7
	v_or3_b32 v7, v6, v8, v7
.LBB76_1231:
	s_or_b32 exec_lo, exec_lo, s13
	v_bfe_u32 v6, v7, 16, 1
	v_cmp_o_f32_e32 vcc_lo, v7, v7
	v_add3_u32 v6, v7, v6, 0x7fff
	v_mov_b32_e32 v7, 0x7fc0
	v_cndmask_b32_sdwa v6, v7, v6, vcc_lo dst_sel:DWORD dst_unused:UNUSED_PAD src0_sel:DWORD src1_sel:WORD_1
.LBB76_1232:
	s_mov_b32 s6, -1
.LBB76_1233:
	s_branch .LBB76_1266
.LBB76_1234:
	s_cmp_gt_i32 s2, 22
	s_cbranch_scc0 .LBB76_1244
; %bb.1235:
	s_cmp_lt_i32 s2, 24
	s_cbranch_scc1 .LBB76_1247
; %bb.1236:
	s_cmp_gt_i32 s2, 24
	s_cbranch_scc0 .LBB76_1248
; %bb.1237:
	global_load_ubyte v6, v[0:1], off
	s_mov_b32 s6, exec_lo
	s_waitcnt vmcnt(0)
	v_cmpx_lt_i16_e32 0x7f, v6
	s_xor_b32 s6, exec_lo, s6
	s_cbranch_execz .LBB76_1260
; %bb.1238:
	s_mov_b32 s1, -1
	s_mov_b32 s13, exec_lo
	v_cmpx_eq_u16_e32 0x80, v6
; %bb.1239:
	s_xor_b32 s1, exec_lo, -1
; %bb.1240:
	s_or_b32 exec_lo, exec_lo, s13
	s_and_b32 s1, s1, exec_lo
	s_or_saveexec_b32 s6, s6
	v_mov_b32_e32 v7, 0x7f800001
	s_xor_b32 exec_lo, exec_lo, s6
	s_cbranch_execnz .LBB76_1261
.LBB76_1241:
	s_or_b32 exec_lo, exec_lo, s6
	s_and_saveexec_b32 s6, s1
	s_cbranch_execz .LBB76_1243
.LBB76_1242:
	v_and_b32_e32 v7, 0xffff, v6
	v_lshlrev_b32_e32 v6, 24, v6
	v_and_b32_e32 v8, 3, v7
	v_bfe_u32 v12, v7, 2, 5
	v_and_b32_e32 v6, 0x80000000, v6
	v_ffbh_u32_e32 v10, v8
	v_cmp_eq_u32_e32 vcc_lo, 0, v12
	v_min_u32_e32 v10, 32, v10
	v_subrev_nc_u32_e32 v11, 29, v10
	v_sub_nc_u32_e32 v10, 30, v10
	v_lshlrev_b32_e32 v7, v11, v7
	v_cndmask_b32_e32 v10, v12, v10, vcc_lo
	v_and_b32_e32 v7, 3, v7
	v_cndmask_b32_e32 v7, v8, v7, vcc_lo
	v_lshl_add_u32 v8, v10, 23, 0x37800000
	v_lshlrev_b32_e32 v7, 21, v7
	v_or3_b32 v7, v6, v8, v7
.LBB76_1243:
	s_or_b32 exec_lo, exec_lo, s6
	v_bfe_u32 v6, v7, 16, 1
	v_cmp_o_f32_e32 vcc_lo, v7, v7
	s_mov_b32 s1, 0
	v_add3_u32 v6, v7, v6, 0x7fff
	v_mov_b32_e32 v7, 0x7fc0
	v_cndmask_b32_sdwa v6, v7, v6, vcc_lo dst_sel:DWORD dst_unused:UNUSED_PAD src0_sel:DWORD src1_sel:WORD_1
	s_branch .LBB76_1249
.LBB76_1244:
	s_mov_b32 s1, -1
                                        ; implicit-def: $vgpr6
	s_branch .LBB76_1255
.LBB76_1245:
	s_or_saveexec_b32 s13, s13
	v_mov_b32_e32 v7, 0x7f800001
	s_xor_b32 exec_lo, exec_lo, s13
	s_cbranch_execz .LBB76_1229
.LBB76_1246:
	v_cmp_ne_u16_e32 vcc_lo, 0, v6
	v_mov_b32_e32 v7, 0
	s_andn2_b32 s6, s6, exec_lo
	s_and_b32 s15, vcc_lo, exec_lo
	s_or_b32 s6, s6, s15
	s_or_b32 exec_lo, exec_lo, s13
	s_and_saveexec_b32 s13, s6
	s_cbranch_execnz .LBB76_1230
	s_branch .LBB76_1231
.LBB76_1247:
	s_mov_b32 s1, -1
                                        ; implicit-def: $vgpr6
	s_branch .LBB76_1252
.LBB76_1248:
	s_mov_b32 s1, -1
                                        ; implicit-def: $vgpr6
.LBB76_1249:
	s_and_b32 vcc_lo, exec_lo, s1
	s_cbranch_vccz .LBB76_1251
; %bb.1250:
	global_load_ubyte v6, v[0:1], off
	s_waitcnt vmcnt(0)
	v_lshlrev_b32_e32 v6, 24, v6
	v_and_b32_e32 v7, 0x7f000000, v6
	v_ffbh_u32_e32 v8, v7
	v_add_nc_u32_e32 v11, 0x1000000, v7
	v_cmp_ne_u32_e32 vcc_lo, 0, v7
	v_min_u32_e32 v8, 32, v8
	v_sub_nc_u32_e64 v8, v8, 4 clamp
	v_lshlrev_b32_e32 v10, v8, v7
	v_lshlrev_b32_e32 v8, 23, v8
	v_lshrrev_b32_e32 v10, 4, v10
	v_sub_nc_u32_e32 v8, v10, v8
	v_ashrrev_i32_e32 v10, 8, v11
	v_add_nc_u32_e32 v8, 0x3c000000, v8
	v_and_or_b32 v8, 0x7f800000, v10, v8
	v_cndmask_b32_e32 v7, 0, v8, vcc_lo
	v_and_or_b32 v6, 0x80000000, v6, v7
	v_bfe_u32 v7, v7, 16, 1
	v_cmp_o_f32_e32 vcc_lo, v6, v6
	v_add3_u32 v6, v6, v7, 0x7fff
	v_mov_b32_e32 v7, 0x7fc0
	v_cndmask_b32_sdwa v6, v7, v6, vcc_lo dst_sel:DWORD dst_unused:UNUSED_PAD src0_sel:DWORD src1_sel:WORD_1
.LBB76_1251:
	s_mov_b32 s1, 0
.LBB76_1252:
	s_andn2_b32 vcc_lo, exec_lo, s1
	s_cbranch_vccnz .LBB76_1254
; %bb.1253:
	global_load_ubyte v6, v[0:1], off
	s_waitcnt vmcnt(0)
	v_lshlrev_b32_e32 v7, 25, v6
	v_lshlrev_b16 v6, 8, v6
	v_lshrrev_b32_e32 v8, 4, v7
	v_and_or_b32 v10, 0x7f00, v6, 0.5
	v_cmp_gt_u32_e32 vcc_lo, 0x8000000, v7
	v_bfe_i32 v6, v6, 0, 16
	v_or_b32_e32 v8, 0x70000000, v8
	v_add_f32_e32 v10, -0.5, v10
	v_mul_f32_e32 v8, 0x7800000, v8
	v_cndmask_b32_e32 v7, v8, v10, vcc_lo
	v_and_or_b32 v6, 0x80000000, v6, v7
	v_bfe_u32 v7, v7, 16, 1
	v_cmp_o_f32_e32 vcc_lo, v6, v6
	v_add3_u32 v6, v6, v7, 0x7fff
	v_mov_b32_e32 v7, 0x7fc0
	v_cndmask_b32_sdwa v6, v7, v6, vcc_lo dst_sel:DWORD dst_unused:UNUSED_PAD src0_sel:DWORD src1_sel:WORD_1
.LBB76_1254:
	s_mov_b32 s1, 0
	s_mov_b32 s6, -1
.LBB76_1255:
	s_andn2_b32 vcc_lo, exec_lo, s1
	s_mov_b32 s1, 0
	s_cbranch_vccnz .LBB76_1266
; %bb.1256:
	s_cmp_gt_i32 s2, 14
	s_cbranch_scc0 .LBB76_1259
; %bb.1257:
	s_cmp_eq_u32 s2, 15
	s_cbranch_scc0 .LBB76_1262
; %bb.1258:
	global_load_ushort v6, v[0:1], off
	s_mov_b32 s0, 0
	s_mov_b32 s6, -1
	s_branch .LBB76_1264
.LBB76_1259:
	s_mov_b32 s1, -1
	s_branch .LBB76_1263
.LBB76_1260:
	s_or_saveexec_b32 s6, s6
	v_mov_b32_e32 v7, 0x7f800001
	s_xor_b32 exec_lo, exec_lo, s6
	s_cbranch_execz .LBB76_1241
.LBB76_1261:
	v_cmp_ne_u16_e32 vcc_lo, 0, v6
	v_mov_b32_e32 v7, 0
	s_andn2_b32 s1, s1, exec_lo
	s_and_b32 s13, vcc_lo, exec_lo
	s_or_b32 s1, s1, s13
	s_or_b32 exec_lo, exec_lo, s6
	s_and_saveexec_b32 s6, s1
	s_cbranch_execnz .LBB76_1242
	s_branch .LBB76_1243
.LBB76_1262:
	s_mov_b32 s0, -1
.LBB76_1263:
                                        ; implicit-def: $vgpr6
.LBB76_1264:
	s_and_b32 vcc_lo, exec_lo, s1
	s_mov_b32 s1, 0
	s_cbranch_vccz .LBB76_1266
; %bb.1265:
	s_cmp_lg_u32 s2, 11
	s_mov_b32 s1, -1
	s_cselect_b32 s0, -1, 0
.LBB76_1266:
	s_and_b32 vcc_lo, exec_lo, s0
	s_cbranch_vccnz .LBB76_1335
; %bb.1267:
	s_andn2_b32 vcc_lo, exec_lo, s1
	s_cbranch_vccnz .LBB76_1269
.LBB76_1268:
	global_load_ubyte v6, v[0:1], off
	s_mov_b32 s6, -1
	s_waitcnt vmcnt(0)
	v_cmp_ne_u16_e32 vcc_lo, 0, v6
	v_cndmask_b32_e64 v6, 0, 1.0, vcc_lo
	v_lshrrev_b32_e32 v6, 16, v6
.LBB76_1269:
	s_branch .LBB76_1195
.LBB76_1270:
	s_cmp_lt_i32 s2, 5
	s_cbranch_scc1 .LBB76_1275
; %bb.1271:
	s_cmp_lt_i32 s2, 8
	s_cbranch_scc1 .LBB76_1276
; %bb.1272:
	;; [unrolled: 3-line block ×3, first 2 shown]
	s_cmp_gt_i32 s2, 9
	s_cbranch_scc0 .LBB76_1278
; %bb.1274:
	global_load_dwordx2 v[6:7], v[0:1], off
	s_mov_b32 s0, 0
	s_waitcnt vmcnt(0)
	v_cvt_f32_f64_e32 v6, v[6:7]
	v_bfe_u32 v7, v6, 16, 1
	v_cmp_o_f32_e32 vcc_lo, v6, v6
	v_add3_u32 v6, v6, v7, 0x7fff
	v_mov_b32_e32 v7, 0x7fc0
	v_cndmask_b32_sdwa v6, v7, v6, vcc_lo dst_sel:DWORD dst_unused:UNUSED_PAD src0_sel:DWORD src1_sel:WORD_1
	s_branch .LBB76_1279
.LBB76_1275:
                                        ; implicit-def: $vgpr6
	s_branch .LBB76_1297
.LBB76_1276:
	s_mov_b32 s0, -1
                                        ; implicit-def: $vgpr6
	s_branch .LBB76_1285
.LBB76_1277:
	s_mov_b32 s0, -1
                                        ; implicit-def: $vgpr6
	s_branch .LBB76_1282
.LBB76_1278:
	s_mov_b32 s0, -1
                                        ; implicit-def: $vgpr6
.LBB76_1279:
	s_andn2_b32 vcc_lo, exec_lo, s0
	s_cbranch_vccnz .LBB76_1281
; %bb.1280:
	global_load_dword v6, v[0:1], off
	s_waitcnt vmcnt(0)
	v_bfe_u32 v7, v6, 16, 1
	v_cmp_o_f32_e32 vcc_lo, v6, v6
	v_add3_u32 v6, v6, v7, 0x7fff
	v_mov_b32_e32 v7, 0x7fc0
	v_cndmask_b32_sdwa v6, v7, v6, vcc_lo dst_sel:DWORD dst_unused:UNUSED_PAD src0_sel:DWORD src1_sel:WORD_1
.LBB76_1281:
	s_mov_b32 s0, 0
.LBB76_1282:
	s_andn2_b32 vcc_lo, exec_lo, s0
	s_cbranch_vccnz .LBB76_1284
; %bb.1283:
	global_load_dword v6, v[0:1], off
	s_waitcnt vmcnt(0)
	v_cvt_f32_f16_e32 v7, v6
	v_cmp_o_f16_e32 vcc_lo, v6, v6
	v_bfe_u32 v8, v7, 16, 1
	v_add3_u32 v6, v7, v8, 0x7fff
	v_mov_b32_e32 v7, 0x7fc0
	v_cndmask_b32_sdwa v6, v7, v6, vcc_lo dst_sel:DWORD dst_unused:UNUSED_PAD src0_sel:DWORD src1_sel:WORD_1
.LBB76_1284:
	s_mov_b32 s0, 0
.LBB76_1285:
	s_andn2_b32 vcc_lo, exec_lo, s0
	s_cbranch_vccnz .LBB76_1296
; %bb.1286:
	s_cmp_lt_i32 s2, 6
	s_cbranch_scc1 .LBB76_1289
; %bb.1287:
	s_cmp_gt_i32 s2, 6
	s_cbranch_scc0 .LBB76_1290
; %bb.1288:
	global_load_dwordx2 v[6:7], v[0:1], off
	s_mov_b32 s0, 0
	s_waitcnt vmcnt(0)
	v_cvt_f32_f64_e32 v6, v[6:7]
	v_bfe_u32 v7, v6, 16, 1
	v_cmp_o_f32_e32 vcc_lo, v6, v6
	v_add3_u32 v6, v6, v7, 0x7fff
	v_mov_b32_e32 v7, 0x7fc0
	v_cndmask_b32_sdwa v6, v7, v6, vcc_lo dst_sel:DWORD dst_unused:UNUSED_PAD src0_sel:DWORD src1_sel:WORD_1
	s_branch .LBB76_1291
.LBB76_1289:
	s_mov_b32 s0, -1
                                        ; implicit-def: $vgpr6
	s_branch .LBB76_1294
.LBB76_1290:
	s_mov_b32 s0, -1
                                        ; implicit-def: $vgpr6
.LBB76_1291:
	s_andn2_b32 vcc_lo, exec_lo, s0
	s_cbranch_vccnz .LBB76_1293
; %bb.1292:
	global_load_dword v6, v[0:1], off
	s_waitcnt vmcnt(0)
	v_bfe_u32 v7, v6, 16, 1
	v_cmp_o_f32_e32 vcc_lo, v6, v6
	v_add3_u32 v6, v6, v7, 0x7fff
	v_mov_b32_e32 v7, 0x7fc0
	v_cndmask_b32_sdwa v6, v7, v6, vcc_lo dst_sel:DWORD dst_unused:UNUSED_PAD src0_sel:DWORD src1_sel:WORD_1
.LBB76_1293:
	s_mov_b32 s0, 0
.LBB76_1294:
	s_andn2_b32 vcc_lo, exec_lo, s0
	s_cbranch_vccnz .LBB76_1296
; %bb.1295:
	global_load_ushort v6, v[0:1], off
	s_waitcnt vmcnt(0)
	v_cvt_f32_f16_e32 v7, v6
	v_cmp_o_f16_e32 vcc_lo, v6, v6
	v_bfe_u32 v8, v7, 16, 1
	v_add3_u32 v6, v7, v8, 0x7fff
	v_mov_b32_e32 v7, 0x7fc0
	v_cndmask_b32_sdwa v6, v7, v6, vcc_lo dst_sel:DWORD dst_unused:UNUSED_PAD src0_sel:DWORD src1_sel:WORD_1
.LBB76_1296:
	s_cbranch_execnz .LBB76_1316
.LBB76_1297:
	s_cmp_lt_i32 s2, 2
	s_cbranch_scc1 .LBB76_1301
; %bb.1298:
	s_cmp_lt_i32 s2, 3
	s_cbranch_scc1 .LBB76_1302
; %bb.1299:
	s_cmp_gt_i32 s2, 3
	s_cbranch_scc0 .LBB76_1303
; %bb.1300:
	global_load_dwordx2 v[6:7], v[0:1], off
	s_mov_b32 s0, 0
	s_waitcnt vmcnt(0)
	v_xor_b32_e32 v8, v6, v7
	v_ffbh_i32_e32 v10, v7
	v_ashrrev_i32_e32 v8, 31, v8
	v_add_nc_u32_e32 v10, -1, v10
	v_add_nc_u32_e32 v8, 32, v8
	v_min_u32_e32 v8, v10, v8
	v_lshlrev_b64 v[6:7], v8, v[6:7]
	v_min_u32_e32 v6, 1, v6
	v_or_b32_e32 v6, v7, v6
	v_sub_nc_u32_e32 v7, 32, v8
	v_cvt_f32_i32_e32 v6, v6
	v_ldexp_f32 v6, v6, v7
	v_bfe_u32 v7, v6, 16, 1
	v_add3_u32 v6, v6, v7, 0x7fff
	v_lshrrev_b32_e32 v6, 16, v6
	s_branch .LBB76_1304
.LBB76_1301:
	s_mov_b32 s0, -1
                                        ; implicit-def: $vgpr6
	s_branch .LBB76_1310
.LBB76_1302:
	s_mov_b32 s0, -1
                                        ; implicit-def: $vgpr6
	s_branch .LBB76_1307
.LBB76_1303:
	s_mov_b32 s0, -1
                                        ; implicit-def: $vgpr6
.LBB76_1304:
	s_andn2_b32 vcc_lo, exec_lo, s0
	s_cbranch_vccnz .LBB76_1306
; %bb.1305:
	global_load_dword v6, v[0:1], off
	s_waitcnt vmcnt(0)
	v_cvt_f32_i32_e32 v6, v6
	v_bfe_u32 v7, v6, 16, 1
	v_add3_u32 v6, v6, v7, 0x7fff
	v_lshrrev_b32_e32 v6, 16, v6
.LBB76_1306:
	s_mov_b32 s0, 0
.LBB76_1307:
	s_andn2_b32 vcc_lo, exec_lo, s0
	s_cbranch_vccnz .LBB76_1309
; %bb.1308:
	global_load_sshort v6, v[0:1], off
	s_waitcnt vmcnt(0)
	v_cvt_f32_i32_e32 v6, v6
	v_bfe_u32 v7, v6, 16, 1
	v_add3_u32 v6, v6, v7, 0x7fff
	v_lshrrev_b32_e32 v6, 16, v6
.LBB76_1309:
	s_mov_b32 s0, 0
.LBB76_1310:
	s_andn2_b32 vcc_lo, exec_lo, s0
	s_cbranch_vccnz .LBB76_1316
; %bb.1311:
	s_cmp_gt_i32 s2, 0
	s_mov_b32 s0, 0
	s_cbranch_scc0 .LBB76_1313
; %bb.1312:
	global_load_sbyte v6, v[0:1], off
	s_waitcnt vmcnt(0)
	v_cvt_f32_i32_e32 v6, v6
	v_bfe_u32 v7, v6, 16, 1
	v_add3_u32 v6, v6, v7, 0x7fff
	v_lshrrev_b32_e32 v6, 16, v6
	s_branch .LBB76_1314
.LBB76_1313:
	s_mov_b32 s0, -1
                                        ; implicit-def: $vgpr6
.LBB76_1314:
	s_andn2_b32 vcc_lo, exec_lo, s0
	s_cbranch_vccnz .LBB76_1316
; %bb.1315:
	global_load_ubyte v0, v[0:1], off
	s_waitcnt vmcnt(0)
	v_cvt_f32_ubyte0_e32 v0, v0
	v_bfe_u32 v1, v0, 16, 1
	v_add3_u32 v0, v0, v1, 0x7fff
	v_lshrrev_b32_e32 v6, 16, v0
.LBB76_1316:
.LBB76_1317:
	s_waitcnt vmcnt(0)
	v_lshlrev_b32_e32 v6, 16, v6
	v_mov_b32_e32 v8, 0
	v_mov_b32_e32 v7, 1.0
	s_mov_b32 s6, exec_lo
	v_cmpx_gt_f32_e32 0.5, v6
	s_cbranch_execz .LBB76_1323
; %bb.1318:
	v_mul_f32_e32 v0, 0x40490fdb, v6
                                        ; implicit-def: $vgpr8
                                        ; implicit-def: $vgpr7
	s_mov_b32 s1, exec_lo
	v_and_b32_e32 v1, 0x7fffffff, v0
	v_cmpx_ngt_f32_e64 0x48000000, |v0|
	s_xor_b32 s13, exec_lo, s1
	s_cbranch_execz .LBB76_1320
; %bb.1319:
	s_mov_b32 s0, 0x7fffff
	v_mov_b32_e32 v11, 0
	v_and_or_b32 v18, v1, s0, 0x800000
	v_mad_u64_u32 v[7:8], null, 0xfe5163ab, v18, 0
	v_mov_b32_e32 v10, v8
	v_lshrrev_b32_e32 v8, 23, v1
	v_mad_u64_u32 v[12:13], null, 0x3c439041, v18, v[10:11]
	v_add_nc_u32_e32 v8, 0xffffff88, v8
	v_cmp_lt_u32_e32 vcc_lo, 63, v8
	v_mov_b32_e32 v10, v13
	v_cndmask_b32_e64 v17, 0, 0xffffffc0, vcc_lo
	v_mad_u64_u32 v[13:14], null, 0xdb629599, v18, v[10:11]
	v_add_nc_u32_e32 v8, v17, v8
	v_mov_b32_e32 v10, v14
	v_cmp_lt_u32_e64 s0, 31, v8
	v_cndmask_b32_e32 v7, v13, v7, vcc_lo
	v_mad_u64_u32 v[14:15], null, 0xf534ddc0, v18, v[10:11]
	v_cndmask_b32_e64 v19, 0, 0xffffffe0, s0
	v_add_nc_u32_e32 v8, v19, v8
	v_mov_b32_e32 v10, v15
	v_cndmask_b32_e32 v12, v14, v12, vcc_lo
	v_cmp_lt_u32_e64 s1, 31, v8
	v_mad_u64_u32 v[15:16], null, 0xfc2757d1, v18, v[10:11]
	v_cndmask_b32_e64 v7, v12, v7, s0
	v_mov_b32_e32 v10, v16
	v_mad_u64_u32 v[16:17], null, 0x4e441529, v18, v[10:11]
	v_mov_b32_e32 v10, v17
	v_cndmask_b32_e64 v17, 0, 0xffffffe0, s1
	v_mad_u64_u32 v[10:11], null, 0xa2f9836e, v18, v[10:11]
	v_cndmask_b32_e32 v18, v16, v14, vcc_lo
	v_add_nc_u32_e32 v8, v17, v8
	v_cndmask_b32_e32 v10, v10, v15, vcc_lo
	v_cndmask_b32_e32 v11, v11, v16, vcc_lo
	;; [unrolled: 1-line block ×3, first 2 shown]
	v_sub_nc_u32_e32 v16, 32, v8
	v_cmp_eq_u32_e32 vcc_lo, 0, v8
	v_cndmask_b32_e64 v14, v10, v18, s0
	v_cndmask_b32_e64 v10, v11, v10, s0
	;; [unrolled: 1-line block ×8, first 2 shown]
	v_alignbit_b32 v17, v10, v14, v16
	v_alignbit_b32 v13, v14, v11, v16
	;; [unrolled: 1-line block ×3, first 2 shown]
	v_cndmask_b32_e32 v8, v17, v10, vcc_lo
	v_cndmask_b32_e32 v10, v13, v14, vcc_lo
	;; [unrolled: 1-line block ×3, first 2 shown]
	v_bfe_u32 v12, v8, 29, 1
	v_alignbit_b32 v13, v8, v10, 30
	v_alignbit_b32 v10, v10, v11, 30
	;; [unrolled: 1-line block ×3, first 2 shown]
	v_sub_nc_u32_e32 v14, 0, v12
	v_xor_b32_e32 v13, v13, v14
	v_xor_b32_e32 v10, v10, v14
	v_xor_b32_e32 v7, v7, v14
	v_lshrrev_b32_e32 v14, 29, v8
	v_lshrrev_b32_e32 v8, 30, v8
	v_ffbh_u32_e32 v15, v13
	v_add_nc_u32_e32 v8, v12, v8
	v_min_u32_e32 v15, 32, v15
	v_sub_nc_u32_e32 v11, 31, v15
	v_lshlrev_b32_e32 v16, 23, v15
	v_alignbit_b32 v13, v13, v10, v11
	v_alignbit_b32 v7, v10, v7, v11
	v_lshlrev_b32_e32 v10, 31, v14
	v_alignbit_b32 v11, v13, v7, 9
	v_or_b32_e32 v14, 0.5, v10
	v_lshrrev_b32_e32 v13, 9, v13
	v_or_b32_e32 v10, 0x33000000, v10
	v_ffbh_u32_e32 v17, v11
	v_sub_nc_u32_e32 v14, v14, v16
	v_min_u32_e32 v16, 32, v17
	v_or_b32_e32 v13, v13, v14
	v_not_b32_e32 v14, v16
	v_mul_f32_e32 v17, 0x3fc90fda, v13
	v_add_lshl_u32 v15, v16, v15, 23
	v_alignbit_b32 v7, v11, v7, v14
	v_fma_f32 v11, 0x3fc90fda, v13, -v17
	v_sub_nc_u32_e32 v10, v10, v15
	v_lshrrev_b32_e32 v7, 9, v7
	v_fmamk_f32 v11, v13, 0x33a22168, v11
	v_or_b32_e32 v7, v10, v7
	v_fmac_f32_e32 v11, 0x3fc90fda, v7
	v_add_f32_e32 v7, v17, v11
.LBB76_1320:
	s_andn2_saveexec_b32 s0, s13
; %bb.1321:
	v_mul_f32_e64 v7, 0x3f22f983, |v0|
	v_rndne_f32_e32 v8, v7
	v_fma_f32 v7, 0xbfc90fda, v8, |v0|
	v_fmamk_f32 v7, v8, 0xb3a22168, v7
	v_fmamk_f32 v7, v8, 0xa7c234c4, v7
	v_cvt_i32_f32_e32 v8, v8
; %bb.1322:
	s_or_b32 exec_lo, exec_lo, s0
	v_mul_f32_e32 v10, v7, v7
	s_mov_b32 s0, 0xb94c1982
	s_mov_b32 s1, 0x37d75334
	v_and_b32_e32 v13, 1, v8
	v_lshlrev_b32_e32 v8, 30, v8
	v_fmaak_f32 v11, s0, v10, 0x3c0881c4
	v_fmaak_f32 v12, s1, v10, 0xbab64f3b
	v_xor_b32_e32 v1, v1, v0
	v_cmp_eq_u32_e32 vcc_lo, 0, v13
	v_and_b32_e32 v8, 0x80000000, v8
	v_fmaak_f32 v11, v10, v11, 0xbe2aaa9d
	v_fmaak_f32 v12, v10, v12, 0x3d2aabf7
	v_sub_f32_e32 v6, 1.0, v6
	v_mul_f32_e32 v11, v10, v11
	v_fmaak_f32 v12, v10, v12, 0xbf000004
	v_fmac_f32_e32 v7, v7, v11
	v_fma_f32 v10, v10, v12, 1.0
	v_cndmask_b32_e32 v7, v10, v7, vcc_lo
	v_cmp_class_f32_e64 vcc_lo, v0, 0x1f8
	v_xor3_b32 v1, v1, v8, v7
	v_cndmask_b32_e32 v0, 0x7fc00000, v1, vcc_lo
	v_mul_f32_e32 v0, v0, v0
	v_div_scale_f32 v1, null, v0, v0, 0xc11de9e7
	v_div_scale_f32 v10, vcc_lo, 0xc11de9e7, v0, 0xc11de9e7
	v_rcp_f32_e32 v7, v1
	v_fma_f32 v8, -v1, v7, 1.0
	v_fmac_f32_e32 v7, v8, v7
	v_mul_f32_e32 v8, v10, v7
	v_fma_f32 v11, -v1, v8, v10
	v_fmac_f32_e32 v8, v11, v7
	v_fma_f32 v1, -v1, v8, v10
	v_div_fmas_f32 v1, v1, v7, v8
	v_mov_b32_e32 v7, -1.0
	v_div_fixup_f32 v0, v1, v0, 0xc11de9e7
	v_add_f32_e32 v8, 0, v0
.LBB76_1323:
	s_or_b32 exec_lo, exec_lo, s6
	v_add_nc_u32_e32 v12, s3, v9
	s_cmp_lt_i32 s2, 11
	v_ashrrev_i32_e32 v1, 31, v12
	v_add_co_u32 v0, vcc_lo, s10, v12
	v_add_co_ci_u32_e64 v1, null, s11, v1, vcc_lo
	s_cbranch_scc1 .LBB76_1330
; %bb.1324:
	s_cmp_gt_i32 s2, 25
	s_mov_b32 s1, 0
	s_cbranch_scc0 .LBB76_1332
; %bb.1325:
	s_cmp_gt_i32 s2, 28
	s_cbranch_scc0 .LBB76_1333
; %bb.1326:
	s_cmp_gt_i32 s2, 43
	;; [unrolled: 3-line block ×3, first 2 shown]
	s_cbranch_scc0 .LBB76_1336
; %bb.1328:
	s_cmp_eq_u32 s2, 46
	s_mov_b32 s13, 0
	s_cbranch_scc0 .LBB76_1337
; %bb.1329:
	global_load_dword v9, v[0:1], off
	s_mov_b32 s0, 0
	s_mov_b32 s6, -1
	s_branch .LBB76_1339
.LBB76_1330:
	s_mov_b32 s6, 0
                                        ; implicit-def: $vgpr9
	s_cbranch_execnz .LBB76_1405
.LBB76_1331:
	s_andn2_b32 vcc_lo, exec_lo, s6
	s_cbranch_vccnz .LBB76_2029
	s_branch .LBB76_1453
.LBB76_1332:
	s_mov_b32 s13, -1
	s_mov_b32 s6, 0
	s_mov_b32 s0, 0
                                        ; implicit-def: $vgpr9
	s_branch .LBB76_1368
.LBB76_1333:
	s_mov_b32 s13, -1
	s_mov_b32 s6, 0
	s_mov_b32 s0, 0
                                        ; implicit-def: $vgpr9
	s_branch .LBB76_1349
.LBB76_1334:
	s_mov_b32 s13, -1
	s_mov_b32 s6, 0
	s_mov_b32 s0, 0
                                        ; implicit-def: $vgpr9
	s_branch .LBB76_1344
.LBB76_1335:
	s_or_b32 s5, s5, exec_lo
	s_trap 2
	s_cbranch_execz .LBB76_1268
	s_branch .LBB76_1269
.LBB76_1336:
	s_mov_b32 s13, -1
	s_mov_b32 s6, 0
	s_mov_b32 s0, 0
	s_branch .LBB76_1338
.LBB76_1337:
	s_mov_b32 s0, -1
	s_mov_b32 s6, 0
.LBB76_1338:
                                        ; implicit-def: $vgpr9
.LBB76_1339:
	s_and_b32 vcc_lo, exec_lo, s13
	s_cbranch_vccz .LBB76_1343
; %bb.1340:
	s_cmp_eq_u32 s2, 44
	s_cbranch_scc0 .LBB76_1342
; %bb.1341:
	global_load_ubyte v9, v[0:1], off
	s_mov_b32 s0, 0
	s_mov_b32 s6, -1
	s_waitcnt vmcnt(0)
	v_lshlrev_b32_e32 v10, 23, v9
	v_cmp_ne_u32_e32 vcc_lo, 0xff, v9
	v_cndmask_b32_e32 v10, 0x7f800001, v10, vcc_lo
	v_cmp_ne_u32_e32 vcc_lo, 0, v9
	v_cndmask_b32_e32 v9, 0x400000, v10, vcc_lo
	v_mov_b32_e32 v10, 0x7fc0
	v_cmp_o_f32_e32 vcc_lo, v9, v9
	v_add_nc_u32_e32 v9, 0x7fff, v9
	v_cndmask_b32_sdwa v9, v10, v9, vcc_lo dst_sel:DWORD dst_unused:UNUSED_PAD src0_sel:DWORD src1_sel:WORD_1
	s_branch .LBB76_1343
.LBB76_1342:
	s_mov_b32 s0, -1
                                        ; implicit-def: $vgpr9
.LBB76_1343:
	s_mov_b32 s13, 0
.LBB76_1344:
	s_and_b32 vcc_lo, exec_lo, s13
	s_cbranch_vccz .LBB76_1348
; %bb.1345:
	s_cmp_eq_u32 s2, 29
	s_cbranch_scc0 .LBB76_1347
; %bb.1346:
	global_load_dwordx2 v[9:10], v[0:1], off
	s_mov_b32 s0, 0
	s_mov_b32 s6, -1
	s_mov_b32 s13, 0
	s_waitcnt vmcnt(0)
	v_ffbh_u32_e32 v11, v10
	v_min_u32_e32 v11, 32, v11
	v_lshlrev_b64 v[9:10], v11, v[9:10]
	v_min_u32_e32 v9, 1, v9
	v_or_b32_e32 v9, v10, v9
	v_sub_nc_u32_e32 v10, 32, v11
	v_cvt_f32_u32_e32 v9, v9
	v_ldexp_f32 v9, v9, v10
	v_bfe_u32 v10, v9, 16, 1
	v_add3_u32 v9, v9, v10, 0x7fff
	v_lshrrev_b32_e32 v9, 16, v9
	s_branch .LBB76_1349
.LBB76_1347:
	s_mov_b32 s0, -1
                                        ; implicit-def: $vgpr9
.LBB76_1348:
	s_mov_b32 s13, 0
.LBB76_1349:
	s_and_b32 vcc_lo, exec_lo, s13
	s_cbranch_vccz .LBB76_1367
; %bb.1350:
	s_cmp_lt_i32 s2, 27
	s_cbranch_scc1 .LBB76_1353
; %bb.1351:
	s_cmp_gt_i32 s2, 27
	s_cbranch_scc0 .LBB76_1354
; %bb.1352:
	global_load_dword v9, v[0:1], off
	s_mov_b32 s6, 0
	s_waitcnt vmcnt(0)
	v_cvt_f32_u32_e32 v9, v9
	v_bfe_u32 v10, v9, 16, 1
	v_add3_u32 v9, v9, v10, 0x7fff
	v_lshrrev_b32_e32 v9, 16, v9
	s_branch .LBB76_1355
.LBB76_1353:
	s_mov_b32 s6, -1
                                        ; implicit-def: $vgpr9
	s_branch .LBB76_1358
.LBB76_1354:
	s_mov_b32 s6, -1
                                        ; implicit-def: $vgpr9
.LBB76_1355:
	s_andn2_b32 vcc_lo, exec_lo, s6
	s_cbranch_vccnz .LBB76_1357
; %bb.1356:
	global_load_ushort v9, v[0:1], off
	s_waitcnt vmcnt(0)
	v_cvt_f32_u32_e32 v9, v9
	v_bfe_u32 v10, v9, 16, 1
	v_add3_u32 v9, v9, v10, 0x7fff
	v_lshrrev_b32_e32 v9, 16, v9
.LBB76_1357:
	s_mov_b32 s6, 0
.LBB76_1358:
	s_andn2_b32 vcc_lo, exec_lo, s6
	s_cbranch_vccnz .LBB76_1366
; %bb.1359:
	global_load_ubyte v9, v[0:1], off
	s_mov_b32 s6, 0
	s_mov_b32 s13, exec_lo
	s_waitcnt vmcnt(0)
	v_cmpx_lt_i16_e32 0x7f, v9
	s_xor_b32 s13, exec_lo, s13
	s_cbranch_execz .LBB76_1380
; %bb.1360:
	s_mov_b32 s6, -1
	s_mov_b32 s15, exec_lo
	v_cmpx_eq_u16_e32 0x80, v9
; %bb.1361:
	s_xor_b32 s6, exec_lo, -1
; %bb.1362:
	s_or_b32 exec_lo, exec_lo, s15
	s_and_b32 s6, s6, exec_lo
	s_or_saveexec_b32 s13, s13
	v_mov_b32_e32 v10, 0x7f800001
	s_xor_b32 exec_lo, exec_lo, s13
	s_cbranch_execnz .LBB76_1381
.LBB76_1363:
	s_or_b32 exec_lo, exec_lo, s13
	s_and_saveexec_b32 s13, s6
	s_cbranch_execz .LBB76_1365
.LBB76_1364:
	v_and_b32_e32 v10, 0xffff, v9
	v_lshlrev_b32_e32 v9, 24, v9
	v_and_b32_e32 v11, 7, v10
	v_bfe_u32 v15, v10, 3, 4
	v_and_b32_e32 v9, 0x80000000, v9
	v_ffbh_u32_e32 v13, v11
	v_cmp_eq_u32_e32 vcc_lo, 0, v15
	v_min_u32_e32 v13, 32, v13
	v_subrev_nc_u32_e32 v14, 28, v13
	v_sub_nc_u32_e32 v13, 29, v13
	v_lshlrev_b32_e32 v10, v14, v10
	v_cndmask_b32_e32 v13, v15, v13, vcc_lo
	v_and_b32_e32 v10, 7, v10
	v_cndmask_b32_e32 v10, v11, v10, vcc_lo
	v_lshl_add_u32 v11, v13, 23, 0x3b800000
	v_lshlrev_b32_e32 v10, 20, v10
	v_or3_b32 v10, v9, v11, v10
.LBB76_1365:
	s_or_b32 exec_lo, exec_lo, s13
	v_bfe_u32 v9, v10, 16, 1
	v_cmp_o_f32_e32 vcc_lo, v10, v10
	v_add3_u32 v9, v10, v9, 0x7fff
	v_mov_b32_e32 v10, 0x7fc0
	v_cndmask_b32_sdwa v9, v10, v9, vcc_lo dst_sel:DWORD dst_unused:UNUSED_PAD src0_sel:DWORD src1_sel:WORD_1
.LBB76_1366:
	s_mov_b32 s6, -1
.LBB76_1367:
	s_mov_b32 s13, 0
.LBB76_1368:
	s_and_b32 vcc_lo, exec_lo, s13
	s_cbranch_vccz .LBB76_1401
; %bb.1369:
	s_cmp_gt_i32 s2, 22
	s_cbranch_scc0 .LBB76_1379
; %bb.1370:
	s_cmp_lt_i32 s2, 24
	s_cbranch_scc1 .LBB76_1382
; %bb.1371:
	s_cmp_gt_i32 s2, 24
	s_cbranch_scc0 .LBB76_1383
; %bb.1372:
	global_load_ubyte v9, v[0:1], off
	s_mov_b32 s6, exec_lo
	s_waitcnt vmcnt(0)
	v_cmpx_lt_i16_e32 0x7f, v9
	s_xor_b32 s6, exec_lo, s6
	s_cbranch_execz .LBB76_1395
; %bb.1373:
	s_mov_b32 s1, -1
	s_mov_b32 s13, exec_lo
	v_cmpx_eq_u16_e32 0x80, v9
; %bb.1374:
	s_xor_b32 s1, exec_lo, -1
; %bb.1375:
	s_or_b32 exec_lo, exec_lo, s13
	s_and_b32 s1, s1, exec_lo
	s_or_saveexec_b32 s6, s6
	v_mov_b32_e32 v10, 0x7f800001
	s_xor_b32 exec_lo, exec_lo, s6
	s_cbranch_execnz .LBB76_1396
.LBB76_1376:
	s_or_b32 exec_lo, exec_lo, s6
	s_and_saveexec_b32 s6, s1
	s_cbranch_execz .LBB76_1378
.LBB76_1377:
	v_and_b32_e32 v10, 0xffff, v9
	v_lshlrev_b32_e32 v9, 24, v9
	v_and_b32_e32 v11, 3, v10
	v_bfe_u32 v15, v10, 2, 5
	v_and_b32_e32 v9, 0x80000000, v9
	v_ffbh_u32_e32 v13, v11
	v_cmp_eq_u32_e32 vcc_lo, 0, v15
	v_min_u32_e32 v13, 32, v13
	v_subrev_nc_u32_e32 v14, 29, v13
	v_sub_nc_u32_e32 v13, 30, v13
	v_lshlrev_b32_e32 v10, v14, v10
	v_cndmask_b32_e32 v13, v15, v13, vcc_lo
	v_and_b32_e32 v10, 3, v10
	v_cndmask_b32_e32 v10, v11, v10, vcc_lo
	v_lshl_add_u32 v11, v13, 23, 0x37800000
	v_lshlrev_b32_e32 v10, 21, v10
	v_or3_b32 v10, v9, v11, v10
.LBB76_1378:
	s_or_b32 exec_lo, exec_lo, s6
	v_bfe_u32 v9, v10, 16, 1
	v_cmp_o_f32_e32 vcc_lo, v10, v10
	s_mov_b32 s1, 0
	v_add3_u32 v9, v10, v9, 0x7fff
	v_mov_b32_e32 v10, 0x7fc0
	v_cndmask_b32_sdwa v9, v10, v9, vcc_lo dst_sel:DWORD dst_unused:UNUSED_PAD src0_sel:DWORD src1_sel:WORD_1
	s_branch .LBB76_1384
.LBB76_1379:
	s_mov_b32 s1, -1
                                        ; implicit-def: $vgpr9
	s_branch .LBB76_1390
.LBB76_1380:
	s_or_saveexec_b32 s13, s13
	v_mov_b32_e32 v10, 0x7f800001
	s_xor_b32 exec_lo, exec_lo, s13
	s_cbranch_execz .LBB76_1363
.LBB76_1381:
	v_cmp_ne_u16_e32 vcc_lo, 0, v9
	v_mov_b32_e32 v10, 0
	s_andn2_b32 s6, s6, exec_lo
	s_and_b32 s15, vcc_lo, exec_lo
	s_or_b32 s6, s6, s15
	s_or_b32 exec_lo, exec_lo, s13
	s_and_saveexec_b32 s13, s6
	s_cbranch_execnz .LBB76_1364
	s_branch .LBB76_1365
.LBB76_1382:
	s_mov_b32 s1, -1
                                        ; implicit-def: $vgpr9
	s_branch .LBB76_1387
.LBB76_1383:
	s_mov_b32 s1, -1
                                        ; implicit-def: $vgpr9
.LBB76_1384:
	s_and_b32 vcc_lo, exec_lo, s1
	s_cbranch_vccz .LBB76_1386
; %bb.1385:
	global_load_ubyte v9, v[0:1], off
	s_waitcnt vmcnt(0)
	v_lshlrev_b32_e32 v9, 24, v9
	v_and_b32_e32 v10, 0x7f000000, v9
	v_ffbh_u32_e32 v11, v10
	v_add_nc_u32_e32 v14, 0x1000000, v10
	v_cmp_ne_u32_e32 vcc_lo, 0, v10
	v_min_u32_e32 v11, 32, v11
	v_sub_nc_u32_e64 v11, v11, 4 clamp
	v_lshlrev_b32_e32 v13, v11, v10
	v_lshlrev_b32_e32 v11, 23, v11
	v_lshrrev_b32_e32 v13, 4, v13
	v_sub_nc_u32_e32 v11, v13, v11
	v_ashrrev_i32_e32 v13, 8, v14
	v_add_nc_u32_e32 v11, 0x3c000000, v11
	v_and_or_b32 v11, 0x7f800000, v13, v11
	v_cndmask_b32_e32 v10, 0, v11, vcc_lo
	v_and_or_b32 v9, 0x80000000, v9, v10
	v_bfe_u32 v10, v10, 16, 1
	v_cmp_o_f32_e32 vcc_lo, v9, v9
	v_add3_u32 v9, v9, v10, 0x7fff
	v_mov_b32_e32 v10, 0x7fc0
	v_cndmask_b32_sdwa v9, v10, v9, vcc_lo dst_sel:DWORD dst_unused:UNUSED_PAD src0_sel:DWORD src1_sel:WORD_1
.LBB76_1386:
	s_mov_b32 s1, 0
.LBB76_1387:
	s_andn2_b32 vcc_lo, exec_lo, s1
	s_cbranch_vccnz .LBB76_1389
; %bb.1388:
	global_load_ubyte v9, v[0:1], off
	s_waitcnt vmcnt(0)
	v_lshlrev_b32_e32 v10, 25, v9
	v_lshlrev_b16 v9, 8, v9
	v_lshrrev_b32_e32 v11, 4, v10
	v_and_or_b32 v13, 0x7f00, v9, 0.5
	v_cmp_gt_u32_e32 vcc_lo, 0x8000000, v10
	v_bfe_i32 v9, v9, 0, 16
	v_or_b32_e32 v11, 0x70000000, v11
	v_add_f32_e32 v13, -0.5, v13
	v_mul_f32_e32 v11, 0x7800000, v11
	v_cndmask_b32_e32 v10, v11, v13, vcc_lo
	v_and_or_b32 v9, 0x80000000, v9, v10
	v_bfe_u32 v10, v10, 16, 1
	v_cmp_o_f32_e32 vcc_lo, v9, v9
	v_add3_u32 v9, v9, v10, 0x7fff
	v_mov_b32_e32 v10, 0x7fc0
	v_cndmask_b32_sdwa v9, v10, v9, vcc_lo dst_sel:DWORD dst_unused:UNUSED_PAD src0_sel:DWORD src1_sel:WORD_1
.LBB76_1389:
	s_mov_b32 s1, 0
	s_mov_b32 s6, -1
.LBB76_1390:
	s_andn2_b32 vcc_lo, exec_lo, s1
	s_mov_b32 s1, 0
	s_cbranch_vccnz .LBB76_1401
; %bb.1391:
	s_cmp_gt_i32 s2, 14
	s_cbranch_scc0 .LBB76_1394
; %bb.1392:
	s_cmp_eq_u32 s2, 15
	s_cbranch_scc0 .LBB76_1397
; %bb.1393:
	global_load_ushort v9, v[0:1], off
	s_mov_b32 s0, 0
	s_mov_b32 s6, -1
	s_branch .LBB76_1399
.LBB76_1394:
	s_mov_b32 s1, -1
	s_branch .LBB76_1398
.LBB76_1395:
	s_or_saveexec_b32 s6, s6
	v_mov_b32_e32 v10, 0x7f800001
	s_xor_b32 exec_lo, exec_lo, s6
	s_cbranch_execz .LBB76_1376
.LBB76_1396:
	v_cmp_ne_u16_e32 vcc_lo, 0, v9
	v_mov_b32_e32 v10, 0
	s_andn2_b32 s1, s1, exec_lo
	s_and_b32 s13, vcc_lo, exec_lo
	s_or_b32 s1, s1, s13
	s_or_b32 exec_lo, exec_lo, s6
	s_and_saveexec_b32 s6, s1
	s_cbranch_execnz .LBB76_1377
	s_branch .LBB76_1378
.LBB76_1397:
	s_mov_b32 s0, -1
.LBB76_1398:
                                        ; implicit-def: $vgpr9
.LBB76_1399:
	s_and_b32 vcc_lo, exec_lo, s1
	s_mov_b32 s1, 0
	s_cbranch_vccz .LBB76_1401
; %bb.1400:
	s_cmp_lg_u32 s2, 11
	s_mov_b32 s1, -1
	s_cselect_b32 s0, -1, 0
.LBB76_1401:
	s_and_b32 vcc_lo, exec_lo, s0
	s_cbranch_vccnz .LBB76_1470
; %bb.1402:
	s_andn2_b32 vcc_lo, exec_lo, s1
	s_cbranch_vccnz .LBB76_1404
.LBB76_1403:
	global_load_ubyte v9, v[0:1], off
	s_mov_b32 s6, -1
	s_waitcnt vmcnt(0)
	v_cmp_ne_u16_e32 vcc_lo, 0, v9
	v_cndmask_b32_e64 v9, 0, 1.0, vcc_lo
	v_lshrrev_b32_e32 v9, 16, v9
.LBB76_1404:
	s_branch .LBB76_1331
.LBB76_1405:
	s_cmp_lt_i32 s2, 5
	s_cbranch_scc1 .LBB76_1410
; %bb.1406:
	s_cmp_lt_i32 s2, 8
	s_cbranch_scc1 .LBB76_1411
; %bb.1407:
	;; [unrolled: 3-line block ×3, first 2 shown]
	s_cmp_gt_i32 s2, 9
	s_cbranch_scc0 .LBB76_1413
; %bb.1409:
	global_load_dwordx2 v[9:10], v[0:1], off
	s_mov_b32 s0, 0
	s_waitcnt vmcnt(0)
	v_cvt_f32_f64_e32 v9, v[9:10]
	v_bfe_u32 v10, v9, 16, 1
	v_cmp_o_f32_e32 vcc_lo, v9, v9
	v_add3_u32 v9, v9, v10, 0x7fff
	v_mov_b32_e32 v10, 0x7fc0
	v_cndmask_b32_sdwa v9, v10, v9, vcc_lo dst_sel:DWORD dst_unused:UNUSED_PAD src0_sel:DWORD src1_sel:WORD_1
	s_branch .LBB76_1414
.LBB76_1410:
	s_mov_b32 s0, -1
                                        ; implicit-def: $vgpr9
	s_branch .LBB76_1432
.LBB76_1411:
	s_mov_b32 s0, -1
                                        ; implicit-def: $vgpr9
	s_branch .LBB76_1420
.LBB76_1412:
	s_mov_b32 s0, -1
                                        ; implicit-def: $vgpr9
	s_branch .LBB76_1417
.LBB76_1413:
	s_mov_b32 s0, -1
                                        ; implicit-def: $vgpr9
.LBB76_1414:
	s_andn2_b32 vcc_lo, exec_lo, s0
	s_cbranch_vccnz .LBB76_1416
; %bb.1415:
	global_load_dword v9, v[0:1], off
	s_waitcnt vmcnt(0)
	v_bfe_u32 v10, v9, 16, 1
	v_cmp_o_f32_e32 vcc_lo, v9, v9
	v_add3_u32 v9, v9, v10, 0x7fff
	v_mov_b32_e32 v10, 0x7fc0
	v_cndmask_b32_sdwa v9, v10, v9, vcc_lo dst_sel:DWORD dst_unused:UNUSED_PAD src0_sel:DWORD src1_sel:WORD_1
.LBB76_1416:
	s_mov_b32 s0, 0
.LBB76_1417:
	s_andn2_b32 vcc_lo, exec_lo, s0
	s_cbranch_vccnz .LBB76_1419
; %bb.1418:
	global_load_dword v9, v[0:1], off
	s_waitcnt vmcnt(0)
	v_cvt_f32_f16_e32 v10, v9
	v_cmp_o_f16_e32 vcc_lo, v9, v9
	v_bfe_u32 v11, v10, 16, 1
	v_add3_u32 v9, v10, v11, 0x7fff
	v_mov_b32_e32 v10, 0x7fc0
	v_cndmask_b32_sdwa v9, v10, v9, vcc_lo dst_sel:DWORD dst_unused:UNUSED_PAD src0_sel:DWORD src1_sel:WORD_1
.LBB76_1419:
	s_mov_b32 s0, 0
.LBB76_1420:
	s_andn2_b32 vcc_lo, exec_lo, s0
	s_cbranch_vccnz .LBB76_1431
; %bb.1421:
	s_cmp_lt_i32 s2, 6
	s_cbranch_scc1 .LBB76_1424
; %bb.1422:
	s_cmp_gt_i32 s2, 6
	s_cbranch_scc0 .LBB76_1425
; %bb.1423:
	global_load_dwordx2 v[9:10], v[0:1], off
	s_mov_b32 s0, 0
	s_waitcnt vmcnt(0)
	v_cvt_f32_f64_e32 v9, v[9:10]
	v_bfe_u32 v10, v9, 16, 1
	v_cmp_o_f32_e32 vcc_lo, v9, v9
	v_add3_u32 v9, v9, v10, 0x7fff
	v_mov_b32_e32 v10, 0x7fc0
	v_cndmask_b32_sdwa v9, v10, v9, vcc_lo dst_sel:DWORD dst_unused:UNUSED_PAD src0_sel:DWORD src1_sel:WORD_1
	s_branch .LBB76_1426
.LBB76_1424:
	s_mov_b32 s0, -1
                                        ; implicit-def: $vgpr9
	s_branch .LBB76_1429
.LBB76_1425:
	s_mov_b32 s0, -1
                                        ; implicit-def: $vgpr9
.LBB76_1426:
	s_andn2_b32 vcc_lo, exec_lo, s0
	s_cbranch_vccnz .LBB76_1428
; %bb.1427:
	global_load_dword v9, v[0:1], off
	s_waitcnt vmcnt(0)
	v_bfe_u32 v10, v9, 16, 1
	v_cmp_o_f32_e32 vcc_lo, v9, v9
	v_add3_u32 v9, v9, v10, 0x7fff
	v_mov_b32_e32 v10, 0x7fc0
	v_cndmask_b32_sdwa v9, v10, v9, vcc_lo dst_sel:DWORD dst_unused:UNUSED_PAD src0_sel:DWORD src1_sel:WORD_1
.LBB76_1428:
	s_mov_b32 s0, 0
.LBB76_1429:
	s_andn2_b32 vcc_lo, exec_lo, s0
	s_cbranch_vccnz .LBB76_1431
; %bb.1430:
	global_load_ushort v9, v[0:1], off
	s_waitcnt vmcnt(0)
	v_cvt_f32_f16_e32 v10, v9
	v_cmp_o_f16_e32 vcc_lo, v9, v9
	v_bfe_u32 v11, v10, 16, 1
	v_add3_u32 v9, v10, v11, 0x7fff
	v_mov_b32_e32 v10, 0x7fc0
	v_cndmask_b32_sdwa v9, v10, v9, vcc_lo dst_sel:DWORD dst_unused:UNUSED_PAD src0_sel:DWORD src1_sel:WORD_1
.LBB76_1431:
	s_mov_b32 s0, 0
.LBB76_1432:
	s_andn2_b32 vcc_lo, exec_lo, s0
	s_cbranch_vccnz .LBB76_1452
; %bb.1433:
	s_cmp_lt_i32 s2, 2
	s_cbranch_scc1 .LBB76_1437
; %bb.1434:
	s_cmp_lt_i32 s2, 3
	s_cbranch_scc1 .LBB76_1438
; %bb.1435:
	s_cmp_gt_i32 s2, 3
	s_cbranch_scc0 .LBB76_1439
; %bb.1436:
	global_load_dwordx2 v[9:10], v[0:1], off
	s_mov_b32 s0, 0
	s_waitcnt vmcnt(0)
	v_xor_b32_e32 v11, v9, v10
	v_ffbh_i32_e32 v13, v10
	v_ashrrev_i32_e32 v11, 31, v11
	v_add_nc_u32_e32 v13, -1, v13
	v_add_nc_u32_e32 v11, 32, v11
	v_min_u32_e32 v11, v13, v11
	v_lshlrev_b64 v[9:10], v11, v[9:10]
	v_min_u32_e32 v9, 1, v9
	v_or_b32_e32 v9, v10, v9
	v_sub_nc_u32_e32 v10, 32, v11
	v_cvt_f32_i32_e32 v9, v9
	v_ldexp_f32 v9, v9, v10
	v_bfe_u32 v10, v9, 16, 1
	v_add3_u32 v9, v9, v10, 0x7fff
	v_lshrrev_b32_e32 v9, 16, v9
	s_branch .LBB76_1440
.LBB76_1437:
	s_mov_b32 s0, -1
                                        ; implicit-def: $vgpr9
	s_branch .LBB76_1446
.LBB76_1438:
	s_mov_b32 s0, -1
                                        ; implicit-def: $vgpr9
	s_branch .LBB76_1443
.LBB76_1439:
	s_mov_b32 s0, -1
                                        ; implicit-def: $vgpr9
.LBB76_1440:
	s_andn2_b32 vcc_lo, exec_lo, s0
	s_cbranch_vccnz .LBB76_1442
; %bb.1441:
	global_load_dword v9, v[0:1], off
	s_waitcnt vmcnt(0)
	v_cvt_f32_i32_e32 v9, v9
	v_bfe_u32 v10, v9, 16, 1
	v_add3_u32 v9, v9, v10, 0x7fff
	v_lshrrev_b32_e32 v9, 16, v9
.LBB76_1442:
	s_mov_b32 s0, 0
.LBB76_1443:
	s_andn2_b32 vcc_lo, exec_lo, s0
	s_cbranch_vccnz .LBB76_1445
; %bb.1444:
	global_load_sshort v9, v[0:1], off
	s_waitcnt vmcnt(0)
	v_cvt_f32_i32_e32 v9, v9
	v_bfe_u32 v10, v9, 16, 1
	v_add3_u32 v9, v9, v10, 0x7fff
	v_lshrrev_b32_e32 v9, 16, v9
.LBB76_1445:
	s_mov_b32 s0, 0
.LBB76_1446:
	s_andn2_b32 vcc_lo, exec_lo, s0
	s_cbranch_vccnz .LBB76_1452
; %bb.1447:
	s_cmp_gt_i32 s2, 0
	s_mov_b32 s0, 0
	s_cbranch_scc0 .LBB76_1449
; %bb.1448:
	global_load_sbyte v9, v[0:1], off
	s_waitcnt vmcnt(0)
	v_cvt_f32_i32_e32 v9, v9
	v_bfe_u32 v10, v9, 16, 1
	v_add3_u32 v9, v9, v10, 0x7fff
	v_lshrrev_b32_e32 v9, 16, v9
	s_branch .LBB76_1450
.LBB76_1449:
	s_mov_b32 s0, -1
                                        ; implicit-def: $vgpr9
.LBB76_1450:
	s_andn2_b32 vcc_lo, exec_lo, s0
	s_cbranch_vccnz .LBB76_1452
; %bb.1451:
	global_load_ubyte v0, v[0:1], off
	s_waitcnt vmcnt(0)
	v_cvt_f32_ubyte0_e32 v0, v0
	v_bfe_u32 v1, v0, 16, 1
	v_add3_u32 v0, v0, v1, 0x7fff
	v_lshrrev_b32_e32 v9, 16, v0
.LBB76_1452:
.LBB76_1453:
	s_waitcnt vmcnt(0)
	v_lshlrev_b32_e32 v9, 16, v9
	v_mov_b32_e32 v11, 0
	v_mov_b32_e32 v10, 1.0
	s_mov_b32 s6, exec_lo
	v_cmpx_gt_f32_e32 0.5, v9
	s_cbranch_execz .LBB76_1459
; %bb.1454:
	v_mul_f32_e32 v0, 0x40490fdb, v9
                                        ; implicit-def: $vgpr11
                                        ; implicit-def: $vgpr10
	s_mov_b32 s1, exec_lo
	v_and_b32_e32 v1, 0x7fffffff, v0
	v_cmpx_ngt_f32_e64 0x48000000, |v0|
	s_xor_b32 s13, exec_lo, s1
	s_cbranch_execz .LBB76_1456
; %bb.1455:
	s_mov_b32 s0, 0x7fffff
	v_mov_b32_e32 v14, 0
	v_and_or_b32 v21, v1, s0, 0x800000
	v_mad_u64_u32 v[10:11], null, 0xfe5163ab, v21, 0
	v_mov_b32_e32 v13, v11
	v_lshrrev_b32_e32 v11, 23, v1
	v_mad_u64_u32 v[15:16], null, 0x3c439041, v21, v[13:14]
	v_add_nc_u32_e32 v11, 0xffffff88, v11
	v_cmp_lt_u32_e32 vcc_lo, 63, v11
	v_mov_b32_e32 v13, v16
	v_cndmask_b32_e64 v20, 0, 0xffffffc0, vcc_lo
	v_mad_u64_u32 v[16:17], null, 0xdb629599, v21, v[13:14]
	v_add_nc_u32_e32 v11, v20, v11
	v_mov_b32_e32 v13, v17
	v_cmp_lt_u32_e64 s0, 31, v11
	v_cndmask_b32_e32 v10, v16, v10, vcc_lo
	v_mad_u64_u32 v[17:18], null, 0xf534ddc0, v21, v[13:14]
	v_cndmask_b32_e64 v22, 0, 0xffffffe0, s0
	v_add_nc_u32_e32 v11, v22, v11
	v_mov_b32_e32 v13, v18
	v_cndmask_b32_e32 v15, v17, v15, vcc_lo
	v_cmp_lt_u32_e64 s1, 31, v11
	v_mad_u64_u32 v[18:19], null, 0xfc2757d1, v21, v[13:14]
	v_cndmask_b32_e64 v10, v15, v10, s0
	v_mov_b32_e32 v13, v19
	v_mad_u64_u32 v[19:20], null, 0x4e441529, v21, v[13:14]
	v_mov_b32_e32 v13, v20
	v_cndmask_b32_e64 v20, 0, 0xffffffe0, s1
	v_mad_u64_u32 v[13:14], null, 0xa2f9836e, v21, v[13:14]
	v_cndmask_b32_e32 v21, v19, v17, vcc_lo
	v_add_nc_u32_e32 v11, v20, v11
	v_cndmask_b32_e32 v13, v13, v18, vcc_lo
	v_cndmask_b32_e32 v14, v14, v19, vcc_lo
	v_cndmask_b32_e32 v18, v18, v16, vcc_lo
	v_sub_nc_u32_e32 v19, 32, v11
	v_cmp_eq_u32_e32 vcc_lo, 0, v11
	v_cndmask_b32_e64 v17, v13, v21, s0
	v_cndmask_b32_e64 v13, v14, v13, s0
	;; [unrolled: 1-line block ×8, first 2 shown]
	v_alignbit_b32 v20, v13, v17, v19
	v_alignbit_b32 v16, v17, v14, v19
	;; [unrolled: 1-line block ×3, first 2 shown]
	v_cndmask_b32_e32 v11, v20, v13, vcc_lo
	v_cndmask_b32_e32 v13, v16, v17, vcc_lo
	;; [unrolled: 1-line block ×3, first 2 shown]
	v_bfe_u32 v15, v11, 29, 1
	v_alignbit_b32 v16, v11, v13, 30
	v_alignbit_b32 v13, v13, v14, 30
	;; [unrolled: 1-line block ×3, first 2 shown]
	v_sub_nc_u32_e32 v17, 0, v15
	v_xor_b32_e32 v16, v16, v17
	v_xor_b32_e32 v13, v13, v17
	;; [unrolled: 1-line block ×3, first 2 shown]
	v_lshrrev_b32_e32 v17, 29, v11
	v_lshrrev_b32_e32 v11, 30, v11
	v_ffbh_u32_e32 v18, v16
	v_add_nc_u32_e32 v11, v15, v11
	v_min_u32_e32 v18, 32, v18
	v_sub_nc_u32_e32 v14, 31, v18
	v_lshlrev_b32_e32 v19, 23, v18
	v_alignbit_b32 v16, v16, v13, v14
	v_alignbit_b32 v10, v13, v10, v14
	v_lshlrev_b32_e32 v13, 31, v17
	v_alignbit_b32 v14, v16, v10, 9
	v_or_b32_e32 v17, 0.5, v13
	v_lshrrev_b32_e32 v16, 9, v16
	v_or_b32_e32 v13, 0x33000000, v13
	v_ffbh_u32_e32 v20, v14
	v_sub_nc_u32_e32 v17, v17, v19
	v_min_u32_e32 v19, 32, v20
	v_or_b32_e32 v16, v16, v17
	v_not_b32_e32 v17, v19
	v_mul_f32_e32 v20, 0x3fc90fda, v16
	v_add_lshl_u32 v18, v19, v18, 23
	v_alignbit_b32 v10, v14, v10, v17
	v_fma_f32 v14, 0x3fc90fda, v16, -v20
	v_sub_nc_u32_e32 v13, v13, v18
	v_lshrrev_b32_e32 v10, 9, v10
	v_fmamk_f32 v14, v16, 0x33a22168, v14
	v_or_b32_e32 v10, v13, v10
	v_fmac_f32_e32 v14, 0x3fc90fda, v10
	v_add_f32_e32 v10, v20, v14
.LBB76_1456:
	s_andn2_saveexec_b32 s0, s13
; %bb.1457:
	v_mul_f32_e64 v10, 0x3f22f983, |v0|
	v_rndne_f32_e32 v11, v10
	v_fma_f32 v10, 0xbfc90fda, v11, |v0|
	v_fmamk_f32 v10, v11, 0xb3a22168, v10
	v_fmamk_f32 v10, v11, 0xa7c234c4, v10
	v_cvt_i32_f32_e32 v11, v11
; %bb.1458:
	s_or_b32 exec_lo, exec_lo, s0
	v_mul_f32_e32 v13, v10, v10
	s_mov_b32 s0, 0xb94c1982
	s_mov_b32 s1, 0x37d75334
	v_and_b32_e32 v16, 1, v11
	v_lshlrev_b32_e32 v11, 30, v11
	v_fmaak_f32 v14, s0, v13, 0x3c0881c4
	v_fmaak_f32 v15, s1, v13, 0xbab64f3b
	v_xor_b32_e32 v1, v1, v0
	v_cmp_eq_u32_e32 vcc_lo, 0, v16
	v_and_b32_e32 v11, 0x80000000, v11
	v_fmaak_f32 v14, v13, v14, 0xbe2aaa9d
	v_fmaak_f32 v15, v13, v15, 0x3d2aabf7
	v_sub_f32_e32 v9, 1.0, v9
	v_mul_f32_e32 v14, v13, v14
	v_fmaak_f32 v15, v13, v15, 0xbf000004
	v_fmac_f32_e32 v10, v10, v14
	v_fma_f32 v13, v13, v15, 1.0
	v_cndmask_b32_e32 v10, v13, v10, vcc_lo
	v_cmp_class_f32_e64 vcc_lo, v0, 0x1f8
	v_xor3_b32 v1, v1, v11, v10
	v_cndmask_b32_e32 v0, 0x7fc00000, v1, vcc_lo
	v_mul_f32_e32 v0, v0, v0
	v_div_scale_f32 v1, null, v0, v0, 0xc11de9e7
	v_div_scale_f32 v13, vcc_lo, 0xc11de9e7, v0, 0xc11de9e7
	v_rcp_f32_e32 v10, v1
	v_fma_f32 v11, -v1, v10, 1.0
	v_fmac_f32_e32 v10, v11, v10
	v_mul_f32_e32 v11, v13, v10
	v_fma_f32 v14, -v1, v11, v13
	v_fmac_f32_e32 v11, v14, v10
	v_fma_f32 v1, -v1, v11, v13
	v_div_fmas_f32 v1, v1, v10, v11
	v_mov_b32_e32 v10, -1.0
	v_div_fixup_f32 v0, v1, v0, 0xc11de9e7
	v_add_f32_e32 v11, 0, v0
.LBB76_1459:
	s_or_b32 exec_lo, exec_lo, s6
	v_add_nc_u32_e32 v0, s3, v12
	s_cmp_lt_i32 s2, 11
	v_ashrrev_i32_e32 v1, 31, v0
	v_add_co_u32 v0, vcc_lo, s10, v0
	v_add_co_ci_u32_e64 v1, null, s11, v1, vcc_lo
	s_cbranch_scc1 .LBB76_1466
; %bb.1460:
	s_cmp_gt_i32 s2, 25
	s_mov_b32 s1, 0
	s_cbranch_scc0 .LBB76_1467
; %bb.1461:
	s_cmp_gt_i32 s2, 28
	s_cbranch_scc0 .LBB76_1468
; %bb.1462:
	s_cmp_gt_i32 s2, 43
	;; [unrolled: 3-line block ×3, first 2 shown]
	s_cbranch_scc0 .LBB76_1471
; %bb.1464:
	s_cmp_eq_u32 s2, 46
	s_mov_b32 s6, 0
	s_cbranch_scc0 .LBB76_1472
; %bb.1465:
	global_load_dword v12, v[0:1], off
	s_mov_b32 s0, 0
	s_mov_b32 s3, -1
	s_branch .LBB76_1474
.LBB76_1466:
	s_mov_b32 s0, -1
	s_mov_b32 s3, 0
                                        ; implicit-def: $vgpr12
	s_branch .LBB76_1540
.LBB76_1467:
	s_mov_b32 s6, -1
	s_mov_b32 s3, 0
	s_mov_b32 s0, 0
                                        ; implicit-def: $vgpr12
	s_branch .LBB76_1503
.LBB76_1468:
	s_mov_b32 s6, -1
	s_mov_b32 s3, 0
	s_mov_b32 s0, 0
                                        ; implicit-def: $vgpr12
	s_branch .LBB76_1484
.LBB76_1469:
	s_mov_b32 s6, -1
	s_mov_b32 s3, 0
	s_mov_b32 s0, 0
                                        ; implicit-def: $vgpr12
	s_branch .LBB76_1479
.LBB76_1470:
	s_or_b32 s5, s5, exec_lo
	s_trap 2
	s_cbranch_execz .LBB76_1403
	s_branch .LBB76_1404
.LBB76_1471:
	s_mov_b32 s6, -1
	s_mov_b32 s3, 0
	s_mov_b32 s0, 0
	s_branch .LBB76_1473
.LBB76_1472:
	s_mov_b32 s0, -1
	s_mov_b32 s3, 0
.LBB76_1473:
                                        ; implicit-def: $vgpr12
.LBB76_1474:
	s_and_b32 vcc_lo, exec_lo, s6
	s_cbranch_vccz .LBB76_1478
; %bb.1475:
	s_cmp_eq_u32 s2, 44
	s_cbranch_scc0 .LBB76_1477
; %bb.1476:
	global_load_ubyte v12, v[0:1], off
	s_mov_b32 s0, 0
	s_mov_b32 s3, -1
	s_waitcnt vmcnt(0)
	v_lshlrev_b32_e32 v13, 23, v12
	v_cmp_ne_u32_e32 vcc_lo, 0xff, v12
	v_cndmask_b32_e32 v13, 0x7f800001, v13, vcc_lo
	v_cmp_ne_u32_e32 vcc_lo, 0, v12
	v_cndmask_b32_e32 v12, 0x400000, v13, vcc_lo
	v_mov_b32_e32 v13, 0x7fc0
	v_cmp_o_f32_e32 vcc_lo, v12, v12
	v_add_nc_u32_e32 v12, 0x7fff, v12
	v_cndmask_b32_sdwa v12, v13, v12, vcc_lo dst_sel:DWORD dst_unused:UNUSED_PAD src0_sel:DWORD src1_sel:WORD_1
	s_branch .LBB76_1478
.LBB76_1477:
	s_mov_b32 s0, -1
                                        ; implicit-def: $vgpr12
.LBB76_1478:
	s_mov_b32 s6, 0
.LBB76_1479:
	s_and_b32 vcc_lo, exec_lo, s6
	s_cbranch_vccz .LBB76_1483
; %bb.1480:
	s_cmp_eq_u32 s2, 29
	s_cbranch_scc0 .LBB76_1482
; %bb.1481:
	global_load_dwordx2 v[12:13], v[0:1], off
	s_mov_b32 s0, 0
	s_mov_b32 s3, -1
	s_mov_b32 s6, 0
	s_waitcnt vmcnt(0)
	v_ffbh_u32_e32 v14, v13
	v_min_u32_e32 v14, 32, v14
	v_lshlrev_b64 v[12:13], v14, v[12:13]
	v_min_u32_e32 v12, 1, v12
	v_or_b32_e32 v12, v13, v12
	v_sub_nc_u32_e32 v13, 32, v14
	v_cvt_f32_u32_e32 v12, v12
	v_ldexp_f32 v12, v12, v13
	v_bfe_u32 v13, v12, 16, 1
	v_add3_u32 v12, v12, v13, 0x7fff
	v_lshrrev_b32_e32 v12, 16, v12
	s_branch .LBB76_1484
.LBB76_1482:
	s_mov_b32 s0, -1
                                        ; implicit-def: $vgpr12
.LBB76_1483:
	s_mov_b32 s6, 0
.LBB76_1484:
	s_and_b32 vcc_lo, exec_lo, s6
	s_cbranch_vccz .LBB76_1502
; %bb.1485:
	s_cmp_lt_i32 s2, 27
	s_cbranch_scc1 .LBB76_1488
; %bb.1486:
	s_cmp_gt_i32 s2, 27
	s_cbranch_scc0 .LBB76_1489
; %bb.1487:
	global_load_dword v12, v[0:1], off
	s_mov_b32 s3, 0
	s_waitcnt vmcnt(0)
	v_cvt_f32_u32_e32 v12, v12
	v_bfe_u32 v13, v12, 16, 1
	v_add3_u32 v12, v12, v13, 0x7fff
	v_lshrrev_b32_e32 v12, 16, v12
	s_branch .LBB76_1490
.LBB76_1488:
	s_mov_b32 s3, -1
                                        ; implicit-def: $vgpr12
	s_branch .LBB76_1493
.LBB76_1489:
	s_mov_b32 s3, -1
                                        ; implicit-def: $vgpr12
.LBB76_1490:
	s_andn2_b32 vcc_lo, exec_lo, s3
	s_cbranch_vccnz .LBB76_1492
; %bb.1491:
	global_load_ushort v12, v[0:1], off
	s_waitcnt vmcnt(0)
	v_cvt_f32_u32_e32 v12, v12
	v_bfe_u32 v13, v12, 16, 1
	v_add3_u32 v12, v12, v13, 0x7fff
	v_lshrrev_b32_e32 v12, 16, v12
.LBB76_1492:
	s_mov_b32 s3, 0
.LBB76_1493:
	s_andn2_b32 vcc_lo, exec_lo, s3
	s_cbranch_vccnz .LBB76_1501
; %bb.1494:
	global_load_ubyte v12, v[0:1], off
	s_mov_b32 s3, 0
	s_mov_b32 s6, exec_lo
	s_waitcnt vmcnt(0)
	v_cmpx_lt_i16_e32 0x7f, v12
	s_xor_b32 s6, exec_lo, s6
	s_cbranch_execz .LBB76_1515
; %bb.1495:
	s_mov_b32 s3, -1
	s_mov_b32 s10, exec_lo
	v_cmpx_eq_u16_e32 0x80, v12
; %bb.1496:
	s_xor_b32 s3, exec_lo, -1
; %bb.1497:
	s_or_b32 exec_lo, exec_lo, s10
	s_and_b32 s3, s3, exec_lo
	s_or_saveexec_b32 s6, s6
	v_mov_b32_e32 v13, 0x7f800001
	s_xor_b32 exec_lo, exec_lo, s6
	s_cbranch_execnz .LBB76_1516
.LBB76_1498:
	s_or_b32 exec_lo, exec_lo, s6
	s_and_saveexec_b32 s6, s3
	s_cbranch_execz .LBB76_1500
.LBB76_1499:
	v_and_b32_e32 v13, 0xffff, v12
	v_lshlrev_b32_e32 v12, 24, v12
	v_and_b32_e32 v14, 7, v13
	v_bfe_u32 v17, v13, 3, 4
	v_and_b32_e32 v12, 0x80000000, v12
	v_ffbh_u32_e32 v15, v14
	v_cmp_eq_u32_e32 vcc_lo, 0, v17
	v_min_u32_e32 v15, 32, v15
	v_subrev_nc_u32_e32 v16, 28, v15
	v_sub_nc_u32_e32 v15, 29, v15
	v_lshlrev_b32_e32 v13, v16, v13
	v_cndmask_b32_e32 v15, v17, v15, vcc_lo
	v_and_b32_e32 v13, 7, v13
	v_cndmask_b32_e32 v13, v14, v13, vcc_lo
	v_lshl_add_u32 v14, v15, 23, 0x3b800000
	v_lshlrev_b32_e32 v13, 20, v13
	v_or3_b32 v13, v12, v14, v13
.LBB76_1500:
	s_or_b32 exec_lo, exec_lo, s6
	v_bfe_u32 v12, v13, 16, 1
	v_cmp_o_f32_e32 vcc_lo, v13, v13
	v_add3_u32 v12, v13, v12, 0x7fff
	v_mov_b32_e32 v13, 0x7fc0
	v_cndmask_b32_sdwa v12, v13, v12, vcc_lo dst_sel:DWORD dst_unused:UNUSED_PAD src0_sel:DWORD src1_sel:WORD_1
.LBB76_1501:
	s_mov_b32 s3, -1
.LBB76_1502:
	s_mov_b32 s6, 0
.LBB76_1503:
	s_and_b32 vcc_lo, exec_lo, s6
	s_cbranch_vccz .LBB76_1536
; %bb.1504:
	s_cmp_gt_i32 s2, 22
	s_cbranch_scc0 .LBB76_1514
; %bb.1505:
	s_cmp_lt_i32 s2, 24
	s_cbranch_scc1 .LBB76_1517
; %bb.1506:
	s_cmp_gt_i32 s2, 24
	s_cbranch_scc0 .LBB76_1518
; %bb.1507:
	global_load_ubyte v12, v[0:1], off
	s_mov_b32 s3, exec_lo
	s_waitcnt vmcnt(0)
	v_cmpx_lt_i16_e32 0x7f, v12
	s_xor_b32 s3, exec_lo, s3
	s_cbranch_execz .LBB76_1530
; %bb.1508:
	s_mov_b32 s1, -1
	s_mov_b32 s6, exec_lo
	v_cmpx_eq_u16_e32 0x80, v12
; %bb.1509:
	s_xor_b32 s1, exec_lo, -1
; %bb.1510:
	s_or_b32 exec_lo, exec_lo, s6
	s_and_b32 s1, s1, exec_lo
	s_or_saveexec_b32 s3, s3
	v_mov_b32_e32 v13, 0x7f800001
	s_xor_b32 exec_lo, exec_lo, s3
	s_cbranch_execnz .LBB76_1531
.LBB76_1511:
	s_or_b32 exec_lo, exec_lo, s3
	s_and_saveexec_b32 s3, s1
	s_cbranch_execz .LBB76_1513
.LBB76_1512:
	v_and_b32_e32 v13, 0xffff, v12
	v_lshlrev_b32_e32 v12, 24, v12
	v_and_b32_e32 v14, 3, v13
	v_bfe_u32 v17, v13, 2, 5
	v_and_b32_e32 v12, 0x80000000, v12
	v_ffbh_u32_e32 v15, v14
	v_cmp_eq_u32_e32 vcc_lo, 0, v17
	v_min_u32_e32 v15, 32, v15
	v_subrev_nc_u32_e32 v16, 29, v15
	v_sub_nc_u32_e32 v15, 30, v15
	v_lshlrev_b32_e32 v13, v16, v13
	v_cndmask_b32_e32 v15, v17, v15, vcc_lo
	v_and_b32_e32 v13, 3, v13
	v_cndmask_b32_e32 v13, v14, v13, vcc_lo
	v_lshl_add_u32 v14, v15, 23, 0x37800000
	v_lshlrev_b32_e32 v13, 21, v13
	v_or3_b32 v13, v12, v14, v13
.LBB76_1513:
	s_or_b32 exec_lo, exec_lo, s3
	v_bfe_u32 v12, v13, 16, 1
	v_cmp_o_f32_e32 vcc_lo, v13, v13
	s_mov_b32 s1, 0
	v_add3_u32 v12, v13, v12, 0x7fff
	v_mov_b32_e32 v13, 0x7fc0
	v_cndmask_b32_sdwa v12, v13, v12, vcc_lo dst_sel:DWORD dst_unused:UNUSED_PAD src0_sel:DWORD src1_sel:WORD_1
	s_branch .LBB76_1519
.LBB76_1514:
	s_mov_b32 s1, -1
                                        ; implicit-def: $vgpr12
	s_branch .LBB76_1525
.LBB76_1515:
	s_or_saveexec_b32 s6, s6
	v_mov_b32_e32 v13, 0x7f800001
	s_xor_b32 exec_lo, exec_lo, s6
	s_cbranch_execz .LBB76_1498
.LBB76_1516:
	v_cmp_ne_u16_e32 vcc_lo, 0, v12
	v_mov_b32_e32 v13, 0
	s_andn2_b32 s3, s3, exec_lo
	s_and_b32 s10, vcc_lo, exec_lo
	s_or_b32 s3, s3, s10
	s_or_b32 exec_lo, exec_lo, s6
	s_and_saveexec_b32 s6, s3
	s_cbranch_execnz .LBB76_1499
	s_branch .LBB76_1500
.LBB76_1517:
	s_mov_b32 s1, -1
                                        ; implicit-def: $vgpr12
	s_branch .LBB76_1522
.LBB76_1518:
	s_mov_b32 s1, -1
                                        ; implicit-def: $vgpr12
.LBB76_1519:
	s_and_b32 vcc_lo, exec_lo, s1
	s_cbranch_vccz .LBB76_1521
; %bb.1520:
	global_load_ubyte v12, v[0:1], off
	s_waitcnt vmcnt(0)
	v_lshlrev_b32_e32 v12, 24, v12
	v_and_b32_e32 v13, 0x7f000000, v12
	v_ffbh_u32_e32 v14, v13
	v_add_nc_u32_e32 v16, 0x1000000, v13
	v_cmp_ne_u32_e32 vcc_lo, 0, v13
	v_min_u32_e32 v14, 32, v14
	v_sub_nc_u32_e64 v14, v14, 4 clamp
	v_lshlrev_b32_e32 v15, v14, v13
	v_lshlrev_b32_e32 v14, 23, v14
	v_lshrrev_b32_e32 v15, 4, v15
	v_sub_nc_u32_e32 v14, v15, v14
	v_ashrrev_i32_e32 v15, 8, v16
	v_add_nc_u32_e32 v14, 0x3c000000, v14
	v_and_or_b32 v14, 0x7f800000, v15, v14
	v_cndmask_b32_e32 v13, 0, v14, vcc_lo
	v_and_or_b32 v12, 0x80000000, v12, v13
	v_bfe_u32 v13, v13, 16, 1
	v_cmp_o_f32_e32 vcc_lo, v12, v12
	v_add3_u32 v12, v12, v13, 0x7fff
	v_mov_b32_e32 v13, 0x7fc0
	v_cndmask_b32_sdwa v12, v13, v12, vcc_lo dst_sel:DWORD dst_unused:UNUSED_PAD src0_sel:DWORD src1_sel:WORD_1
.LBB76_1521:
	s_mov_b32 s1, 0
.LBB76_1522:
	s_andn2_b32 vcc_lo, exec_lo, s1
	s_cbranch_vccnz .LBB76_1524
; %bb.1523:
	global_load_ubyte v12, v[0:1], off
	s_waitcnt vmcnt(0)
	v_lshlrev_b32_e32 v13, 25, v12
	v_lshlrev_b16 v12, 8, v12
	v_lshrrev_b32_e32 v14, 4, v13
	v_and_or_b32 v15, 0x7f00, v12, 0.5
	v_cmp_gt_u32_e32 vcc_lo, 0x8000000, v13
	v_bfe_i32 v12, v12, 0, 16
	v_or_b32_e32 v14, 0x70000000, v14
	v_add_f32_e32 v15, -0.5, v15
	v_mul_f32_e32 v14, 0x7800000, v14
	v_cndmask_b32_e32 v13, v14, v15, vcc_lo
	v_and_or_b32 v12, 0x80000000, v12, v13
	v_bfe_u32 v13, v13, 16, 1
	v_cmp_o_f32_e32 vcc_lo, v12, v12
	v_add3_u32 v12, v12, v13, 0x7fff
	v_mov_b32_e32 v13, 0x7fc0
	v_cndmask_b32_sdwa v12, v13, v12, vcc_lo dst_sel:DWORD dst_unused:UNUSED_PAD src0_sel:DWORD src1_sel:WORD_1
.LBB76_1524:
	s_mov_b32 s1, 0
	s_mov_b32 s3, -1
.LBB76_1525:
	s_andn2_b32 vcc_lo, exec_lo, s1
	s_mov_b32 s1, 0
	s_cbranch_vccnz .LBB76_1536
; %bb.1526:
	s_cmp_gt_i32 s2, 14
	s_cbranch_scc0 .LBB76_1529
; %bb.1527:
	s_cmp_eq_u32 s2, 15
	s_cbranch_scc0 .LBB76_1532
; %bb.1528:
	global_load_ushort v12, v[0:1], off
	s_mov_b32 s0, 0
	s_mov_b32 s3, -1
	s_branch .LBB76_1534
.LBB76_1529:
	s_mov_b32 s1, -1
	s_branch .LBB76_1533
.LBB76_1530:
	s_or_saveexec_b32 s3, s3
	v_mov_b32_e32 v13, 0x7f800001
	s_xor_b32 exec_lo, exec_lo, s3
	s_cbranch_execz .LBB76_1511
.LBB76_1531:
	v_cmp_ne_u16_e32 vcc_lo, 0, v12
	v_mov_b32_e32 v13, 0
	s_andn2_b32 s1, s1, exec_lo
	s_and_b32 s6, vcc_lo, exec_lo
	s_or_b32 s1, s1, s6
	s_or_b32 exec_lo, exec_lo, s3
	s_and_saveexec_b32 s3, s1
	s_cbranch_execnz .LBB76_1512
	s_branch .LBB76_1513
.LBB76_1532:
	s_mov_b32 s0, -1
.LBB76_1533:
                                        ; implicit-def: $vgpr12
.LBB76_1534:
	s_and_b32 vcc_lo, exec_lo, s1
	s_mov_b32 s1, 0
	s_cbranch_vccz .LBB76_1536
; %bb.1535:
	s_cmp_lg_u32 s2, 11
	s_mov_b32 s1, -1
	s_cselect_b32 s0, -1, 0
.LBB76_1536:
	s_and_b32 vcc_lo, exec_lo, s0
	s_cbranch_vccnz .LBB76_2075
; %bb.1537:
	s_andn2_b32 vcc_lo, exec_lo, s1
	s_cbranch_vccnz .LBB76_1539
.LBB76_1538:
	global_load_ubyte v12, v[0:1], off
	s_mov_b32 s3, -1
	s_waitcnt vmcnt(0)
	v_cmp_ne_u16_e32 vcc_lo, 0, v12
	v_cndmask_b32_e64 v12, 0, 1.0, vcc_lo
	v_lshrrev_b32_e32 v12, 16, v12
.LBB76_1539:
	s_mov_b32 s0, 0
.LBB76_1540:
	s_and_b32 vcc_lo, exec_lo, s0
	s_cbranch_vccz .LBB76_1589
; %bb.1541:
	s_cmp_lt_i32 s2, 5
	s_cbranch_scc1 .LBB76_1546
; %bb.1542:
	s_cmp_lt_i32 s2, 8
	s_cbranch_scc1 .LBB76_1547
	;; [unrolled: 3-line block ×3, first 2 shown]
; %bb.1544:
	s_cmp_gt_i32 s2, 9
	s_cbranch_scc0 .LBB76_1549
; %bb.1545:
	global_load_dwordx2 v[12:13], v[0:1], off
	s_mov_b32 s0, 0
	s_waitcnt vmcnt(0)
	v_cvt_f32_f64_e32 v12, v[12:13]
	v_bfe_u32 v13, v12, 16, 1
	v_cmp_o_f32_e32 vcc_lo, v12, v12
	v_add3_u32 v12, v12, v13, 0x7fff
	v_mov_b32_e32 v13, 0x7fc0
	v_cndmask_b32_sdwa v12, v13, v12, vcc_lo dst_sel:DWORD dst_unused:UNUSED_PAD src0_sel:DWORD src1_sel:WORD_1
	s_branch .LBB76_1550
.LBB76_1546:
	s_mov_b32 s0, -1
                                        ; implicit-def: $vgpr12
	s_branch .LBB76_1568
.LBB76_1547:
	s_mov_b32 s0, -1
                                        ; implicit-def: $vgpr12
	s_branch .LBB76_1556
.LBB76_1548:
	s_mov_b32 s0, -1
                                        ; implicit-def: $vgpr12
	s_branch .LBB76_1553
.LBB76_1549:
	s_mov_b32 s0, -1
                                        ; implicit-def: $vgpr12
.LBB76_1550:
	s_andn2_b32 vcc_lo, exec_lo, s0
	s_cbranch_vccnz .LBB76_1552
; %bb.1551:
	global_load_dword v12, v[0:1], off
	s_waitcnt vmcnt(0)
	v_bfe_u32 v13, v12, 16, 1
	v_cmp_o_f32_e32 vcc_lo, v12, v12
	v_add3_u32 v12, v12, v13, 0x7fff
	v_mov_b32_e32 v13, 0x7fc0
	v_cndmask_b32_sdwa v12, v13, v12, vcc_lo dst_sel:DWORD dst_unused:UNUSED_PAD src0_sel:DWORD src1_sel:WORD_1
.LBB76_1552:
	s_mov_b32 s0, 0
.LBB76_1553:
	s_andn2_b32 vcc_lo, exec_lo, s0
	s_cbranch_vccnz .LBB76_1555
; %bb.1554:
	global_load_dword v12, v[0:1], off
	s_waitcnt vmcnt(0)
	v_cvt_f32_f16_e32 v13, v12
	v_cmp_o_f16_e32 vcc_lo, v12, v12
	v_bfe_u32 v14, v13, 16, 1
	v_add3_u32 v12, v13, v14, 0x7fff
	v_mov_b32_e32 v13, 0x7fc0
	v_cndmask_b32_sdwa v12, v13, v12, vcc_lo dst_sel:DWORD dst_unused:UNUSED_PAD src0_sel:DWORD src1_sel:WORD_1
.LBB76_1555:
	s_mov_b32 s0, 0
.LBB76_1556:
	s_andn2_b32 vcc_lo, exec_lo, s0
	s_cbranch_vccnz .LBB76_1567
; %bb.1557:
	s_cmp_lt_i32 s2, 6
	s_cbranch_scc1 .LBB76_1560
; %bb.1558:
	s_cmp_gt_i32 s2, 6
	s_cbranch_scc0 .LBB76_1561
; %bb.1559:
	global_load_dwordx2 v[12:13], v[0:1], off
	s_mov_b32 s0, 0
	s_waitcnt vmcnt(0)
	v_cvt_f32_f64_e32 v12, v[12:13]
	v_bfe_u32 v13, v12, 16, 1
	v_cmp_o_f32_e32 vcc_lo, v12, v12
	v_add3_u32 v12, v12, v13, 0x7fff
	v_mov_b32_e32 v13, 0x7fc0
	v_cndmask_b32_sdwa v12, v13, v12, vcc_lo dst_sel:DWORD dst_unused:UNUSED_PAD src0_sel:DWORD src1_sel:WORD_1
	s_branch .LBB76_1562
.LBB76_1560:
	s_mov_b32 s0, -1
                                        ; implicit-def: $vgpr12
	s_branch .LBB76_1565
.LBB76_1561:
	s_mov_b32 s0, -1
                                        ; implicit-def: $vgpr12
.LBB76_1562:
	s_andn2_b32 vcc_lo, exec_lo, s0
	s_cbranch_vccnz .LBB76_1564
; %bb.1563:
	global_load_dword v12, v[0:1], off
	s_waitcnt vmcnt(0)
	v_bfe_u32 v13, v12, 16, 1
	v_cmp_o_f32_e32 vcc_lo, v12, v12
	v_add3_u32 v12, v12, v13, 0x7fff
	v_mov_b32_e32 v13, 0x7fc0
	v_cndmask_b32_sdwa v12, v13, v12, vcc_lo dst_sel:DWORD dst_unused:UNUSED_PAD src0_sel:DWORD src1_sel:WORD_1
.LBB76_1564:
	s_mov_b32 s0, 0
.LBB76_1565:
	s_andn2_b32 vcc_lo, exec_lo, s0
	s_cbranch_vccnz .LBB76_1567
; %bb.1566:
	global_load_ushort v12, v[0:1], off
	s_waitcnt vmcnt(0)
	v_cvt_f32_f16_e32 v13, v12
	v_cmp_o_f16_e32 vcc_lo, v12, v12
	v_bfe_u32 v14, v13, 16, 1
	v_add3_u32 v12, v13, v14, 0x7fff
	v_mov_b32_e32 v13, 0x7fc0
	v_cndmask_b32_sdwa v12, v13, v12, vcc_lo dst_sel:DWORD dst_unused:UNUSED_PAD src0_sel:DWORD src1_sel:WORD_1
.LBB76_1567:
	s_mov_b32 s0, 0
.LBB76_1568:
	s_andn2_b32 vcc_lo, exec_lo, s0
	s_cbranch_vccnz .LBB76_1588
; %bb.1569:
	s_cmp_lt_i32 s2, 2
	s_cbranch_scc1 .LBB76_1573
; %bb.1570:
	s_cmp_lt_i32 s2, 3
	s_cbranch_scc1 .LBB76_1574
; %bb.1571:
	s_cmp_gt_i32 s2, 3
	s_cbranch_scc0 .LBB76_1575
; %bb.1572:
	global_load_dwordx2 v[12:13], v[0:1], off
	s_mov_b32 s0, 0
	s_waitcnt vmcnt(0)
	v_xor_b32_e32 v14, v12, v13
	v_ffbh_i32_e32 v15, v13
	v_ashrrev_i32_e32 v14, 31, v14
	v_add_nc_u32_e32 v15, -1, v15
	v_add_nc_u32_e32 v14, 32, v14
	v_min_u32_e32 v14, v15, v14
	v_lshlrev_b64 v[12:13], v14, v[12:13]
	v_min_u32_e32 v12, 1, v12
	v_or_b32_e32 v12, v13, v12
	v_sub_nc_u32_e32 v13, 32, v14
	v_cvt_f32_i32_e32 v12, v12
	v_ldexp_f32 v12, v12, v13
	v_bfe_u32 v13, v12, 16, 1
	v_add3_u32 v12, v12, v13, 0x7fff
	v_lshrrev_b32_e32 v12, 16, v12
	s_branch .LBB76_1576
.LBB76_1573:
	s_mov_b32 s0, -1
                                        ; implicit-def: $vgpr12
	s_branch .LBB76_1582
.LBB76_1574:
	s_mov_b32 s0, -1
                                        ; implicit-def: $vgpr12
	s_branch .LBB76_1579
.LBB76_1575:
	s_mov_b32 s0, -1
                                        ; implicit-def: $vgpr12
.LBB76_1576:
	s_andn2_b32 vcc_lo, exec_lo, s0
	s_cbranch_vccnz .LBB76_1578
; %bb.1577:
	global_load_dword v12, v[0:1], off
	s_waitcnt vmcnt(0)
	v_cvt_f32_i32_e32 v12, v12
	v_bfe_u32 v13, v12, 16, 1
	v_add3_u32 v12, v12, v13, 0x7fff
	v_lshrrev_b32_e32 v12, 16, v12
.LBB76_1578:
	s_mov_b32 s0, 0
.LBB76_1579:
	s_andn2_b32 vcc_lo, exec_lo, s0
	s_cbranch_vccnz .LBB76_1581
; %bb.1580:
	global_load_sshort v12, v[0:1], off
	s_waitcnt vmcnt(0)
	v_cvt_f32_i32_e32 v12, v12
	v_bfe_u32 v13, v12, 16, 1
	v_add3_u32 v12, v12, v13, 0x7fff
	v_lshrrev_b32_e32 v12, 16, v12
.LBB76_1581:
	s_mov_b32 s0, 0
.LBB76_1582:
	s_andn2_b32 vcc_lo, exec_lo, s0
	s_cbranch_vccnz .LBB76_1588
; %bb.1583:
	s_cmp_gt_i32 s2, 0
	s_mov_b32 s0, 0
	s_cbranch_scc0 .LBB76_1585
; %bb.1584:
	global_load_sbyte v12, v[0:1], off
	s_waitcnt vmcnt(0)
	v_cvt_f32_i32_e32 v12, v12
	v_bfe_u32 v13, v12, 16, 1
	v_add3_u32 v12, v12, v13, 0x7fff
	v_lshrrev_b32_e32 v12, 16, v12
	s_branch .LBB76_1586
.LBB76_1585:
	s_mov_b32 s0, -1
                                        ; implicit-def: $vgpr12
.LBB76_1586:
	s_andn2_b32 vcc_lo, exec_lo, s0
	s_cbranch_vccnz .LBB76_1588
; %bb.1587:
	global_load_ubyte v0, v[0:1], off
	s_waitcnt vmcnt(0)
	v_cvt_f32_ubyte0_e32 v0, v0
	v_bfe_u32 v1, v0, 16, 1
	v_add3_u32 v0, v0, v1, 0x7fff
	v_lshrrev_b32_e32 v12, 16, v0
.LBB76_1588:
	s_mov_b32 s3, -1
.LBB76_1589:
	s_andn2_b32 vcc_lo, exec_lo, s3
	s_cbranch_vccnz .LBB76_2029
; %bb.1590:
	s_waitcnt vmcnt(0)
	v_lshlrev_b32_e32 v12, 16, v12
	v_mov_b32_e32 v14, 0
	v_mov_b32_e32 v13, 1.0
	s_mov_b32 s2, exec_lo
	v_cmpx_gt_f32_e32 0.5, v12
	s_cbranch_execz .LBB76_1596
; %bb.1591:
	v_mul_f32_e32 v0, 0x40490fdb, v12
                                        ; implicit-def: $vgpr14
                                        ; implicit-def: $vgpr13
	s_mov_b32 s1, exec_lo
	v_and_b32_e32 v1, 0x7fffffff, v0
	v_cmpx_ngt_f32_e64 0x48000000, |v0|
	s_xor_b32 s3, exec_lo, s1
	s_cbranch_execz .LBB76_1593
; %bb.1592:
	s_mov_b32 s0, 0x7fffff
	v_mov_b32_e32 v15, 0
	v_and_or_b32 v22, v1, s0, 0x800000
	v_lshrrev_b32_e32 v20, 23, v1
	v_mad_u64_u32 v[13:14], null, 0xfe5163ab, v22, 0
	v_add_nc_u32_e32 v21, 0xffffff88, v20
	v_cmp_lt_u32_e32 vcc_lo, 63, v21
	v_mad_u64_u32 v[16:17], null, 0x3c439041, v22, v[14:15]
	v_cndmask_b32_e64 v23, 0, 0xffffffc0, vcc_lo
	v_mov_b32_e32 v14, v17
	v_add_nc_u32_e32 v23, v23, v21
	v_mad_u64_u32 v[17:18], null, 0xdb629599, v22, v[14:15]
	v_cmp_lt_u32_e64 s0, 31, v23
	v_cndmask_b32_e64 v24, 0, 0xffffffe0, s0
	v_mov_b32_e32 v14, v18
	v_cndmask_b32_e32 v13, v17, v13, vcc_lo
	v_mad_u64_u32 v[18:19], null, 0xf534ddc0, v22, v[14:15]
	v_mov_b32_e32 v14, v19
	v_cndmask_b32_e32 v16, v18, v16, vcc_lo
	v_mad_u64_u32 v[19:20], null, 0xfc2757d1, v22, v[14:15]
	v_cndmask_b32_e64 v13, v16, v13, s0
	v_mov_b32_e32 v14, v20
	v_mad_u64_u32 v[20:21], null, 0x4e441529, v22, v[14:15]
	v_mov_b32_e32 v14, v21
	v_add_nc_u32_e32 v21, v24, v23
	v_cndmask_b32_e32 v23, v20, v18, vcc_lo
	v_mad_u64_u32 v[14:15], null, 0xa2f9836e, v22, v[14:15]
	v_cmp_lt_u32_e64 s1, 31, v21
	v_cndmask_b32_e64 v22, 0, 0xffffffe0, s1
	v_cndmask_b32_e32 v14, v14, v19, vcc_lo
	v_cndmask_b32_e32 v15, v15, v20, vcc_lo
	;; [unrolled: 1-line block ×3, first 2 shown]
	v_add_nc_u32_e32 v20, v22, v21
	v_cndmask_b32_e64 v18, v14, v23, s0
	v_cndmask_b32_e64 v14, v15, v14, s0
	;; [unrolled: 1-line block ×4, first 2 shown]
	v_sub_nc_u32_e32 v21, 32, v20
	v_cmp_eq_u32_e32 vcc_lo, 0, v20
	v_cndmask_b32_e64 v14, v14, v18, s1
	v_cndmask_b32_e64 v18, v18, v15, s1
	;; [unrolled: 1-line block ×4, first 2 shown]
	v_alignbit_b32 v22, v14, v18, v21
	v_alignbit_b32 v17, v18, v15, v21
	;; [unrolled: 1-line block ×3, first 2 shown]
	v_cndmask_b32_e32 v14, v22, v14, vcc_lo
	v_cndmask_b32_e32 v16, v17, v18, vcc_lo
	;; [unrolled: 1-line block ×3, first 2 shown]
	v_bfe_u32 v17, v14, 29, 1
	v_alignbit_b32 v18, v14, v16, 30
	v_alignbit_b32 v16, v16, v15, 30
	;; [unrolled: 1-line block ×3, first 2 shown]
	v_sub_nc_u32_e32 v19, 0, v17
	v_xor_b32_e32 v18, v18, v19
	v_xor_b32_e32 v15, v16, v19
	;; [unrolled: 1-line block ×3, first 2 shown]
	v_lshrrev_b32_e32 v19, 29, v14
	v_lshrrev_b32_e32 v14, 30, v14
	v_ffbh_u32_e32 v20, v18
	v_add_nc_u32_e32 v14, v17, v14
	v_min_u32_e32 v20, 32, v20
	v_sub_nc_u32_e32 v16, 31, v20
	v_lshlrev_b32_e32 v21, 23, v20
	v_alignbit_b32 v18, v18, v15, v16
	v_alignbit_b32 v13, v15, v13, v16
	v_lshlrev_b32_e32 v15, 31, v19
	v_alignbit_b32 v16, v18, v13, 9
	v_or_b32_e32 v19, 0.5, v15
	v_lshrrev_b32_e32 v18, 9, v18
	v_or_b32_e32 v15, 0x33000000, v15
	v_ffbh_u32_e32 v22, v16
	v_sub_nc_u32_e32 v19, v19, v21
	v_min_u32_e32 v21, 32, v22
	v_or_b32_e32 v18, v18, v19
	v_not_b32_e32 v19, v21
	v_mul_f32_e32 v22, 0x3fc90fda, v18
	v_add_lshl_u32 v20, v21, v20, 23
	v_alignbit_b32 v13, v16, v13, v19
	v_fma_f32 v16, 0x3fc90fda, v18, -v22
	v_sub_nc_u32_e32 v15, v15, v20
	v_lshrrev_b32_e32 v13, 9, v13
	v_fmamk_f32 v16, v18, 0x33a22168, v16
	v_or_b32_e32 v13, v15, v13
	v_fmac_f32_e32 v16, 0x3fc90fda, v13
	v_add_f32_e32 v13, v22, v16
.LBB76_1593:
	s_andn2_saveexec_b32 s0, s3
; %bb.1594:
	v_mul_f32_e64 v13, 0x3f22f983, |v0|
	v_rndne_f32_e32 v14, v13
	v_fma_f32 v13, 0xbfc90fda, v14, |v0|
	v_fmamk_f32 v13, v14, 0xb3a22168, v13
	v_fmamk_f32 v13, v14, 0xa7c234c4, v13
	v_cvt_i32_f32_e32 v14, v14
; %bb.1595:
	s_or_b32 exec_lo, exec_lo, s0
	v_mul_f32_e32 v15, v13, v13
	s_mov_b32 s0, 0xb94c1982
	s_mov_b32 s1, 0x37d75334
	v_and_b32_e32 v18, 1, v14
	v_lshlrev_b32_e32 v14, 30, v14
	v_fmaak_f32 v16, s0, v15, 0x3c0881c4
	v_fmaak_f32 v17, s1, v15, 0xbab64f3b
	v_xor_b32_e32 v1, v1, v0
	v_cmp_eq_u32_e32 vcc_lo, 0, v18
	v_and_b32_e32 v14, 0x80000000, v14
	v_fmaak_f32 v16, v15, v16, 0xbe2aaa9d
	v_fmaak_f32 v17, v15, v17, 0x3d2aabf7
	v_sub_f32_e32 v12, 1.0, v12
	v_mul_f32_e32 v16, v15, v16
	v_fmaak_f32 v17, v15, v17, 0xbf000004
	v_fmac_f32_e32 v13, v13, v16
	v_fma_f32 v15, v15, v17, 1.0
	v_cndmask_b32_e32 v13, v15, v13, vcc_lo
	v_cmp_class_f32_e64 vcc_lo, v0, 0x1f8
	v_xor3_b32 v1, v1, v14, v13
	v_cndmask_b32_e32 v0, 0x7fc00000, v1, vcc_lo
	v_mul_f32_e32 v0, v0, v0
	v_div_scale_f32 v1, null, v0, v0, 0xc11de9e7
	v_div_scale_f32 v15, vcc_lo, 0xc11de9e7, v0, 0xc11de9e7
	v_rcp_f32_e32 v13, v1
	v_fma_f32 v14, -v1, v13, 1.0
	v_fmac_f32_e32 v13, v14, v13
	v_mul_f32_e32 v14, v15, v13
	v_fma_f32 v16, -v1, v14, v15
	v_fmac_f32_e32 v14, v16, v13
	v_fma_f32 v1, -v1, v14, v15
	v_div_fmas_f32 v1, v1, v13, v14
	v_mov_b32_e32 v13, -1.0
	v_div_fixup_f32 v0, v1, v0, 0xc11de9e7
	v_add_f32_e32 v14, 0, v0
.LBB76_1596:
	s_or_b32 exec_lo, exec_lo, s2
	v_add_f32_e32 v0, 1.0, v3
	v_mul_f32_e32 v1, v3, v3
	v_mul_lo_u32 v2, s12, v2
	s_and_b32 s15, s4, 0xff
	s_cmp_lt_i32 s15, 11
	v_mul_f32_e32 v3, v0, v0
	v_add_f32_e32 v0, 1.0, v0
	v_div_scale_f32 v15, null, v1, v1, 1.0
	v_div_scale_f32 v17, vcc_lo, 1.0, v1, 1.0
	v_mul_f32_e32 v18, v0, v0
	v_div_scale_f32 v16, null, v3, v3, 1.0
	v_rcp_f32_e32 v19, v15
	v_div_scale_f32 v22, s0, 1.0, v3, 1.0
	v_div_scale_f32 v21, null, v18, v18, 1.0
	v_rcp_f32_e32 v20, v16
	v_add_f32_e32 v0, 1.0, v0
	v_div_scale_f32 v23, s1, 1.0, v18, 1.0
	v_rcp_f32_e32 v24, v21
	v_fma_f32 v26, -v15, v19, 1.0
	v_mul_f32_e32 v25, v0, v0
	v_add_f32_e32 v0, 1.0, v0
	v_fma_f32 v27, -v16, v20, 1.0
	v_fmac_f32_e32 v19, v26, v19
	v_mul_f32_e32 v29, v0, v0
	v_add_f32_e32 v0, 1.0, v0
	v_fma_f32 v26, -v21, v24, 1.0
	v_fmac_f32_e32 v20, v27, v20
	v_mul_f32_e32 v30, v17, v19
	v_div_scale_f32 v28, null, v25, v25, 1.0
	v_fmac_f32_e32 v24, v26, v24
	v_mul_f32_e32 v31, v22, v20
	v_fma_f32 v32, -v15, v30, v17
	v_add_f32_e32 v35, 1.0, v0
	v_rcp_f32_e32 v27, v28
	v_mul_f32_e32 v34, v23, v24
	v_fma_f32 v33, -v16, v31, v22
	v_fmac_f32_e32 v30, v32, v19
	v_mul_f32_e32 v0, v0, v0
	v_div_scale_f32 v26, null, v29, v29, 1.0
	v_fma_f32 v32, -v21, v34, v23
	v_fmac_f32_e32 v31, v33, v20
	v_fma_f32 v15, -v15, v30, v17
	v_mul_f32_e32 v17, v35, v35
	v_rcp_f32_e32 v33, v26
	v_fmac_f32_e32 v34, v32, v24
	v_fma_f32 v16, -v16, v31, v22
	v_div_fmas_f32 v15, v15, v19, v30
	s_mov_b32 vcc_lo, s0
	v_fma_f32 v36, -v28, v27, 1.0
	v_fma_f32 v19, -v21, v34, v23
	v_div_fmas_f32 v16, v16, v20, v31
	s_mov_b32 vcc_lo, s1
	v_div_scale_f32 v20, null, v0, v0, 1.0
	v_div_fmas_f32 v19, v19, v24, v34
	v_div_scale_f32 v21, null, v17, v17, 1.0
	v_add_f32_e32 v24, v35, v35
	v_rcp_f32_e32 v23, v20
	v_fmac_f32_e32 v27, v36, v27
	v_rcp_f32_e32 v31, v21
	v_div_scale_f32 v22, vcc_lo, 1.0, v25, 1.0
	v_div_scale_f32 v34, null, v24, v24, 1.0
	v_fma_f32 v30, -v26, v33, 1.0
	v_mul_f32_e32 v32, v22, v27
	v_div_fixup_f32 v1, v15, v1, 1.0
	v_rcp_f32_e32 v37, v34
	v_fma_f32 v36, -v20, v23, 1.0
	v_fmac_f32_e32 v33, v30, v33
	v_div_scale_f32 v30, s0, 1.0, v29, 1.0
	v_fma_f32 v39, -v21, v31, 1.0
	v_fma_f32 v38, -v28, v32, v22
	v_fmac_f32_e32 v23, v36, v23
	v_div_scale_f32 v36, s1, 1.0, v0, 1.0
	v_mul_f32_e32 v40, v30, v33
	v_fmac_f32_e32 v31, v39, v31
	v_div_scale_f32 v39, s2, 1.0, v17, 1.0
	v_fma_f32 v41, -v34, v37, 1.0
	v_fmac_f32_e32 v32, v38, v27
	v_mul_f32_e32 v42, v36, v23
	v_fma_f32 v38, -v26, v40, v30
	v_mul_f32_e32 v43, v39, v31
	v_fmac_f32_e32 v37, v41, v37
	v_div_scale_f32 v41, s3, 1.0, v24, 1.0
	v_fma_f32 v22, -v28, v32, v22
	v_fma_f32 v28, -v20, v42, v36
	v_fmac_f32_e32 v40, v38, v33
	v_fma_f32 v38, -v21, v43, v39
	v_mul_f32_e32 v44, v41, v37
	v_div_fmas_f32 v22, v22, v27, v32
	v_fmac_f32_e32 v42, v28, v23
	v_fma_f32 v26, -v26, v40, v30
	v_fmac_f32_e32 v43, v38, v31
	v_fma_f32 v27, -v34, v44, v41
	s_mov_b32 vcc_lo, s0
	v_fma_f32 v20, -v20, v42, v36
	v_div_fmas_f32 v26, v26, v33, v40
	v_fma_f32 v21, -v21, v43, v39
	v_fmac_f32_e32 v44, v27, v37
	s_mov_b32 vcc_lo, s1
	s_mov_b32 s0, 0xbcc30c31
	v_div_fmas_f32 v20, v20, v23, v42
	s_mov_b32 vcc_lo, s2
	v_fma_f32 v23, -v34, v44, v41
	v_div_fmas_f32 v21, v21, v31, v43
	s_mov_b32 vcc_lo, s3
	v_add_f32_e32 v1, v5, v1
	v_div_fixup_f32 v3, v16, v3, 1.0
	v_div_fmas_f32 v23, v23, v37, v44
	v_div_fixup_f32 v17, v21, v17, 1.0
	v_div_fixup_f32 v0, v20, v0, 1.0
	v_add_f32_e32 v1, v1, v3
	v_div_fixup_f32 v21, v23, v24, 1.0
	v_fmaak_f32 v23, s0, v17, 0x3d088889
	v_div_fixup_f32 v3, v19, v18, 1.0
	v_add_f32_e32 v21, 1.0, v21
	v_fma_f32 v23, -v17, v23, 0x3e2aaaab
	v_add_f32_e32 v1, v1, v3
	v_div_fixup_f32 v3, v22, v25, 1.0
	v_fmac_f32_e32 v21, v17, v23
	v_add_f32_e32 v1, v1, v3
	v_div_fixup_f32 v3, v26, v29, 1.0
	v_div_scale_f32 v17, null, v35, v35, v21
	v_div_scale_f32 v5, vcc_lo, v21, v35, v21
	v_add_f32_e32 v1, v1, v3
	v_rcp_f32_e32 v23, v17
	v_add_f32_e32 v0, v1, v0
	v_fma_f32 v15, -v17, v23, 1.0
	v_fmac_f32_e32 v23, v15, v23
	v_mul_f32_e32 v15, v5, v23
	v_fma_f32 v16, -v17, v15, v5
	v_fmac_f32_e32 v15, v16, v23
	v_fma_f32 v5, -v17, v15, v5
	v_div_fmas_f32 v3, v5, v23, v15
	v_div_fixup_f32 v1, v3, v35, v21
	v_mov_b32_e32 v3, 0x7fc0
	v_add_f32_e32 v0, v0, v1
	v_mul_f32_e32 v0, v4, v0
	v_ashrrev_i32_e32 v4, 31, v2
	v_bfe_u32 v1, v0, 16, 1
	v_cmp_o_f32_e32 vcc_lo, v0, v0
	v_add3_u32 v5, v0, v1, 0x7fff
	v_add_co_u32 v0, s0, s8, v2
	v_add_co_ci_u32_e64 v1, null, s9, v4, s0
	v_cndmask_b32_sdwa v3, v3, v5, vcc_lo dst_sel:DWORD dst_unused:UNUSED_PAD src0_sel:DWORD src1_sel:WORD_1
	s_cbranch_scc1 .LBB76_1674
; %bb.1597:
	s_and_b32 s1, 0xffff, s15
	s_mov_b32 s4, -1
	s_mov_b32 s2, 0
	s_cmp_gt_i32 s1, 25
	s_mov_b32 s3, 0
	s_mov_b32 s0, 0
	s_cbranch_scc0 .LBB76_1630
; %bb.1598:
	s_cmp_gt_i32 s1, 28
	s_cbranch_scc0 .LBB76_1613
; %bb.1599:
	s_cmp_gt_i32 s1, 43
	;; [unrolled: 3-line block ×3, first 2 shown]
	s_cbranch_scc0 .LBB76_1603
; %bb.1601:
	s_mov_b32 s0, -1
	s_mov_b32 s4, 0
	s_cmp_eq_u32 s1, 46
	s_cbranch_scc0 .LBB76_1603
; %bb.1602:
	v_and_b32_e32 v4, 0xffff, v3
	s_mov_b32 s0, 0
	s_mov_b32 s3, -1
	global_store_dword v[0:1], v4, off
.LBB76_1603:
	s_and_b32 vcc_lo, exec_lo, s4
	s_cbranch_vccz .LBB76_1608
; %bb.1604:
	s_cmp_eq_u32 s1, 44
	s_mov_b32 s0, -1
	s_cbranch_scc0 .LBB76_1608
; %bb.1605:
	v_and_b32_e32 v4, 0xffff, v3
	v_mov_b32_e32 v5, 0xff
	s_mov_b32 s3, exec_lo
	v_bfe_u32 v15, v4, 7, 8
	v_cmpx_ne_u32_e32 0xff, v15
	s_cbranch_execz .LBB76_1607
; %bb.1606:
	v_lshlrev_b32_e32 v5, 16, v4
	v_and_b32_e32 v16, 64, v4
	v_lshrrev_b32_e32 v4, 7, v4
	v_and_or_b32 v5, 0x3f0000, v5, v15
	v_cmp_ne_u32_e32 vcc_lo, 0, v16
	v_cmp_ne_u32_e64 s0, 0, v5
	s_and_b32 s0, vcc_lo, s0
	v_cndmask_b32_e64 v5, 0, 1, s0
	v_add_nc_u32_e32 v5, v4, v5
.LBB76_1607:
	s_or_b32 exec_lo, exec_lo, s3
	s_mov_b32 s0, 0
	s_mov_b32 s3, -1
	global_store_byte v[0:1], v5, off
.LBB76_1608:
	s_mov_b32 s4, 0
.LBB76_1609:
	s_and_b32 vcc_lo, exec_lo, s4
	s_cbranch_vccz .LBB76_1612
; %bb.1610:
	s_cmp_eq_u32 s1, 29
	s_mov_b32 s0, -1
	s_cbranch_scc0 .LBB76_1612
; %bb.1611:
	v_lshlrev_b32_e32 v4, 16, v3
	s_mov_b32 s0, 0
	s_mov_b32 s3, -1
	v_trunc_f32_e32 v4, v4
	v_mul_f32_e32 v5, 0x2f800000, v4
	v_floor_f32_e32 v5, v5
	v_fmamk_f32 v4, v5, 0xcf800000, v4
	v_cvt_u32_f32_e32 v5, v5
	v_cvt_u32_f32_e32 v4, v4
	global_store_dwordx2 v[0:1], v[4:5], off
.LBB76_1612:
	s_mov_b32 s4, 0
.LBB76_1613:
	s_and_b32 vcc_lo, exec_lo, s4
	s_cbranch_vccz .LBB76_1629
; %bb.1614:
	s_cmp_lt_i32 s1, 27
	s_mov_b32 s3, -1
	s_cbranch_scc1 .LBB76_1620
; %bb.1615:
	s_cmp_gt_i32 s1, 27
	s_cbranch_scc0 .LBB76_1617
; %bb.1616:
	v_lshlrev_b32_e32 v4, 16, v3
	s_mov_b32 s3, 0
	v_cvt_u32_f32_e32 v4, v4
	global_store_dword v[0:1], v4, off
.LBB76_1617:
	s_andn2_b32 vcc_lo, exec_lo, s3
	s_cbranch_vccnz .LBB76_1619
; %bb.1618:
	v_lshlrev_b32_e32 v4, 16, v3
	v_cvt_u32_f32_e32 v4, v4
	global_store_short v[0:1], v4, off
.LBB76_1619:
	s_mov_b32 s3, 0
.LBB76_1620:
	s_andn2_b32 vcc_lo, exec_lo, s3
	s_cbranch_vccnz .LBB76_1628
; %bb.1621:
	v_lshlrev_b32_e32 v15, 16, v3
	v_mov_b32_e32 v16, 0x80
	s_mov_b32 s3, exec_lo
	v_and_b32_e32 v5, 0x7fffffff, v15
	v_cmpx_gt_u32_e32 0x43800000, v5
	s_cbranch_execz .LBB76_1627
; %bb.1622:
	v_and_b32_e32 v4, 0xffff, v3
	v_cmp_lt_u32_e32 vcc_lo, 0x3bffffff, v5
	s_mov_b32 s4, 0
                                        ; implicit-def: $vgpr5
	s_and_saveexec_b32 s6, vcc_lo
	s_xor_b32 s6, exec_lo, s6
	s_cbranch_execz .LBB76_2076
; %bb.1623:
	v_bfe_u32 v5, v4, 4, 1
	s_mov_b32 s4, exec_lo
	v_add3_u32 v5, v15, v5, 0x487ffff
                                        ; implicit-def: $vgpr15
	v_lshrrev_b32_e32 v5, 20, v5
	s_andn2_saveexec_b32 s6, s6
	s_cbranch_execnz .LBB76_2077
.LBB76_1624:
	s_or_b32 exec_lo, exec_lo, s6
	v_mov_b32_e32 v16, 0
	s_and_saveexec_b32 s6, s4
.LBB76_1625:
	v_lshrrev_b32_e32 v4, 8, v4
	v_and_or_b32 v16, 0x80, v4, v5
.LBB76_1626:
	s_or_b32 exec_lo, exec_lo, s6
.LBB76_1627:
	s_or_b32 exec_lo, exec_lo, s3
	global_store_byte v[0:1], v16, off
.LBB76_1628:
	s_mov_b32 s3, -1
.LBB76_1629:
	s_mov_b32 s4, 0
.LBB76_1630:
	s_and_b32 vcc_lo, exec_lo, s4
	s_cbranch_vccz .LBB76_1670
; %bb.1631:
	s_cmp_gt_i32 s1, 22
	s_mov_b32 s2, -1
	s_cbranch_scc0 .LBB76_1663
; %bb.1632:
	s_cmp_lt_i32 s1, 24
	s_cbranch_scc1 .LBB76_1652
; %bb.1633:
	s_cmp_gt_i32 s1, 24
	s_cbranch_scc0 .LBB76_1641
; %bb.1634:
	v_lshlrev_b32_e32 v15, 16, v3
	v_mov_b32_e32 v16, 0x80
	s_mov_b32 s2, exec_lo
	v_and_b32_e32 v5, 0x7fffffff, v15
	v_cmpx_gt_u32_e32 0x47800000, v5
	s_cbranch_execz .LBB76_1640
; %bb.1635:
	v_and_b32_e32 v4, 0xffff, v3
	v_cmp_lt_u32_e32 vcc_lo, 0x37ffffff, v5
	s_mov_b32 s3, 0
                                        ; implicit-def: $vgpr5
	s_and_saveexec_b32 s4, vcc_lo
	s_xor_b32 s4, exec_lo, s4
	s_cbranch_execz .LBB76_2079
; %bb.1636:
	v_bfe_u32 v5, v4, 5, 1
	s_mov_b32 s3, exec_lo
	v_add3_u32 v5, v15, v5, 0x88fffff
                                        ; implicit-def: $vgpr15
	v_lshrrev_b32_e32 v5, 21, v5
	s_andn2_saveexec_b32 s4, s4
	s_cbranch_execnz .LBB76_2080
.LBB76_1637:
	s_or_b32 exec_lo, exec_lo, s4
	v_mov_b32_e32 v16, 0
	s_and_saveexec_b32 s4, s3
.LBB76_1638:
	v_lshrrev_b32_e32 v4, 8, v4
	v_and_or_b32 v16, 0x80, v4, v5
.LBB76_1639:
	s_or_b32 exec_lo, exec_lo, s4
.LBB76_1640:
	s_or_b32 exec_lo, exec_lo, s2
	s_mov_b32 s2, 0
	global_store_byte v[0:1], v16, off
.LBB76_1641:
	s_and_b32 vcc_lo, exec_lo, s2
	s_cbranch_vccz .LBB76_1651
; %bb.1642:
	v_lshlrev_b32_e32 v15, 16, v3
	v_and_b32_e32 v4, 0xffff, v3
	s_mov_b32 s2, exec_lo
                                        ; implicit-def: $vgpr5
	v_and_b32_e32 v16, 0x7fffffff, v15
	v_cmpx_gt_u32_e32 0x43f00000, v16
	s_xor_b32 s2, exec_lo, s2
	s_cbranch_execz .LBB76_1648
; %bb.1643:
	s_mov_b32 s3, exec_lo
                                        ; implicit-def: $vgpr5
	v_cmpx_lt_u32_e32 0x3c7fffff, v16
	s_xor_b32 s3, exec_lo, s3
; %bb.1644:
	v_bfe_u32 v5, v4, 4, 1
	v_add3_u32 v5, v15, v5, 0x407ffff
	v_and_b32_e32 v15, 0xff00000, v5
	v_lshrrev_b32_e32 v5, 20, v5
	v_cmp_ne_u32_e32 vcc_lo, 0x7f00000, v15
                                        ; implicit-def: $vgpr15
	v_cndmask_b32_e32 v5, 0x7e, v5, vcc_lo
; %bb.1645:
	s_andn2_saveexec_b32 s3, s3
; %bb.1646:
	v_add_f32_e64 v5, 0x46800000, |v15|
; %bb.1647:
	s_or_b32 exec_lo, exec_lo, s3
                                        ; implicit-def: $vgpr16
.LBB76_1648:
	s_andn2_saveexec_b32 s2, s2
; %bb.1649:
	v_mov_b32_e32 v5, 0x7f
	v_cmp_lt_u32_e32 vcc_lo, 0x7f800000, v16
	v_cndmask_b32_e32 v5, 0x7e, v5, vcc_lo
; %bb.1650:
	s_or_b32 exec_lo, exec_lo, s2
	v_lshrrev_b32_e32 v4, 8, v4
	v_and_or_b32 v4, 0x80, v4, v5
	global_store_byte v[0:1], v4, off
.LBB76_1651:
	s_mov_b32 s2, 0
.LBB76_1652:
	s_andn2_b32 vcc_lo, exec_lo, s2
	s_cbranch_vccnz .LBB76_1662
; %bb.1653:
	v_lshlrev_b32_e32 v15, 16, v3
	v_and_b32_e32 v4, 0xffff, v3
	s_mov_b32 s2, exec_lo
                                        ; implicit-def: $vgpr5
	v_and_b32_e32 v16, 0x7fffffff, v15
	v_cmpx_gt_u32_e32 0x47800000, v16
	s_xor_b32 s2, exec_lo, s2
	s_cbranch_execz .LBB76_1659
; %bb.1654:
	s_mov_b32 s3, exec_lo
                                        ; implicit-def: $vgpr5
	v_cmpx_lt_u32_e32 0x387fffff, v16
	s_xor_b32 s3, exec_lo, s3
; %bb.1655:
	v_bfe_u32 v5, v4, 5, 1
	v_add3_u32 v5, v15, v5, 0x80fffff
                                        ; implicit-def: $vgpr15
	v_lshrrev_b32_e32 v5, 21, v5
; %bb.1656:
	s_andn2_saveexec_b32 s3, s3
; %bb.1657:
	v_add_f32_e64 v5, 0x43000000, |v15|
; %bb.1658:
	s_or_b32 exec_lo, exec_lo, s3
                                        ; implicit-def: $vgpr16
.LBB76_1659:
	s_andn2_saveexec_b32 s2, s2
; %bb.1660:
	v_mov_b32_e32 v5, 0x7f
	v_cmp_lt_u32_e32 vcc_lo, 0x7f800000, v16
	v_cndmask_b32_e32 v5, 0x7c, v5, vcc_lo
; %bb.1661:
	s_or_b32 exec_lo, exec_lo, s2
	v_lshrrev_b32_e32 v4, 8, v4
	v_and_or_b32 v4, 0x80, v4, v5
	global_store_byte v[0:1], v4, off
.LBB76_1662:
	s_mov_b32 s2, 0
	s_mov_b32 s3, -1
.LBB76_1663:
	s_andn2_b32 vcc_lo, exec_lo, s2
	s_mov_b32 s2, 0
	s_cbranch_vccnz .LBB76_1670
; %bb.1664:
	s_cmp_gt_i32 s1, 14
	s_mov_b32 s2, -1
	s_cbranch_scc0 .LBB76_1668
; %bb.1665:
	s_cmp_eq_u32 s1, 15
	s_mov_b32 s0, -1
	s_cbranch_scc0 .LBB76_1667
; %bb.1666:
	s_mov_b32 s0, 0
	s_mov_b32 s3, -1
	global_store_short v[0:1], v3, off
.LBB76_1667:
	s_mov_b32 s2, 0
.LBB76_1668:
	s_and_b32 vcc_lo, exec_lo, s2
	s_mov_b32 s2, 0
	s_cbranch_vccz .LBB76_1670
; %bb.1669:
	s_cmp_lg_u32 s1, 11
	s_mov_b32 s2, -1
	s_cselect_b32 s0, -1, 0
.LBB76_1670:
	s_and_b32 vcc_lo, exec_lo, s0
	s_cbranch_vccnz .LBB76_2078
; %bb.1671:
	s_andn2_b32 vcc_lo, exec_lo, s2
	s_cbranch_vccnz .LBB76_1673
.LBB76_1672:
	v_and_b32_e32 v4, 0x7fff, v3
	s_mov_b32 s3, -1
	v_cmp_ne_u16_e32 vcc_lo, 0, v4
	v_cndmask_b32_e64 v4, 0, 1, vcc_lo
	global_store_byte v[0:1], v4, off
.LBB76_1673:
	s_mov_b32 s0, 0
	s_branch .LBB76_1675
.LBB76_1674:
	s_mov_b32 s0, -1
	s_mov_b32 s3, 0
.LBB76_1675:
	s_and_b32 vcc_lo, exec_lo, s0
	s_cbranch_vccz .LBB76_1714
; %bb.1676:
	s_and_b32 s0, 0xffff, s15
	s_mov_b32 s1, -1
	s_cmp_lt_i32 s0, 5
	s_cbranch_scc1 .LBB76_1697
; %bb.1677:
	s_cmp_lt_i32 s0, 8
	s_cbranch_scc1 .LBB76_1687
; %bb.1678:
	s_cmp_lt_i32 s0, 9
	s_cbranch_scc1 .LBB76_1684
; %bb.1679:
	s_cmp_gt_i32 s0, 9
	s_cbranch_scc0 .LBB76_1681
; %bb.1680:
	v_lshlrev_b32_e32 v4, 16, v3
	v_mov_b32_e32 v17, 0
	s_mov_b32 s1, 0
	v_cvt_f64_f32_e32 v[15:16], v4
	v_mov_b32_e32 v18, v17
	global_store_dwordx4 v[0:1], v[15:18], off
.LBB76_1681:
	s_andn2_b32 vcc_lo, exec_lo, s1
	s_cbranch_vccnz .LBB76_1683
; %bb.1682:
	v_lshlrev_b32_e32 v4, 16, v3
	v_mov_b32_e32 v5, 0
	global_store_dwordx2 v[0:1], v[4:5], off
.LBB76_1683:
	s_mov_b32 s1, 0
.LBB76_1684:
	s_andn2_b32 vcc_lo, exec_lo, s1
	s_cbranch_vccnz .LBB76_1686
; %bb.1685:
	v_lshlrev_b32_e32 v4, 16, v3
	v_cvt_f16_f32_e32 v4, v4
	v_and_b32_e32 v4, 0xffff, v4
	global_store_dword v[0:1], v4, off
.LBB76_1686:
	s_mov_b32 s1, 0
.LBB76_1687:
	s_andn2_b32 vcc_lo, exec_lo, s1
	s_cbranch_vccnz .LBB76_1696
; %bb.1688:
	s_cmp_lt_i32 s0, 6
	s_mov_b32 s1, -1
	s_cbranch_scc1 .LBB76_1694
; %bb.1689:
	s_cmp_gt_i32 s0, 6
	s_cbranch_scc0 .LBB76_1691
; %bb.1690:
	v_lshlrev_b32_e32 v4, 16, v3
	s_mov_b32 s1, 0
	v_cvt_f64_f32_e32 v[4:5], v4
	global_store_dwordx2 v[0:1], v[4:5], off
.LBB76_1691:
	s_andn2_b32 vcc_lo, exec_lo, s1
	s_cbranch_vccnz .LBB76_1693
; %bb.1692:
	v_lshlrev_b32_e32 v4, 16, v3
	global_store_dword v[0:1], v4, off
.LBB76_1693:
	s_mov_b32 s1, 0
.LBB76_1694:
	s_andn2_b32 vcc_lo, exec_lo, s1
	s_cbranch_vccnz .LBB76_1696
; %bb.1695:
	v_lshlrev_b32_e32 v4, 16, v3
	v_cvt_f16_f32_e32 v4, v4
	global_store_short v[0:1], v4, off
.LBB76_1696:
	s_mov_b32 s1, 0
.LBB76_1697:
	s_andn2_b32 vcc_lo, exec_lo, s1
	s_cbranch_vccnz .LBB76_1713
; %bb.1698:
	s_cmp_lt_i32 s0, 2
	s_mov_b32 s1, -1
	s_cbranch_scc1 .LBB76_1708
; %bb.1699:
	s_cmp_lt_i32 s0, 3
	s_cbranch_scc1 .LBB76_1705
; %bb.1700:
	s_cmp_gt_i32 s0, 3
	s_cbranch_scc0 .LBB76_1702
; %bb.1701:
	v_lshlrev_b32_e32 v4, 16, v3
	s_mov_b32 s1, 0
	v_trunc_f32_e32 v4, v4
	v_mul_f32_e64 v5, 0x2f800000, |v4|
	v_ashrrev_i32_e32 v16, 31, v4
	v_floor_f32_e32 v5, v5
	v_fma_f32 v15, 0xcf800000, v5, |v4|
	v_cvt_u32_f32_e32 v5, v5
	v_cvt_u32_f32_e32 v4, v15
	v_xor_b32_e32 v5, v5, v16
	v_xor_b32_e32 v4, v4, v16
	v_sub_co_u32 v4, vcc_lo, v4, v16
	v_sub_co_ci_u32_e64 v5, null, v5, v16, vcc_lo
	global_store_dwordx2 v[0:1], v[4:5], off
.LBB76_1702:
	s_andn2_b32 vcc_lo, exec_lo, s1
	s_cbranch_vccnz .LBB76_1704
; %bb.1703:
	v_lshlrev_b32_e32 v4, 16, v3
	v_cvt_i32_f32_e32 v4, v4
	global_store_dword v[0:1], v4, off
.LBB76_1704:
	s_mov_b32 s1, 0
.LBB76_1705:
	s_andn2_b32 vcc_lo, exec_lo, s1
	s_cbranch_vccnz .LBB76_1707
; %bb.1706:
	v_lshlrev_b32_e32 v4, 16, v3
	v_cvt_i32_f32_e32 v4, v4
	global_store_short v[0:1], v4, off
.LBB76_1707:
	s_mov_b32 s1, 0
.LBB76_1708:
	s_andn2_b32 vcc_lo, exec_lo, s1
	s_cbranch_vccnz .LBB76_1713
; %bb.1709:
	v_lshlrev_b32_e32 v3, 16, v3
	s_cmp_gt_i32 s0, 0
	s_mov_b32 s0, -1
	s_cbranch_scc0 .LBB76_1711
; %bb.1710:
	v_cvt_i32_f32_e32 v4, v3
	s_mov_b32 s0, 0
	global_store_byte v[0:1], v4, off
.LBB76_1711:
	s_andn2_b32 vcc_lo, exec_lo, s0
	s_cbranch_vccnz .LBB76_1713
; %bb.1712:
	v_trunc_f32_e32 v3, v3
	v_mul_f32_e64 v4, 0x2f800000, |v3|
	v_floor_f32_e32 v4, v4
	v_fma_f32 v4, 0xcf800000, v4, |v3|
	v_ashrrev_i32_e32 v3, 31, v3
	v_cvt_u32_f32_e32 v4, v4
	v_xor_b32_e32 v4, v4, v3
	v_sub_nc_u32_e32 v3, v4, v3
	global_store_byte v[0:1], v3, off
.LBB76_1713:
	s_mov_b32 s3, -1
.LBB76_1714:
	s_andn2_b32 vcc_lo, exec_lo, s3
	s_cbranch_vccnz .LBB76_2029
; %bb.1715:
	v_add_f32_e32 v0, 1.0, v6
	v_mul_f32_e32 v1, v6, v6
	s_lshl_b32 s4, s12, 7
	s_cmp_lt_i32 s15, 11
	v_add_nc_u32_e32 v2, s4, v2
	v_mul_f32_e32 v3, v0, v0
	v_add_f32_e32 v0, 1.0, v0
	v_div_scale_f32 v4, null, v1, v1, 1.0
	v_div_scale_f32 v6, vcc_lo, 1.0, v1, 1.0
	v_mul_f32_e32 v15, v0, v0
	v_div_scale_f32 v5, null, v3, v3, 1.0
	v_rcp_f32_e32 v16, v4
	v_div_scale_f32 v19, s0, 1.0, v3, 1.0
	v_div_scale_f32 v18, null, v15, v15, 1.0
	v_rcp_f32_e32 v17, v5
	v_add_f32_e32 v0, 1.0, v0
	v_div_scale_f32 v20, s1, 1.0, v15, 1.0
	v_rcp_f32_e32 v21, v18
	v_fma_f32 v23, -v4, v16, 1.0
	v_mul_f32_e32 v22, v0, v0
	v_add_f32_e32 v0, 1.0, v0
	v_fma_f32 v24, -v5, v17, 1.0
	v_fmac_f32_e32 v16, v23, v16
	v_mul_f32_e32 v26, v0, v0
	v_add_f32_e32 v0, 1.0, v0
	v_fma_f32 v23, -v18, v21, 1.0
	v_fmac_f32_e32 v17, v24, v17
	v_mul_f32_e32 v27, v6, v16
	v_div_scale_f32 v25, null, v22, v22, 1.0
	v_fmac_f32_e32 v21, v23, v21
	v_mul_f32_e32 v28, v19, v17
	v_fma_f32 v29, -v4, v27, v6
	v_add_f32_e32 v32, 1.0, v0
	v_rcp_f32_e32 v24, v25
	v_mul_f32_e32 v31, v20, v21
	v_fma_f32 v30, -v5, v28, v19
	v_fmac_f32_e32 v27, v29, v16
	v_mul_f32_e32 v0, v0, v0
	v_div_scale_f32 v23, null, v26, v26, 1.0
	v_fma_f32 v29, -v18, v31, v20
	v_fmac_f32_e32 v28, v30, v17
	v_fma_f32 v4, -v4, v27, v6
	v_mul_f32_e32 v6, v32, v32
	v_rcp_f32_e32 v30, v23
	v_fmac_f32_e32 v31, v29, v21
	v_fma_f32 v5, -v5, v28, v19
	v_div_fmas_f32 v4, v4, v16, v27
	s_mov_b32 vcc_lo, s0
	v_fma_f32 v33, -v25, v24, 1.0
	v_fma_f32 v16, -v18, v31, v20
	v_div_fmas_f32 v5, v5, v17, v28
	s_mov_b32 vcc_lo, s1
	v_div_scale_f32 v17, null, v0, v0, 1.0
	v_div_fmas_f32 v16, v16, v21, v31
	v_div_scale_f32 v18, null, v6, v6, 1.0
	v_add_f32_e32 v21, v32, v32
	v_rcp_f32_e32 v20, v17
	v_fmac_f32_e32 v24, v33, v24
	v_rcp_f32_e32 v28, v18
	v_div_scale_f32 v19, vcc_lo, 1.0, v22, 1.0
	v_div_scale_f32 v31, null, v21, v21, 1.0
	v_fma_f32 v27, -v23, v30, 1.0
	v_mul_f32_e32 v29, v19, v24
	v_div_fixup_f32 v1, v4, v1, 1.0
	v_rcp_f32_e32 v34, v31
	v_fma_f32 v33, -v17, v20, 1.0
	v_fmac_f32_e32 v30, v27, v30
	v_div_scale_f32 v27, s0, 1.0, v26, 1.0
	v_fma_f32 v36, -v18, v28, 1.0
	v_fma_f32 v35, -v25, v29, v19
	v_fmac_f32_e32 v20, v33, v20
	v_div_scale_f32 v33, s1, 1.0, v0, 1.0
	v_mul_f32_e32 v37, v27, v30
	v_fmac_f32_e32 v28, v36, v28
	v_div_scale_f32 v36, s2, 1.0, v6, 1.0
	v_fma_f32 v38, -v31, v34, 1.0
	v_fmac_f32_e32 v29, v35, v24
	v_mul_f32_e32 v39, v33, v20
	v_fma_f32 v35, -v23, v37, v27
	v_mul_f32_e32 v40, v36, v28
	v_fmac_f32_e32 v34, v38, v34
	v_div_scale_f32 v38, s3, 1.0, v21, 1.0
	v_fma_f32 v19, -v25, v29, v19
	v_fma_f32 v25, -v17, v39, v33
	v_fmac_f32_e32 v37, v35, v30
	v_fma_f32 v35, -v18, v40, v36
	v_mul_f32_e32 v41, v38, v34
	v_div_fmas_f32 v19, v19, v24, v29
	v_fmac_f32_e32 v39, v25, v20
	v_fma_f32 v23, -v23, v37, v27
	v_fmac_f32_e32 v40, v35, v28
	v_fma_f32 v24, -v31, v41, v38
	s_mov_b32 vcc_lo, s0
	v_fma_f32 v17, -v17, v39, v33
	v_div_fmas_f32 v23, v23, v30, v37
	v_fma_f32 v18, -v18, v40, v36
	v_fmac_f32_e32 v41, v24, v34
	s_mov_b32 vcc_lo, s1
	s_mov_b32 s0, 0xbcc30c31
	v_div_fmas_f32 v17, v17, v20, v39
	s_mov_b32 vcc_lo, s2
	v_fma_f32 v20, -v31, v41, v38
	v_div_fmas_f32 v18, v18, v28, v40
	s_mov_b32 vcc_lo, s3
	v_add_f32_e32 v1, v8, v1
	v_div_fixup_f32 v3, v5, v3, 1.0
	v_div_fmas_f32 v20, v20, v34, v41
	v_div_fixup_f32 v6, v18, v6, 1.0
	v_div_fixup_f32 v0, v17, v0, 1.0
	v_add_f32_e32 v1, v1, v3
	v_div_fixup_f32 v18, v20, v21, 1.0
	v_fmaak_f32 v20, s0, v6, 0x3d088889
	v_div_fixup_f32 v3, v16, v15, 1.0
	v_add_f32_e32 v18, 1.0, v18
	v_fma_f32 v20, -v6, v20, 0x3e2aaaab
	v_add_f32_e32 v1, v1, v3
	v_div_fixup_f32 v3, v19, v22, 1.0
	v_fmac_f32_e32 v18, v6, v20
	v_add_f32_e32 v1, v1, v3
	v_div_fixup_f32 v3, v23, v26, 1.0
	v_div_scale_f32 v6, null, v32, v32, v18
	v_add_f32_e32 v1, v1, v3
	v_rcp_f32_e32 v20, v6
	v_add_f32_e32 v0, v1, v0
	v_fma_f32 v4, -v6, v20, 1.0
	v_fmac_f32_e32 v20, v4, v20
	v_div_scale_f32 v4, vcc_lo, v18, v32, v18
	v_mul_f32_e32 v5, v4, v20
	v_fma_f32 v8, -v6, v5, v4
	v_fmac_f32_e32 v5, v8, v20
	v_fma_f32 v4, -v6, v5, v4
	v_div_fmas_f32 v3, v4, v20, v5
	v_div_fixup_f32 v1, v3, v32, v18
	v_mov_b32_e32 v3, 0x7fc0
	v_add_f32_e32 v0, v0, v1
	v_mul_f32_e32 v0, v7, v0
	v_bfe_u32 v1, v0, 16, 1
	v_cmp_o_f32_e32 vcc_lo, v0, v0
	v_add3_u32 v0, v0, v1, 0x7fff
	v_ashrrev_i32_e32 v1, 31, v2
	v_cndmask_b32_sdwa v3, v3, v0, vcc_lo dst_sel:DWORD dst_unused:UNUSED_PAD src0_sel:DWORD src1_sel:WORD_1
	v_add_co_u32 v0, vcc_lo, s8, v2
	v_add_co_ci_u32_e64 v1, null, s9, v1, vcc_lo
	s_cbranch_scc1 .LBB76_1793
; %bb.1716:
	s_and_b32 s1, 0xffff, s15
	s_mov_b32 s6, -1
	s_mov_b32 s2, 0
	s_cmp_gt_i32 s1, 25
	s_mov_b32 s3, 0
	s_mov_b32 s0, 0
	s_cbranch_scc0 .LBB76_1749
; %bb.1717:
	s_cmp_gt_i32 s1, 28
	s_cbranch_scc0 .LBB76_1732
; %bb.1718:
	s_cmp_gt_i32 s1, 43
	;; [unrolled: 3-line block ×3, first 2 shown]
	s_cbranch_scc0 .LBB76_1722
; %bb.1720:
	s_mov_b32 s0, -1
	s_mov_b32 s6, 0
	s_cmp_eq_u32 s1, 46
	s_cbranch_scc0 .LBB76_1722
; %bb.1721:
	v_and_b32_e32 v4, 0xffff, v3
	s_mov_b32 s0, 0
	s_mov_b32 s3, -1
	global_store_dword v[0:1], v4, off
.LBB76_1722:
	s_and_b32 vcc_lo, exec_lo, s6
	s_cbranch_vccz .LBB76_1727
; %bb.1723:
	s_cmp_eq_u32 s1, 44
	s_mov_b32 s0, -1
	s_cbranch_scc0 .LBB76_1727
; %bb.1724:
	v_and_b32_e32 v4, 0xffff, v3
	v_mov_b32_e32 v5, 0xff
	s_mov_b32 s3, exec_lo
	v_bfe_u32 v6, v4, 7, 8
	v_cmpx_ne_u32_e32 0xff, v6
	s_cbranch_execz .LBB76_1726
; %bb.1725:
	v_lshlrev_b32_e32 v5, 16, v4
	v_and_b32_e32 v7, 64, v4
	v_lshrrev_b32_e32 v4, 7, v4
	v_and_or_b32 v5, 0x3f0000, v5, v6
	v_cmp_ne_u32_e32 vcc_lo, 0, v7
	v_cmp_ne_u32_e64 s0, 0, v5
	s_and_b32 s0, vcc_lo, s0
	v_cndmask_b32_e64 v5, 0, 1, s0
	v_add_nc_u32_e32 v5, v4, v5
.LBB76_1726:
	s_or_b32 exec_lo, exec_lo, s3
	s_mov_b32 s0, 0
	s_mov_b32 s3, -1
	global_store_byte v[0:1], v5, off
.LBB76_1727:
	s_mov_b32 s6, 0
.LBB76_1728:
	s_and_b32 vcc_lo, exec_lo, s6
	s_cbranch_vccz .LBB76_1731
; %bb.1729:
	s_cmp_eq_u32 s1, 29
	s_mov_b32 s0, -1
	s_cbranch_scc0 .LBB76_1731
; %bb.1730:
	v_lshlrev_b32_e32 v4, 16, v3
	s_mov_b32 s0, 0
	s_mov_b32 s3, -1
	v_trunc_f32_e32 v4, v4
	v_mul_f32_e32 v5, 0x2f800000, v4
	v_floor_f32_e32 v5, v5
	v_fmamk_f32 v4, v5, 0xcf800000, v4
	v_cvt_u32_f32_e32 v5, v5
	v_cvt_u32_f32_e32 v4, v4
	global_store_dwordx2 v[0:1], v[4:5], off
.LBB76_1731:
	s_mov_b32 s6, 0
.LBB76_1732:
	s_and_b32 vcc_lo, exec_lo, s6
	s_cbranch_vccz .LBB76_1748
; %bb.1733:
	s_cmp_lt_i32 s1, 27
	s_mov_b32 s3, -1
	s_cbranch_scc1 .LBB76_1739
; %bb.1734:
	s_cmp_gt_i32 s1, 27
	s_cbranch_scc0 .LBB76_1736
; %bb.1735:
	v_lshlrev_b32_e32 v4, 16, v3
	s_mov_b32 s3, 0
	v_cvt_u32_f32_e32 v4, v4
	global_store_dword v[0:1], v4, off
.LBB76_1736:
	s_andn2_b32 vcc_lo, exec_lo, s3
	s_cbranch_vccnz .LBB76_1738
; %bb.1737:
	v_lshlrev_b32_e32 v4, 16, v3
	v_cvt_u32_f32_e32 v4, v4
	global_store_short v[0:1], v4, off
.LBB76_1738:
	s_mov_b32 s3, 0
.LBB76_1739:
	s_andn2_b32 vcc_lo, exec_lo, s3
	s_cbranch_vccnz .LBB76_1747
; %bb.1740:
	v_lshlrev_b32_e32 v6, 16, v3
	v_mov_b32_e32 v7, 0x80
	s_mov_b32 s3, exec_lo
	v_and_b32_e32 v5, 0x7fffffff, v6
	v_cmpx_gt_u32_e32 0x43800000, v5
	s_cbranch_execz .LBB76_1746
; %bb.1741:
	v_and_b32_e32 v4, 0xffff, v3
	v_cmp_lt_u32_e32 vcc_lo, 0x3bffffff, v5
	s_mov_b32 s6, 0
                                        ; implicit-def: $vgpr5
	s_and_saveexec_b32 s10, vcc_lo
	s_xor_b32 s10, exec_lo, s10
	s_cbranch_execz .LBB76_2081
; %bb.1742:
	v_bfe_u32 v5, v4, 4, 1
	s_mov_b32 s6, exec_lo
	v_add3_u32 v5, v6, v5, 0x487ffff
                                        ; implicit-def: $vgpr6
	v_lshrrev_b32_e32 v5, 20, v5
	s_andn2_saveexec_b32 s10, s10
	s_cbranch_execnz .LBB76_2082
.LBB76_1743:
	s_or_b32 exec_lo, exec_lo, s10
	v_mov_b32_e32 v7, 0
	s_and_saveexec_b32 s10, s6
.LBB76_1744:
	v_lshrrev_b32_e32 v4, 8, v4
	v_and_or_b32 v7, 0x80, v4, v5
.LBB76_1745:
	s_or_b32 exec_lo, exec_lo, s10
.LBB76_1746:
	s_or_b32 exec_lo, exec_lo, s3
	global_store_byte v[0:1], v7, off
.LBB76_1747:
	s_mov_b32 s3, -1
.LBB76_1748:
	s_mov_b32 s6, 0
.LBB76_1749:
	s_and_b32 vcc_lo, exec_lo, s6
	s_cbranch_vccz .LBB76_1789
; %bb.1750:
	s_cmp_gt_i32 s1, 22
	s_mov_b32 s2, -1
	s_cbranch_scc0 .LBB76_1782
; %bb.1751:
	s_cmp_lt_i32 s1, 24
	s_cbranch_scc1 .LBB76_1771
; %bb.1752:
	s_cmp_gt_i32 s1, 24
	s_cbranch_scc0 .LBB76_1760
; %bb.1753:
	v_lshlrev_b32_e32 v6, 16, v3
	v_mov_b32_e32 v7, 0x80
	s_mov_b32 s2, exec_lo
	v_and_b32_e32 v5, 0x7fffffff, v6
	v_cmpx_gt_u32_e32 0x47800000, v5
	s_cbranch_execz .LBB76_1759
; %bb.1754:
	v_and_b32_e32 v4, 0xffff, v3
	v_cmp_lt_u32_e32 vcc_lo, 0x37ffffff, v5
	s_mov_b32 s3, 0
                                        ; implicit-def: $vgpr5
	s_and_saveexec_b32 s6, vcc_lo
	s_xor_b32 s6, exec_lo, s6
	s_cbranch_execz .LBB76_2084
; %bb.1755:
	v_bfe_u32 v5, v4, 5, 1
	s_mov_b32 s3, exec_lo
	v_add3_u32 v5, v6, v5, 0x88fffff
                                        ; implicit-def: $vgpr6
	v_lshrrev_b32_e32 v5, 21, v5
	s_andn2_saveexec_b32 s6, s6
	s_cbranch_execnz .LBB76_2085
.LBB76_1756:
	s_or_b32 exec_lo, exec_lo, s6
	v_mov_b32_e32 v7, 0
	s_and_saveexec_b32 s6, s3
.LBB76_1757:
	v_lshrrev_b32_e32 v4, 8, v4
	v_and_or_b32 v7, 0x80, v4, v5
.LBB76_1758:
	s_or_b32 exec_lo, exec_lo, s6
.LBB76_1759:
	s_or_b32 exec_lo, exec_lo, s2
	s_mov_b32 s2, 0
	global_store_byte v[0:1], v7, off
.LBB76_1760:
	s_and_b32 vcc_lo, exec_lo, s2
	s_cbranch_vccz .LBB76_1770
; %bb.1761:
	v_lshlrev_b32_e32 v6, 16, v3
	v_and_b32_e32 v4, 0xffff, v3
	s_mov_b32 s2, exec_lo
                                        ; implicit-def: $vgpr5
	v_and_b32_e32 v7, 0x7fffffff, v6
	v_cmpx_gt_u32_e32 0x43f00000, v7
	s_xor_b32 s2, exec_lo, s2
	s_cbranch_execz .LBB76_1767
; %bb.1762:
	s_mov_b32 s3, exec_lo
                                        ; implicit-def: $vgpr5
	v_cmpx_lt_u32_e32 0x3c7fffff, v7
	s_xor_b32 s3, exec_lo, s3
; %bb.1763:
	v_bfe_u32 v5, v4, 4, 1
	v_add3_u32 v5, v6, v5, 0x407ffff
	v_and_b32_e32 v6, 0xff00000, v5
	v_lshrrev_b32_e32 v5, 20, v5
	v_cmp_ne_u32_e32 vcc_lo, 0x7f00000, v6
                                        ; implicit-def: $vgpr6
	v_cndmask_b32_e32 v5, 0x7e, v5, vcc_lo
; %bb.1764:
	s_andn2_saveexec_b32 s3, s3
; %bb.1765:
	v_add_f32_e64 v5, 0x46800000, |v6|
; %bb.1766:
	s_or_b32 exec_lo, exec_lo, s3
                                        ; implicit-def: $vgpr7
.LBB76_1767:
	s_andn2_saveexec_b32 s2, s2
; %bb.1768:
	v_mov_b32_e32 v5, 0x7f
	v_cmp_lt_u32_e32 vcc_lo, 0x7f800000, v7
	v_cndmask_b32_e32 v5, 0x7e, v5, vcc_lo
; %bb.1769:
	s_or_b32 exec_lo, exec_lo, s2
	v_lshrrev_b32_e32 v4, 8, v4
	v_and_or_b32 v4, 0x80, v4, v5
	global_store_byte v[0:1], v4, off
.LBB76_1770:
	s_mov_b32 s2, 0
.LBB76_1771:
	s_andn2_b32 vcc_lo, exec_lo, s2
	s_cbranch_vccnz .LBB76_1781
; %bb.1772:
	v_lshlrev_b32_e32 v6, 16, v3
	v_and_b32_e32 v4, 0xffff, v3
	s_mov_b32 s2, exec_lo
                                        ; implicit-def: $vgpr5
	v_and_b32_e32 v7, 0x7fffffff, v6
	v_cmpx_gt_u32_e32 0x47800000, v7
	s_xor_b32 s2, exec_lo, s2
	s_cbranch_execz .LBB76_1778
; %bb.1773:
	s_mov_b32 s3, exec_lo
                                        ; implicit-def: $vgpr5
	v_cmpx_lt_u32_e32 0x387fffff, v7
	s_xor_b32 s3, exec_lo, s3
; %bb.1774:
	v_bfe_u32 v5, v4, 5, 1
	v_add3_u32 v5, v6, v5, 0x80fffff
                                        ; implicit-def: $vgpr6
	v_lshrrev_b32_e32 v5, 21, v5
; %bb.1775:
	s_andn2_saveexec_b32 s3, s3
; %bb.1776:
	v_add_f32_e64 v5, 0x43000000, |v6|
; %bb.1777:
	s_or_b32 exec_lo, exec_lo, s3
                                        ; implicit-def: $vgpr7
.LBB76_1778:
	s_andn2_saveexec_b32 s2, s2
; %bb.1779:
	v_mov_b32_e32 v5, 0x7f
	v_cmp_lt_u32_e32 vcc_lo, 0x7f800000, v7
	v_cndmask_b32_e32 v5, 0x7c, v5, vcc_lo
; %bb.1780:
	s_or_b32 exec_lo, exec_lo, s2
	v_lshrrev_b32_e32 v4, 8, v4
	v_and_or_b32 v4, 0x80, v4, v5
	global_store_byte v[0:1], v4, off
.LBB76_1781:
	s_mov_b32 s2, 0
	s_mov_b32 s3, -1
.LBB76_1782:
	s_andn2_b32 vcc_lo, exec_lo, s2
	s_mov_b32 s2, 0
	s_cbranch_vccnz .LBB76_1789
; %bb.1783:
	s_cmp_gt_i32 s1, 14
	s_mov_b32 s2, -1
	s_cbranch_scc0 .LBB76_1787
; %bb.1784:
	s_cmp_eq_u32 s1, 15
	s_mov_b32 s0, -1
	s_cbranch_scc0 .LBB76_1786
; %bb.1785:
	s_mov_b32 s0, 0
	s_mov_b32 s3, -1
	global_store_short v[0:1], v3, off
.LBB76_1786:
	s_mov_b32 s2, 0
.LBB76_1787:
	s_and_b32 vcc_lo, exec_lo, s2
	s_mov_b32 s2, 0
	s_cbranch_vccz .LBB76_1789
; %bb.1788:
	s_cmp_lg_u32 s1, 11
	s_mov_b32 s2, -1
	s_cselect_b32 s0, -1, 0
.LBB76_1789:
	s_and_b32 vcc_lo, exec_lo, s0
	s_cbranch_vccnz .LBB76_2083
; %bb.1790:
	s_andn2_b32 vcc_lo, exec_lo, s2
	s_cbranch_vccnz .LBB76_1792
.LBB76_1791:
	v_and_b32_e32 v4, 0x7fff, v3
	s_mov_b32 s3, -1
	v_cmp_ne_u16_e32 vcc_lo, 0, v4
	v_cndmask_b32_e64 v4, 0, 1, vcc_lo
	global_store_byte v[0:1], v4, off
.LBB76_1792:
	s_mov_b32 s0, 0
	s_branch .LBB76_1794
.LBB76_1793:
	s_mov_b32 s0, -1
	s_mov_b32 s3, 0
.LBB76_1794:
	s_and_b32 vcc_lo, exec_lo, s0
	s_cbranch_vccz .LBB76_1833
; %bb.1795:
	s_and_b32 s0, 0xffff, s15
	s_mov_b32 s1, -1
	s_cmp_lt_i32 s0, 5
	s_cbranch_scc1 .LBB76_1816
; %bb.1796:
	s_cmp_lt_i32 s0, 8
	s_cbranch_scc1 .LBB76_1806
; %bb.1797:
	s_cmp_lt_i32 s0, 9
	s_cbranch_scc1 .LBB76_1803
; %bb.1798:
	s_cmp_gt_i32 s0, 9
	s_cbranch_scc0 .LBB76_1800
; %bb.1799:
	v_lshlrev_b32_e32 v4, 16, v3
	v_mov_b32_e32 v6, 0
	s_mov_b32 s1, 0
	v_cvt_f64_f32_e32 v[4:5], v4
	v_mov_b32_e32 v7, v6
	global_store_dwordx4 v[0:1], v[4:7], off
.LBB76_1800:
	s_andn2_b32 vcc_lo, exec_lo, s1
	s_cbranch_vccnz .LBB76_1802
; %bb.1801:
	v_lshlrev_b32_e32 v4, 16, v3
	v_mov_b32_e32 v5, 0
	global_store_dwordx2 v[0:1], v[4:5], off
.LBB76_1802:
	s_mov_b32 s1, 0
.LBB76_1803:
	s_andn2_b32 vcc_lo, exec_lo, s1
	s_cbranch_vccnz .LBB76_1805
; %bb.1804:
	v_lshlrev_b32_e32 v4, 16, v3
	v_cvt_f16_f32_e32 v4, v4
	v_and_b32_e32 v4, 0xffff, v4
	global_store_dword v[0:1], v4, off
.LBB76_1805:
	s_mov_b32 s1, 0
.LBB76_1806:
	s_andn2_b32 vcc_lo, exec_lo, s1
	s_cbranch_vccnz .LBB76_1815
; %bb.1807:
	s_cmp_lt_i32 s0, 6
	s_mov_b32 s1, -1
	s_cbranch_scc1 .LBB76_1813
; %bb.1808:
	s_cmp_gt_i32 s0, 6
	s_cbranch_scc0 .LBB76_1810
; %bb.1809:
	v_lshlrev_b32_e32 v4, 16, v3
	s_mov_b32 s1, 0
	v_cvt_f64_f32_e32 v[4:5], v4
	global_store_dwordx2 v[0:1], v[4:5], off
.LBB76_1810:
	s_andn2_b32 vcc_lo, exec_lo, s1
	s_cbranch_vccnz .LBB76_1812
; %bb.1811:
	v_lshlrev_b32_e32 v4, 16, v3
	global_store_dword v[0:1], v4, off
.LBB76_1812:
	s_mov_b32 s1, 0
.LBB76_1813:
	s_andn2_b32 vcc_lo, exec_lo, s1
	s_cbranch_vccnz .LBB76_1815
; %bb.1814:
	v_lshlrev_b32_e32 v4, 16, v3
	v_cvt_f16_f32_e32 v4, v4
	global_store_short v[0:1], v4, off
.LBB76_1815:
	s_mov_b32 s1, 0
.LBB76_1816:
	s_andn2_b32 vcc_lo, exec_lo, s1
	s_cbranch_vccnz .LBB76_1832
; %bb.1817:
	s_cmp_lt_i32 s0, 2
	s_mov_b32 s1, -1
	s_cbranch_scc1 .LBB76_1827
; %bb.1818:
	s_cmp_lt_i32 s0, 3
	s_cbranch_scc1 .LBB76_1824
; %bb.1819:
	s_cmp_gt_i32 s0, 3
	s_cbranch_scc0 .LBB76_1821
; %bb.1820:
	v_lshlrev_b32_e32 v4, 16, v3
	s_mov_b32 s1, 0
	v_trunc_f32_e32 v4, v4
	v_mul_f32_e64 v5, 0x2f800000, |v4|
	v_ashrrev_i32_e32 v7, 31, v4
	v_floor_f32_e32 v5, v5
	v_fma_f32 v6, 0xcf800000, v5, |v4|
	v_cvt_u32_f32_e32 v5, v5
	v_cvt_u32_f32_e32 v4, v6
	v_xor_b32_e32 v5, v5, v7
	v_xor_b32_e32 v4, v4, v7
	v_sub_co_u32 v4, vcc_lo, v4, v7
	v_sub_co_ci_u32_e64 v5, null, v5, v7, vcc_lo
	global_store_dwordx2 v[0:1], v[4:5], off
.LBB76_1821:
	s_andn2_b32 vcc_lo, exec_lo, s1
	s_cbranch_vccnz .LBB76_1823
; %bb.1822:
	v_lshlrev_b32_e32 v4, 16, v3
	v_cvt_i32_f32_e32 v4, v4
	global_store_dword v[0:1], v4, off
.LBB76_1823:
	s_mov_b32 s1, 0
.LBB76_1824:
	s_andn2_b32 vcc_lo, exec_lo, s1
	s_cbranch_vccnz .LBB76_1826
; %bb.1825:
	v_lshlrev_b32_e32 v4, 16, v3
	v_cvt_i32_f32_e32 v4, v4
	global_store_short v[0:1], v4, off
.LBB76_1826:
	s_mov_b32 s1, 0
.LBB76_1827:
	s_andn2_b32 vcc_lo, exec_lo, s1
	s_cbranch_vccnz .LBB76_1832
; %bb.1828:
	v_lshlrev_b32_e32 v3, 16, v3
	s_cmp_gt_i32 s0, 0
	s_mov_b32 s0, -1
	s_cbranch_scc0 .LBB76_1830
; %bb.1829:
	v_cvt_i32_f32_e32 v4, v3
	s_mov_b32 s0, 0
	global_store_byte v[0:1], v4, off
.LBB76_1830:
	s_andn2_b32 vcc_lo, exec_lo, s0
	s_cbranch_vccnz .LBB76_1832
; %bb.1831:
	v_trunc_f32_e32 v3, v3
	v_mul_f32_e64 v4, 0x2f800000, |v3|
	v_floor_f32_e32 v4, v4
	v_fma_f32 v4, 0xcf800000, v4, |v3|
	v_ashrrev_i32_e32 v3, 31, v3
	v_cvt_u32_f32_e32 v4, v4
	v_xor_b32_e32 v4, v4, v3
	v_sub_nc_u32_e32 v3, v4, v3
	global_store_byte v[0:1], v3, off
.LBB76_1832:
	s_mov_b32 s3, -1
.LBB76_1833:
	s_andn2_b32 vcc_lo, exec_lo, s3
	s_cbranch_vccnz .LBB76_2029
; %bb.1834:
	v_add_f32_e32 v0, 1.0, v9
	v_mul_f32_e32 v1, v9, v9
	v_add_nc_u32_e32 v2, s4, v2
	s_cmp_lt_i32 s15, 11
	v_mul_f32_e32 v3, v0, v0
	v_add_f32_e32 v0, 1.0, v0
	v_div_scale_f32 v4, null, v1, v1, 1.0
	v_div_scale_f32 v6, vcc_lo, 1.0, v1, 1.0
	v_mul_f32_e32 v7, v0, v0
	v_div_scale_f32 v5, null, v3, v3, 1.0
	v_rcp_f32_e32 v8, v4
	v_div_scale_f32 v16, s0, 1.0, v3, 1.0
	v_div_scale_f32 v15, null, v7, v7, 1.0
	v_rcp_f32_e32 v9, v5
	v_add_f32_e32 v0, 1.0, v0
	v_div_scale_f32 v17, s1, 1.0, v7, 1.0
	v_rcp_f32_e32 v18, v15
	v_fma_f32 v20, -v4, v8, 1.0
	v_mul_f32_e32 v19, v0, v0
	v_add_f32_e32 v0, 1.0, v0
	v_fma_f32 v21, -v5, v9, 1.0
	v_fmac_f32_e32 v8, v20, v8
	v_mul_f32_e32 v23, v0, v0
	v_add_f32_e32 v0, 1.0, v0
	v_fma_f32 v20, -v15, v18, 1.0
	v_fmac_f32_e32 v9, v21, v9
	v_mul_f32_e32 v24, v6, v8
	v_div_scale_f32 v22, null, v19, v19, 1.0
	v_fmac_f32_e32 v18, v20, v18
	v_mul_f32_e32 v25, v16, v9
	v_fma_f32 v26, -v4, v24, v6
	v_add_f32_e32 v29, 1.0, v0
	v_rcp_f32_e32 v21, v22
	v_mul_f32_e32 v28, v17, v18
	v_fma_f32 v27, -v5, v25, v16
	v_fmac_f32_e32 v24, v26, v8
	v_mul_f32_e32 v0, v0, v0
	v_div_scale_f32 v20, null, v23, v23, 1.0
	v_fma_f32 v26, -v15, v28, v17
	v_fmac_f32_e32 v25, v27, v9
	v_fma_f32 v4, -v4, v24, v6
	v_mul_f32_e32 v6, v29, v29
	v_rcp_f32_e32 v27, v20
	v_fmac_f32_e32 v28, v26, v18
	v_fma_f32 v5, -v5, v25, v16
	v_div_fmas_f32 v4, v4, v8, v24
	s_mov_b32 vcc_lo, s0
	v_fma_f32 v30, -v22, v21, 1.0
	v_fma_f32 v8, -v15, v28, v17
	v_div_fmas_f32 v5, v5, v9, v25
	s_mov_b32 vcc_lo, s1
	v_div_scale_f32 v9, null, v0, v0, 1.0
	v_div_fmas_f32 v8, v8, v18, v28
	v_div_scale_f32 v15, null, v6, v6, 1.0
	v_add_f32_e32 v18, v29, v29
	v_rcp_f32_e32 v17, v9
	v_fmac_f32_e32 v21, v30, v21
	v_rcp_f32_e32 v25, v15
	v_div_scale_f32 v16, vcc_lo, 1.0, v19, 1.0
	v_div_scale_f32 v28, null, v18, v18, 1.0
	v_fma_f32 v24, -v20, v27, 1.0
	v_mul_f32_e32 v26, v16, v21
	v_div_fixup_f32 v1, v4, v1, 1.0
	v_rcp_f32_e32 v31, v28
	v_fma_f32 v30, -v9, v17, 1.0
	v_fmac_f32_e32 v27, v24, v27
	v_div_scale_f32 v24, s0, 1.0, v23, 1.0
	v_fma_f32 v33, -v15, v25, 1.0
	v_fma_f32 v32, -v22, v26, v16
	v_fmac_f32_e32 v17, v30, v17
	v_div_scale_f32 v30, s1, 1.0, v0, 1.0
	v_mul_f32_e32 v34, v24, v27
	v_fmac_f32_e32 v25, v33, v25
	v_div_scale_f32 v33, s2, 1.0, v6, 1.0
	v_fma_f32 v35, -v28, v31, 1.0
	v_fmac_f32_e32 v26, v32, v21
	v_mul_f32_e32 v36, v30, v17
	v_fma_f32 v32, -v20, v34, v24
	v_mul_f32_e32 v37, v33, v25
	v_fmac_f32_e32 v31, v35, v31
	v_div_scale_f32 v35, s3, 1.0, v18, 1.0
	v_fma_f32 v16, -v22, v26, v16
	v_fma_f32 v22, -v9, v36, v30
	v_fmac_f32_e32 v34, v32, v27
	v_fma_f32 v32, -v15, v37, v33
	v_mul_f32_e32 v38, v35, v31
	v_div_fmas_f32 v16, v16, v21, v26
	v_fmac_f32_e32 v36, v22, v17
	v_fma_f32 v20, -v20, v34, v24
	v_fmac_f32_e32 v37, v32, v25
	v_fma_f32 v21, -v28, v38, v35
	s_mov_b32 vcc_lo, s0
	v_fma_f32 v9, -v9, v36, v30
	v_div_fmas_f32 v20, v20, v27, v34
	v_fma_f32 v15, -v15, v37, v33
	v_fmac_f32_e32 v38, v21, v31
	s_mov_b32 vcc_lo, s1
	s_mov_b32 s0, 0xbcc30c31
	v_div_fmas_f32 v9, v9, v17, v36
	s_mov_b32 vcc_lo, s2
	v_fma_f32 v17, -v28, v38, v35
	v_div_fmas_f32 v15, v15, v25, v37
	s_mov_b32 vcc_lo, s3
	v_add_f32_e32 v1, v11, v1
	v_div_fixup_f32 v3, v5, v3, 1.0
	v_div_fmas_f32 v17, v17, v31, v38
	v_div_fixup_f32 v6, v15, v6, 1.0
	v_div_fixup_f32 v0, v9, v0, 1.0
	v_add_f32_e32 v1, v1, v3
	v_div_fixup_f32 v15, v17, v18, 1.0
	v_fmaak_f32 v17, s0, v6, 0x3d088889
	v_div_fixup_f32 v3, v8, v7, 1.0
	v_add_f32_e32 v15, 1.0, v15
	v_fma_f32 v17, -v6, v17, 0x3e2aaaab
	v_add_f32_e32 v1, v1, v3
	v_div_fixup_f32 v3, v16, v19, 1.0
	v_fmac_f32_e32 v15, v6, v17
	v_add_f32_e32 v1, v1, v3
	v_div_fixup_f32 v3, v20, v23, 1.0
	v_div_scale_f32 v6, null, v29, v29, v15
	v_add_f32_e32 v1, v1, v3
	v_rcp_f32_e32 v17, v6
	v_add_f32_e32 v0, v1, v0
	v_fma_f32 v4, -v6, v17, 1.0
	v_fmac_f32_e32 v17, v4, v17
	v_div_scale_f32 v4, vcc_lo, v15, v29, v15
	v_mul_f32_e32 v5, v4, v17
	v_fma_f32 v7, -v6, v5, v4
	v_fmac_f32_e32 v5, v7, v17
	v_fma_f32 v4, -v6, v5, v4
	v_div_fmas_f32 v3, v4, v17, v5
	v_div_fixup_f32 v1, v3, v29, v15
	v_mov_b32_e32 v3, 0x7fc0
	v_add_f32_e32 v0, v0, v1
	v_mul_f32_e32 v0, v10, v0
	v_bfe_u32 v1, v0, 16, 1
	v_cmp_o_f32_e32 vcc_lo, v0, v0
	v_add3_u32 v0, v0, v1, 0x7fff
	v_ashrrev_i32_e32 v1, 31, v2
	v_cndmask_b32_sdwa v3, v3, v0, vcc_lo dst_sel:DWORD dst_unused:UNUSED_PAD src0_sel:DWORD src1_sel:WORD_1
	v_add_co_u32 v0, vcc_lo, s8, v2
	v_add_co_ci_u32_e64 v1, null, s9, v1, vcc_lo
	s_cbranch_scc1 .LBB76_1912
; %bb.1835:
	s_and_b32 s1, 0xffff, s15
	s_mov_b32 s6, -1
	s_mov_b32 s2, 0
	s_cmp_gt_i32 s1, 25
	s_mov_b32 s3, 0
	s_mov_b32 s0, 0
	s_cbranch_scc0 .LBB76_1868
; %bb.1836:
	s_cmp_gt_i32 s1, 28
	s_cbranch_scc0 .LBB76_1851
; %bb.1837:
	s_cmp_gt_i32 s1, 43
	;; [unrolled: 3-line block ×3, first 2 shown]
	s_cbranch_scc0 .LBB76_1841
; %bb.1839:
	s_mov_b32 s0, -1
	s_mov_b32 s6, 0
	s_cmp_eq_u32 s1, 46
	s_cbranch_scc0 .LBB76_1841
; %bb.1840:
	v_and_b32_e32 v4, 0xffff, v3
	s_mov_b32 s0, 0
	s_mov_b32 s3, -1
	global_store_dword v[0:1], v4, off
.LBB76_1841:
	s_and_b32 vcc_lo, exec_lo, s6
	s_cbranch_vccz .LBB76_1846
; %bb.1842:
	s_cmp_eq_u32 s1, 44
	s_mov_b32 s0, -1
	s_cbranch_scc0 .LBB76_1846
; %bb.1843:
	v_and_b32_e32 v4, 0xffff, v3
	v_mov_b32_e32 v5, 0xff
	s_mov_b32 s3, exec_lo
	v_bfe_u32 v6, v4, 7, 8
	v_cmpx_ne_u32_e32 0xff, v6
	s_cbranch_execz .LBB76_1845
; %bb.1844:
	v_lshlrev_b32_e32 v5, 16, v4
	v_and_b32_e32 v7, 64, v4
	v_lshrrev_b32_e32 v4, 7, v4
	v_and_or_b32 v5, 0x3f0000, v5, v6
	v_cmp_ne_u32_e32 vcc_lo, 0, v7
	v_cmp_ne_u32_e64 s0, 0, v5
	s_and_b32 s0, vcc_lo, s0
	v_cndmask_b32_e64 v5, 0, 1, s0
	v_add_nc_u32_e32 v5, v4, v5
.LBB76_1845:
	s_or_b32 exec_lo, exec_lo, s3
	s_mov_b32 s0, 0
	s_mov_b32 s3, -1
	global_store_byte v[0:1], v5, off
.LBB76_1846:
	s_mov_b32 s6, 0
.LBB76_1847:
	s_and_b32 vcc_lo, exec_lo, s6
	s_cbranch_vccz .LBB76_1850
; %bb.1848:
	s_cmp_eq_u32 s1, 29
	s_mov_b32 s0, -1
	s_cbranch_scc0 .LBB76_1850
; %bb.1849:
	v_lshlrev_b32_e32 v4, 16, v3
	s_mov_b32 s0, 0
	s_mov_b32 s3, -1
	v_trunc_f32_e32 v4, v4
	v_mul_f32_e32 v5, 0x2f800000, v4
	v_floor_f32_e32 v5, v5
	v_fmamk_f32 v4, v5, 0xcf800000, v4
	v_cvt_u32_f32_e32 v5, v5
	v_cvt_u32_f32_e32 v4, v4
	global_store_dwordx2 v[0:1], v[4:5], off
.LBB76_1850:
	s_mov_b32 s6, 0
.LBB76_1851:
	s_and_b32 vcc_lo, exec_lo, s6
	s_cbranch_vccz .LBB76_1867
; %bb.1852:
	s_cmp_lt_i32 s1, 27
	s_mov_b32 s3, -1
	s_cbranch_scc1 .LBB76_1858
; %bb.1853:
	s_cmp_gt_i32 s1, 27
	s_cbranch_scc0 .LBB76_1855
; %bb.1854:
	v_lshlrev_b32_e32 v4, 16, v3
	s_mov_b32 s3, 0
	v_cvt_u32_f32_e32 v4, v4
	global_store_dword v[0:1], v4, off
.LBB76_1855:
	s_andn2_b32 vcc_lo, exec_lo, s3
	s_cbranch_vccnz .LBB76_1857
; %bb.1856:
	v_lshlrev_b32_e32 v4, 16, v3
	v_cvt_u32_f32_e32 v4, v4
	global_store_short v[0:1], v4, off
.LBB76_1857:
	s_mov_b32 s3, 0
.LBB76_1858:
	s_andn2_b32 vcc_lo, exec_lo, s3
	s_cbranch_vccnz .LBB76_1866
; %bb.1859:
	v_lshlrev_b32_e32 v6, 16, v3
	v_mov_b32_e32 v7, 0x80
	s_mov_b32 s3, exec_lo
	v_and_b32_e32 v5, 0x7fffffff, v6
	v_cmpx_gt_u32_e32 0x43800000, v5
	s_cbranch_execz .LBB76_1865
; %bb.1860:
	v_and_b32_e32 v4, 0xffff, v3
	v_cmp_lt_u32_e32 vcc_lo, 0x3bffffff, v5
	s_mov_b32 s6, 0
                                        ; implicit-def: $vgpr5
	s_and_saveexec_b32 s10, vcc_lo
	s_xor_b32 s10, exec_lo, s10
	s_cbranch_execz .LBB76_2086
; %bb.1861:
	v_bfe_u32 v5, v4, 4, 1
	s_mov_b32 s6, exec_lo
	v_add3_u32 v5, v6, v5, 0x487ffff
                                        ; implicit-def: $vgpr6
	v_lshrrev_b32_e32 v5, 20, v5
	s_andn2_saveexec_b32 s10, s10
	s_cbranch_execnz .LBB76_2087
.LBB76_1862:
	s_or_b32 exec_lo, exec_lo, s10
	v_mov_b32_e32 v7, 0
	s_and_saveexec_b32 s10, s6
.LBB76_1863:
	v_lshrrev_b32_e32 v4, 8, v4
	v_and_or_b32 v7, 0x80, v4, v5
.LBB76_1864:
	s_or_b32 exec_lo, exec_lo, s10
.LBB76_1865:
	s_or_b32 exec_lo, exec_lo, s3
	global_store_byte v[0:1], v7, off
.LBB76_1866:
	s_mov_b32 s3, -1
.LBB76_1867:
	s_mov_b32 s6, 0
.LBB76_1868:
	s_and_b32 vcc_lo, exec_lo, s6
	s_cbranch_vccz .LBB76_1908
; %bb.1869:
	s_cmp_gt_i32 s1, 22
	s_mov_b32 s2, -1
	s_cbranch_scc0 .LBB76_1901
; %bb.1870:
	s_cmp_lt_i32 s1, 24
	s_cbranch_scc1 .LBB76_1890
; %bb.1871:
	s_cmp_gt_i32 s1, 24
	s_cbranch_scc0 .LBB76_1879
; %bb.1872:
	v_lshlrev_b32_e32 v6, 16, v3
	v_mov_b32_e32 v7, 0x80
	s_mov_b32 s2, exec_lo
	v_and_b32_e32 v5, 0x7fffffff, v6
	v_cmpx_gt_u32_e32 0x47800000, v5
	s_cbranch_execz .LBB76_1878
; %bb.1873:
	v_and_b32_e32 v4, 0xffff, v3
	v_cmp_lt_u32_e32 vcc_lo, 0x37ffffff, v5
	s_mov_b32 s3, 0
                                        ; implicit-def: $vgpr5
	s_and_saveexec_b32 s6, vcc_lo
	s_xor_b32 s6, exec_lo, s6
	s_cbranch_execz .LBB76_2089
; %bb.1874:
	v_bfe_u32 v5, v4, 5, 1
	s_mov_b32 s3, exec_lo
	v_add3_u32 v5, v6, v5, 0x88fffff
                                        ; implicit-def: $vgpr6
	v_lshrrev_b32_e32 v5, 21, v5
	s_andn2_saveexec_b32 s6, s6
	s_cbranch_execnz .LBB76_2090
.LBB76_1875:
	s_or_b32 exec_lo, exec_lo, s6
	v_mov_b32_e32 v7, 0
	s_and_saveexec_b32 s6, s3
.LBB76_1876:
	v_lshrrev_b32_e32 v4, 8, v4
	v_and_or_b32 v7, 0x80, v4, v5
.LBB76_1877:
	s_or_b32 exec_lo, exec_lo, s6
.LBB76_1878:
	s_or_b32 exec_lo, exec_lo, s2
	s_mov_b32 s2, 0
	global_store_byte v[0:1], v7, off
.LBB76_1879:
	s_and_b32 vcc_lo, exec_lo, s2
	s_cbranch_vccz .LBB76_1889
; %bb.1880:
	v_lshlrev_b32_e32 v6, 16, v3
	v_and_b32_e32 v4, 0xffff, v3
	s_mov_b32 s2, exec_lo
                                        ; implicit-def: $vgpr5
	v_and_b32_e32 v7, 0x7fffffff, v6
	v_cmpx_gt_u32_e32 0x43f00000, v7
	s_xor_b32 s2, exec_lo, s2
	s_cbranch_execz .LBB76_1886
; %bb.1881:
	s_mov_b32 s3, exec_lo
                                        ; implicit-def: $vgpr5
	v_cmpx_lt_u32_e32 0x3c7fffff, v7
	s_xor_b32 s3, exec_lo, s3
; %bb.1882:
	v_bfe_u32 v5, v4, 4, 1
	v_add3_u32 v5, v6, v5, 0x407ffff
	v_and_b32_e32 v6, 0xff00000, v5
	v_lshrrev_b32_e32 v5, 20, v5
	v_cmp_ne_u32_e32 vcc_lo, 0x7f00000, v6
                                        ; implicit-def: $vgpr6
	v_cndmask_b32_e32 v5, 0x7e, v5, vcc_lo
; %bb.1883:
	s_andn2_saveexec_b32 s3, s3
; %bb.1884:
	v_add_f32_e64 v5, 0x46800000, |v6|
; %bb.1885:
	s_or_b32 exec_lo, exec_lo, s3
                                        ; implicit-def: $vgpr7
.LBB76_1886:
	s_andn2_saveexec_b32 s2, s2
; %bb.1887:
	v_mov_b32_e32 v5, 0x7f
	v_cmp_lt_u32_e32 vcc_lo, 0x7f800000, v7
	v_cndmask_b32_e32 v5, 0x7e, v5, vcc_lo
; %bb.1888:
	s_or_b32 exec_lo, exec_lo, s2
	v_lshrrev_b32_e32 v4, 8, v4
	v_and_or_b32 v4, 0x80, v4, v5
	global_store_byte v[0:1], v4, off
.LBB76_1889:
	s_mov_b32 s2, 0
.LBB76_1890:
	s_andn2_b32 vcc_lo, exec_lo, s2
	s_cbranch_vccnz .LBB76_1900
; %bb.1891:
	v_lshlrev_b32_e32 v6, 16, v3
	v_and_b32_e32 v4, 0xffff, v3
	s_mov_b32 s2, exec_lo
                                        ; implicit-def: $vgpr5
	v_and_b32_e32 v7, 0x7fffffff, v6
	v_cmpx_gt_u32_e32 0x47800000, v7
	s_xor_b32 s2, exec_lo, s2
	s_cbranch_execz .LBB76_1897
; %bb.1892:
	s_mov_b32 s3, exec_lo
                                        ; implicit-def: $vgpr5
	v_cmpx_lt_u32_e32 0x387fffff, v7
	s_xor_b32 s3, exec_lo, s3
; %bb.1893:
	v_bfe_u32 v5, v4, 5, 1
	v_add3_u32 v5, v6, v5, 0x80fffff
                                        ; implicit-def: $vgpr6
	v_lshrrev_b32_e32 v5, 21, v5
; %bb.1894:
	s_andn2_saveexec_b32 s3, s3
; %bb.1895:
	v_add_f32_e64 v5, 0x43000000, |v6|
; %bb.1896:
	s_or_b32 exec_lo, exec_lo, s3
                                        ; implicit-def: $vgpr7
.LBB76_1897:
	s_andn2_saveexec_b32 s2, s2
; %bb.1898:
	v_mov_b32_e32 v5, 0x7f
	v_cmp_lt_u32_e32 vcc_lo, 0x7f800000, v7
	v_cndmask_b32_e32 v5, 0x7c, v5, vcc_lo
; %bb.1899:
	s_or_b32 exec_lo, exec_lo, s2
	v_lshrrev_b32_e32 v4, 8, v4
	v_and_or_b32 v4, 0x80, v4, v5
	global_store_byte v[0:1], v4, off
.LBB76_1900:
	s_mov_b32 s2, 0
	s_mov_b32 s3, -1
.LBB76_1901:
	s_andn2_b32 vcc_lo, exec_lo, s2
	s_mov_b32 s2, 0
	s_cbranch_vccnz .LBB76_1908
; %bb.1902:
	s_cmp_gt_i32 s1, 14
	s_mov_b32 s2, -1
	s_cbranch_scc0 .LBB76_1906
; %bb.1903:
	s_cmp_eq_u32 s1, 15
	s_mov_b32 s0, -1
	s_cbranch_scc0 .LBB76_1905
; %bb.1904:
	s_mov_b32 s0, 0
	s_mov_b32 s3, -1
	global_store_short v[0:1], v3, off
.LBB76_1905:
	s_mov_b32 s2, 0
.LBB76_1906:
	s_and_b32 vcc_lo, exec_lo, s2
	s_mov_b32 s2, 0
	s_cbranch_vccz .LBB76_1908
; %bb.1907:
	s_cmp_lg_u32 s1, 11
	s_mov_b32 s2, -1
	s_cselect_b32 s0, -1, 0
.LBB76_1908:
	s_and_b32 vcc_lo, exec_lo, s0
	s_cbranch_vccnz .LBB76_2088
; %bb.1909:
	s_andn2_b32 vcc_lo, exec_lo, s2
	s_cbranch_vccnz .LBB76_1911
.LBB76_1910:
	v_and_b32_e32 v4, 0x7fff, v3
	s_mov_b32 s3, -1
	v_cmp_ne_u16_e32 vcc_lo, 0, v4
	v_cndmask_b32_e64 v4, 0, 1, vcc_lo
	global_store_byte v[0:1], v4, off
.LBB76_1911:
	s_mov_b32 s0, 0
	s_branch .LBB76_1913
.LBB76_1912:
	s_mov_b32 s0, -1
	s_mov_b32 s3, 0
.LBB76_1913:
	s_and_b32 vcc_lo, exec_lo, s0
	s_cbranch_vccz .LBB76_1952
; %bb.1914:
	s_and_b32 s0, 0xffff, s15
	s_mov_b32 s1, -1
	s_cmp_lt_i32 s0, 5
	s_cbranch_scc1 .LBB76_1935
; %bb.1915:
	s_cmp_lt_i32 s0, 8
	s_cbranch_scc1 .LBB76_1925
; %bb.1916:
	;; [unrolled: 3-line block ×3, first 2 shown]
	s_cmp_gt_i32 s0, 9
	s_cbranch_scc0 .LBB76_1919
; %bb.1918:
	v_lshlrev_b32_e32 v4, 16, v3
	v_mov_b32_e32 v6, 0
	s_mov_b32 s1, 0
	v_cvt_f64_f32_e32 v[4:5], v4
	v_mov_b32_e32 v7, v6
	global_store_dwordx4 v[0:1], v[4:7], off
.LBB76_1919:
	s_andn2_b32 vcc_lo, exec_lo, s1
	s_cbranch_vccnz .LBB76_1921
; %bb.1920:
	v_lshlrev_b32_e32 v4, 16, v3
	v_mov_b32_e32 v5, 0
	global_store_dwordx2 v[0:1], v[4:5], off
.LBB76_1921:
	s_mov_b32 s1, 0
.LBB76_1922:
	s_andn2_b32 vcc_lo, exec_lo, s1
	s_cbranch_vccnz .LBB76_1924
; %bb.1923:
	v_lshlrev_b32_e32 v4, 16, v3
	v_cvt_f16_f32_e32 v4, v4
	v_and_b32_e32 v4, 0xffff, v4
	global_store_dword v[0:1], v4, off
.LBB76_1924:
	s_mov_b32 s1, 0
.LBB76_1925:
	s_andn2_b32 vcc_lo, exec_lo, s1
	s_cbranch_vccnz .LBB76_1934
; %bb.1926:
	s_cmp_lt_i32 s0, 6
	s_mov_b32 s1, -1
	s_cbranch_scc1 .LBB76_1932
; %bb.1927:
	s_cmp_gt_i32 s0, 6
	s_cbranch_scc0 .LBB76_1929
; %bb.1928:
	v_lshlrev_b32_e32 v4, 16, v3
	s_mov_b32 s1, 0
	v_cvt_f64_f32_e32 v[4:5], v4
	global_store_dwordx2 v[0:1], v[4:5], off
.LBB76_1929:
	s_andn2_b32 vcc_lo, exec_lo, s1
	s_cbranch_vccnz .LBB76_1931
; %bb.1930:
	v_lshlrev_b32_e32 v4, 16, v3
	global_store_dword v[0:1], v4, off
.LBB76_1931:
	s_mov_b32 s1, 0
.LBB76_1932:
	s_andn2_b32 vcc_lo, exec_lo, s1
	s_cbranch_vccnz .LBB76_1934
; %bb.1933:
	v_lshlrev_b32_e32 v4, 16, v3
	v_cvt_f16_f32_e32 v4, v4
	global_store_short v[0:1], v4, off
.LBB76_1934:
	s_mov_b32 s1, 0
.LBB76_1935:
	s_andn2_b32 vcc_lo, exec_lo, s1
	s_cbranch_vccnz .LBB76_1951
; %bb.1936:
	s_cmp_lt_i32 s0, 2
	s_mov_b32 s1, -1
	s_cbranch_scc1 .LBB76_1946
; %bb.1937:
	s_cmp_lt_i32 s0, 3
	s_cbranch_scc1 .LBB76_1943
; %bb.1938:
	s_cmp_gt_i32 s0, 3
	s_cbranch_scc0 .LBB76_1940
; %bb.1939:
	v_lshlrev_b32_e32 v4, 16, v3
	s_mov_b32 s1, 0
	v_trunc_f32_e32 v4, v4
	v_mul_f32_e64 v5, 0x2f800000, |v4|
	v_ashrrev_i32_e32 v7, 31, v4
	v_floor_f32_e32 v5, v5
	v_fma_f32 v6, 0xcf800000, v5, |v4|
	v_cvt_u32_f32_e32 v5, v5
	v_cvt_u32_f32_e32 v4, v6
	v_xor_b32_e32 v5, v5, v7
	v_xor_b32_e32 v4, v4, v7
	v_sub_co_u32 v4, vcc_lo, v4, v7
	v_sub_co_ci_u32_e64 v5, null, v5, v7, vcc_lo
	global_store_dwordx2 v[0:1], v[4:5], off
.LBB76_1940:
	s_andn2_b32 vcc_lo, exec_lo, s1
	s_cbranch_vccnz .LBB76_1942
; %bb.1941:
	v_lshlrev_b32_e32 v4, 16, v3
	v_cvt_i32_f32_e32 v4, v4
	global_store_dword v[0:1], v4, off
.LBB76_1942:
	s_mov_b32 s1, 0
.LBB76_1943:
	s_andn2_b32 vcc_lo, exec_lo, s1
	s_cbranch_vccnz .LBB76_1945
; %bb.1944:
	v_lshlrev_b32_e32 v4, 16, v3
	v_cvt_i32_f32_e32 v4, v4
	global_store_short v[0:1], v4, off
.LBB76_1945:
	s_mov_b32 s1, 0
.LBB76_1946:
	s_andn2_b32 vcc_lo, exec_lo, s1
	s_cbranch_vccnz .LBB76_1951
; %bb.1947:
	v_lshlrev_b32_e32 v3, 16, v3
	s_cmp_gt_i32 s0, 0
	s_mov_b32 s0, -1
	s_cbranch_scc0 .LBB76_1949
; %bb.1948:
	v_cvt_i32_f32_e32 v4, v3
	s_mov_b32 s0, 0
	global_store_byte v[0:1], v4, off
.LBB76_1949:
	s_andn2_b32 vcc_lo, exec_lo, s0
	s_cbranch_vccnz .LBB76_1951
; %bb.1950:
	v_trunc_f32_e32 v3, v3
	v_mul_f32_e64 v4, 0x2f800000, |v3|
	v_floor_f32_e32 v4, v4
	v_fma_f32 v4, 0xcf800000, v4, |v3|
	v_ashrrev_i32_e32 v3, 31, v3
	v_cvt_u32_f32_e32 v4, v4
	v_xor_b32_e32 v4, v4, v3
	v_sub_nc_u32_e32 v3, v4, v3
	global_store_byte v[0:1], v3, off
.LBB76_1951:
	s_mov_b32 s3, -1
.LBB76_1952:
	s_andn2_b32 vcc_lo, exec_lo, s3
	s_cbranch_vccnz .LBB76_2029
; %bb.1953:
	v_add_f32_e32 v0, 1.0, v12
	v_mul_f32_e32 v1, v12, v12
	v_add_nc_u32_e32 v2, s4, v2
	s_cmp_lt_i32 s15, 11
	v_mul_f32_e32 v3, v0, v0
	v_add_f32_e32 v0, 1.0, v0
	v_div_scale_f32 v4, null, v1, v1, 1.0
	v_div_scale_f32 v6, vcc_lo, 1.0, v1, 1.0
	v_mul_f32_e32 v7, v0, v0
	v_div_scale_f32 v5, null, v3, v3, 1.0
	v_rcp_f32_e32 v8, v4
	v_div_scale_f32 v11, s0, 1.0, v3, 1.0
	v_div_scale_f32 v10, null, v7, v7, 1.0
	v_rcp_f32_e32 v9, v5
	v_add_f32_e32 v0, 1.0, v0
	v_div_scale_f32 v12, s1, 1.0, v7, 1.0
	v_rcp_f32_e32 v15, v10
	v_fma_f32 v17, -v4, v8, 1.0
	v_mul_f32_e32 v16, v0, v0
	v_add_f32_e32 v0, 1.0, v0
	v_fma_f32 v18, -v5, v9, 1.0
	v_fmac_f32_e32 v8, v17, v8
	v_mul_f32_e32 v20, v0, v0
	v_add_f32_e32 v0, 1.0, v0
	v_fma_f32 v17, -v10, v15, 1.0
	v_fmac_f32_e32 v9, v18, v9
	v_mul_f32_e32 v21, v6, v8
	v_div_scale_f32 v19, null, v16, v16, 1.0
	v_fmac_f32_e32 v15, v17, v15
	v_mul_f32_e32 v22, v11, v9
	v_fma_f32 v23, -v4, v21, v6
	v_add_f32_e32 v26, 1.0, v0
	v_rcp_f32_e32 v18, v19
	v_mul_f32_e32 v25, v12, v15
	v_fma_f32 v24, -v5, v22, v11
	v_fmac_f32_e32 v21, v23, v8
	v_mul_f32_e32 v0, v0, v0
	v_div_scale_f32 v17, null, v20, v20, 1.0
	v_fma_f32 v23, -v10, v25, v12
	v_fmac_f32_e32 v22, v24, v9
	v_fma_f32 v4, -v4, v21, v6
	v_mul_f32_e32 v6, v26, v26
	v_rcp_f32_e32 v24, v17
	v_fmac_f32_e32 v25, v23, v15
	v_fma_f32 v5, -v5, v22, v11
	v_div_fmas_f32 v4, v4, v8, v21
	s_mov_b32 vcc_lo, s0
	v_fma_f32 v27, -v19, v18, 1.0
	v_fma_f32 v8, -v10, v25, v12
	v_div_fmas_f32 v5, v5, v9, v22
	s_mov_b32 vcc_lo, s1
	v_div_scale_f32 v9, null, v0, v0, 1.0
	v_div_fmas_f32 v8, v8, v15, v25
	v_div_scale_f32 v10, null, v6, v6, 1.0
	v_add_f32_e32 v15, v26, v26
	v_rcp_f32_e32 v12, v9
	v_fmac_f32_e32 v18, v27, v18
	v_rcp_f32_e32 v22, v10
	v_div_scale_f32 v11, vcc_lo, 1.0, v16, 1.0
	v_div_scale_f32 v25, null, v15, v15, 1.0
	v_fma_f32 v21, -v17, v24, 1.0
	v_mul_f32_e32 v23, v11, v18
	v_div_fixup_f32 v1, v4, v1, 1.0
	v_rcp_f32_e32 v28, v25
	v_fma_f32 v27, -v9, v12, 1.0
	v_fmac_f32_e32 v24, v21, v24
	v_div_scale_f32 v21, s0, 1.0, v20, 1.0
	v_fma_f32 v30, -v10, v22, 1.0
	v_fma_f32 v29, -v19, v23, v11
	v_fmac_f32_e32 v12, v27, v12
	v_div_scale_f32 v27, s1, 1.0, v0, 1.0
	v_mul_f32_e32 v31, v21, v24
	v_fmac_f32_e32 v22, v30, v22
	v_div_scale_f32 v30, s2, 1.0, v6, 1.0
	v_fma_f32 v32, -v25, v28, 1.0
	v_fmac_f32_e32 v23, v29, v18
	v_mul_f32_e32 v33, v27, v12
	v_fma_f32 v29, -v17, v31, v21
	v_mul_f32_e32 v34, v30, v22
	v_fmac_f32_e32 v28, v32, v28
	v_div_scale_f32 v32, s3, 1.0, v15, 1.0
	v_fma_f32 v11, -v19, v23, v11
	v_fma_f32 v19, -v9, v33, v27
	v_fmac_f32_e32 v31, v29, v24
	v_fma_f32 v29, -v10, v34, v30
	v_mul_f32_e32 v35, v32, v28
	v_div_fmas_f32 v11, v11, v18, v23
	v_fmac_f32_e32 v33, v19, v12
	v_fma_f32 v17, -v17, v31, v21
	v_fmac_f32_e32 v34, v29, v22
	v_fma_f32 v18, -v25, v35, v32
	s_mov_b32 vcc_lo, s0
	v_fma_f32 v9, -v9, v33, v27
	v_div_fmas_f32 v17, v17, v24, v31
	v_fma_f32 v10, -v10, v34, v30
	v_fmac_f32_e32 v35, v18, v28
	s_mov_b32 vcc_lo, s1
	s_mov_b32 s0, 0xbcc30c31
	v_div_fmas_f32 v9, v9, v12, v33
	s_mov_b32 vcc_lo, s2
	v_fma_f32 v12, -v25, v35, v32
	v_div_fmas_f32 v10, v10, v22, v34
	s_mov_b32 vcc_lo, s3
	v_add_f32_e32 v1, v14, v1
	v_div_fixup_f32 v3, v5, v3, 1.0
	v_div_fmas_f32 v12, v12, v28, v35
	v_div_fixup_f32 v6, v10, v6, 1.0
	v_div_fixup_f32 v0, v9, v0, 1.0
	v_add_f32_e32 v1, v1, v3
	v_div_fixup_f32 v10, v12, v15, 1.0
	v_fmaak_f32 v12, s0, v6, 0x3d088889
	v_div_fixup_f32 v3, v8, v7, 1.0
	v_add_f32_e32 v10, 1.0, v10
	v_fma_f32 v12, -v6, v12, 0x3e2aaaab
	v_add_f32_e32 v1, v1, v3
	v_div_fixup_f32 v3, v11, v16, 1.0
	v_fmac_f32_e32 v10, v6, v12
	v_add_f32_e32 v1, v1, v3
	v_div_fixup_f32 v3, v17, v20, 1.0
	v_div_scale_f32 v6, null, v26, v26, v10
	v_add_f32_e32 v1, v1, v3
	v_rcp_f32_e32 v12, v6
	v_add_f32_e32 v0, v1, v0
	v_fma_f32 v4, -v6, v12, 1.0
	v_fmac_f32_e32 v12, v4, v12
	v_div_scale_f32 v4, vcc_lo, v10, v26, v10
	v_mul_f32_e32 v5, v4, v12
	v_fma_f32 v7, -v6, v5, v4
	v_fmac_f32_e32 v5, v7, v12
	v_fma_f32 v4, -v6, v5, v4
	v_div_fmas_f32 v3, v4, v12, v5
	v_div_fixup_f32 v1, v3, v26, v10
	v_mov_b32_e32 v3, 0x7fc0
	v_add_f32_e32 v0, v0, v1
	v_mul_f32_e32 v0, v13, v0
	v_bfe_u32 v1, v0, 16, 1
	v_cmp_o_f32_e32 vcc_lo, v0, v0
	v_add3_u32 v0, v0, v1, 0x7fff
	v_ashrrev_i32_e32 v1, 31, v2
	v_cndmask_b32_sdwa v3, v3, v0, vcc_lo dst_sel:DWORD dst_unused:UNUSED_PAD src0_sel:DWORD src1_sel:WORD_1
	v_add_co_u32 v0, vcc_lo, s8, v2
	v_add_co_ci_u32_e64 v1, null, s9, v1, vcc_lo
	s_cbranch_scc1 .LBB76_2074
; %bb.1954:
	s_and_b32 s1, 0xffff, s15
	s_mov_b32 s3, -1
	s_mov_b32 s2, 0
	s_cmp_gt_i32 s1, 25
	s_mov_b32 s0, 0
	s_cbranch_scc0 .LBB76_1987
; %bb.1955:
	s_cmp_gt_i32 s1, 28
	s_cbranch_scc0 .LBB76_1971
; %bb.1956:
	s_cmp_gt_i32 s1, 43
	;; [unrolled: 3-line block ×3, first 2 shown]
	s_cbranch_scc0 .LBB76_1961
; %bb.1958:
	s_cmp_eq_u32 s1, 46
	s_mov_b32 s0, -1
	s_cbranch_scc0 .LBB76_1960
; %bb.1959:
	v_and_b32_e32 v2, 0xffff, v3
	s_mov_b32 s0, 0
	global_store_dword v[0:1], v2, off
.LBB76_1960:
	s_mov_b32 s3, 0
.LBB76_1961:
	s_and_b32 vcc_lo, exec_lo, s3
	s_cbranch_vccz .LBB76_1966
; %bb.1962:
	s_cmp_eq_u32 s1, 44
	s_mov_b32 s0, -1
	s_cbranch_scc0 .LBB76_1966
; %bb.1963:
	v_and_b32_e32 v2, 0xffff, v3
	v_mov_b32_e32 v4, 0xff
	s_mov_b32 s3, exec_lo
	v_bfe_u32 v5, v2, 7, 8
	v_cmpx_ne_u32_e32 0xff, v5
	s_cbranch_execz .LBB76_1965
; %bb.1964:
	v_lshlrev_b32_e32 v4, 16, v2
	v_and_b32_e32 v6, 64, v2
	v_lshrrev_b32_e32 v2, 7, v2
	v_and_or_b32 v4, 0x3f0000, v4, v5
	v_cmp_ne_u32_e32 vcc_lo, 0, v6
	v_cmp_ne_u32_e64 s0, 0, v4
	s_and_b32 s0, vcc_lo, s0
	v_cndmask_b32_e64 v4, 0, 1, s0
	v_add_nc_u32_e32 v4, v2, v4
.LBB76_1965:
	s_or_b32 exec_lo, exec_lo, s3
	s_mov_b32 s0, 0
	global_store_byte v[0:1], v4, off
.LBB76_1966:
	s_mov_b32 s3, 0
.LBB76_1967:
	s_and_b32 vcc_lo, exec_lo, s3
	s_cbranch_vccz .LBB76_1970
; %bb.1968:
	s_cmp_eq_u32 s1, 29
	s_mov_b32 s0, -1
	s_cbranch_scc0 .LBB76_1970
; %bb.1969:
	v_lshlrev_b32_e32 v2, 16, v3
	s_mov_b32 s0, 0
	v_trunc_f32_e32 v2, v2
	v_mul_f32_e32 v4, 0x2f800000, v2
	v_floor_f32_e32 v4, v4
	v_fmamk_f32 v2, v4, 0xcf800000, v2
	v_cvt_u32_f32_e32 v5, v4
	v_cvt_u32_f32_e32 v4, v2
	global_store_dwordx2 v[0:1], v[4:5], off
.LBB76_1970:
	s_mov_b32 s3, 0
.LBB76_1971:
	s_and_b32 vcc_lo, exec_lo, s3
	s_cbranch_vccz .LBB76_1986
; %bb.1972:
	s_cmp_lt_i32 s1, 27
	s_mov_b32 s3, -1
	s_cbranch_scc1 .LBB76_1978
; %bb.1973:
	s_cmp_gt_i32 s1, 27
	s_cbranch_scc0 .LBB76_1975
; %bb.1974:
	v_lshlrev_b32_e32 v2, 16, v3
	s_mov_b32 s3, 0
	v_cvt_u32_f32_e32 v2, v2
	global_store_dword v[0:1], v2, off
.LBB76_1975:
	s_andn2_b32 vcc_lo, exec_lo, s3
	s_cbranch_vccnz .LBB76_1977
; %bb.1976:
	v_lshlrev_b32_e32 v2, 16, v3
	v_cvt_u32_f32_e32 v2, v2
	global_store_short v[0:1], v2, off
.LBB76_1977:
	s_mov_b32 s3, 0
.LBB76_1978:
	s_andn2_b32 vcc_lo, exec_lo, s3
	s_cbranch_vccnz .LBB76_1986
; %bb.1979:
	v_lshlrev_b32_e32 v5, 16, v3
	v_mov_b32_e32 v6, 0x80
	s_mov_b32 s3, exec_lo
	v_and_b32_e32 v4, 0x7fffffff, v5
	v_cmpx_gt_u32_e32 0x43800000, v4
	s_cbranch_execz .LBB76_1985
; %bb.1980:
	v_and_b32_e32 v2, 0xffff, v3
	v_cmp_lt_u32_e32 vcc_lo, 0x3bffffff, v4
	s_mov_b32 s4, 0
                                        ; implicit-def: $vgpr4
	s_and_saveexec_b32 s6, vcc_lo
	s_xor_b32 s6, exec_lo, s6
	s_cbranch_execz .LBB76_2091
; %bb.1981:
	v_bfe_u32 v4, v2, 4, 1
	s_mov_b32 s4, exec_lo
	v_add3_u32 v4, v5, v4, 0x487ffff
                                        ; implicit-def: $vgpr5
	v_lshrrev_b32_e32 v4, 20, v4
	s_andn2_saveexec_b32 s6, s6
	s_cbranch_execnz .LBB76_2092
.LBB76_1982:
	s_or_b32 exec_lo, exec_lo, s6
	v_mov_b32_e32 v6, 0
	s_and_saveexec_b32 s6, s4
.LBB76_1983:
	v_lshrrev_b32_e32 v2, 8, v2
	v_and_or_b32 v6, 0x80, v2, v4
.LBB76_1984:
	s_or_b32 exec_lo, exec_lo, s6
.LBB76_1985:
	s_or_b32 exec_lo, exec_lo, s3
	global_store_byte v[0:1], v6, off
.LBB76_1986:
	s_mov_b32 s3, 0
.LBB76_1987:
	s_and_b32 vcc_lo, exec_lo, s3
	s_cbranch_vccz .LBB76_2027
; %bb.1988:
	s_cmp_gt_i32 s1, 22
	s_mov_b32 s2, -1
	s_cbranch_scc0 .LBB76_2020
; %bb.1989:
	s_cmp_lt_i32 s1, 24
	s_cbranch_scc1 .LBB76_2009
; %bb.1990:
	s_cmp_gt_i32 s1, 24
	s_cbranch_scc0 .LBB76_1998
; %bb.1991:
	v_lshlrev_b32_e32 v5, 16, v3
	v_mov_b32_e32 v6, 0x80
	s_mov_b32 s2, exec_lo
	v_and_b32_e32 v4, 0x7fffffff, v5
	v_cmpx_gt_u32_e32 0x47800000, v4
	s_cbranch_execz .LBB76_1997
; %bb.1992:
	v_and_b32_e32 v2, 0xffff, v3
	v_cmp_lt_u32_e32 vcc_lo, 0x37ffffff, v4
	s_mov_b32 s3, 0
                                        ; implicit-def: $vgpr4
	s_and_saveexec_b32 s4, vcc_lo
	s_xor_b32 s4, exec_lo, s4
	s_cbranch_execz .LBB76_2094
; %bb.1993:
	v_bfe_u32 v4, v2, 5, 1
	s_mov_b32 s3, exec_lo
	v_add3_u32 v4, v5, v4, 0x88fffff
                                        ; implicit-def: $vgpr5
	v_lshrrev_b32_e32 v4, 21, v4
	s_andn2_saveexec_b32 s4, s4
	s_cbranch_execnz .LBB76_2095
.LBB76_1994:
	s_or_b32 exec_lo, exec_lo, s4
	v_mov_b32_e32 v6, 0
	s_and_saveexec_b32 s4, s3
.LBB76_1995:
	v_lshrrev_b32_e32 v2, 8, v2
	v_and_or_b32 v6, 0x80, v2, v4
.LBB76_1996:
	s_or_b32 exec_lo, exec_lo, s4
.LBB76_1997:
	s_or_b32 exec_lo, exec_lo, s2
	s_mov_b32 s2, 0
	global_store_byte v[0:1], v6, off
.LBB76_1998:
	s_and_b32 vcc_lo, exec_lo, s2
	s_cbranch_vccz .LBB76_2008
; %bb.1999:
	v_lshlrev_b32_e32 v5, 16, v3
	v_and_b32_e32 v2, 0xffff, v3
	s_mov_b32 s2, exec_lo
                                        ; implicit-def: $vgpr4
	v_and_b32_e32 v6, 0x7fffffff, v5
	v_cmpx_gt_u32_e32 0x43f00000, v6
	s_xor_b32 s2, exec_lo, s2
	s_cbranch_execz .LBB76_2005
; %bb.2000:
	s_mov_b32 s3, exec_lo
                                        ; implicit-def: $vgpr4
	v_cmpx_lt_u32_e32 0x3c7fffff, v6
	s_xor_b32 s3, exec_lo, s3
; %bb.2001:
	v_bfe_u32 v4, v2, 4, 1
	v_add3_u32 v4, v5, v4, 0x407ffff
	v_and_b32_e32 v5, 0xff00000, v4
	v_lshrrev_b32_e32 v4, 20, v4
	v_cmp_ne_u32_e32 vcc_lo, 0x7f00000, v5
                                        ; implicit-def: $vgpr5
	v_cndmask_b32_e32 v4, 0x7e, v4, vcc_lo
; %bb.2002:
	s_andn2_saveexec_b32 s3, s3
; %bb.2003:
	v_add_f32_e64 v4, 0x46800000, |v5|
; %bb.2004:
	s_or_b32 exec_lo, exec_lo, s3
                                        ; implicit-def: $vgpr6
.LBB76_2005:
	s_andn2_saveexec_b32 s2, s2
; %bb.2006:
	v_mov_b32_e32 v4, 0x7f
	v_cmp_lt_u32_e32 vcc_lo, 0x7f800000, v6
	v_cndmask_b32_e32 v4, 0x7e, v4, vcc_lo
; %bb.2007:
	s_or_b32 exec_lo, exec_lo, s2
	v_lshrrev_b32_e32 v2, 8, v2
	v_and_or_b32 v2, 0x80, v2, v4
	global_store_byte v[0:1], v2, off
.LBB76_2008:
	s_mov_b32 s2, 0
.LBB76_2009:
	s_andn2_b32 vcc_lo, exec_lo, s2
	s_cbranch_vccnz .LBB76_2019
; %bb.2010:
	v_lshlrev_b32_e32 v5, 16, v3
	v_and_b32_e32 v2, 0xffff, v3
	s_mov_b32 s2, exec_lo
                                        ; implicit-def: $vgpr4
	v_and_b32_e32 v6, 0x7fffffff, v5
	v_cmpx_gt_u32_e32 0x47800000, v6
	s_xor_b32 s2, exec_lo, s2
	s_cbranch_execz .LBB76_2016
; %bb.2011:
	s_mov_b32 s3, exec_lo
                                        ; implicit-def: $vgpr4
	v_cmpx_lt_u32_e32 0x387fffff, v6
	s_xor_b32 s3, exec_lo, s3
; %bb.2012:
	v_bfe_u32 v4, v2, 5, 1
	v_add3_u32 v4, v5, v4, 0x80fffff
                                        ; implicit-def: $vgpr5
	v_lshrrev_b32_e32 v4, 21, v4
; %bb.2013:
	s_andn2_saveexec_b32 s3, s3
; %bb.2014:
	v_add_f32_e64 v4, 0x43000000, |v5|
; %bb.2015:
	s_or_b32 exec_lo, exec_lo, s3
                                        ; implicit-def: $vgpr6
.LBB76_2016:
	s_andn2_saveexec_b32 s2, s2
; %bb.2017:
	v_mov_b32_e32 v4, 0x7f
	v_cmp_lt_u32_e32 vcc_lo, 0x7f800000, v6
	v_cndmask_b32_e32 v4, 0x7c, v4, vcc_lo
; %bb.2018:
	s_or_b32 exec_lo, exec_lo, s2
	v_lshrrev_b32_e32 v2, 8, v2
	v_and_or_b32 v2, 0x80, v2, v4
	global_store_byte v[0:1], v2, off
.LBB76_2019:
	s_mov_b32 s2, 0
.LBB76_2020:
	s_andn2_b32 vcc_lo, exec_lo, s2
	s_mov_b32 s2, 0
	s_cbranch_vccnz .LBB76_2027
; %bb.2021:
	s_cmp_gt_i32 s1, 14
	s_mov_b32 s2, -1
	s_cbranch_scc0 .LBB76_2025
; %bb.2022:
	s_cmp_eq_u32 s1, 15
	s_mov_b32 s0, -1
	s_cbranch_scc0 .LBB76_2024
; %bb.2023:
	s_mov_b32 s0, 0
	global_store_short v[0:1], v3, off
.LBB76_2024:
	s_mov_b32 s2, 0
.LBB76_2025:
	s_and_b32 vcc_lo, exec_lo, s2
	s_mov_b32 s2, 0
	s_cbranch_vccz .LBB76_2027
; %bb.2026:
	s_cmp_lg_u32 s1, 11
	s_mov_b32 s2, -1
	s_cselect_b32 s0, -1, 0
.LBB76_2027:
	s_and_b32 vcc_lo, exec_lo, s0
	s_cbranch_vccnz .LBB76_2093
.LBB76_2028:
	s_mov_b32 s0, 0
	s_branch .LBB76_2030
.LBB76_2029:
	s_mov_b32 s0, 0
	s_mov_b32 s2, 0
                                        ; implicit-def: $sgpr15
                                        ; implicit-def: $vgpr0_vgpr1
                                        ; implicit-def: $vgpr3
.LBB76_2030:
	s_andn2_b32 s1, s14, exec_lo
	s_and_b32 s3, s5, exec_lo
	s_and_b32 s0, s0, exec_lo
	;; [unrolled: 1-line block ×3, first 2 shown]
	s_or_b32 s14, s1, s3
.LBB76_2031:
	s_or_b32 exec_lo, exec_lo, s7
	s_and_saveexec_b32 s1, s14
	s_cbranch_execz .LBB76_2034
; %bb.2032:
	; divergent unreachable
	s_or_b32 exec_lo, exec_lo, s1
	s_and_saveexec_b32 s1, s5
	s_xor_b32 s1, exec_lo, s1
	s_cbranch_execnz .LBB76_2035
.LBB76_2033:
	s_or_b32 exec_lo, exec_lo, s1
	s_and_saveexec_b32 s1, s0
	s_cbranch_execnz .LBB76_2036
	s_branch .LBB76_2073
.LBB76_2034:
	s_or_b32 exec_lo, exec_lo, s1
	s_and_saveexec_b32 s1, s5
	s_xor_b32 s1, exec_lo, s1
	s_cbranch_execz .LBB76_2033
.LBB76_2035:
	s_waitcnt vmcnt(0)
	v_and_b32_e32 v2, 0x7fff, v3
	v_cmp_ne_u16_e32 vcc_lo, 0, v2
	v_cndmask_b32_e64 v2, 0, 1, vcc_lo
	global_store_byte v[0:1], v2, off
	s_or_b32 exec_lo, exec_lo, s1
	s_and_saveexec_b32 s1, s0
	s_cbranch_execz .LBB76_2073
.LBB76_2036:
	s_sext_i32_i16 s1, s15
	s_mov_b32 s0, -1
	s_cmp_lt_i32 s1, 5
	s_cbranch_scc1 .LBB76_2057
; %bb.2037:
	s_cmp_lt_i32 s1, 8
	s_cbranch_scc1 .LBB76_2047
; %bb.2038:
	s_cmp_lt_i32 s1, 9
	s_cbranch_scc1 .LBB76_2044
; %bb.2039:
	s_cmp_gt_i32 s1, 9
	s_cbranch_scc0 .LBB76_2041
; %bb.2040:
	s_waitcnt vmcnt(0)
	v_lshlrev_b32_e32 v2, 16, v3
	v_mov_b32_e32 v6, 0
	s_mov_b32 s0, 0
	v_cvt_f64_f32_e32 v[4:5], v2
	v_mov_b32_e32 v7, v6
	global_store_dwordx4 v[0:1], v[4:7], off
.LBB76_2041:
	s_andn2_b32 vcc_lo, exec_lo, s0
	s_cbranch_vccnz .LBB76_2043
; %bb.2042:
	s_waitcnt vmcnt(0)
	v_lshlrev_b32_e32 v4, 16, v3
	v_mov_b32_e32 v5, 0
	global_store_dwordx2 v[0:1], v[4:5], off
.LBB76_2043:
	s_mov_b32 s0, 0
.LBB76_2044:
	s_andn2_b32 vcc_lo, exec_lo, s0
	s_cbranch_vccnz .LBB76_2046
; %bb.2045:
	s_waitcnt vmcnt(0)
	v_lshlrev_b32_e32 v2, 16, v3
	v_cvt_f16_f32_e32 v2, v2
	v_and_b32_e32 v2, 0xffff, v2
	global_store_dword v[0:1], v2, off
.LBB76_2046:
	s_mov_b32 s0, 0
.LBB76_2047:
	s_andn2_b32 vcc_lo, exec_lo, s0
	s_cbranch_vccnz .LBB76_2056
; %bb.2048:
	s_sext_i32_i16 s1, s15
	s_mov_b32 s0, -1
	s_cmp_lt_i32 s1, 6
	s_cbranch_scc1 .LBB76_2054
; %bb.2049:
	s_cmp_gt_i32 s1, 6
	s_cbranch_scc0 .LBB76_2051
; %bb.2050:
	s_waitcnt vmcnt(0)
	v_lshlrev_b32_e32 v2, 16, v3
	s_mov_b32 s0, 0
	v_cvt_f64_f32_e32 v[4:5], v2
	global_store_dwordx2 v[0:1], v[4:5], off
.LBB76_2051:
	s_andn2_b32 vcc_lo, exec_lo, s0
	s_cbranch_vccnz .LBB76_2053
; %bb.2052:
	s_waitcnt vmcnt(0)
	v_lshlrev_b32_e32 v2, 16, v3
	global_store_dword v[0:1], v2, off
.LBB76_2053:
	s_mov_b32 s0, 0
.LBB76_2054:
	s_andn2_b32 vcc_lo, exec_lo, s0
	s_cbranch_vccnz .LBB76_2056
; %bb.2055:
	s_waitcnt vmcnt(0)
	v_lshlrev_b32_e32 v2, 16, v3
	v_cvt_f16_f32_e32 v2, v2
	global_store_short v[0:1], v2, off
.LBB76_2056:
	s_mov_b32 s0, 0
.LBB76_2057:
	s_andn2_b32 vcc_lo, exec_lo, s0
	s_cbranch_vccnz .LBB76_2073
; %bb.2058:
	s_sext_i32_i16 s1, s15
	s_mov_b32 s0, -1
	s_cmp_lt_i32 s1, 2
	s_cbranch_scc1 .LBB76_2068
; %bb.2059:
	s_cmp_lt_i32 s1, 3
	s_cbranch_scc1 .LBB76_2065
; %bb.2060:
	s_cmp_gt_i32 s1, 3
	s_cbranch_scc0 .LBB76_2062
; %bb.2061:
	s_waitcnt vmcnt(0)
	v_lshlrev_b32_e32 v2, 16, v3
	s_mov_b32 s0, 0
	v_trunc_f32_e32 v2, v2
	v_mul_f32_e64 v4, 0x2f800000, |v2|
	v_floor_f32_e32 v4, v4
	v_fma_f32 v5, 0xcf800000, v4, |v2|
	v_ashrrev_i32_e32 v2, 31, v2
	v_cvt_u32_f32_e32 v4, v4
	v_cvt_u32_f32_e32 v5, v5
	v_xor_b32_e32 v6, v4, v2
	v_xor_b32_e32 v5, v5, v2
	v_sub_co_u32 v4, vcc_lo, v5, v2
	v_sub_co_ci_u32_e64 v5, null, v6, v2, vcc_lo
	global_store_dwordx2 v[0:1], v[4:5], off
.LBB76_2062:
	s_andn2_b32 vcc_lo, exec_lo, s0
	s_cbranch_vccnz .LBB76_2064
; %bb.2063:
	s_waitcnt vmcnt(0)
	v_lshlrev_b32_e32 v2, 16, v3
	v_cvt_i32_f32_e32 v2, v2
	global_store_dword v[0:1], v2, off
.LBB76_2064:
	s_mov_b32 s0, 0
.LBB76_2065:
	s_andn2_b32 vcc_lo, exec_lo, s0
	s_cbranch_vccnz .LBB76_2067
; %bb.2066:
	s_waitcnt vmcnt(0)
	v_lshlrev_b32_e32 v2, 16, v3
	v_cvt_i32_f32_e32 v2, v2
	global_store_short v[0:1], v2, off
.LBB76_2067:
	s_mov_b32 s0, 0
.LBB76_2068:
	s_andn2_b32 vcc_lo, exec_lo, s0
	s_cbranch_vccnz .LBB76_2073
; %bb.2069:
	s_waitcnt vmcnt(0)
	v_lshlrev_b32_e32 v2, 16, v3
	s_sext_i32_i16 s0, s15
	s_cmp_gt_i32 s0, 0
	s_mov_b32 s0, -1
	s_cbranch_scc0 .LBB76_2071
; %bb.2070:
	v_cvt_i32_f32_e32 v3, v2
	s_mov_b32 s0, 0
	global_store_byte v[0:1], v3, off
.LBB76_2071:
	s_andn2_b32 vcc_lo, exec_lo, s0
	s_cbranch_vccnz .LBB76_2073
; %bb.2072:
	v_trunc_f32_e32 v2, v2
	v_mul_f32_e64 v3, 0x2f800000, |v2|
	v_floor_f32_e32 v3, v3
	v_fma_f32 v3, 0xcf800000, v3, |v2|
	v_ashrrev_i32_e32 v2, 31, v2
	v_cvt_u32_f32_e32 v3, v3
	v_xor_b32_e32 v3, v3, v2
	v_sub_nc_u32_e32 v2, v3, v2
	global_store_byte v[0:1], v2, off
	s_endpgm
.LBB76_2073:
	s_endpgm
.LBB76_2074:
	s_mov_b32 s2, 0
	s_mov_b32 s0, -1
	s_branch .LBB76_2030
.LBB76_2075:
	s_or_b32 s5, s5, exec_lo
	s_trap 2
	s_cbranch_execz .LBB76_1538
	s_branch .LBB76_1539
.LBB76_2076:
	s_andn2_saveexec_b32 s6, s6
	s_cbranch_execz .LBB76_1624
.LBB76_2077:
	v_add_f32_e64 v5, 0x46000000, |v15|
	s_andn2_b32 s4, s4, exec_lo
	v_and_b32_e32 v5, 0xff, v5
	v_cmp_ne_u32_e32 vcc_lo, 0, v5
	s_and_b32 s10, vcc_lo, exec_lo
	s_or_b32 s4, s4, s10
	s_or_b32 exec_lo, exec_lo, s6
	v_mov_b32_e32 v16, 0
	s_and_saveexec_b32 s6, s4
	s_cbranch_execnz .LBB76_1625
	s_branch .LBB76_1626
.LBB76_2078:
	s_or_b32 s5, s5, exec_lo
	s_trap 2
	s_cbranch_execz .LBB76_1672
	s_branch .LBB76_1673
.LBB76_2079:
	s_andn2_saveexec_b32 s4, s4
	s_cbranch_execz .LBB76_1637
.LBB76_2080:
	v_add_f32_e64 v5, 0x42800000, |v15|
	s_andn2_b32 s3, s3, exec_lo
	v_and_b32_e32 v5, 0xff, v5
	v_cmp_ne_u32_e32 vcc_lo, 0, v5
	s_and_b32 s6, vcc_lo, exec_lo
	s_or_b32 s3, s3, s6
	s_or_b32 exec_lo, exec_lo, s4
	v_mov_b32_e32 v16, 0
	s_and_saveexec_b32 s4, s3
	s_cbranch_execnz .LBB76_1638
	s_branch .LBB76_1639
.LBB76_2081:
	s_andn2_saveexec_b32 s10, s10
	s_cbranch_execz .LBB76_1743
.LBB76_2082:
	v_add_f32_e64 v5, 0x46000000, |v6|
	s_andn2_b32 s6, s6, exec_lo
	v_and_b32_e32 v5, 0xff, v5
	v_cmp_ne_u32_e32 vcc_lo, 0, v5
	s_and_b32 s11, vcc_lo, exec_lo
	s_or_b32 s6, s6, s11
	s_or_b32 exec_lo, exec_lo, s10
	v_mov_b32_e32 v7, 0
	s_and_saveexec_b32 s10, s6
	s_cbranch_execnz .LBB76_1744
	s_branch .LBB76_1745
.LBB76_2083:
	s_or_b32 s5, s5, exec_lo
	s_trap 2
	s_cbranch_execz .LBB76_1791
	s_branch .LBB76_1792
.LBB76_2084:
	s_andn2_saveexec_b32 s6, s6
	s_cbranch_execz .LBB76_1756
.LBB76_2085:
	v_add_f32_e64 v5, 0x42800000, |v6|
	s_andn2_b32 s3, s3, exec_lo
	v_and_b32_e32 v5, 0xff, v5
	v_cmp_ne_u32_e32 vcc_lo, 0, v5
	s_and_b32 s10, vcc_lo, exec_lo
	s_or_b32 s3, s3, s10
	s_or_b32 exec_lo, exec_lo, s6
	v_mov_b32_e32 v7, 0
	s_and_saveexec_b32 s6, s3
	s_cbranch_execnz .LBB76_1757
	s_branch .LBB76_1758
.LBB76_2086:
	s_andn2_saveexec_b32 s10, s10
	s_cbranch_execz .LBB76_1862
.LBB76_2087:
	v_add_f32_e64 v5, 0x46000000, |v6|
	s_andn2_b32 s6, s6, exec_lo
	v_and_b32_e32 v5, 0xff, v5
	v_cmp_ne_u32_e32 vcc_lo, 0, v5
	s_and_b32 s11, vcc_lo, exec_lo
	s_or_b32 s6, s6, s11
	s_or_b32 exec_lo, exec_lo, s10
	v_mov_b32_e32 v7, 0
	s_and_saveexec_b32 s10, s6
	s_cbranch_execnz .LBB76_1863
	s_branch .LBB76_1864
.LBB76_2088:
	s_or_b32 s5, s5, exec_lo
	s_trap 2
	s_cbranch_execz .LBB76_1910
	s_branch .LBB76_1911
.LBB76_2089:
	s_andn2_saveexec_b32 s6, s6
	s_cbranch_execz .LBB76_1875
.LBB76_2090:
	v_add_f32_e64 v5, 0x42800000, |v6|
	s_andn2_b32 s3, s3, exec_lo
	v_and_b32_e32 v5, 0xff, v5
	v_cmp_ne_u32_e32 vcc_lo, 0, v5
	s_and_b32 s10, vcc_lo, exec_lo
	s_or_b32 s3, s3, s10
	s_or_b32 exec_lo, exec_lo, s6
	v_mov_b32_e32 v7, 0
	s_and_saveexec_b32 s6, s3
	s_cbranch_execnz .LBB76_1876
	s_branch .LBB76_1877
.LBB76_2091:
	s_andn2_saveexec_b32 s6, s6
	s_cbranch_execz .LBB76_1982
.LBB76_2092:
	v_add_f32_e64 v4, 0x46000000, |v5|
	s_andn2_b32 s4, s4, exec_lo
	v_and_b32_e32 v4, 0xff, v4
	v_cmp_ne_u32_e32 vcc_lo, 0, v4
	s_and_b32 s8, vcc_lo, exec_lo
	s_or_b32 s4, s4, s8
	s_or_b32 exec_lo, exec_lo, s6
	v_mov_b32_e32 v6, 0
	s_and_saveexec_b32 s6, s4
	s_cbranch_execnz .LBB76_1983
	s_branch .LBB76_1984
.LBB76_2093:
	s_mov_b32 s2, 0
	s_or_b32 s5, s5, exec_lo
	s_trap 2
	s_branch .LBB76_2028
.LBB76_2094:
	s_andn2_saveexec_b32 s4, s4
	s_cbranch_execz .LBB76_1994
.LBB76_2095:
	v_add_f32_e64 v4, 0x42800000, |v5|
	s_andn2_b32 s3, s3, exec_lo
	v_and_b32_e32 v4, 0xff, v4
	v_cmp_ne_u32_e32 vcc_lo, 0, v4
	s_and_b32 s6, vcc_lo, exec_lo
	s_or_b32 s3, s3, s6
	s_or_b32 exec_lo, exec_lo, s4
	v_mov_b32_e32 v6, 0
	s_and_saveexec_b32 s4, s3
	s_cbranch_execnz .LBB76_1995
	s_branch .LBB76_1996
	.section	.rodata,"a",@progbits
	.p2align	6, 0x0
	.amdhsa_kernel _ZN2at6native32elementwise_kernel_manual_unrollILi128ELi4EZNS0_15gpu_kernel_implIZZZNS0_20trigamma_kernel_cudaERNS_18TensorIteratorBaseEENKUlvE_clEvENKUlvE2_clEvEUlN3c108BFloat16EE_EEvS4_RKT_EUlibE_EEviT1_
		.amdhsa_group_segment_fixed_size 0
		.amdhsa_private_segment_fixed_size 0
		.amdhsa_kernarg_size 40
		.amdhsa_user_sgpr_count 6
		.amdhsa_user_sgpr_private_segment_buffer 1
		.amdhsa_user_sgpr_dispatch_ptr 0
		.amdhsa_user_sgpr_queue_ptr 0
		.amdhsa_user_sgpr_kernarg_segment_ptr 1
		.amdhsa_user_sgpr_dispatch_id 0
		.amdhsa_user_sgpr_flat_scratch_init 0
		.amdhsa_user_sgpr_private_segment_size 0
		.amdhsa_wavefront_size32 1
		.amdhsa_uses_dynamic_stack 0
		.amdhsa_system_sgpr_private_segment_wavefront_offset 0
		.amdhsa_system_sgpr_workgroup_id_x 1
		.amdhsa_system_sgpr_workgroup_id_y 0
		.amdhsa_system_sgpr_workgroup_id_z 0
		.amdhsa_system_sgpr_workgroup_info 0
		.amdhsa_system_vgpr_workitem_id 0
		.amdhsa_next_free_vgpr 45
		.amdhsa_next_free_sgpr 26
		.amdhsa_reserve_vcc 1
		.amdhsa_reserve_flat_scratch 0
		.amdhsa_float_round_mode_32 0
		.amdhsa_float_round_mode_16_64 0
		.amdhsa_float_denorm_mode_32 3
		.amdhsa_float_denorm_mode_16_64 3
		.amdhsa_dx10_clamp 1
		.amdhsa_ieee_mode 1
		.amdhsa_fp16_overflow 0
		.amdhsa_workgroup_processor_mode 1
		.amdhsa_memory_ordered 1
		.amdhsa_forward_progress 1
		.amdhsa_shared_vgpr_count 0
		.amdhsa_exception_fp_ieee_invalid_op 0
		.amdhsa_exception_fp_denorm_src 0
		.amdhsa_exception_fp_ieee_div_zero 0
		.amdhsa_exception_fp_ieee_overflow 0
		.amdhsa_exception_fp_ieee_underflow 0
		.amdhsa_exception_fp_ieee_inexact 0
		.amdhsa_exception_int_div_zero 0
	.end_amdhsa_kernel
	.section	.text._ZN2at6native32elementwise_kernel_manual_unrollILi128ELi4EZNS0_15gpu_kernel_implIZZZNS0_20trigamma_kernel_cudaERNS_18TensorIteratorBaseEENKUlvE_clEvENKUlvE2_clEvEUlN3c108BFloat16EE_EEvS4_RKT_EUlibE_EEviT1_,"axG",@progbits,_ZN2at6native32elementwise_kernel_manual_unrollILi128ELi4EZNS0_15gpu_kernel_implIZZZNS0_20trigamma_kernel_cudaERNS_18TensorIteratorBaseEENKUlvE_clEvENKUlvE2_clEvEUlN3c108BFloat16EE_EEvS4_RKT_EUlibE_EEviT1_,comdat
.Lfunc_end76:
	.size	_ZN2at6native32elementwise_kernel_manual_unrollILi128ELi4EZNS0_15gpu_kernel_implIZZZNS0_20trigamma_kernel_cudaERNS_18TensorIteratorBaseEENKUlvE_clEvENKUlvE2_clEvEUlN3c108BFloat16EE_EEvS4_RKT_EUlibE_EEviT1_, .Lfunc_end76-_ZN2at6native32elementwise_kernel_manual_unrollILi128ELi4EZNS0_15gpu_kernel_implIZZZNS0_20trigamma_kernel_cudaERNS_18TensorIteratorBaseEENKUlvE_clEvENKUlvE2_clEvEUlN3c108BFloat16EE_EEvS4_RKT_EUlibE_EEviT1_
                                        ; -- End function
	.set _ZN2at6native32elementwise_kernel_manual_unrollILi128ELi4EZNS0_15gpu_kernel_implIZZZNS0_20trigamma_kernel_cudaERNS_18TensorIteratorBaseEENKUlvE_clEvENKUlvE2_clEvEUlN3c108BFloat16EE_EEvS4_RKT_EUlibE_EEviT1_.num_vgpr, 45
	.set _ZN2at6native32elementwise_kernel_manual_unrollILi128ELi4EZNS0_15gpu_kernel_implIZZZNS0_20trigamma_kernel_cudaERNS_18TensorIteratorBaseEENKUlvE_clEvENKUlvE2_clEvEUlN3c108BFloat16EE_EEvS4_RKT_EUlibE_EEviT1_.num_agpr, 0
	.set _ZN2at6native32elementwise_kernel_manual_unrollILi128ELi4EZNS0_15gpu_kernel_implIZZZNS0_20trigamma_kernel_cudaERNS_18TensorIteratorBaseEENKUlvE_clEvENKUlvE2_clEvEUlN3c108BFloat16EE_EEvS4_RKT_EUlibE_EEviT1_.numbered_sgpr, 26
	.set _ZN2at6native32elementwise_kernel_manual_unrollILi128ELi4EZNS0_15gpu_kernel_implIZZZNS0_20trigamma_kernel_cudaERNS_18TensorIteratorBaseEENKUlvE_clEvENKUlvE2_clEvEUlN3c108BFloat16EE_EEvS4_RKT_EUlibE_EEviT1_.num_named_barrier, 0
	.set _ZN2at6native32elementwise_kernel_manual_unrollILi128ELi4EZNS0_15gpu_kernel_implIZZZNS0_20trigamma_kernel_cudaERNS_18TensorIteratorBaseEENKUlvE_clEvENKUlvE2_clEvEUlN3c108BFloat16EE_EEvS4_RKT_EUlibE_EEviT1_.private_seg_size, 0
	.set _ZN2at6native32elementwise_kernel_manual_unrollILi128ELi4EZNS0_15gpu_kernel_implIZZZNS0_20trigamma_kernel_cudaERNS_18TensorIteratorBaseEENKUlvE_clEvENKUlvE2_clEvEUlN3c108BFloat16EE_EEvS4_RKT_EUlibE_EEviT1_.uses_vcc, 1
	.set _ZN2at6native32elementwise_kernel_manual_unrollILi128ELi4EZNS0_15gpu_kernel_implIZZZNS0_20trigamma_kernel_cudaERNS_18TensorIteratorBaseEENKUlvE_clEvENKUlvE2_clEvEUlN3c108BFloat16EE_EEvS4_RKT_EUlibE_EEviT1_.uses_flat_scratch, 0
	.set _ZN2at6native32elementwise_kernel_manual_unrollILi128ELi4EZNS0_15gpu_kernel_implIZZZNS0_20trigamma_kernel_cudaERNS_18TensorIteratorBaseEENKUlvE_clEvENKUlvE2_clEvEUlN3c108BFloat16EE_EEvS4_RKT_EUlibE_EEviT1_.has_dyn_sized_stack, 0
	.set _ZN2at6native32elementwise_kernel_manual_unrollILi128ELi4EZNS0_15gpu_kernel_implIZZZNS0_20trigamma_kernel_cudaERNS_18TensorIteratorBaseEENKUlvE_clEvENKUlvE2_clEvEUlN3c108BFloat16EE_EEvS4_RKT_EUlibE_EEviT1_.has_recursion, 0
	.set _ZN2at6native32elementwise_kernel_manual_unrollILi128ELi4EZNS0_15gpu_kernel_implIZZZNS0_20trigamma_kernel_cudaERNS_18TensorIteratorBaseEENKUlvE_clEvENKUlvE2_clEvEUlN3c108BFloat16EE_EEvS4_RKT_EUlibE_EEviT1_.has_indirect_call, 0
	.section	.AMDGPU.csdata,"",@progbits
; Kernel info:
; codeLenInByte = 50716
; TotalNumSgprs: 28
; NumVgprs: 45
; ScratchSize: 0
; MemoryBound: 0
; FloatMode: 240
; IeeeMode: 1
; LDSByteSize: 0 bytes/workgroup (compile time only)
; SGPRBlocks: 0
; VGPRBlocks: 5
; NumSGPRsForWavesPerEU: 28
; NumVGPRsForWavesPerEU: 45
; Occupancy: 16
; WaveLimiterHint : 0
; COMPUTE_PGM_RSRC2:SCRATCH_EN: 0
; COMPUTE_PGM_RSRC2:USER_SGPR: 6
; COMPUTE_PGM_RSRC2:TRAP_HANDLER: 0
; COMPUTE_PGM_RSRC2:TGID_X_EN: 1
; COMPUTE_PGM_RSRC2:TGID_Y_EN: 0
; COMPUTE_PGM_RSRC2:TGID_Z_EN: 0
; COMPUTE_PGM_RSRC2:TIDIG_COMP_CNT: 0
	.section	.text._ZN2at6native32elementwise_kernel_manual_unrollILi128ELi4EZNS0_15gpu_kernel_implIZZZNS0_20trigamma_kernel_cudaERNS_18TensorIteratorBaseEENKUlvE_clEvENKUlvE2_clEvEUlN3c108BFloat16EE_EEvS4_RKT_EUlibE0_EEviT1_,"axG",@progbits,_ZN2at6native32elementwise_kernel_manual_unrollILi128ELi4EZNS0_15gpu_kernel_implIZZZNS0_20trigamma_kernel_cudaERNS_18TensorIteratorBaseEENKUlvE_clEvENKUlvE2_clEvEUlN3c108BFloat16EE_EEvS4_RKT_EUlibE0_EEviT1_,comdat
	.globl	_ZN2at6native32elementwise_kernel_manual_unrollILi128ELi4EZNS0_15gpu_kernel_implIZZZNS0_20trigamma_kernel_cudaERNS_18TensorIteratorBaseEENKUlvE_clEvENKUlvE2_clEvEUlN3c108BFloat16EE_EEvS4_RKT_EUlibE0_EEviT1_ ; -- Begin function _ZN2at6native32elementwise_kernel_manual_unrollILi128ELi4EZNS0_15gpu_kernel_implIZZZNS0_20trigamma_kernel_cudaERNS_18TensorIteratorBaseEENKUlvE_clEvENKUlvE2_clEvEUlN3c108BFloat16EE_EEvS4_RKT_EUlibE0_EEviT1_
	.p2align	8
	.type	_ZN2at6native32elementwise_kernel_manual_unrollILi128ELi4EZNS0_15gpu_kernel_implIZZZNS0_20trigamma_kernel_cudaERNS_18TensorIteratorBaseEENKUlvE_clEvENKUlvE2_clEvEUlN3c108BFloat16EE_EEvS4_RKT_EUlibE0_EEviT1_,@function
_ZN2at6native32elementwise_kernel_manual_unrollILi128ELi4EZNS0_15gpu_kernel_implIZZZNS0_20trigamma_kernel_cudaERNS_18TensorIteratorBaseEENKUlvE_clEvENKUlvE2_clEvEUlN3c108BFloat16EE_EEvS4_RKT_EUlibE0_EEviT1_: ; @_ZN2at6native32elementwise_kernel_manual_unrollILi128ELi4EZNS0_15gpu_kernel_implIZZZNS0_20trigamma_kernel_cudaERNS_18TensorIteratorBaseEENKUlvE_clEvENKUlvE2_clEvEUlN3c108BFloat16EE_EEvS4_RKT_EUlibE0_EEviT1_
; %bb.0:
	s_clause 0x1
	s_load_dword s24, s[4:5], 0x8
	s_load_dword s33, s[4:5], 0x0
	v_lshl_or_b32 v8, s6, 9, v0
	s_add_u32 s6, s4, 8
	s_addc_u32 s7, s5, 0
	s_mov_b32 s1, -1
	s_mov_b32 s26, 0
	v_or_b32_e32 v15, 0x180, v8
	s_mov_b32 s12, 0
	s_mov_b32 s0, exec_lo
	s_waitcnt lgkmcnt(0)
	s_add_i32 s25, s24, -1
	s_cmp_gt_u32 s25, 1
	s_cselect_b32 s27, -1, 0
	v_cmpx_le_i32_e64 s33, v15
	s_xor_b32 s28, exec_lo, s0
	s_cbranch_execz .LBB77_1113
; %bb.1:
	v_mov_b32_e32 v0, 0
	s_clause 0x3
	s_load_dwordx4 s[16:19], s[6:7], 0x4
	s_load_dwordx2 s[20:21], s[6:7], 0x14
	s_load_dwordx4 s[12:15], s[6:7], 0xc4
	s_load_dwordx4 s[8:11], s[6:7], 0x148
	s_cmp_lg_u32 s24, 0
	s_mov_b32 s39, 0
	s_cselect_b32 s34, -1, 0
	global_load_ushort v0, v0, s[6:7] offset:345
	s_add_u32 s22, s6, 0xc4
	s_addc_u32 s23, s7, 0
	s_min_u32 s35, s25, 15
	s_cmp_gt_u32 s24, 1
	s_mov_b32 s37, 0
	s_cselect_b32 s31, -1, 0
	s_mov_b32 s36, 0
	s_mov_b32 s38, exec_lo
	s_waitcnt vmcnt(0)
	v_readfirstlane_b32 s29, v0
	s_and_b32 s0, 0xffff, s29
	s_lshr_b32 s30, s0, 8
	v_cmpx_gt_i32_e64 s33, v8
	s_cbranch_execz .LBB77_272
; %bb.2:
	s_andn2_b32 vcc_lo, exec_lo, s27
	s_cbranch_vccnz .LBB77_7
; %bb.3:
	s_andn2_b32 vcc_lo, exec_lo, s34
	s_cbranch_vccnz .LBB77_8
; %bb.4:
	s_add_i32 s37, s35, 1
	s_cmp_eq_u32 s25, 2
	s_cbranch_scc1 .LBB77_9
; %bb.5:
	v_mov_b32_e32 v2, 0
	v_mov_b32_e32 v0, 0
	;; [unrolled: 1-line block ×3, first 2 shown]
	s_and_b32 s36, s37, 28
	s_mov_b32 s40, 0
	s_mov_b64 s[0:1], s[6:7]
	s_mov_b64 s[2:3], s[22:23]
.LBB77_6:                               ; =>This Inner Loop Header: Depth=1
	s_clause 0x1
	s_load_dwordx8 s[44:51], s[0:1], 0x4
	s_load_dwordx4 s[60:63], s[0:1], 0x24
	s_load_dwordx8 s[52:59], s[2:3], 0x0
	s_add_u32 s0, s0, 48
	s_addc_u32 s1, s1, 0
	s_add_i32 s40, s40, 4
	s_add_u32 s2, s2, 32
	s_addc_u32 s3, s3, 0
	s_cmp_lg_u32 s36, s40
	s_waitcnt lgkmcnt(0)
	v_mul_hi_u32 v3, s45, v1
	v_add_nc_u32_e32 v3, v1, v3
	v_lshrrev_b32_e32 v3, s46, v3
	v_mul_hi_u32 v4, s48, v3
	v_mul_lo_u32 v6, v3, s44
	v_add_nc_u32_e32 v4, v3, v4
	v_sub_nc_u32_e32 v1, v1, v6
	v_lshrrev_b32_e32 v4, s49, v4
	v_mul_lo_u32 v6, v1, s52
	v_mul_lo_u32 v9, v1, s53
	v_mul_hi_u32 v5, s51, v4
	v_add_nc_u32_e32 v5, v4, v5
	v_lshrrev_b32_e32 v5, s60, v5
	v_mul_hi_u32 v7, s62, v5
	v_mul_lo_u32 v10, v5, s50
	v_add_nc_u32_e32 v1, v5, v7
	v_mul_lo_u32 v7, v4, s47
	v_sub_nc_u32_e32 v4, v4, v10
	v_lshrrev_b32_e32 v1, s63, v1
	v_mul_lo_u32 v10, v4, s56
	v_mul_lo_u32 v4, v4, s57
	v_sub_nc_u32_e32 v3, v3, v7
	v_mul_lo_u32 v11, v1, s61
	v_mul_lo_u32 v7, v3, s54
	;; [unrolled: 1-line block ×3, first 2 shown]
	v_sub_nc_u32_e32 v5, v5, v11
	v_add3_u32 v0, v6, v0, v7
	v_mul_lo_u32 v11, v5, s58
	v_mul_lo_u32 v5, v5, s59
	v_add3_u32 v2, v9, v2, v3
	v_add3_u32 v0, v10, v0, v11
	;; [unrolled: 1-line block ×3, first 2 shown]
	s_cbranch_scc1 .LBB77_6
	s_branch .LBB77_10
.LBB77_7:
                                        ; implicit-def: $vgpr0
                                        ; implicit-def: $vgpr2
	s_branch .LBB77_14
.LBB77_8:
	v_mov_b32_e32 v0, 0
	v_mov_b32_e32 v2, 0
	s_branch .LBB77_13
.LBB77_9:
	v_mov_b32_e32 v0, 0
	v_mov_b32_e32 v2, 0
	;; [unrolled: 1-line block ×3, first 2 shown]
.LBB77_10:
	s_and_b32 s37, s37, 3
	s_cmp_eq_u32 s37, 0
	s_cbranch_scc1 .LBB77_13
; %bb.11:
	s_lshl_b32 s0, s36, 3
	s_mul_i32 s2, s36, 12
	s_add_u32 s0, s6, s0
	s_addc_u32 s1, s7, 0
	s_add_u32 s0, s0, 0xc4
	s_addc_u32 s1, s1, 0
	;; [unrolled: 2-line block ×3, first 2 shown]
	.p2align	6
.LBB77_12:                              ; =>This Inner Loop Header: Depth=1
	s_clause 0x1
	s_load_dwordx2 s[40:41], s[2:3], 0x4
	s_load_dword s36, s[2:3], 0xc
	s_load_dwordx2 s[42:43], s[0:1], 0x0
	s_add_u32 s2, s2, 12
	s_addc_u32 s3, s3, 0
	s_add_u32 s0, s0, 8
	s_addc_u32 s1, s1, 0
	s_add_i32 s37, s37, -1
	s_cmp_lg_u32 s37, 0
	s_waitcnt lgkmcnt(0)
	v_mul_hi_u32 v3, s41, v1
	v_add_nc_u32_e32 v3, v1, v3
	v_lshrrev_b32_e32 v4, s36, v3
	v_mul_lo_u32 v3, v4, s40
	v_sub_nc_u32_e32 v3, v1, v3
	v_mad_u64_u32 v[0:1], null, v3, s42, v[0:1]
	v_mad_u64_u32 v[2:3], null, v3, s43, v[2:3]
	v_mov_b32_e32 v1, v4
	s_cbranch_scc1 .LBB77_12
.LBB77_13:
	s_cbranch_execnz .LBB77_16
.LBB77_14:
	s_waitcnt lgkmcnt(0)
	v_mul_hi_u32 v0, s17, v8
	s_andn2_b32 vcc_lo, exec_lo, s31
	v_add_nc_u32_e32 v0, v8, v0
	v_lshrrev_b32_e32 v1, s18, v0
	v_mul_lo_u32 v0, v1, s16
	v_sub_nc_u32_e32 v2, v8, v0
	v_mul_lo_u32 v0, v2, s12
	v_mul_lo_u32 v2, v2, s13
	s_cbranch_vccnz .LBB77_16
; %bb.15:
	v_mul_hi_u32 v3, s20, v1
	v_add_nc_u32_e32 v3, v1, v3
	v_lshrrev_b32_e32 v3, s21, v3
	v_mul_lo_u32 v3, v3, s19
	v_sub_nc_u32_e32 v3, v1, v3
	v_mad_u64_u32 v[0:1], null, v3, s14, v[0:1]
	v_mad_u64_u32 v[2:3], null, v3, s15, v[2:3]
.LBB77_16:
	s_waitcnt lgkmcnt(0)
	v_add_co_u32 v1, s0, s10, v2
	v_add_co_ci_u32_e64 v2, null, s11, 0, s0
	s_and_b32 s0, 0xffff, s30
	s_cmp_lt_i32 s0, 11
	s_cbranch_scc1 .LBB77_23
; %bb.17:
	s_cmp_gt_i32 s0, 25
	s_cbranch_scc0 .LBB77_38
; %bb.18:
	s_cmp_gt_i32 s0, 28
	s_cbranch_scc0 .LBB77_41
	;; [unrolled: 3-line block ×4, first 2 shown]
; %bb.21:
	s_cmp_eq_u32 s0, 46
	s_mov_b32 s2, 0
	s_cbranch_scc0 .LBB77_47
; %bb.22:
	global_load_dword v3, v[1:2], off
	s_mov_b32 s1, -1
	s_mov_b32 s37, 0
	s_branch .LBB77_49
.LBB77_23:
	s_mov_b32 s37, 0
	s_mov_b32 s1, 0
                                        ; implicit-def: $vgpr3
	s_cbranch_execnz .LBB77_222
.LBB77_24:
	s_andn2_b32 vcc_lo, exec_lo, s1
	s_cbranch_vccnz .LBB77_269
.LBB77_25:
	s_waitcnt vmcnt(0)
	v_lshlrev_b32_e32 v1, 16, v3
	v_mov_b32_e32 v3, 0
	v_mov_b32_e32 v2, 1.0
	s_mov_b32 s2, exec_lo
	v_cmpx_gt_f32_e32 0.5, v1
	s_cbranch_execz .LBB77_31
; %bb.26:
	v_mul_f32_e32 v2, 0x40490fdb, v1
                                        ; implicit-def: $vgpr5
                                        ; implicit-def: $vgpr4
	s_mov_b32 s1, exec_lo
	v_and_b32_e32 v3, 0x7fffffff, v2
	v_cmpx_ngt_f32_e64 0x48000000, |v2|
	s_xor_b32 s3, exec_lo, s1
	s_cbranch_execz .LBB77_28
; %bb.27:
	s_mov_b32 s0, 0x7fffff
	v_mov_b32_e32 v6, 0
	v_and_or_b32 v7, v3, s0, 0x800000
	v_lshrrev_b32_e32 v13, 23, v3
	v_mad_u64_u32 v[4:5], null, 0xfe5163ab, v7, 0
	v_add_nc_u32_e32 v14, 0xffffff88, v13
	v_cmp_lt_u32_e32 vcc_lo, 63, v14
	v_mad_u64_u32 v[9:10], null, 0x3c439041, v7, v[5:6]
	v_cndmask_b32_e64 v15, 0, 0xffffffc0, vcc_lo
	v_mov_b32_e32 v5, v10
	v_add_nc_u32_e32 v15, v15, v14
	v_mad_u64_u32 v[10:11], null, 0xdb629599, v7, v[5:6]
	v_cmp_lt_u32_e64 s0, 31, v15
	v_cndmask_b32_e64 v16, 0, 0xffffffe0, s0
	v_mov_b32_e32 v5, v11
	v_cndmask_b32_e32 v4, v10, v4, vcc_lo
	v_mad_u64_u32 v[11:12], null, 0xf534ddc0, v7, v[5:6]
	v_mov_b32_e32 v5, v12
	v_cndmask_b32_e32 v9, v11, v9, vcc_lo
	v_mad_u64_u32 v[12:13], null, 0xfc2757d1, v7, v[5:6]
	v_cndmask_b32_e64 v4, v9, v4, s0
	v_mov_b32_e32 v5, v13
	v_mad_u64_u32 v[13:14], null, 0x4e441529, v7, v[5:6]
	v_mov_b32_e32 v5, v14
	v_add_nc_u32_e32 v14, v16, v15
	v_cndmask_b32_e32 v15, v13, v11, vcc_lo
	v_mad_u64_u32 v[5:6], null, 0xa2f9836e, v7, v[5:6]
	v_cmp_lt_u32_e64 s1, 31, v14
	v_cndmask_b32_e64 v7, 0, 0xffffffe0, s1
	v_cndmask_b32_e32 v5, v5, v12, vcc_lo
	v_cndmask_b32_e32 v6, v6, v13, vcc_lo
	;; [unrolled: 1-line block ×3, first 2 shown]
	v_add_nc_u32_e32 v7, v7, v14
	v_cndmask_b32_e64 v11, v5, v15, s0
	v_cndmask_b32_e64 v5, v6, v5, s0
	;; [unrolled: 1-line block ×4, first 2 shown]
	v_sub_nc_u32_e32 v13, 32, v7
	v_cmp_eq_u32_e32 vcc_lo, 0, v7
	v_cndmask_b32_e64 v5, v5, v11, s1
	v_cndmask_b32_e64 v11, v11, v6, s1
	;; [unrolled: 1-line block ×4, first 2 shown]
	v_alignbit_b32 v14, v5, v11, v13
	v_alignbit_b32 v10, v11, v6, v13
	;; [unrolled: 1-line block ×3, first 2 shown]
	v_cndmask_b32_e32 v5, v14, v5, vcc_lo
	v_cndmask_b32_e32 v7, v10, v11, vcc_lo
	;; [unrolled: 1-line block ×3, first 2 shown]
	v_bfe_u32 v9, v5, 29, 1
	v_alignbit_b32 v10, v5, v7, 30
	v_alignbit_b32 v7, v7, v6, 30
	;; [unrolled: 1-line block ×3, first 2 shown]
	v_sub_nc_u32_e32 v11, 0, v9
	v_xor_b32_e32 v10, v10, v11
	v_xor_b32_e32 v6, v7, v11
	;; [unrolled: 1-line block ×3, first 2 shown]
	v_lshrrev_b32_e32 v11, 29, v5
	v_lshrrev_b32_e32 v5, 30, v5
	v_ffbh_u32_e32 v12, v10
	v_add_nc_u32_e32 v5, v9, v5
	v_min_u32_e32 v12, 32, v12
	v_sub_nc_u32_e32 v7, 31, v12
	v_lshlrev_b32_e32 v13, 23, v12
	v_alignbit_b32 v10, v10, v6, v7
	v_alignbit_b32 v4, v6, v4, v7
	v_lshlrev_b32_e32 v6, 31, v11
	v_alignbit_b32 v7, v10, v4, 9
	v_or_b32_e32 v11, 0.5, v6
	v_lshrrev_b32_e32 v10, 9, v10
	v_or_b32_e32 v6, 0x33000000, v6
	v_ffbh_u32_e32 v14, v7
	v_sub_nc_u32_e32 v11, v11, v13
	v_min_u32_e32 v13, 32, v14
	v_or_b32_e32 v10, v10, v11
	v_not_b32_e32 v11, v13
	v_mul_f32_e32 v14, 0x3fc90fda, v10
	v_add_lshl_u32 v12, v13, v12, 23
	v_alignbit_b32 v4, v7, v4, v11
	v_fma_f32 v7, 0x3fc90fda, v10, -v14
	v_sub_nc_u32_e32 v6, v6, v12
	v_lshrrev_b32_e32 v4, 9, v4
	v_fmamk_f32 v7, v10, 0x33a22168, v7
	v_or_b32_e32 v4, v6, v4
	v_fmac_f32_e32 v7, 0x3fc90fda, v4
	v_add_f32_e32 v4, v14, v7
.LBB77_28:
	s_andn2_saveexec_b32 s0, s3
; %bb.29:
	v_mul_f32_e64 v4, 0x3f22f983, |v2|
	v_rndne_f32_e32 v5, v4
	v_fma_f32 v4, 0xbfc90fda, v5, |v2|
	v_fmamk_f32 v4, v5, 0xb3a22168, v4
	v_fmamk_f32 v4, v5, 0xa7c234c4, v4
	v_cvt_i32_f32_e32 v5, v5
; %bb.30:
	s_or_b32 exec_lo, exec_lo, s0
	v_mul_f32_e32 v6, v4, v4
	s_mov_b32 s0, 0xb94c1982
	s_mov_b32 s1, 0x37d75334
	v_and_b32_e32 v10, 1, v5
	v_lshlrev_b32_e32 v5, 30, v5
	v_fmaak_f32 v7, s0, v6, 0x3c0881c4
	v_fmaak_f32 v9, s1, v6, 0xbab64f3b
	v_xor_b32_e32 v3, v3, v2
	v_cmp_eq_u32_e32 vcc_lo, 0, v10
	v_and_b32_e32 v5, 0x80000000, v5
	v_fmaak_f32 v7, v6, v7, 0xbe2aaa9d
	v_fmaak_f32 v9, v6, v9, 0x3d2aabf7
	v_sub_f32_e32 v1, 1.0, v1
	v_mul_f32_e32 v7, v6, v7
	v_fmaak_f32 v9, v6, v9, 0xbf000004
	v_fmac_f32_e32 v4, v4, v7
	v_fma_f32 v6, v6, v9, 1.0
	v_cndmask_b32_e32 v4, v6, v4, vcc_lo
	v_cmp_class_f32_e64 vcc_lo, v2, 0x1f8
	v_xor3_b32 v3, v3, v5, v4
	v_cndmask_b32_e32 v2, 0x7fc00000, v3, vcc_lo
	v_mul_f32_e32 v2, v2, v2
	v_div_scale_f32 v3, null, v2, v2, 0xc11de9e7
	v_div_scale_f32 v6, vcc_lo, 0xc11de9e7, v2, 0xc11de9e7
	v_rcp_f32_e32 v4, v3
	v_fma_f32 v5, -v3, v4, 1.0
	v_fmac_f32_e32 v4, v5, v4
	v_mul_f32_e32 v5, v6, v4
	v_fma_f32 v7, -v3, v5, v6
	v_fmac_f32_e32 v5, v7, v4
	v_fma_f32 v3, -v3, v5, v6
	v_div_fmas_f32 v3, v3, v4, v5
	v_div_fixup_f32 v2, v3, v2, 0xc11de9e7
	v_add_f32_e32 v3, 0, v2
	v_mov_b32_e32 v2, -1.0
.LBB77_31:
	s_or_b32 exec_lo, exec_lo, s2
	v_add_f32_e32 v4, 1.0, v1
	v_mul_f32_e32 v1, v1, v1
	v_mul_f32_e32 v5, v4, v4
	v_add_f32_e32 v4, 1.0, v4
	v_div_scale_f32 v6, null, v1, v1, 1.0
	v_div_scale_f32 v9, vcc_lo, 1.0, v1, 1.0
	v_mul_f32_e32 v10, v4, v4
	v_div_scale_f32 v7, null, v5, v5, 1.0
	v_rcp_f32_e32 v11, v6
	v_div_scale_f32 v14, s0, 1.0, v5, 1.0
	v_div_scale_f32 v13, null, v10, v10, 1.0
	v_rcp_f32_e32 v12, v7
	v_add_f32_e32 v4, 1.0, v4
	v_div_scale_f32 v15, s1, 1.0, v10, 1.0
	v_rcp_f32_e32 v16, v13
	v_fma_f32 v18, -v6, v11, 1.0
	v_mul_f32_e32 v17, v4, v4
	v_add_f32_e32 v4, 1.0, v4
	v_fma_f32 v19, -v7, v12, 1.0
	v_fmac_f32_e32 v11, v18, v11
	v_mul_f32_e32 v21, v4, v4
	v_add_f32_e32 v4, 1.0, v4
	v_fma_f32 v18, -v13, v16, 1.0
	v_fmac_f32_e32 v12, v19, v12
	v_mul_f32_e32 v22, v9, v11
	v_div_scale_f32 v20, null, v17, v17, 1.0
	v_fmac_f32_e32 v16, v18, v16
	v_mul_f32_e32 v23, v14, v12
	v_fma_f32 v24, -v6, v22, v9
	v_add_f32_e32 v27, 1.0, v4
	v_rcp_f32_e32 v19, v20
	v_mul_f32_e32 v26, v15, v16
	v_fma_f32 v25, -v7, v23, v14
	v_fmac_f32_e32 v22, v24, v11
	v_mul_f32_e32 v4, v4, v4
	v_div_scale_f32 v18, null, v21, v21, 1.0
	v_fma_f32 v24, -v13, v26, v15
	v_fmac_f32_e32 v23, v25, v12
	v_fma_f32 v6, -v6, v22, v9
	v_mul_f32_e32 v9, v27, v27
	v_rcp_f32_e32 v25, v18
	v_fmac_f32_e32 v26, v24, v16
	v_fma_f32 v7, -v7, v23, v14
	v_div_fmas_f32 v6, v6, v11, v22
	s_mov_b32 vcc_lo, s0
	v_fma_f32 v28, -v20, v19, 1.0
	v_fma_f32 v11, -v13, v26, v15
	v_div_fmas_f32 v7, v7, v12, v23
	s_mov_b32 vcc_lo, s1
	v_div_scale_f32 v12, null, v4, v4, 1.0
	v_div_fmas_f32 v11, v11, v16, v26
	v_div_scale_f32 v13, null, v9, v9, 1.0
	v_add_f32_e32 v16, v27, v27
	v_rcp_f32_e32 v15, v12
	v_fmac_f32_e32 v19, v28, v19
	v_rcp_f32_e32 v23, v13
	v_div_scale_f32 v14, vcc_lo, 1.0, v17, 1.0
	v_div_scale_f32 v26, null, v16, v16, 1.0
	v_fma_f32 v22, -v18, v25, 1.0
	v_mul_f32_e32 v24, v14, v19
	v_div_fixup_f32 v1, v6, v1, 1.0
	v_rcp_f32_e32 v29, v26
	v_fma_f32 v28, -v12, v15, 1.0
	v_fmac_f32_e32 v25, v22, v25
	v_div_scale_f32 v22, s0, 1.0, v21, 1.0
	v_fma_f32 v31, -v13, v23, 1.0
	v_fma_f32 v30, -v20, v24, v14
	v_fmac_f32_e32 v15, v28, v15
	v_div_scale_f32 v28, s1, 1.0, v4, 1.0
	v_mul_f32_e32 v32, v22, v25
	v_fmac_f32_e32 v23, v31, v23
	v_div_scale_f32 v31, s2, 1.0, v9, 1.0
	v_fma_f32 v33, -v26, v29, 1.0
	v_fmac_f32_e32 v24, v30, v19
	v_mul_f32_e32 v34, v28, v15
	v_fma_f32 v30, -v18, v32, v22
	v_mul_f32_e32 v35, v31, v23
	v_fmac_f32_e32 v29, v33, v29
	v_div_scale_f32 v33, s3, 1.0, v16, 1.0
	v_fma_f32 v14, -v20, v24, v14
	v_fma_f32 v20, -v12, v34, v28
	v_fmac_f32_e32 v32, v30, v25
	v_fma_f32 v30, -v13, v35, v31
	v_mul_f32_e32 v36, v33, v29
	v_div_fmas_f32 v14, v14, v19, v24
	v_fmac_f32_e32 v34, v20, v15
	v_fma_f32 v18, -v18, v32, v22
	v_fmac_f32_e32 v35, v30, v23
	v_fma_f32 v19, -v26, v36, v33
	s_mov_b32 vcc_lo, s0
	v_fma_f32 v12, -v12, v34, v28
	v_div_fmas_f32 v18, v18, v25, v32
	v_fma_f32 v13, -v13, v35, v31
	v_fmac_f32_e32 v36, v19, v29
	s_mov_b32 vcc_lo, s1
	s_mov_b32 s0, 0xbcc30c31
	v_div_fmas_f32 v12, v12, v15, v34
	s_mov_b32 vcc_lo, s2
	v_fma_f32 v15, -v26, v36, v33
	v_div_fmas_f32 v13, v13, v23, v35
	s_mov_b32 vcc_lo, s3
	v_add_f32_e32 v1, v3, v1
	v_div_fixup_f32 v3, v7, v5, 1.0
	v_div_fmas_f32 v15, v15, v29, v36
	v_div_fixup_f32 v9, v13, v9, 1.0
	s_and_b32 s1, s29, 0xff
	v_add_f32_e32 v1, v1, v3
	v_div_fixup_f32 v13, v15, v16, 1.0
	v_fmaak_f32 v15, s0, v9, 0x3d088889
	v_div_fixup_f32 v3, v11, v10, 1.0
	v_add_co_u32 v0, s0, s8, v0
	v_add_f32_e32 v13, 1.0, v13
	v_fma_f32 v15, -v9, v15, 0x3e2aaaab
	v_add_f32_e32 v1, v1, v3
	v_div_fixup_f32 v3, v14, v17, 1.0
	s_cmp_lt_i32 s1, 11
	v_fmac_f32_e32 v13, v9, v15
	v_add_f32_e32 v1, v1, v3
	v_div_fixup_f32 v3, v18, v21, 1.0
	v_div_scale_f32 v9, null, v27, v27, v13
	v_div_scale_f32 v5, vcc_lo, v13, v27, v13
	v_add_f32_e32 v1, v1, v3
	v_rcp_f32_e32 v15, v9
	v_div_fixup_f32 v3, v12, v4, 1.0
	v_add_f32_e32 v1, v1, v3
	v_fma_f32 v6, -v9, v15, 1.0
	v_fmac_f32_e32 v15, v6, v15
	v_mul_f32_e32 v6, v5, v15
	v_fma_f32 v7, -v9, v6, v5
	v_fmac_f32_e32 v6, v7, v15
	v_fma_f32 v5, -v9, v6, v5
	v_div_fmas_f32 v4, v5, v15, v6
	v_div_fixup_f32 v3, v4, v27, v13
	v_add_f32_e32 v1, v1, v3
	v_mov_b32_e32 v3, 0x7fc0
	v_mul_f32_e32 v1, v2, v1
	v_bfe_u32 v2, v1, 16, 1
	v_cmp_o_f32_e32 vcc_lo, v1, v1
	v_add3_u32 v2, v1, v2, 0x7fff
	v_add_co_ci_u32_e64 v1, null, s9, 0, s0
	v_cndmask_b32_sdwa v2, v3, v2, vcc_lo dst_sel:DWORD dst_unused:UNUSED_PAD src0_sel:DWORD src1_sel:WORD_1
	s_cbranch_scc1 .LBB77_39
; %bb.32:
	s_and_b32 s2, 0xffff, s1
	s_cmp_gt_i32 s2, 25
	s_cbranch_scc0 .LBB77_42
; %bb.33:
	s_cmp_gt_i32 s2, 28
	s_cbranch_scc0 .LBB77_44
; %bb.34:
	;; [unrolled: 3-line block ×4, first 2 shown]
	s_mov_b32 s36, 0
	s_mov_b32 s0, -1
	s_cmp_eq_u32 s2, 46
	s_mov_b32 s3, 0
	s_cbranch_scc0 .LBB77_53
; %bb.37:
	v_and_b32_e32 v3, 0xffff, v2
	s_mov_b32 s3, -1
	s_mov_b32 s0, 0
	global_store_dword v[0:1], v3, off
	s_branch .LBB77_53
.LBB77_38:
	s_mov_b32 s37, 0
	s_mov_b32 s1, 0
                                        ; implicit-def: $vgpr3
	s_cbranch_execnz .LBB77_187
	s_branch .LBB77_221
.LBB77_39:
	s_mov_b32 s0, 0
	s_mov_b32 s3, 0
	s_cbranch_execnz .LBB77_122
.LBB77_40:
	s_andn2_b32 vcc_lo, exec_lo, s3
	s_cbranch_vccz .LBB77_160
	s_branch .LBB77_270
.LBB77_41:
	s_mov_b32 s2, -1
	s_mov_b32 s37, 0
	s_mov_b32 s1, 0
                                        ; implicit-def: $vgpr3
	s_branch .LBB77_168
.LBB77_42:
	s_mov_b32 s36, -1
	s_mov_b32 s0, 0
	s_mov_b32 s3, 0
	s_branch .LBB77_80
.LBB77_43:
	s_mov_b32 s2, -1
	s_mov_b32 s37, 0
	s_mov_b32 s1, 0
                                        ; implicit-def: $vgpr3
	s_branch .LBB77_163
.LBB77_44:
	s_mov_b32 s36, -1
	s_mov_b32 s0, 0
	s_mov_b32 s3, 0
	s_branch .LBB77_63
.LBB77_45:
	s_mov_b32 s2, -1
	s_mov_b32 s37, 0
	s_branch .LBB77_48
.LBB77_46:
	s_mov_b32 s36, -1
	s_mov_b32 s0, 0
	s_mov_b32 s3, 0
	s_branch .LBB77_59
.LBB77_47:
	s_mov_b32 s37, -1
.LBB77_48:
	s_mov_b32 s1, 0
                                        ; implicit-def: $vgpr3
.LBB77_49:
	s_and_b32 vcc_lo, exec_lo, s2
	s_cbranch_vccz .LBB77_162
; %bb.50:
	s_cmp_eq_u32 s0, 44
	s_cbranch_scc0 .LBB77_161
; %bb.51:
	global_load_ubyte v3, v[1:2], off
	s_mov_b32 s37, 0
	s_mov_b32 s1, -1
	s_waitcnt vmcnt(0)
	v_lshlrev_b32_e32 v4, 23, v3
	v_cmp_ne_u32_e32 vcc_lo, 0xff, v3
	v_cndmask_b32_e32 v4, 0x7f800001, v4, vcc_lo
	v_cmp_ne_u32_e32 vcc_lo, 0, v3
	v_cndmask_b32_e32 v3, 0x400000, v4, vcc_lo
	v_mov_b32_e32 v4, 0x7fc0
	v_cmp_o_f32_e32 vcc_lo, v3, v3
	v_add_nc_u32_e32 v3, 0x7fff, v3
	v_cndmask_b32_sdwa v3, v4, v3, vcc_lo dst_sel:DWORD dst_unused:UNUSED_PAD src0_sel:DWORD src1_sel:WORD_1
	s_branch .LBB77_162
.LBB77_52:
	s_mov_b32 s36, -1
	s_mov_b32 s0, 0
	s_mov_b32 s3, 0
.LBB77_53:
	s_and_b32 vcc_lo, exec_lo, s36
	s_cbranch_vccz .LBB77_58
; %bb.54:
	s_cmp_eq_u32 s2, 44
	s_mov_b32 s0, -1
	s_cbranch_scc0 .LBB77_58
; %bb.55:
	v_and_b32_e32 v3, 0xffff, v2
	v_mov_b32_e32 v4, 0xff
	s_mov_b32 s3, exec_lo
	v_bfe_u32 v5, v3, 7, 8
	v_cmpx_ne_u32_e32 0xff, v5
	s_cbranch_execz .LBB77_57
; %bb.56:
	v_lshlrev_b32_e32 v4, 16, v3
	v_and_b32_e32 v6, 64, v3
	v_lshrrev_b32_e32 v3, 7, v3
	v_and_or_b32 v4, 0x3f0000, v4, v5
	v_cmp_ne_u32_e32 vcc_lo, 0, v6
	v_cmp_ne_u32_e64 s0, 0, v4
	s_and_b32 s0, vcc_lo, s0
	v_cndmask_b32_e64 v4, 0, 1, s0
	v_add_nc_u32_e32 v4, v3, v4
.LBB77_57:
	s_or_b32 exec_lo, exec_lo, s3
	s_mov_b32 s3, -1
	s_mov_b32 s0, 0
	global_store_byte v[0:1], v4, off
.LBB77_58:
	s_mov_b32 s36, 0
.LBB77_59:
	s_and_b32 vcc_lo, exec_lo, s36
	s_cbranch_vccz .LBB77_62
; %bb.60:
	s_cmp_eq_u32 s2, 29
	s_mov_b32 s0, -1
	s_cbranch_scc0 .LBB77_62
; %bb.61:
	v_lshlrev_b32_e32 v3, 16, v2
	s_mov_b32 s3, -1
	s_mov_b32 s0, 0
	s_mov_b32 s36, 0
	v_trunc_f32_e32 v3, v3
	v_mul_f32_e32 v4, 0x2f800000, v3
	v_floor_f32_e32 v4, v4
	v_fmamk_f32 v3, v4, 0xcf800000, v3
	v_cvt_u32_f32_e32 v4, v4
	v_cvt_u32_f32_e32 v3, v3
	global_store_dwordx2 v[0:1], v[3:4], off
	s_branch .LBB77_63
.LBB77_62:
	s_mov_b32 s36, 0
.LBB77_63:
	s_and_b32 vcc_lo, exec_lo, s36
	s_cbranch_vccz .LBB77_79
; %bb.64:
	s_cmp_lt_i32 s2, 27
	s_mov_b32 s3, -1
	s_cbranch_scc1 .LBB77_70
; %bb.65:
	s_cmp_gt_i32 s2, 27
	s_cbranch_scc0 .LBB77_67
; %bb.66:
	v_lshlrev_b32_e32 v3, 16, v2
	s_mov_b32 s3, 0
	v_cvt_u32_f32_e32 v3, v3
	global_store_dword v[0:1], v3, off
.LBB77_67:
	s_andn2_b32 vcc_lo, exec_lo, s3
	s_cbranch_vccnz .LBB77_69
; %bb.68:
	v_lshlrev_b32_e32 v3, 16, v2
	v_cvt_u32_f32_e32 v3, v3
	global_store_short v[0:1], v3, off
.LBB77_69:
	s_mov_b32 s3, 0
.LBB77_70:
	s_andn2_b32 vcc_lo, exec_lo, s3
	s_cbranch_vccnz .LBB77_78
; %bb.71:
	v_lshlrev_b32_e32 v5, 16, v2
	v_mov_b32_e32 v6, 0x80
	s_mov_b32 s3, exec_lo
	v_and_b32_e32 v4, 0x7fffffff, v5
	v_cmpx_gt_u32_e32 0x43800000, v4
	s_cbranch_execz .LBB77_77
; %bb.72:
	v_and_b32_e32 v3, 0xffff, v2
	v_cmp_lt_u32_e32 vcc_lo, 0x3bffffff, v4
	s_mov_b32 s36, 0
                                        ; implicit-def: $vgpr4
	s_and_saveexec_b32 s40, vcc_lo
	s_xor_b32 s40, exec_lo, s40
	s_cbranch_execz .LBB77_319
; %bb.73:
	v_bfe_u32 v4, v3, 4, 1
	s_mov_b32 s36, exec_lo
	v_add3_u32 v4, v5, v4, 0x487ffff
                                        ; implicit-def: $vgpr5
	v_lshrrev_b32_e32 v4, 20, v4
	s_andn2_saveexec_b32 s40, s40
	s_cbranch_execnz .LBB77_320
.LBB77_74:
	s_or_b32 exec_lo, exec_lo, s40
	v_mov_b32_e32 v6, 0
	s_and_saveexec_b32 s40, s36
.LBB77_75:
	v_lshrrev_b32_e32 v3, 8, v3
	v_and_or_b32 v6, 0x80, v3, v4
.LBB77_76:
	s_or_b32 exec_lo, exec_lo, s40
.LBB77_77:
	s_or_b32 exec_lo, exec_lo, s3
	global_store_byte v[0:1], v6, off
.LBB77_78:
	s_mov_b32 s3, -1
.LBB77_79:
	s_mov_b32 s36, 0
.LBB77_80:
	s_and_b32 vcc_lo, exec_lo, s36
	s_cbranch_vccz .LBB77_121
; %bb.81:
	s_cmp_gt_i32 s2, 22
	s_mov_b32 s36, -1
	s_cbranch_scc0 .LBB77_113
; %bb.82:
	s_cmp_lt_i32 s2, 24
	s_mov_b32 s3, -1
	s_cbranch_scc1 .LBB77_102
; %bb.83:
	s_cmp_gt_i32 s2, 24
	s_cbranch_scc0 .LBB77_91
; %bb.84:
	v_lshlrev_b32_e32 v5, 16, v2
	v_mov_b32_e32 v6, 0x80
	s_mov_b32 s3, exec_lo
	v_and_b32_e32 v4, 0x7fffffff, v5
	v_cmpx_gt_u32_e32 0x47800000, v4
	s_cbranch_execz .LBB77_90
; %bb.85:
	v_and_b32_e32 v3, 0xffff, v2
	v_cmp_lt_u32_e32 vcc_lo, 0x37ffffff, v4
	s_mov_b32 s36, 0
                                        ; implicit-def: $vgpr4
	s_and_saveexec_b32 s40, vcc_lo
	s_xor_b32 s40, exec_lo, s40
	s_cbranch_execz .LBB77_323
; %bb.86:
	v_bfe_u32 v4, v3, 5, 1
	s_mov_b32 s36, exec_lo
	v_add3_u32 v4, v5, v4, 0x88fffff
                                        ; implicit-def: $vgpr5
	v_lshrrev_b32_e32 v4, 21, v4
	s_andn2_saveexec_b32 s40, s40
	s_cbranch_execnz .LBB77_324
.LBB77_87:
	s_or_b32 exec_lo, exec_lo, s40
	v_mov_b32_e32 v6, 0
	s_and_saveexec_b32 s40, s36
.LBB77_88:
	v_lshrrev_b32_e32 v3, 8, v3
	v_and_or_b32 v6, 0x80, v3, v4
.LBB77_89:
	s_or_b32 exec_lo, exec_lo, s40
.LBB77_90:
	s_or_b32 exec_lo, exec_lo, s3
	s_mov_b32 s3, 0
	global_store_byte v[0:1], v6, off
.LBB77_91:
	s_and_b32 vcc_lo, exec_lo, s3
	s_cbranch_vccz .LBB77_101
; %bb.92:
	v_lshlrev_b32_e32 v5, 16, v2
	v_and_b32_e32 v3, 0xffff, v2
	s_mov_b32 s3, exec_lo
                                        ; implicit-def: $vgpr4
	v_and_b32_e32 v6, 0x7fffffff, v5
	v_cmpx_gt_u32_e32 0x43f00000, v6
	s_xor_b32 s3, exec_lo, s3
	s_cbranch_execz .LBB77_98
; %bb.93:
	s_mov_b32 s36, exec_lo
                                        ; implicit-def: $vgpr4
	v_cmpx_lt_u32_e32 0x3c7fffff, v6
	s_xor_b32 s36, exec_lo, s36
; %bb.94:
	v_bfe_u32 v4, v3, 4, 1
	v_add3_u32 v4, v5, v4, 0x407ffff
	v_and_b32_e32 v5, 0xff00000, v4
	v_lshrrev_b32_e32 v4, 20, v4
	v_cmp_ne_u32_e32 vcc_lo, 0x7f00000, v5
                                        ; implicit-def: $vgpr5
	v_cndmask_b32_e32 v4, 0x7e, v4, vcc_lo
; %bb.95:
	s_andn2_saveexec_b32 s36, s36
; %bb.96:
	v_add_f32_e64 v4, 0x46800000, |v5|
; %bb.97:
	s_or_b32 exec_lo, exec_lo, s36
                                        ; implicit-def: $vgpr6
.LBB77_98:
	s_andn2_saveexec_b32 s3, s3
; %bb.99:
	v_mov_b32_e32 v4, 0x7f
	v_cmp_lt_u32_e32 vcc_lo, 0x7f800000, v6
	v_cndmask_b32_e32 v4, 0x7e, v4, vcc_lo
; %bb.100:
	s_or_b32 exec_lo, exec_lo, s3
	v_lshrrev_b32_e32 v3, 8, v3
	v_and_or_b32 v3, 0x80, v3, v4
	global_store_byte v[0:1], v3, off
.LBB77_101:
	s_mov_b32 s3, 0
.LBB77_102:
	s_andn2_b32 vcc_lo, exec_lo, s3
	s_cbranch_vccnz .LBB77_112
; %bb.103:
	v_lshlrev_b32_e32 v5, 16, v2
	v_and_b32_e32 v3, 0xffff, v2
	s_mov_b32 s3, exec_lo
                                        ; implicit-def: $vgpr4
	v_and_b32_e32 v6, 0x7fffffff, v5
	v_cmpx_gt_u32_e32 0x47800000, v6
	s_xor_b32 s3, exec_lo, s3
	s_cbranch_execz .LBB77_109
; %bb.104:
	s_mov_b32 s36, exec_lo
                                        ; implicit-def: $vgpr4
	v_cmpx_lt_u32_e32 0x387fffff, v6
	s_xor_b32 s36, exec_lo, s36
; %bb.105:
	v_bfe_u32 v4, v3, 5, 1
	v_add3_u32 v4, v5, v4, 0x80fffff
                                        ; implicit-def: $vgpr5
	v_lshrrev_b32_e32 v4, 21, v4
; %bb.106:
	s_andn2_saveexec_b32 s36, s36
; %bb.107:
	v_add_f32_e64 v4, 0x43000000, |v5|
; %bb.108:
	s_or_b32 exec_lo, exec_lo, s36
                                        ; implicit-def: $vgpr6
.LBB77_109:
	s_andn2_saveexec_b32 s3, s3
; %bb.110:
	v_mov_b32_e32 v4, 0x7f
	v_cmp_lt_u32_e32 vcc_lo, 0x7f800000, v6
	v_cndmask_b32_e32 v4, 0x7c, v4, vcc_lo
; %bb.111:
	s_or_b32 exec_lo, exec_lo, s3
	v_lshrrev_b32_e32 v3, 8, v3
	v_and_or_b32 v3, 0x80, v3, v4
	global_store_byte v[0:1], v3, off
.LBB77_112:
	s_mov_b32 s36, 0
	s_mov_b32 s3, -1
.LBB77_113:
	s_andn2_b32 vcc_lo, exec_lo, s36
	s_cbranch_vccnz .LBB77_121
; %bb.114:
	s_cmp_gt_i32 s2, 14
	s_mov_b32 s36, -1
	s_cbranch_scc0 .LBB77_118
; %bb.115:
	s_cmp_eq_u32 s2, 15
	s_mov_b32 s0, -1
	s_cbranch_scc0 .LBB77_117
; %bb.116:
	s_mov_b32 s3, -1
	s_mov_b32 s0, 0
	global_store_short v[0:1], v2, off
.LBB77_117:
	s_mov_b32 s36, 0
.LBB77_118:
	s_and_b32 vcc_lo, exec_lo, s36
	s_cbranch_vccz .LBB77_121
; %bb.119:
	s_cmp_eq_u32 s2, 11
	s_mov_b32 s0, -1
	s_cbranch_scc0 .LBB77_121
; %bb.120:
	v_and_b32_e32 v3, 0x7fff, v2
	s_mov_b32 s0, 0
	s_mov_b32 s3, -1
	v_cmp_ne_u16_e32 vcc_lo, 0, v3
	v_cndmask_b32_e64 v3, 0, 1, vcc_lo
	global_store_byte v[0:1], v3, off
.LBB77_121:
	s_branch .LBB77_40
.LBB77_122:
	s_and_b32 s1, 0xffff, s1
	s_mov_b32 s2, -1
	s_cmp_lt_i32 s1, 5
	s_cbranch_scc1 .LBB77_143
; %bb.123:
	s_cmp_lt_i32 s1, 8
	s_cbranch_scc1 .LBB77_133
; %bb.124:
	;; [unrolled: 3-line block ×3, first 2 shown]
	s_cmp_gt_i32 s1, 9
	s_cbranch_scc0 .LBB77_127
; %bb.126:
	v_lshlrev_b32_e32 v3, 16, v2
	v_mov_b32_e32 v5, 0
	s_mov_b32 s2, 0
	v_cvt_f64_f32_e32 v[3:4], v3
	v_mov_b32_e32 v6, v5
	global_store_dwordx4 v[0:1], v[3:6], off
.LBB77_127:
	s_andn2_b32 vcc_lo, exec_lo, s2
	s_cbranch_vccnz .LBB77_129
; %bb.128:
	v_lshlrev_b32_e32 v3, 16, v2
	v_mov_b32_e32 v4, 0
	global_store_dwordx2 v[0:1], v[3:4], off
.LBB77_129:
	s_mov_b32 s2, 0
.LBB77_130:
	s_andn2_b32 vcc_lo, exec_lo, s2
	s_cbranch_vccnz .LBB77_132
; %bb.131:
	v_lshlrev_b32_e32 v3, 16, v2
	v_cvt_f16_f32_e32 v3, v3
	v_and_b32_e32 v3, 0xffff, v3
	global_store_dword v[0:1], v3, off
.LBB77_132:
	s_mov_b32 s2, 0
.LBB77_133:
	s_andn2_b32 vcc_lo, exec_lo, s2
	s_cbranch_vccnz .LBB77_142
; %bb.134:
	s_cmp_lt_i32 s1, 6
	s_mov_b32 s2, -1
	s_cbranch_scc1 .LBB77_140
; %bb.135:
	s_cmp_gt_i32 s1, 6
	s_cbranch_scc0 .LBB77_137
; %bb.136:
	v_lshlrev_b32_e32 v3, 16, v2
	s_mov_b32 s2, 0
	v_cvt_f64_f32_e32 v[3:4], v3
	global_store_dwordx2 v[0:1], v[3:4], off
.LBB77_137:
	s_andn2_b32 vcc_lo, exec_lo, s2
	s_cbranch_vccnz .LBB77_139
; %bb.138:
	v_lshlrev_b32_e32 v3, 16, v2
	global_store_dword v[0:1], v3, off
.LBB77_139:
	s_mov_b32 s2, 0
.LBB77_140:
	s_andn2_b32 vcc_lo, exec_lo, s2
	s_cbranch_vccnz .LBB77_142
; %bb.141:
	v_lshlrev_b32_e32 v3, 16, v2
	v_cvt_f16_f32_e32 v3, v3
	global_store_short v[0:1], v3, off
.LBB77_142:
	s_mov_b32 s2, 0
.LBB77_143:
	s_andn2_b32 vcc_lo, exec_lo, s2
	s_cbranch_vccnz .LBB77_159
; %bb.144:
	s_cmp_lt_i32 s1, 2
	s_mov_b32 s2, -1
	s_cbranch_scc1 .LBB77_154
; %bb.145:
	s_cmp_lt_i32 s1, 3
	s_cbranch_scc1 .LBB77_151
; %bb.146:
	s_cmp_gt_i32 s1, 3
	s_cbranch_scc0 .LBB77_148
; %bb.147:
	v_lshlrev_b32_e32 v3, 16, v2
	s_mov_b32 s2, 0
	v_trunc_f32_e32 v3, v3
	v_mul_f32_e64 v4, 0x2f800000, |v3|
	v_ashrrev_i32_e32 v6, 31, v3
	v_floor_f32_e32 v4, v4
	v_fma_f32 v5, 0xcf800000, v4, |v3|
	v_cvt_u32_f32_e32 v4, v4
	v_cvt_u32_f32_e32 v3, v5
	v_xor_b32_e32 v4, v4, v6
	v_xor_b32_e32 v3, v3, v6
	v_sub_co_u32 v3, vcc_lo, v3, v6
	v_sub_co_ci_u32_e64 v4, null, v4, v6, vcc_lo
	global_store_dwordx2 v[0:1], v[3:4], off
.LBB77_148:
	s_andn2_b32 vcc_lo, exec_lo, s2
	s_cbranch_vccnz .LBB77_150
; %bb.149:
	v_lshlrev_b32_e32 v3, 16, v2
	v_cvt_i32_f32_e32 v3, v3
	global_store_dword v[0:1], v3, off
.LBB77_150:
	s_mov_b32 s2, 0
.LBB77_151:
	s_andn2_b32 vcc_lo, exec_lo, s2
	s_cbranch_vccnz .LBB77_153
; %bb.152:
	v_lshlrev_b32_e32 v3, 16, v2
	v_cvt_i32_f32_e32 v3, v3
	global_store_short v[0:1], v3, off
.LBB77_153:
	s_mov_b32 s2, 0
.LBB77_154:
	s_andn2_b32 vcc_lo, exec_lo, s2
	s_cbranch_vccnz .LBB77_159
; %bb.155:
	s_cmp_gt_i32 s1, 0
	s_mov_b32 s1, -1
	s_cbranch_scc0 .LBB77_157
; %bb.156:
	v_lshlrev_b32_e32 v3, 16, v2
	s_mov_b32 s1, 0
	v_cvt_i32_f32_e32 v3, v3
	global_store_byte v[0:1], v3, off
.LBB77_157:
	s_andn2_b32 vcc_lo, exec_lo, s1
	s_cbranch_vccnz .LBB77_159
; %bb.158:
	v_lshlrev_b32_e32 v2, 16, v2
	v_trunc_f32_e32 v2, v2
	v_mul_f32_e64 v3, 0x2f800000, |v2|
	v_floor_f32_e32 v3, v3
	v_fma_f32 v3, 0xcf800000, v3, |v2|
	v_ashrrev_i32_e32 v2, 31, v2
	v_cvt_u32_f32_e32 v3, v3
	v_xor_b32_e32 v3, v3, v2
	v_sub_nc_u32_e32 v2, v3, v2
	global_store_byte v[0:1], v2, off
.LBB77_159:
.LBB77_160:
	v_add_nc_u32_e32 v8, 0x80, v8
	s_mov_b32 s1, -1
	s_branch .LBB77_271
.LBB77_161:
	s_mov_b32 s37, -1
                                        ; implicit-def: $vgpr3
.LBB77_162:
	s_mov_b32 s2, 0
.LBB77_163:
	s_and_b32 vcc_lo, exec_lo, s2
	s_cbranch_vccz .LBB77_167
; %bb.164:
	s_cmp_eq_u32 s0, 29
	s_cbranch_scc0 .LBB77_166
; %bb.165:
	global_load_dwordx2 v[3:4], v[1:2], off
	s_mov_b32 s1, -1
	s_mov_b32 s37, 0
	s_mov_b32 s2, 0
	s_waitcnt vmcnt(0)
	v_ffbh_u32_e32 v5, v4
	v_min_u32_e32 v5, 32, v5
	v_lshlrev_b64 v[3:4], v5, v[3:4]
	v_min_u32_e32 v3, 1, v3
	v_or_b32_e32 v3, v4, v3
	v_sub_nc_u32_e32 v4, 32, v5
	v_cvt_f32_u32_e32 v3, v3
	v_ldexp_f32 v3, v3, v4
	v_bfe_u32 v4, v3, 16, 1
	v_add3_u32 v3, v3, v4, 0x7fff
	v_lshrrev_b32_e32 v3, 16, v3
	s_branch .LBB77_168
.LBB77_166:
	s_mov_b32 s37, -1
                                        ; implicit-def: $vgpr3
.LBB77_167:
	s_mov_b32 s2, 0
.LBB77_168:
	s_and_b32 vcc_lo, exec_lo, s2
	s_cbranch_vccz .LBB77_186
; %bb.169:
	s_cmp_lt_i32 s0, 27
	s_cbranch_scc1 .LBB77_172
; %bb.170:
	s_cmp_gt_i32 s0, 27
	s_cbranch_scc0 .LBB77_173
; %bb.171:
	global_load_dword v3, v[1:2], off
	s_mov_b32 s1, 0
	s_waitcnt vmcnt(0)
	v_cvt_f32_u32_e32 v3, v3
	v_bfe_u32 v4, v3, 16, 1
	v_add3_u32 v3, v3, v4, 0x7fff
	v_lshrrev_b32_e32 v3, 16, v3
	s_branch .LBB77_174
.LBB77_172:
	s_mov_b32 s1, -1
                                        ; implicit-def: $vgpr3
	s_branch .LBB77_177
.LBB77_173:
	s_mov_b32 s1, -1
                                        ; implicit-def: $vgpr3
.LBB77_174:
	s_andn2_b32 vcc_lo, exec_lo, s1
	s_cbranch_vccnz .LBB77_176
; %bb.175:
	global_load_ushort v3, v[1:2], off
	s_waitcnt vmcnt(0)
	v_cvt_f32_u32_e32 v3, v3
	v_bfe_u32 v4, v3, 16, 1
	v_add3_u32 v3, v3, v4, 0x7fff
	v_lshrrev_b32_e32 v3, 16, v3
.LBB77_176:
	s_mov_b32 s1, 0
.LBB77_177:
	s_andn2_b32 vcc_lo, exec_lo, s1
	s_cbranch_vccnz .LBB77_185
; %bb.178:
	global_load_ubyte v3, v[1:2], off
	s_mov_b32 s1, 0
	s_mov_b32 s2, exec_lo
	s_waitcnt vmcnt(0)
	v_cmpx_lt_i16_e32 0x7f, v3
	s_xor_b32 s2, exec_lo, s2
	s_cbranch_execz .LBB77_198
; %bb.179:
	s_mov_b32 s1, -1
	s_mov_b32 s3, exec_lo
	v_cmpx_eq_u16_e32 0x80, v3
; %bb.180:
	s_xor_b32 s1, exec_lo, -1
; %bb.181:
	s_or_b32 exec_lo, exec_lo, s3
	s_and_b32 s1, s1, exec_lo
	s_or_saveexec_b32 s2, s2
	v_mov_b32_e32 v4, 0x7f800001
	s_xor_b32 exec_lo, exec_lo, s2
	s_cbranch_execnz .LBB77_199
.LBB77_182:
	s_or_b32 exec_lo, exec_lo, s2
	s_and_saveexec_b32 s2, s1
	s_cbranch_execz .LBB77_184
.LBB77_183:
	v_and_b32_e32 v4, 0xffff, v3
	v_lshlrev_b32_e32 v3, 24, v3
	v_and_b32_e32 v5, 7, v4
	v_bfe_u32 v9, v4, 3, 4
	v_and_b32_e32 v3, 0x80000000, v3
	v_ffbh_u32_e32 v6, v5
	v_cmp_eq_u32_e32 vcc_lo, 0, v9
	v_min_u32_e32 v6, 32, v6
	v_subrev_nc_u32_e32 v7, 28, v6
	v_sub_nc_u32_e32 v6, 29, v6
	v_lshlrev_b32_e32 v4, v7, v4
	v_cndmask_b32_e32 v6, v9, v6, vcc_lo
	v_and_b32_e32 v4, 7, v4
	v_cndmask_b32_e32 v4, v5, v4, vcc_lo
	v_lshl_add_u32 v5, v6, 23, 0x3b800000
	v_lshlrev_b32_e32 v4, 20, v4
	v_or3_b32 v4, v3, v5, v4
.LBB77_184:
	s_or_b32 exec_lo, exec_lo, s2
	v_bfe_u32 v3, v4, 16, 1
	v_cmp_o_f32_e32 vcc_lo, v4, v4
	v_add3_u32 v3, v4, v3, 0x7fff
	v_mov_b32_e32 v4, 0x7fc0
	v_cndmask_b32_sdwa v3, v4, v3, vcc_lo dst_sel:DWORD dst_unused:UNUSED_PAD src0_sel:DWORD src1_sel:WORD_1
.LBB77_185:
	s_mov_b32 s1, -1
.LBB77_186:
	s_branch .LBB77_221
.LBB77_187:
	s_cmp_gt_i32 s0, 22
	s_cbranch_scc0 .LBB77_197
; %bb.188:
	s_cmp_lt_i32 s0, 24
	s_cbranch_scc1 .LBB77_200
; %bb.189:
	s_cmp_gt_i32 s0, 24
	s_cbranch_scc0 .LBB77_201
; %bb.190:
	global_load_ubyte v3, v[1:2], off
	s_mov_b32 s1, 0
	s_mov_b32 s2, exec_lo
	s_waitcnt vmcnt(0)
	v_cmpx_lt_i16_e32 0x7f, v3
	s_xor_b32 s2, exec_lo, s2
	s_cbranch_execz .LBB77_213
; %bb.191:
	s_mov_b32 s1, -1
	s_mov_b32 s3, exec_lo
	v_cmpx_eq_u16_e32 0x80, v3
; %bb.192:
	s_xor_b32 s1, exec_lo, -1
; %bb.193:
	s_or_b32 exec_lo, exec_lo, s3
	s_and_b32 s1, s1, exec_lo
	s_or_saveexec_b32 s2, s2
	v_mov_b32_e32 v4, 0x7f800001
	s_xor_b32 exec_lo, exec_lo, s2
	s_cbranch_execnz .LBB77_214
.LBB77_194:
	s_or_b32 exec_lo, exec_lo, s2
	s_and_saveexec_b32 s2, s1
	s_cbranch_execz .LBB77_196
.LBB77_195:
	v_and_b32_e32 v4, 0xffff, v3
	v_lshlrev_b32_e32 v3, 24, v3
	v_and_b32_e32 v5, 3, v4
	v_bfe_u32 v9, v4, 2, 5
	v_and_b32_e32 v3, 0x80000000, v3
	v_ffbh_u32_e32 v6, v5
	v_cmp_eq_u32_e32 vcc_lo, 0, v9
	v_min_u32_e32 v6, 32, v6
	v_subrev_nc_u32_e32 v7, 29, v6
	v_sub_nc_u32_e32 v6, 30, v6
	v_lshlrev_b32_e32 v4, v7, v4
	v_cndmask_b32_e32 v6, v9, v6, vcc_lo
	v_and_b32_e32 v4, 3, v4
	v_cndmask_b32_e32 v4, v5, v4, vcc_lo
	v_lshl_add_u32 v5, v6, 23, 0x37800000
	v_lshlrev_b32_e32 v4, 21, v4
	v_or3_b32 v4, v3, v5, v4
.LBB77_196:
	s_or_b32 exec_lo, exec_lo, s2
	v_bfe_u32 v3, v4, 16, 1
	v_cmp_o_f32_e32 vcc_lo, v4, v4
	s_mov_b32 s1, 0
	v_add3_u32 v3, v4, v3, 0x7fff
	v_mov_b32_e32 v4, 0x7fc0
	v_cndmask_b32_sdwa v3, v4, v3, vcc_lo dst_sel:DWORD dst_unused:UNUSED_PAD src0_sel:DWORD src1_sel:WORD_1
	s_branch .LBB77_202
.LBB77_197:
	s_mov_b32 s2, -1
                                        ; implicit-def: $vgpr3
	s_branch .LBB77_208
.LBB77_198:
	s_or_saveexec_b32 s2, s2
	v_mov_b32_e32 v4, 0x7f800001
	s_xor_b32 exec_lo, exec_lo, s2
	s_cbranch_execz .LBB77_182
.LBB77_199:
	v_cmp_ne_u16_e32 vcc_lo, 0, v3
	v_mov_b32_e32 v4, 0
	s_andn2_b32 s1, s1, exec_lo
	s_and_b32 s3, vcc_lo, exec_lo
	s_or_b32 s1, s1, s3
	s_or_b32 exec_lo, exec_lo, s2
	s_and_saveexec_b32 s2, s1
	s_cbranch_execnz .LBB77_183
	s_branch .LBB77_184
.LBB77_200:
	s_mov_b32 s1, -1
                                        ; implicit-def: $vgpr3
	s_branch .LBB77_205
.LBB77_201:
	s_mov_b32 s1, -1
                                        ; implicit-def: $vgpr3
.LBB77_202:
	s_and_b32 vcc_lo, exec_lo, s1
	s_cbranch_vccz .LBB77_204
; %bb.203:
	global_load_ubyte v3, v[1:2], off
	s_waitcnt vmcnt(0)
	v_lshlrev_b32_e32 v3, 24, v3
	v_and_b32_e32 v4, 0x7f000000, v3
	v_ffbh_u32_e32 v5, v4
	v_add_nc_u32_e32 v7, 0x1000000, v4
	v_cmp_ne_u32_e32 vcc_lo, 0, v4
	v_min_u32_e32 v5, 32, v5
	v_sub_nc_u32_e64 v5, v5, 4 clamp
	v_lshlrev_b32_e32 v6, v5, v4
	v_lshlrev_b32_e32 v5, 23, v5
	v_lshrrev_b32_e32 v6, 4, v6
	v_sub_nc_u32_e32 v5, v6, v5
	v_ashrrev_i32_e32 v6, 8, v7
	v_add_nc_u32_e32 v5, 0x3c000000, v5
	v_and_or_b32 v5, 0x7f800000, v6, v5
	v_cndmask_b32_e32 v4, 0, v5, vcc_lo
	v_and_or_b32 v3, 0x80000000, v3, v4
	v_bfe_u32 v4, v4, 16, 1
	v_cmp_o_f32_e32 vcc_lo, v3, v3
	v_add3_u32 v3, v3, v4, 0x7fff
	v_mov_b32_e32 v4, 0x7fc0
	v_cndmask_b32_sdwa v3, v4, v3, vcc_lo dst_sel:DWORD dst_unused:UNUSED_PAD src0_sel:DWORD src1_sel:WORD_1
.LBB77_204:
	s_mov_b32 s1, 0
.LBB77_205:
	s_andn2_b32 vcc_lo, exec_lo, s1
	s_cbranch_vccnz .LBB77_207
; %bb.206:
	global_load_ubyte v3, v[1:2], off
	s_waitcnt vmcnt(0)
	v_lshlrev_b32_e32 v4, 25, v3
	v_lshlrev_b16 v3, 8, v3
	v_lshrrev_b32_e32 v5, 4, v4
	v_and_or_b32 v6, 0x7f00, v3, 0.5
	v_cmp_gt_u32_e32 vcc_lo, 0x8000000, v4
	v_bfe_i32 v3, v3, 0, 16
	v_or_b32_e32 v5, 0x70000000, v5
	v_add_f32_e32 v6, -0.5, v6
	v_mul_f32_e32 v5, 0x7800000, v5
	v_cndmask_b32_e32 v4, v5, v6, vcc_lo
	v_and_or_b32 v3, 0x80000000, v3, v4
	v_bfe_u32 v4, v4, 16, 1
	v_cmp_o_f32_e32 vcc_lo, v3, v3
	v_add3_u32 v3, v3, v4, 0x7fff
	v_mov_b32_e32 v4, 0x7fc0
	v_cndmask_b32_sdwa v3, v4, v3, vcc_lo dst_sel:DWORD dst_unused:UNUSED_PAD src0_sel:DWORD src1_sel:WORD_1
.LBB77_207:
	s_mov_b32 s2, 0
	s_mov_b32 s1, -1
.LBB77_208:
	s_andn2_b32 vcc_lo, exec_lo, s2
	s_cbranch_vccnz .LBB77_221
; %bb.209:
	s_cmp_gt_i32 s0, 14
	s_cbranch_scc0 .LBB77_212
; %bb.210:
	s_cmp_eq_u32 s0, 15
	s_cbranch_scc0 .LBB77_215
; %bb.211:
	global_load_ushort v3, v[1:2], off
	s_mov_b32 s1, -1
	s_mov_b32 s37, 0
	s_branch .LBB77_216
.LBB77_212:
	s_mov_b32 s2, -1
                                        ; implicit-def: $vgpr3
	s_branch .LBB77_217
.LBB77_213:
	s_or_saveexec_b32 s2, s2
	v_mov_b32_e32 v4, 0x7f800001
	s_xor_b32 exec_lo, exec_lo, s2
	s_cbranch_execz .LBB77_194
.LBB77_214:
	v_cmp_ne_u16_e32 vcc_lo, 0, v3
	v_mov_b32_e32 v4, 0
	s_andn2_b32 s1, s1, exec_lo
	s_and_b32 s3, vcc_lo, exec_lo
	s_or_b32 s1, s1, s3
	s_or_b32 exec_lo, exec_lo, s2
	s_and_saveexec_b32 s2, s1
	s_cbranch_execnz .LBB77_195
	s_branch .LBB77_196
.LBB77_215:
	s_mov_b32 s37, -1
                                        ; implicit-def: $vgpr3
.LBB77_216:
	s_mov_b32 s2, 0
.LBB77_217:
	s_and_b32 vcc_lo, exec_lo, s2
	s_cbranch_vccz .LBB77_221
; %bb.218:
	s_cmp_eq_u32 s0, 11
	s_cbranch_scc0 .LBB77_220
; %bb.219:
	global_load_ubyte v3, v[1:2], off
	s_mov_b32 s37, 0
	s_mov_b32 s1, -1
	s_waitcnt vmcnt(0)
	v_cmp_ne_u16_e32 vcc_lo, 0, v3
	v_cndmask_b32_e64 v3, 0, 1.0, vcc_lo
	v_lshrrev_b32_e32 v3, 16, v3
	s_branch .LBB77_221
.LBB77_220:
	s_mov_b32 s37, -1
                                        ; implicit-def: $vgpr3
.LBB77_221:
	s_branch .LBB77_24
.LBB77_222:
	s_cmp_lt_i32 s0, 5
	s_cbranch_scc1 .LBB77_227
; %bb.223:
	s_cmp_lt_i32 s0, 8
	s_cbranch_scc1 .LBB77_228
; %bb.224:
	s_cmp_lt_i32 s0, 9
	s_cbranch_scc1 .LBB77_229
; %bb.225:
	s_cmp_gt_i32 s0, 9
	s_cbranch_scc0 .LBB77_230
; %bb.226:
	global_load_dwordx2 v[3:4], v[1:2], off
	s_mov_b32 s1, 0
	s_waitcnt vmcnt(0)
	v_cvt_f32_f64_e32 v3, v[3:4]
	v_bfe_u32 v4, v3, 16, 1
	v_cmp_o_f32_e32 vcc_lo, v3, v3
	v_add3_u32 v3, v3, v4, 0x7fff
	v_mov_b32_e32 v4, 0x7fc0
	v_cndmask_b32_sdwa v3, v4, v3, vcc_lo dst_sel:DWORD dst_unused:UNUSED_PAD src0_sel:DWORD src1_sel:WORD_1
	s_branch .LBB77_231
.LBB77_227:
                                        ; implicit-def: $vgpr3
	s_branch .LBB77_249
.LBB77_228:
	s_mov_b32 s1, -1
                                        ; implicit-def: $vgpr3
	s_branch .LBB77_237
.LBB77_229:
	s_mov_b32 s1, -1
                                        ; implicit-def: $vgpr3
	s_branch .LBB77_234
.LBB77_230:
	s_mov_b32 s1, -1
                                        ; implicit-def: $vgpr3
.LBB77_231:
	s_andn2_b32 vcc_lo, exec_lo, s1
	s_cbranch_vccnz .LBB77_233
; %bb.232:
	global_load_dword v3, v[1:2], off
	s_waitcnt vmcnt(0)
	v_bfe_u32 v4, v3, 16, 1
	v_cmp_o_f32_e32 vcc_lo, v3, v3
	v_add3_u32 v3, v3, v4, 0x7fff
	v_mov_b32_e32 v4, 0x7fc0
	v_cndmask_b32_sdwa v3, v4, v3, vcc_lo dst_sel:DWORD dst_unused:UNUSED_PAD src0_sel:DWORD src1_sel:WORD_1
.LBB77_233:
	s_mov_b32 s1, 0
.LBB77_234:
	s_andn2_b32 vcc_lo, exec_lo, s1
	s_cbranch_vccnz .LBB77_236
; %bb.235:
	global_load_dword v3, v[1:2], off
	s_waitcnt vmcnt(0)
	v_cvt_f32_f16_e32 v4, v3
	v_cmp_o_f16_e32 vcc_lo, v3, v3
	v_bfe_u32 v5, v4, 16, 1
	v_add3_u32 v3, v4, v5, 0x7fff
	v_mov_b32_e32 v4, 0x7fc0
	v_cndmask_b32_sdwa v3, v4, v3, vcc_lo dst_sel:DWORD dst_unused:UNUSED_PAD src0_sel:DWORD src1_sel:WORD_1
.LBB77_236:
	s_mov_b32 s1, 0
.LBB77_237:
	s_andn2_b32 vcc_lo, exec_lo, s1
	s_cbranch_vccnz .LBB77_248
; %bb.238:
	s_cmp_lt_i32 s0, 6
	s_cbranch_scc1 .LBB77_241
; %bb.239:
	s_cmp_gt_i32 s0, 6
	s_cbranch_scc0 .LBB77_242
; %bb.240:
	global_load_dwordx2 v[3:4], v[1:2], off
	s_mov_b32 s1, 0
	s_waitcnt vmcnt(0)
	v_cvt_f32_f64_e32 v3, v[3:4]
	v_bfe_u32 v4, v3, 16, 1
	v_cmp_o_f32_e32 vcc_lo, v3, v3
	v_add3_u32 v3, v3, v4, 0x7fff
	v_mov_b32_e32 v4, 0x7fc0
	v_cndmask_b32_sdwa v3, v4, v3, vcc_lo dst_sel:DWORD dst_unused:UNUSED_PAD src0_sel:DWORD src1_sel:WORD_1
	s_branch .LBB77_243
.LBB77_241:
	s_mov_b32 s1, -1
                                        ; implicit-def: $vgpr3
	s_branch .LBB77_246
.LBB77_242:
	s_mov_b32 s1, -1
                                        ; implicit-def: $vgpr3
.LBB77_243:
	s_andn2_b32 vcc_lo, exec_lo, s1
	s_cbranch_vccnz .LBB77_245
; %bb.244:
	global_load_dword v3, v[1:2], off
	s_waitcnt vmcnt(0)
	v_bfe_u32 v4, v3, 16, 1
	v_cmp_o_f32_e32 vcc_lo, v3, v3
	v_add3_u32 v3, v3, v4, 0x7fff
	v_mov_b32_e32 v4, 0x7fc0
	v_cndmask_b32_sdwa v3, v4, v3, vcc_lo dst_sel:DWORD dst_unused:UNUSED_PAD src0_sel:DWORD src1_sel:WORD_1
.LBB77_245:
	s_mov_b32 s1, 0
.LBB77_246:
	s_andn2_b32 vcc_lo, exec_lo, s1
	s_cbranch_vccnz .LBB77_248
; %bb.247:
	global_load_ushort v3, v[1:2], off
	s_waitcnt vmcnt(0)
	v_cvt_f32_f16_e32 v4, v3
	v_cmp_o_f16_e32 vcc_lo, v3, v3
	v_bfe_u32 v5, v4, 16, 1
	v_add3_u32 v3, v4, v5, 0x7fff
	v_mov_b32_e32 v4, 0x7fc0
	v_cndmask_b32_sdwa v3, v4, v3, vcc_lo dst_sel:DWORD dst_unused:UNUSED_PAD src0_sel:DWORD src1_sel:WORD_1
.LBB77_248:
	s_cbranch_execnz .LBB77_268
.LBB77_249:
	s_cmp_lt_i32 s0, 2
	s_cbranch_scc1 .LBB77_253
; %bb.250:
	s_cmp_lt_i32 s0, 3
	s_cbranch_scc1 .LBB77_254
; %bb.251:
	s_cmp_gt_i32 s0, 3
	s_cbranch_scc0 .LBB77_255
; %bb.252:
	global_load_dwordx2 v[3:4], v[1:2], off
	s_mov_b32 s1, 0
	s_waitcnt vmcnt(0)
	v_xor_b32_e32 v5, v3, v4
	v_ffbh_i32_e32 v6, v4
	v_ashrrev_i32_e32 v5, 31, v5
	v_add_nc_u32_e32 v6, -1, v6
	v_add_nc_u32_e32 v5, 32, v5
	v_min_u32_e32 v5, v6, v5
	v_lshlrev_b64 v[3:4], v5, v[3:4]
	v_min_u32_e32 v3, 1, v3
	v_or_b32_e32 v3, v4, v3
	v_sub_nc_u32_e32 v4, 32, v5
	v_cvt_f32_i32_e32 v3, v3
	v_ldexp_f32 v3, v3, v4
	v_bfe_u32 v4, v3, 16, 1
	v_add3_u32 v3, v3, v4, 0x7fff
	v_lshrrev_b32_e32 v3, 16, v3
	s_branch .LBB77_256
.LBB77_253:
	s_mov_b32 s1, -1
                                        ; implicit-def: $vgpr3
	s_branch .LBB77_262
.LBB77_254:
	s_mov_b32 s1, -1
                                        ; implicit-def: $vgpr3
	s_branch .LBB77_259
.LBB77_255:
	s_mov_b32 s1, -1
                                        ; implicit-def: $vgpr3
.LBB77_256:
	s_andn2_b32 vcc_lo, exec_lo, s1
	s_cbranch_vccnz .LBB77_258
; %bb.257:
	global_load_dword v3, v[1:2], off
	s_waitcnt vmcnt(0)
	v_cvt_f32_i32_e32 v3, v3
	v_bfe_u32 v4, v3, 16, 1
	v_add3_u32 v3, v3, v4, 0x7fff
	v_lshrrev_b32_e32 v3, 16, v3
.LBB77_258:
	s_mov_b32 s1, 0
.LBB77_259:
	s_andn2_b32 vcc_lo, exec_lo, s1
	s_cbranch_vccnz .LBB77_261
; %bb.260:
	global_load_sshort v3, v[1:2], off
	s_waitcnt vmcnt(0)
	v_cvt_f32_i32_e32 v3, v3
	v_bfe_u32 v4, v3, 16, 1
	v_add3_u32 v3, v3, v4, 0x7fff
	v_lshrrev_b32_e32 v3, 16, v3
.LBB77_261:
	s_mov_b32 s1, 0
.LBB77_262:
	s_andn2_b32 vcc_lo, exec_lo, s1
	s_cbranch_vccnz .LBB77_268
; %bb.263:
	s_cmp_gt_i32 s0, 0
	s_mov_b32 s0, 0
	s_cbranch_scc0 .LBB77_265
; %bb.264:
	global_load_sbyte v3, v[1:2], off
	s_waitcnt vmcnt(0)
	v_cvt_f32_i32_e32 v3, v3
	v_bfe_u32 v4, v3, 16, 1
	v_add3_u32 v3, v3, v4, 0x7fff
	v_lshrrev_b32_e32 v3, 16, v3
	s_branch .LBB77_266
.LBB77_265:
	s_mov_b32 s0, -1
                                        ; implicit-def: $vgpr3
.LBB77_266:
	s_andn2_b32 vcc_lo, exec_lo, s0
	s_cbranch_vccnz .LBB77_268
; %bb.267:
	global_load_ubyte v1, v[1:2], off
	s_waitcnt vmcnt(0)
	v_cvt_f32_ubyte0_e32 v1, v1
	v_bfe_u32 v2, v1, 16, 1
	v_add3_u32 v1, v1, v2, 0x7fff
	v_lshrrev_b32_e32 v3, 16, v1
.LBB77_268:
	s_branch .LBB77_25
.LBB77_269:
	s_mov_b32 s0, 0
.LBB77_270:
	s_mov_b32 s1, 0
                                        ; implicit-def: $vgpr8
.LBB77_271:
	s_and_b32 s36, s0, exec_lo
	s_and_b32 s37, s37, exec_lo
	s_orn2_b32 s1, s1, exec_lo
.LBB77_272:
	s_or_b32 exec_lo, exec_lo, s38
	s_mov_b32 s2, 0
	s_mov_b32 s0, 0
                                        ; implicit-def: $vgpr1_vgpr2
                                        ; implicit-def: $vgpr0
                                        ; implicit-def: $vgpr4
	s_and_saveexec_b32 s38, s1
	s_cbranch_execz .LBB77_279
; %bb.273:
	s_mov_b32 s0, -1
	s_mov_b32 s39, s37
	s_mov_b32 s40, s36
	s_mov_b32 s41, exec_lo
	v_cmpx_gt_i32_e64 s33, v8
	s_cbranch_execz .LBB77_555
; %bb.274:
	s_andn2_b32 vcc_lo, exec_lo, s27
	s_cbranch_vccnz .LBB77_282
; %bb.275:
	s_andn2_b32 vcc_lo, exec_lo, s34
	s_cbranch_vccnz .LBB77_283
; %bb.276:
	s_add_i32 s40, s35, 1
	s_cmp_eq_u32 s25, 2
	s_cbranch_scc1 .LBB77_284
; %bb.277:
	v_mov_b32_e32 v2, 0
	v_mov_b32_e32 v0, 0
	;; [unrolled: 1-line block ×3, first 2 shown]
	s_and_b32 s39, s40, 28
	s_mov_b32 s42, 0
	s_mov_b64 s[0:1], s[6:7]
	s_mov_b64 s[2:3], s[22:23]
.LBB77_278:                             ; =>This Inner Loop Header: Depth=1
	s_clause 0x1
	s_load_dwordx8 s[44:51], s[0:1], 0x4
	s_load_dwordx4 s[60:63], s[0:1], 0x24
	s_load_dwordx8 s[52:59], s[2:3], 0x0
	s_add_u32 s0, s0, 48
	s_addc_u32 s1, s1, 0
	s_add_i32 s42, s42, 4
	s_add_u32 s2, s2, 32
	s_addc_u32 s3, s3, 0
	s_cmp_eq_u32 s39, s42
	s_waitcnt vmcnt(0) lgkmcnt(0)
	v_mul_hi_u32 v3, s45, v1
	v_add_nc_u32_e32 v3, v1, v3
	v_lshrrev_b32_e32 v3, s46, v3
	v_mul_hi_u32 v4, s48, v3
	v_mul_lo_u32 v6, v3, s44
	v_add_nc_u32_e32 v4, v3, v4
	v_sub_nc_u32_e32 v1, v1, v6
	v_lshrrev_b32_e32 v4, s49, v4
	v_mul_lo_u32 v6, v1, s52
	v_mul_lo_u32 v9, v1, s53
	v_mul_hi_u32 v5, s51, v4
	v_add_nc_u32_e32 v5, v4, v5
	v_lshrrev_b32_e32 v5, s60, v5
	v_mul_hi_u32 v7, s62, v5
	v_mul_lo_u32 v10, v5, s50
	v_add_nc_u32_e32 v1, v5, v7
	v_mul_lo_u32 v7, v4, s47
	v_sub_nc_u32_e32 v4, v4, v10
	v_lshrrev_b32_e32 v1, s63, v1
	v_mul_lo_u32 v10, v4, s56
	v_mul_lo_u32 v4, v4, s57
	v_sub_nc_u32_e32 v3, v3, v7
	v_mul_lo_u32 v11, v1, s61
	v_mul_lo_u32 v7, v3, s54
	v_mul_lo_u32 v3, v3, s55
	v_sub_nc_u32_e32 v5, v5, v11
	v_add3_u32 v0, v6, v0, v7
	v_mul_lo_u32 v11, v5, s58
	v_mul_lo_u32 v5, v5, s59
	v_add3_u32 v2, v9, v2, v3
	v_add3_u32 v0, v10, v0, v11
	;; [unrolled: 1-line block ×3, first 2 shown]
	s_cbranch_scc0 .LBB77_278
	s_branch .LBB77_285
.LBB77_279:
	s_or_b32 exec_lo, exec_lo, s38
	s_waitcnt lgkmcnt(0)
	s_mov_b32 s10, 0
	s_and_saveexec_b32 s1, s37
	s_cbranch_execnz .LBB77_939
.LBB77_280:
	s_or_b32 exec_lo, exec_lo, s1
	s_and_saveexec_b32 s1, s39
	s_xor_b32 s1, exec_lo, s1
	s_cbranch_execz .LBB77_940
.LBB77_281:
	global_load_ubyte v3, v[1:2], off
	s_or_b32 s0, s0, exec_lo
	s_waitcnt vmcnt(0)
	v_cmp_ne_u16_e32 vcc_lo, 0, v3
	v_cndmask_b32_e64 v3, 0, 1.0, vcc_lo
	v_lshrrev_b32_e32 v4, 16, v3
	s_or_b32 exec_lo, exec_lo, s1
	s_and_saveexec_b32 s1, s2
	s_cbranch_execz .LBB77_986
	s_branch .LBB77_941
.LBB77_282:
                                        ; implicit-def: $vgpr0
                                        ; implicit-def: $vgpr2
	s_andn2_b32 vcc_lo, exec_lo, s0
	s_cbranch_vccz .LBB77_289
	s_branch .LBB77_291
.LBB77_283:
	v_mov_b32_e32 v0, 0
	v_mov_b32_e32 v2, 0
	s_branch .LBB77_288
.LBB77_284:
	v_mov_b32_e32 v0, 0
	v_mov_b32_e32 v2, 0
	;; [unrolled: 1-line block ×3, first 2 shown]
	s_mov_b32 s39, 0
.LBB77_285:
	s_and_b32 s40, s40, 3
	s_cmp_eq_u32 s40, 0
	s_cbranch_scc1 .LBB77_288
; %bb.286:
	s_lshl_b32 s0, s39, 3
	s_mul_i32 s2, s39, 12
	s_add_u32 s0, s6, s0
	s_addc_u32 s1, s7, 0
	s_add_u32 s0, s0, 0xc4
	s_addc_u32 s1, s1, 0
	;; [unrolled: 2-line block ×3, first 2 shown]
	.p2align	6
.LBB77_287:                             ; =>This Inner Loop Header: Depth=1
	s_clause 0x1
	s_load_dwordx2 s[42:43], s[2:3], 0x4
	s_load_dword s39, s[2:3], 0xc
	s_load_dwordx2 s[44:45], s[0:1], 0x0
	s_add_u32 s2, s2, 12
	s_addc_u32 s3, s3, 0
	s_add_u32 s0, s0, 8
	s_addc_u32 s1, s1, 0
	s_add_i32 s40, s40, -1
	s_cmp_lg_u32 s40, 0
	s_waitcnt vmcnt(0) lgkmcnt(0)
	v_mul_hi_u32 v3, s43, v1
	v_add_nc_u32_e32 v3, v1, v3
	v_lshrrev_b32_e32 v4, s39, v3
	v_mul_lo_u32 v3, v4, s42
	v_sub_nc_u32_e32 v3, v1, v3
	v_mad_u64_u32 v[0:1], null, v3, s44, v[0:1]
	v_mad_u64_u32 v[2:3], null, v3, s45, v[2:3]
	v_mov_b32_e32 v1, v4
	s_cbranch_scc1 .LBB77_287
.LBB77_288:
	s_cbranch_execnz .LBB77_291
.LBB77_289:
	s_waitcnt lgkmcnt(0)
	v_mul_hi_u32 v0, s17, v8
	s_andn2_b32 vcc_lo, exec_lo, s31
	v_add_nc_u32_e32 v0, v8, v0
	v_lshrrev_b32_e32 v1, s18, v0
	v_mul_lo_u32 v0, v1, s16
	v_sub_nc_u32_e32 v2, v8, v0
	v_mul_lo_u32 v0, v2, s12
	v_mul_lo_u32 v2, v2, s13
	s_cbranch_vccnz .LBB77_291
; %bb.290:
	s_waitcnt vmcnt(0)
	v_mul_hi_u32 v3, s20, v1
	v_add_nc_u32_e32 v3, v1, v3
	v_lshrrev_b32_e32 v3, s21, v3
	v_mul_lo_u32 v3, v3, s19
	v_sub_nc_u32_e32 v3, v1, v3
	v_mad_u64_u32 v[0:1], null, v3, s14, v[0:1]
	v_mad_u64_u32 v[2:3], null, v3, s15, v[2:3]
.LBB77_291:
	s_waitcnt lgkmcnt(0)
	v_add_co_u32 v1, s0, s10, v2
	v_add_co_ci_u32_e64 v2, null, s11, 0, s0
	s_and_b32 s0, 0xffff, s30
	s_cmp_lt_i32 s0, 11
	s_cbranch_scc1 .LBB77_298
; %bb.292:
	s_cmp_gt_i32 s0, 25
	s_cbranch_scc0 .LBB77_313
; %bb.293:
	s_cmp_gt_i32 s0, 28
	s_cbranch_scc0 .LBB77_315
	;; [unrolled: 3-line block ×4, first 2 shown]
; %bb.296:
	s_cmp_eq_u32 s0, 46
	s_mov_b32 s2, 0
	s_cbranch_scc0 .LBB77_325
; %bb.297:
	global_load_dword v3, v[1:2], off
	s_mov_b32 s1, -1
	s_mov_b32 s39, 0
	s_branch .LBB77_327
.LBB77_298:
	s_mov_b32 s1, 0
	s_mov_b32 s39, s37
                                        ; implicit-def: $vgpr3
	s_cbranch_execnz .LBB77_504
.LBB77_299:
	s_andn2_b32 vcc_lo, exec_lo, s1
	s_cbranch_vccnz .LBB77_552
.LBB77_300:
	s_waitcnt vmcnt(0)
	v_lshlrev_b32_e32 v1, 16, v3
	v_mov_b32_e32 v3, 0
	v_mov_b32_e32 v2, 1.0
	s_mov_b32 s2, exec_lo
	v_cmpx_gt_f32_e32 0.5, v1
	s_cbranch_execz .LBB77_306
; %bb.301:
	v_mul_f32_e32 v2, 0x40490fdb, v1
                                        ; implicit-def: $vgpr5
                                        ; implicit-def: $vgpr4
	s_mov_b32 s1, exec_lo
	v_and_b32_e32 v3, 0x7fffffff, v2
	v_cmpx_ngt_f32_e64 0x48000000, |v2|
	s_xor_b32 s3, exec_lo, s1
	s_cbranch_execz .LBB77_303
; %bb.302:
	s_mov_b32 s0, 0x7fffff
	v_mov_b32_e32 v6, 0
	v_and_or_b32 v7, v3, s0, 0x800000
	v_lshrrev_b32_e32 v13, 23, v3
	v_mad_u64_u32 v[4:5], null, 0xfe5163ab, v7, 0
	v_add_nc_u32_e32 v14, 0xffffff88, v13
	v_cmp_lt_u32_e32 vcc_lo, 63, v14
	v_mad_u64_u32 v[9:10], null, 0x3c439041, v7, v[5:6]
	v_cndmask_b32_e64 v15, 0, 0xffffffc0, vcc_lo
	v_mov_b32_e32 v5, v10
	v_add_nc_u32_e32 v15, v15, v14
	v_mad_u64_u32 v[10:11], null, 0xdb629599, v7, v[5:6]
	v_cmp_lt_u32_e64 s0, 31, v15
	v_cndmask_b32_e64 v16, 0, 0xffffffe0, s0
	v_mov_b32_e32 v5, v11
	v_cndmask_b32_e32 v4, v10, v4, vcc_lo
	v_mad_u64_u32 v[11:12], null, 0xf534ddc0, v7, v[5:6]
	v_mov_b32_e32 v5, v12
	v_cndmask_b32_e32 v9, v11, v9, vcc_lo
	v_mad_u64_u32 v[12:13], null, 0xfc2757d1, v7, v[5:6]
	v_cndmask_b32_e64 v4, v9, v4, s0
	v_mov_b32_e32 v5, v13
	v_mad_u64_u32 v[13:14], null, 0x4e441529, v7, v[5:6]
	v_mov_b32_e32 v5, v14
	v_add_nc_u32_e32 v14, v16, v15
	v_cndmask_b32_e32 v15, v13, v11, vcc_lo
	v_mad_u64_u32 v[5:6], null, 0xa2f9836e, v7, v[5:6]
	v_cmp_lt_u32_e64 s1, 31, v14
	v_cndmask_b32_e64 v7, 0, 0xffffffe0, s1
	v_cndmask_b32_e32 v5, v5, v12, vcc_lo
	v_cndmask_b32_e32 v6, v6, v13, vcc_lo
	;; [unrolled: 1-line block ×3, first 2 shown]
	v_add_nc_u32_e32 v7, v7, v14
	v_cndmask_b32_e64 v11, v5, v15, s0
	v_cndmask_b32_e64 v5, v6, v5, s0
	;; [unrolled: 1-line block ×4, first 2 shown]
	v_sub_nc_u32_e32 v13, 32, v7
	v_cmp_eq_u32_e32 vcc_lo, 0, v7
	v_cndmask_b32_e64 v5, v5, v11, s1
	v_cndmask_b32_e64 v11, v11, v6, s1
	;; [unrolled: 1-line block ×4, first 2 shown]
	v_alignbit_b32 v14, v5, v11, v13
	v_alignbit_b32 v10, v11, v6, v13
	;; [unrolled: 1-line block ×3, first 2 shown]
	v_cndmask_b32_e32 v5, v14, v5, vcc_lo
	v_cndmask_b32_e32 v7, v10, v11, vcc_lo
	;; [unrolled: 1-line block ×3, first 2 shown]
	v_bfe_u32 v9, v5, 29, 1
	v_alignbit_b32 v10, v5, v7, 30
	v_alignbit_b32 v7, v7, v6, 30
	;; [unrolled: 1-line block ×3, first 2 shown]
	v_sub_nc_u32_e32 v11, 0, v9
	v_xor_b32_e32 v10, v10, v11
	v_xor_b32_e32 v6, v7, v11
	;; [unrolled: 1-line block ×3, first 2 shown]
	v_lshrrev_b32_e32 v11, 29, v5
	v_lshrrev_b32_e32 v5, 30, v5
	v_ffbh_u32_e32 v12, v10
	v_add_nc_u32_e32 v5, v9, v5
	v_min_u32_e32 v12, 32, v12
	v_sub_nc_u32_e32 v7, 31, v12
	v_lshlrev_b32_e32 v13, 23, v12
	v_alignbit_b32 v10, v10, v6, v7
	v_alignbit_b32 v4, v6, v4, v7
	v_lshlrev_b32_e32 v6, 31, v11
	v_alignbit_b32 v7, v10, v4, 9
	v_or_b32_e32 v11, 0.5, v6
	v_lshrrev_b32_e32 v10, 9, v10
	v_or_b32_e32 v6, 0x33000000, v6
	v_ffbh_u32_e32 v14, v7
	v_sub_nc_u32_e32 v11, v11, v13
	v_min_u32_e32 v13, 32, v14
	v_or_b32_e32 v10, v10, v11
	v_not_b32_e32 v11, v13
	v_mul_f32_e32 v14, 0x3fc90fda, v10
	v_add_lshl_u32 v12, v13, v12, 23
	v_alignbit_b32 v4, v7, v4, v11
	v_fma_f32 v7, 0x3fc90fda, v10, -v14
	v_sub_nc_u32_e32 v6, v6, v12
	v_lshrrev_b32_e32 v4, 9, v4
	v_fmamk_f32 v7, v10, 0x33a22168, v7
	v_or_b32_e32 v4, v6, v4
	v_fmac_f32_e32 v7, 0x3fc90fda, v4
	v_add_f32_e32 v4, v14, v7
.LBB77_303:
	s_andn2_saveexec_b32 s0, s3
; %bb.304:
	v_mul_f32_e64 v4, 0x3f22f983, |v2|
	v_rndne_f32_e32 v5, v4
	v_fma_f32 v4, 0xbfc90fda, v5, |v2|
	v_fmamk_f32 v4, v5, 0xb3a22168, v4
	v_fmamk_f32 v4, v5, 0xa7c234c4, v4
	v_cvt_i32_f32_e32 v5, v5
; %bb.305:
	s_or_b32 exec_lo, exec_lo, s0
	v_mul_f32_e32 v6, v4, v4
	s_mov_b32 s0, 0xb94c1982
	s_mov_b32 s1, 0x37d75334
	v_and_b32_e32 v10, 1, v5
	v_lshlrev_b32_e32 v5, 30, v5
	v_fmaak_f32 v7, s0, v6, 0x3c0881c4
	v_fmaak_f32 v9, s1, v6, 0xbab64f3b
	v_xor_b32_e32 v3, v3, v2
	v_cmp_eq_u32_e32 vcc_lo, 0, v10
	v_and_b32_e32 v5, 0x80000000, v5
	v_fmaak_f32 v7, v6, v7, 0xbe2aaa9d
	v_fmaak_f32 v9, v6, v9, 0x3d2aabf7
	v_sub_f32_e32 v1, 1.0, v1
	v_mul_f32_e32 v7, v6, v7
	v_fmaak_f32 v9, v6, v9, 0xbf000004
	v_fmac_f32_e32 v4, v4, v7
	v_fma_f32 v6, v6, v9, 1.0
	v_cndmask_b32_e32 v4, v6, v4, vcc_lo
	v_cmp_class_f32_e64 vcc_lo, v2, 0x1f8
	v_xor3_b32 v3, v3, v5, v4
	v_cndmask_b32_e32 v2, 0x7fc00000, v3, vcc_lo
	v_mul_f32_e32 v2, v2, v2
	v_div_scale_f32 v3, null, v2, v2, 0xc11de9e7
	v_div_scale_f32 v6, vcc_lo, 0xc11de9e7, v2, 0xc11de9e7
	v_rcp_f32_e32 v4, v3
	v_fma_f32 v5, -v3, v4, 1.0
	v_fmac_f32_e32 v4, v5, v4
	v_mul_f32_e32 v5, v6, v4
	v_fma_f32 v7, -v3, v5, v6
	v_fmac_f32_e32 v5, v7, v4
	v_fma_f32 v3, -v3, v5, v6
	v_div_fmas_f32 v3, v3, v4, v5
	v_div_fixup_f32 v2, v3, v2, 0xc11de9e7
	v_add_f32_e32 v3, 0, v2
	v_mov_b32_e32 v2, -1.0
.LBB77_306:
	s_or_b32 exec_lo, exec_lo, s2
	v_add_f32_e32 v4, 1.0, v1
	v_mul_f32_e32 v1, v1, v1
	v_mul_f32_e32 v5, v4, v4
	v_add_f32_e32 v4, 1.0, v4
	v_div_scale_f32 v6, null, v1, v1, 1.0
	v_div_scale_f32 v9, vcc_lo, 1.0, v1, 1.0
	v_mul_f32_e32 v10, v4, v4
	v_div_scale_f32 v7, null, v5, v5, 1.0
	v_rcp_f32_e32 v11, v6
	v_div_scale_f32 v14, s0, 1.0, v5, 1.0
	v_div_scale_f32 v13, null, v10, v10, 1.0
	v_rcp_f32_e32 v12, v7
	v_add_f32_e32 v4, 1.0, v4
	v_div_scale_f32 v15, s1, 1.0, v10, 1.0
	v_rcp_f32_e32 v16, v13
	v_fma_f32 v18, -v6, v11, 1.0
	v_mul_f32_e32 v17, v4, v4
	v_add_f32_e32 v4, 1.0, v4
	v_fma_f32 v19, -v7, v12, 1.0
	v_fmac_f32_e32 v11, v18, v11
	v_mul_f32_e32 v21, v4, v4
	v_add_f32_e32 v4, 1.0, v4
	v_fma_f32 v18, -v13, v16, 1.0
	v_fmac_f32_e32 v12, v19, v12
	v_mul_f32_e32 v22, v9, v11
	v_div_scale_f32 v20, null, v17, v17, 1.0
	v_fmac_f32_e32 v16, v18, v16
	v_mul_f32_e32 v23, v14, v12
	v_fma_f32 v24, -v6, v22, v9
	v_add_f32_e32 v27, 1.0, v4
	v_rcp_f32_e32 v19, v20
	v_mul_f32_e32 v26, v15, v16
	v_fma_f32 v25, -v7, v23, v14
	v_fmac_f32_e32 v22, v24, v11
	v_mul_f32_e32 v4, v4, v4
	v_div_scale_f32 v18, null, v21, v21, 1.0
	v_fma_f32 v24, -v13, v26, v15
	v_fmac_f32_e32 v23, v25, v12
	v_fma_f32 v6, -v6, v22, v9
	v_mul_f32_e32 v9, v27, v27
	v_rcp_f32_e32 v25, v18
	v_fmac_f32_e32 v26, v24, v16
	v_fma_f32 v7, -v7, v23, v14
	v_div_fmas_f32 v6, v6, v11, v22
	s_mov_b32 vcc_lo, s0
	v_fma_f32 v28, -v20, v19, 1.0
	v_fma_f32 v11, -v13, v26, v15
	v_div_fmas_f32 v7, v7, v12, v23
	s_mov_b32 vcc_lo, s1
	v_div_scale_f32 v12, null, v4, v4, 1.0
	v_div_fmas_f32 v11, v11, v16, v26
	v_div_scale_f32 v13, null, v9, v9, 1.0
	v_add_f32_e32 v16, v27, v27
	v_rcp_f32_e32 v15, v12
	v_fmac_f32_e32 v19, v28, v19
	v_rcp_f32_e32 v23, v13
	v_div_scale_f32 v14, vcc_lo, 1.0, v17, 1.0
	v_div_scale_f32 v26, null, v16, v16, 1.0
	v_fma_f32 v22, -v18, v25, 1.0
	v_mul_f32_e32 v24, v14, v19
	v_div_fixup_f32 v1, v6, v1, 1.0
	v_rcp_f32_e32 v29, v26
	v_fma_f32 v28, -v12, v15, 1.0
	v_fmac_f32_e32 v25, v22, v25
	v_div_scale_f32 v22, s0, 1.0, v21, 1.0
	v_fma_f32 v31, -v13, v23, 1.0
	v_fma_f32 v30, -v20, v24, v14
	v_fmac_f32_e32 v15, v28, v15
	v_div_scale_f32 v28, s1, 1.0, v4, 1.0
	v_mul_f32_e32 v32, v22, v25
	v_fmac_f32_e32 v23, v31, v23
	v_div_scale_f32 v31, s2, 1.0, v9, 1.0
	v_fma_f32 v33, -v26, v29, 1.0
	v_fmac_f32_e32 v24, v30, v19
	v_mul_f32_e32 v34, v28, v15
	v_fma_f32 v30, -v18, v32, v22
	v_mul_f32_e32 v35, v31, v23
	v_fmac_f32_e32 v29, v33, v29
	v_div_scale_f32 v33, s3, 1.0, v16, 1.0
	v_fma_f32 v14, -v20, v24, v14
	v_fma_f32 v20, -v12, v34, v28
	v_fmac_f32_e32 v32, v30, v25
	v_fma_f32 v30, -v13, v35, v31
	v_mul_f32_e32 v36, v33, v29
	v_div_fmas_f32 v14, v14, v19, v24
	v_fmac_f32_e32 v34, v20, v15
	v_fma_f32 v18, -v18, v32, v22
	v_fmac_f32_e32 v35, v30, v23
	v_fma_f32 v19, -v26, v36, v33
	s_mov_b32 vcc_lo, s0
	v_fma_f32 v12, -v12, v34, v28
	v_div_fmas_f32 v18, v18, v25, v32
	v_fma_f32 v13, -v13, v35, v31
	v_fmac_f32_e32 v36, v19, v29
	s_mov_b32 vcc_lo, s1
	s_mov_b32 s0, 0xbcc30c31
	v_div_fmas_f32 v12, v12, v15, v34
	s_mov_b32 vcc_lo, s2
	v_fma_f32 v15, -v26, v36, v33
	v_div_fmas_f32 v13, v13, v23, v35
	s_mov_b32 vcc_lo, s3
	v_add_f32_e32 v1, v3, v1
	v_div_fixup_f32 v3, v7, v5, 1.0
	v_div_fmas_f32 v15, v15, v29, v36
	v_div_fixup_f32 v9, v13, v9, 1.0
	s_and_b32 s1, s29, 0xff
	v_add_f32_e32 v1, v1, v3
	v_div_fixup_f32 v13, v15, v16, 1.0
	v_fmaak_f32 v15, s0, v9, 0x3d088889
	v_div_fixup_f32 v3, v11, v10, 1.0
	v_add_co_u32 v0, s0, s8, v0
	v_add_f32_e32 v13, 1.0, v13
	v_fma_f32 v15, -v9, v15, 0x3e2aaaab
	v_add_f32_e32 v1, v1, v3
	v_div_fixup_f32 v3, v14, v17, 1.0
	s_cmp_lt_i32 s1, 11
	v_fmac_f32_e32 v13, v9, v15
	v_add_f32_e32 v1, v1, v3
	v_div_fixup_f32 v3, v18, v21, 1.0
	v_div_scale_f32 v9, null, v27, v27, v13
	v_div_scale_f32 v5, vcc_lo, v13, v27, v13
	v_add_f32_e32 v1, v1, v3
	v_rcp_f32_e32 v15, v9
	v_div_fixup_f32 v3, v12, v4, 1.0
	v_add_f32_e32 v1, v1, v3
	v_fma_f32 v6, -v9, v15, 1.0
	v_fmac_f32_e32 v15, v6, v15
	v_mul_f32_e32 v6, v5, v15
	v_fma_f32 v7, -v9, v6, v5
	v_fmac_f32_e32 v6, v7, v15
	v_fma_f32 v5, -v9, v6, v5
	v_div_fmas_f32 v4, v5, v15, v6
	v_div_fixup_f32 v3, v4, v27, v13
	v_add_f32_e32 v1, v1, v3
	v_mov_b32_e32 v3, 0x7fc0
	v_mul_f32_e32 v1, v2, v1
	v_bfe_u32 v2, v1, 16, 1
	v_cmp_o_f32_e32 vcc_lo, v1, v1
	v_add3_u32 v2, v1, v2, 0x7fff
	v_add_co_ci_u32_e64 v1, null, s9, 0, s0
	v_cndmask_b32_sdwa v2, v3, v2, vcc_lo dst_sel:DWORD dst_unused:UNUSED_PAD src0_sel:DWORD src1_sel:WORD_1
	s_cbranch_scc1 .LBB77_314
; %bb.307:
	s_and_b32 s2, 0xffff, s1
	s_cmp_gt_i32 s2, 25
	s_cbranch_scc0 .LBB77_316
; %bb.308:
	s_cmp_gt_i32 s2, 28
	s_cbranch_scc0 .LBB77_318
; %bb.309:
	;; [unrolled: 3-line block ×4, first 2 shown]
	s_mov_b32 s40, 0
	s_mov_b32 s0, -1
	s_cmp_eq_u32 s2, 46
	s_mov_b32 s3, 0
	s_cbranch_scc0 .LBB77_331
; %bb.312:
	v_and_b32_e32 v3, 0xffff, v2
	s_mov_b32 s3, -1
	s_mov_b32 s0, 0
	global_store_dword v[0:1], v3, off
	s_branch .LBB77_331
.LBB77_313:
	s_mov_b32 s2, -1
	s_mov_b32 s1, 0
	s_mov_b32 s39, s37
                                        ; implicit-def: $vgpr3
	s_branch .LBB77_468
.LBB77_314:
	s_mov_b32 s2, -1
	s_mov_b32 s3, 0
	s_mov_b32 s0, s36
	s_branch .LBB77_400
.LBB77_315:
	s_mov_b32 s2, -1
	s_mov_b32 s1, 0
	s_mov_b32 s39, s37
                                        ; implicit-def: $vgpr3
	s_branch .LBB77_449
.LBB77_316:
	s_mov_b32 s40, -1
	s_mov_b32 s3, 0
	s_mov_b32 s0, s36
	s_branch .LBB77_358
.LBB77_317:
	s_mov_b32 s2, -1
	s_mov_b32 s1, 0
	s_mov_b32 s39, s37
                                        ; implicit-def: $vgpr3
	s_branch .LBB77_444
.LBB77_318:
	s_mov_b32 s40, -1
	s_mov_b32 s3, 0
	s_mov_b32 s0, s36
	s_branch .LBB77_341
.LBB77_319:
	s_andn2_saveexec_b32 s40, s40
	s_cbranch_execz .LBB77_74
.LBB77_320:
	v_add_f32_e64 v4, 0x46000000, |v5|
	s_andn2_b32 s36, s36, exec_lo
	v_and_b32_e32 v4, 0xff, v4
	v_cmp_ne_u32_e32 vcc_lo, 0, v4
	s_and_b32 s41, vcc_lo, exec_lo
	s_or_b32 s36, s36, s41
	s_or_b32 exec_lo, exec_lo, s40
	v_mov_b32_e32 v6, 0
	s_and_saveexec_b32 s40, s36
	s_cbranch_execnz .LBB77_75
	s_branch .LBB77_76
.LBB77_321:
	s_mov_b32 s2, -1
	s_mov_b32 s1, 0
	s_mov_b32 s39, s37
	s_branch .LBB77_326
.LBB77_322:
	s_mov_b32 s40, -1
	s_mov_b32 s3, 0
	s_mov_b32 s0, s36
	s_branch .LBB77_337
.LBB77_323:
	s_andn2_saveexec_b32 s40, s40
	s_cbranch_execz .LBB77_87
.LBB77_324:
	v_add_f32_e64 v4, 0x42800000, |v5|
	s_andn2_b32 s36, s36, exec_lo
	v_and_b32_e32 v4, 0xff, v4
	v_cmp_ne_u32_e32 vcc_lo, 0, v4
	s_and_b32 s41, vcc_lo, exec_lo
	s_or_b32 s36, s36, s41
	s_or_b32 exec_lo, exec_lo, s40
	v_mov_b32_e32 v6, 0
	s_and_saveexec_b32 s40, s36
	s_cbranch_execnz .LBB77_88
	s_branch .LBB77_89
.LBB77_325:
	s_mov_b32 s39, -1
	s_mov_b32 s1, 0
.LBB77_326:
                                        ; implicit-def: $vgpr3
.LBB77_327:
	s_and_b32 vcc_lo, exec_lo, s2
	s_cbranch_vccz .LBB77_443
; %bb.328:
	s_cmp_eq_u32 s0, 44
	s_cbranch_scc0 .LBB77_442
; %bb.329:
	global_load_ubyte v3, v[1:2], off
	s_mov_b32 s39, 0
	s_mov_b32 s1, -1
	s_waitcnt vmcnt(0)
	v_lshlrev_b32_e32 v4, 23, v3
	v_cmp_ne_u32_e32 vcc_lo, 0xff, v3
	v_cndmask_b32_e32 v4, 0x7f800001, v4, vcc_lo
	v_cmp_ne_u32_e32 vcc_lo, 0, v3
	v_cndmask_b32_e32 v3, 0x400000, v4, vcc_lo
	v_mov_b32_e32 v4, 0x7fc0
	v_cmp_o_f32_e32 vcc_lo, v3, v3
	v_add_nc_u32_e32 v3, 0x7fff, v3
	v_cndmask_b32_sdwa v3, v4, v3, vcc_lo dst_sel:DWORD dst_unused:UNUSED_PAD src0_sel:DWORD src1_sel:WORD_1
	s_branch .LBB77_443
.LBB77_330:
	s_mov_b32 s40, -1
	s_mov_b32 s3, 0
	s_mov_b32 s0, s36
.LBB77_331:
	s_and_b32 vcc_lo, exec_lo, s40
	s_cbranch_vccz .LBB77_336
; %bb.332:
	s_cmp_eq_u32 s2, 44
	s_mov_b32 s0, -1
	s_cbranch_scc0 .LBB77_336
; %bb.333:
	v_and_b32_e32 v3, 0xffff, v2
	v_mov_b32_e32 v4, 0xff
	s_mov_b32 s3, exec_lo
	v_bfe_u32 v5, v3, 7, 8
	v_cmpx_ne_u32_e32 0xff, v5
	s_cbranch_execz .LBB77_335
; %bb.334:
	v_lshlrev_b32_e32 v4, 16, v3
	v_and_b32_e32 v6, 64, v3
	v_lshrrev_b32_e32 v3, 7, v3
	v_and_or_b32 v4, 0x3f0000, v4, v5
	v_cmp_ne_u32_e32 vcc_lo, 0, v6
	v_cmp_ne_u32_e64 s0, 0, v4
	s_and_b32 s0, vcc_lo, s0
	v_cndmask_b32_e64 v4, 0, 1, s0
	v_add_nc_u32_e32 v4, v3, v4
.LBB77_335:
	s_or_b32 exec_lo, exec_lo, s3
	s_mov_b32 s3, -1
	s_mov_b32 s0, 0
	global_store_byte v[0:1], v4, off
.LBB77_336:
	s_mov_b32 s40, 0
.LBB77_337:
	s_and_b32 vcc_lo, exec_lo, s40
	s_cbranch_vccz .LBB77_340
; %bb.338:
	s_cmp_eq_u32 s2, 29
	s_mov_b32 s0, -1
	s_cbranch_scc0 .LBB77_340
; %bb.339:
	v_lshlrev_b32_e32 v3, 16, v2
	s_mov_b32 s3, -1
	s_mov_b32 s0, 0
	s_mov_b32 s40, 0
	v_trunc_f32_e32 v3, v3
	v_mul_f32_e32 v4, 0x2f800000, v3
	v_floor_f32_e32 v4, v4
	v_fmamk_f32 v3, v4, 0xcf800000, v3
	v_cvt_u32_f32_e32 v4, v4
	v_cvt_u32_f32_e32 v3, v3
	global_store_dwordx2 v[0:1], v[3:4], off
	s_branch .LBB77_341
.LBB77_340:
	s_mov_b32 s40, 0
.LBB77_341:
	s_and_b32 vcc_lo, exec_lo, s40
	s_cbranch_vccz .LBB77_357
; %bb.342:
	s_cmp_lt_i32 s2, 27
	s_mov_b32 s3, -1
	s_cbranch_scc1 .LBB77_348
; %bb.343:
	s_cmp_gt_i32 s2, 27
	s_cbranch_scc0 .LBB77_345
; %bb.344:
	v_lshlrev_b32_e32 v3, 16, v2
	s_mov_b32 s3, 0
	v_cvt_u32_f32_e32 v3, v3
	global_store_dword v[0:1], v3, off
.LBB77_345:
	s_andn2_b32 vcc_lo, exec_lo, s3
	s_cbranch_vccnz .LBB77_347
; %bb.346:
	v_lshlrev_b32_e32 v3, 16, v2
	v_cvt_u32_f32_e32 v3, v3
	global_store_short v[0:1], v3, off
.LBB77_347:
	s_mov_b32 s3, 0
.LBB77_348:
	s_andn2_b32 vcc_lo, exec_lo, s3
	s_cbranch_vccnz .LBB77_356
; %bb.349:
	v_lshlrev_b32_e32 v5, 16, v2
	v_mov_b32_e32 v6, 0x80
	s_mov_b32 s3, exec_lo
	v_and_b32_e32 v4, 0x7fffffff, v5
	v_cmpx_gt_u32_e32 0x43800000, v4
	s_cbranch_execz .LBB77_355
; %bb.350:
	v_and_b32_e32 v3, 0xffff, v2
	v_cmp_lt_u32_e32 vcc_lo, 0x3bffffff, v4
	s_mov_b32 s40, 0
                                        ; implicit-def: $vgpr4
	s_and_saveexec_b32 s42, vcc_lo
	s_xor_b32 s42, exec_lo, s42
	s_cbranch_execz .LBB77_583
; %bb.351:
	v_bfe_u32 v4, v3, 4, 1
	s_mov_b32 s40, exec_lo
	v_add3_u32 v4, v5, v4, 0x487ffff
                                        ; implicit-def: $vgpr5
	v_lshrrev_b32_e32 v4, 20, v4
	s_andn2_saveexec_b32 s42, s42
	s_cbranch_execnz .LBB77_584
.LBB77_352:
	s_or_b32 exec_lo, exec_lo, s42
	v_mov_b32_e32 v6, 0
	s_and_saveexec_b32 s42, s40
.LBB77_353:
	v_lshrrev_b32_e32 v3, 8, v3
	v_and_or_b32 v6, 0x80, v3, v4
.LBB77_354:
	s_or_b32 exec_lo, exec_lo, s42
.LBB77_355:
	s_or_b32 exec_lo, exec_lo, s3
	global_store_byte v[0:1], v6, off
.LBB77_356:
	s_mov_b32 s3, -1
.LBB77_357:
	s_mov_b32 s40, 0
.LBB77_358:
	s_and_b32 vcc_lo, exec_lo, s40
	s_cbranch_vccz .LBB77_399
; %bb.359:
	s_cmp_gt_i32 s2, 22
	s_mov_b32 s40, -1
	s_cbranch_scc0 .LBB77_391
; %bb.360:
	s_cmp_lt_i32 s2, 24
	s_mov_b32 s3, -1
	s_cbranch_scc1 .LBB77_380
; %bb.361:
	s_cmp_gt_i32 s2, 24
	s_cbranch_scc0 .LBB77_369
; %bb.362:
	v_lshlrev_b32_e32 v5, 16, v2
	v_mov_b32_e32 v6, 0x80
	s_mov_b32 s3, exec_lo
	v_and_b32_e32 v4, 0x7fffffff, v5
	v_cmpx_gt_u32_e32 0x47800000, v4
	s_cbranch_execz .LBB77_368
; %bb.363:
	v_and_b32_e32 v3, 0xffff, v2
	v_cmp_lt_u32_e32 vcc_lo, 0x37ffffff, v4
	s_mov_b32 s40, 0
                                        ; implicit-def: $vgpr4
	s_and_saveexec_b32 s42, vcc_lo
	s_xor_b32 s42, exec_lo, s42
	s_cbranch_execz .LBB77_586
; %bb.364:
	v_bfe_u32 v4, v3, 5, 1
	s_mov_b32 s40, exec_lo
	v_add3_u32 v4, v5, v4, 0x88fffff
                                        ; implicit-def: $vgpr5
	v_lshrrev_b32_e32 v4, 21, v4
	s_andn2_saveexec_b32 s42, s42
	s_cbranch_execnz .LBB77_587
.LBB77_365:
	s_or_b32 exec_lo, exec_lo, s42
	v_mov_b32_e32 v6, 0
	s_and_saveexec_b32 s42, s40
.LBB77_366:
	v_lshrrev_b32_e32 v3, 8, v3
	v_and_or_b32 v6, 0x80, v3, v4
.LBB77_367:
	s_or_b32 exec_lo, exec_lo, s42
.LBB77_368:
	s_or_b32 exec_lo, exec_lo, s3
	s_mov_b32 s3, 0
	global_store_byte v[0:1], v6, off
.LBB77_369:
	s_and_b32 vcc_lo, exec_lo, s3
	s_cbranch_vccz .LBB77_379
; %bb.370:
	v_lshlrev_b32_e32 v5, 16, v2
	v_and_b32_e32 v3, 0xffff, v2
	s_mov_b32 s3, exec_lo
                                        ; implicit-def: $vgpr4
	v_and_b32_e32 v6, 0x7fffffff, v5
	v_cmpx_gt_u32_e32 0x43f00000, v6
	s_xor_b32 s3, exec_lo, s3
	s_cbranch_execz .LBB77_376
; %bb.371:
	s_mov_b32 s40, exec_lo
                                        ; implicit-def: $vgpr4
	v_cmpx_lt_u32_e32 0x3c7fffff, v6
	s_xor_b32 s40, exec_lo, s40
; %bb.372:
	v_bfe_u32 v4, v3, 4, 1
	v_add3_u32 v4, v5, v4, 0x407ffff
	v_and_b32_e32 v5, 0xff00000, v4
	v_lshrrev_b32_e32 v4, 20, v4
	v_cmp_ne_u32_e32 vcc_lo, 0x7f00000, v5
                                        ; implicit-def: $vgpr5
	v_cndmask_b32_e32 v4, 0x7e, v4, vcc_lo
; %bb.373:
	s_andn2_saveexec_b32 s40, s40
; %bb.374:
	v_add_f32_e64 v4, 0x46800000, |v5|
; %bb.375:
	s_or_b32 exec_lo, exec_lo, s40
                                        ; implicit-def: $vgpr6
.LBB77_376:
	s_andn2_saveexec_b32 s3, s3
; %bb.377:
	v_mov_b32_e32 v4, 0x7f
	v_cmp_lt_u32_e32 vcc_lo, 0x7f800000, v6
	v_cndmask_b32_e32 v4, 0x7e, v4, vcc_lo
; %bb.378:
	s_or_b32 exec_lo, exec_lo, s3
	v_lshrrev_b32_e32 v3, 8, v3
	v_and_or_b32 v3, 0x80, v3, v4
	global_store_byte v[0:1], v3, off
.LBB77_379:
	s_mov_b32 s3, 0
.LBB77_380:
	s_andn2_b32 vcc_lo, exec_lo, s3
	s_cbranch_vccnz .LBB77_390
; %bb.381:
	v_lshlrev_b32_e32 v5, 16, v2
	v_and_b32_e32 v3, 0xffff, v2
	s_mov_b32 s3, exec_lo
                                        ; implicit-def: $vgpr4
	v_and_b32_e32 v6, 0x7fffffff, v5
	v_cmpx_gt_u32_e32 0x47800000, v6
	s_xor_b32 s3, exec_lo, s3
	s_cbranch_execz .LBB77_387
; %bb.382:
	s_mov_b32 s40, exec_lo
                                        ; implicit-def: $vgpr4
	v_cmpx_lt_u32_e32 0x387fffff, v6
	s_xor_b32 s40, exec_lo, s40
; %bb.383:
	v_bfe_u32 v4, v3, 5, 1
	v_add3_u32 v4, v5, v4, 0x80fffff
                                        ; implicit-def: $vgpr5
	v_lshrrev_b32_e32 v4, 21, v4
; %bb.384:
	s_andn2_saveexec_b32 s40, s40
; %bb.385:
	v_add_f32_e64 v4, 0x43000000, |v5|
; %bb.386:
	s_or_b32 exec_lo, exec_lo, s40
                                        ; implicit-def: $vgpr6
.LBB77_387:
	s_andn2_saveexec_b32 s3, s3
; %bb.388:
	v_mov_b32_e32 v4, 0x7f
	v_cmp_lt_u32_e32 vcc_lo, 0x7f800000, v6
	v_cndmask_b32_e32 v4, 0x7c, v4, vcc_lo
; %bb.389:
	s_or_b32 exec_lo, exec_lo, s3
	v_lshrrev_b32_e32 v3, 8, v3
	v_and_or_b32 v3, 0x80, v3, v4
	global_store_byte v[0:1], v3, off
.LBB77_390:
	s_mov_b32 s40, 0
	s_mov_b32 s3, -1
.LBB77_391:
	s_andn2_b32 vcc_lo, exec_lo, s40
	s_cbranch_vccnz .LBB77_399
; %bb.392:
	s_cmp_gt_i32 s2, 14
	s_mov_b32 s40, -1
	s_cbranch_scc0 .LBB77_396
; %bb.393:
	s_cmp_eq_u32 s2, 15
	s_mov_b32 s0, -1
	s_cbranch_scc0 .LBB77_395
; %bb.394:
	s_mov_b32 s3, -1
	s_mov_b32 s0, 0
	global_store_short v[0:1], v2, off
.LBB77_395:
	s_mov_b32 s40, 0
.LBB77_396:
	s_and_b32 vcc_lo, exec_lo, s40
	s_cbranch_vccz .LBB77_399
; %bb.397:
	s_cmp_eq_u32 s2, 11
	s_mov_b32 s0, -1
	s_cbranch_scc0 .LBB77_399
; %bb.398:
	v_and_b32_e32 v3, 0x7fff, v2
	s_mov_b32 s0, 0
	s_mov_b32 s3, -1
	v_cmp_ne_u16_e32 vcc_lo, 0, v3
	v_cndmask_b32_e64 v3, 0, 1, vcc_lo
	global_store_byte v[0:1], v3, off
.LBB77_399:
	s_mov_b32 s2, 0
.LBB77_400:
	s_and_b32 vcc_lo, exec_lo, s2
	s_cbranch_vccz .LBB77_439
; %bb.401:
	s_and_b32 s1, 0xffff, s1
	s_mov_b32 s2, -1
	s_cmp_lt_i32 s1, 5
	s_cbranch_scc1 .LBB77_422
; %bb.402:
	s_cmp_lt_i32 s1, 8
	s_cbranch_scc1 .LBB77_412
; %bb.403:
	;; [unrolled: 3-line block ×3, first 2 shown]
	s_cmp_gt_i32 s1, 9
	s_cbranch_scc0 .LBB77_406
; %bb.405:
	v_lshlrev_b32_e32 v3, 16, v2
	v_mov_b32_e32 v5, 0
	s_mov_b32 s2, 0
	v_cvt_f64_f32_e32 v[3:4], v3
	v_mov_b32_e32 v6, v5
	global_store_dwordx4 v[0:1], v[3:6], off
.LBB77_406:
	s_andn2_b32 vcc_lo, exec_lo, s2
	s_cbranch_vccnz .LBB77_408
; %bb.407:
	v_lshlrev_b32_e32 v3, 16, v2
	v_mov_b32_e32 v4, 0
	global_store_dwordx2 v[0:1], v[3:4], off
.LBB77_408:
	s_mov_b32 s2, 0
.LBB77_409:
	s_andn2_b32 vcc_lo, exec_lo, s2
	s_cbranch_vccnz .LBB77_411
; %bb.410:
	v_lshlrev_b32_e32 v3, 16, v2
	v_cvt_f16_f32_e32 v3, v3
	v_and_b32_e32 v3, 0xffff, v3
	global_store_dword v[0:1], v3, off
.LBB77_411:
	s_mov_b32 s2, 0
.LBB77_412:
	s_andn2_b32 vcc_lo, exec_lo, s2
	s_cbranch_vccnz .LBB77_421
; %bb.413:
	s_cmp_lt_i32 s1, 6
	s_mov_b32 s2, -1
	s_cbranch_scc1 .LBB77_419
; %bb.414:
	s_cmp_gt_i32 s1, 6
	s_cbranch_scc0 .LBB77_416
; %bb.415:
	v_lshlrev_b32_e32 v3, 16, v2
	s_mov_b32 s2, 0
	v_cvt_f64_f32_e32 v[3:4], v3
	global_store_dwordx2 v[0:1], v[3:4], off
.LBB77_416:
	s_andn2_b32 vcc_lo, exec_lo, s2
	s_cbranch_vccnz .LBB77_418
; %bb.417:
	v_lshlrev_b32_e32 v3, 16, v2
	global_store_dword v[0:1], v3, off
.LBB77_418:
	s_mov_b32 s2, 0
.LBB77_419:
	s_andn2_b32 vcc_lo, exec_lo, s2
	s_cbranch_vccnz .LBB77_421
; %bb.420:
	v_lshlrev_b32_e32 v3, 16, v2
	v_cvt_f16_f32_e32 v3, v3
	global_store_short v[0:1], v3, off
.LBB77_421:
	s_mov_b32 s2, 0
.LBB77_422:
	s_andn2_b32 vcc_lo, exec_lo, s2
	s_cbranch_vccnz .LBB77_438
; %bb.423:
	s_cmp_lt_i32 s1, 2
	s_mov_b32 s2, -1
	s_cbranch_scc1 .LBB77_433
; %bb.424:
	s_cmp_lt_i32 s1, 3
	s_cbranch_scc1 .LBB77_430
; %bb.425:
	s_cmp_gt_i32 s1, 3
	s_cbranch_scc0 .LBB77_427
; %bb.426:
	v_lshlrev_b32_e32 v3, 16, v2
	s_mov_b32 s2, 0
	v_trunc_f32_e32 v3, v3
	v_mul_f32_e64 v4, 0x2f800000, |v3|
	v_ashrrev_i32_e32 v6, 31, v3
	v_floor_f32_e32 v4, v4
	v_fma_f32 v5, 0xcf800000, v4, |v3|
	v_cvt_u32_f32_e32 v4, v4
	v_cvt_u32_f32_e32 v3, v5
	v_xor_b32_e32 v4, v4, v6
	v_xor_b32_e32 v3, v3, v6
	v_sub_co_u32 v3, vcc_lo, v3, v6
	v_sub_co_ci_u32_e64 v4, null, v4, v6, vcc_lo
	global_store_dwordx2 v[0:1], v[3:4], off
.LBB77_427:
	s_andn2_b32 vcc_lo, exec_lo, s2
	s_cbranch_vccnz .LBB77_429
; %bb.428:
	v_lshlrev_b32_e32 v3, 16, v2
	v_cvt_i32_f32_e32 v3, v3
	global_store_dword v[0:1], v3, off
.LBB77_429:
	s_mov_b32 s2, 0
.LBB77_430:
	s_andn2_b32 vcc_lo, exec_lo, s2
	s_cbranch_vccnz .LBB77_432
; %bb.431:
	v_lshlrev_b32_e32 v3, 16, v2
	v_cvt_i32_f32_e32 v3, v3
	global_store_short v[0:1], v3, off
.LBB77_432:
	s_mov_b32 s2, 0
.LBB77_433:
	s_andn2_b32 vcc_lo, exec_lo, s2
	s_cbranch_vccnz .LBB77_438
; %bb.434:
	v_lshlrev_b32_e32 v2, 16, v2
	s_cmp_gt_i32 s1, 0
	s_mov_b32 s1, -1
	s_cbranch_scc0 .LBB77_436
; %bb.435:
	v_cvt_i32_f32_e32 v3, v2
	s_mov_b32 s1, 0
	global_store_byte v[0:1], v3, off
.LBB77_436:
	s_andn2_b32 vcc_lo, exec_lo, s1
	s_cbranch_vccnz .LBB77_438
; %bb.437:
	v_trunc_f32_e32 v2, v2
	v_mul_f32_e64 v3, 0x2f800000, |v2|
	v_floor_f32_e32 v3, v3
	v_fma_f32 v3, 0xcf800000, v3, |v2|
	v_ashrrev_i32_e32 v2, 31, v2
	v_cvt_u32_f32_e32 v3, v3
	v_xor_b32_e32 v3, v3, v2
	v_sub_nc_u32_e32 v2, v3, v2
	global_store_byte v[0:1], v2, off
.LBB77_438:
	s_mov_b32 s3, -1
.LBB77_439:
	s_andn2_b32 vcc_lo, exec_lo, s3
	s_cbranch_vccnz .LBB77_441
; %bb.440:
	v_add_nc_u32_e32 v8, 0x80, v8
	s_mov_b32 s1, -1
	s_branch .LBB77_554
.LBB77_441:
	s_mov_b32 s1, 0
	s_branch .LBB77_553
.LBB77_442:
	s_mov_b32 s39, -1
                                        ; implicit-def: $vgpr3
.LBB77_443:
	s_mov_b32 s2, 0
.LBB77_444:
	s_and_b32 vcc_lo, exec_lo, s2
	s_cbranch_vccz .LBB77_448
; %bb.445:
	s_cmp_eq_u32 s0, 29
	s_cbranch_scc0 .LBB77_447
; %bb.446:
	global_load_dwordx2 v[3:4], v[1:2], off
	s_mov_b32 s1, -1
	s_mov_b32 s39, 0
	s_mov_b32 s2, 0
	s_waitcnt vmcnt(0)
	v_ffbh_u32_e32 v5, v4
	v_min_u32_e32 v5, 32, v5
	v_lshlrev_b64 v[3:4], v5, v[3:4]
	v_min_u32_e32 v3, 1, v3
	v_or_b32_e32 v3, v4, v3
	v_sub_nc_u32_e32 v4, 32, v5
	v_cvt_f32_u32_e32 v3, v3
	v_ldexp_f32 v3, v3, v4
	v_bfe_u32 v4, v3, 16, 1
	v_add3_u32 v3, v3, v4, 0x7fff
	v_lshrrev_b32_e32 v3, 16, v3
	s_branch .LBB77_449
.LBB77_447:
	s_mov_b32 s39, -1
                                        ; implicit-def: $vgpr3
.LBB77_448:
	s_mov_b32 s2, 0
.LBB77_449:
	s_and_b32 vcc_lo, exec_lo, s2
	s_cbranch_vccz .LBB77_467
; %bb.450:
	s_cmp_lt_i32 s0, 27
	s_cbranch_scc1 .LBB77_453
; %bb.451:
	s_cmp_gt_i32 s0, 27
	s_cbranch_scc0 .LBB77_454
; %bb.452:
	global_load_dword v3, v[1:2], off
	s_mov_b32 s1, 0
	s_waitcnt vmcnt(0)
	v_cvt_f32_u32_e32 v3, v3
	v_bfe_u32 v4, v3, 16, 1
	v_add3_u32 v3, v3, v4, 0x7fff
	v_lshrrev_b32_e32 v3, 16, v3
	s_branch .LBB77_455
.LBB77_453:
	s_mov_b32 s1, -1
                                        ; implicit-def: $vgpr3
	s_branch .LBB77_458
.LBB77_454:
	s_mov_b32 s1, -1
                                        ; implicit-def: $vgpr3
.LBB77_455:
	s_andn2_b32 vcc_lo, exec_lo, s1
	s_cbranch_vccnz .LBB77_457
; %bb.456:
	global_load_ushort v3, v[1:2], off
	s_waitcnt vmcnt(0)
	v_cvt_f32_u32_e32 v3, v3
	v_bfe_u32 v4, v3, 16, 1
	v_add3_u32 v3, v3, v4, 0x7fff
	v_lshrrev_b32_e32 v3, 16, v3
.LBB77_457:
	s_mov_b32 s1, 0
.LBB77_458:
	s_andn2_b32 vcc_lo, exec_lo, s1
	s_cbranch_vccnz .LBB77_466
; %bb.459:
	global_load_ubyte v3, v[1:2], off
	s_mov_b32 s1, 0
	s_mov_b32 s2, exec_lo
	s_waitcnt vmcnt(0)
	v_cmpx_lt_i16_e32 0x7f, v3
	s_xor_b32 s2, exec_lo, s2
	s_cbranch_execz .LBB77_480
; %bb.460:
	s_mov_b32 s1, -1
	s_mov_b32 s3, exec_lo
	v_cmpx_eq_u16_e32 0x80, v3
; %bb.461:
	s_xor_b32 s1, exec_lo, -1
; %bb.462:
	s_or_b32 exec_lo, exec_lo, s3
	s_and_b32 s1, s1, exec_lo
	s_or_saveexec_b32 s2, s2
	v_mov_b32_e32 v4, 0x7f800001
	s_xor_b32 exec_lo, exec_lo, s2
	s_cbranch_execnz .LBB77_481
.LBB77_463:
	s_or_b32 exec_lo, exec_lo, s2
	s_and_saveexec_b32 s2, s1
	s_cbranch_execz .LBB77_465
.LBB77_464:
	v_and_b32_e32 v4, 0xffff, v3
	v_lshlrev_b32_e32 v3, 24, v3
	v_and_b32_e32 v5, 7, v4
	v_bfe_u32 v9, v4, 3, 4
	v_and_b32_e32 v3, 0x80000000, v3
	v_ffbh_u32_e32 v6, v5
	v_cmp_eq_u32_e32 vcc_lo, 0, v9
	v_min_u32_e32 v6, 32, v6
	v_subrev_nc_u32_e32 v7, 28, v6
	v_sub_nc_u32_e32 v6, 29, v6
	v_lshlrev_b32_e32 v4, v7, v4
	v_cndmask_b32_e32 v6, v9, v6, vcc_lo
	v_and_b32_e32 v4, 7, v4
	v_cndmask_b32_e32 v4, v5, v4, vcc_lo
	v_lshl_add_u32 v5, v6, 23, 0x3b800000
	v_lshlrev_b32_e32 v4, 20, v4
	v_or3_b32 v4, v3, v5, v4
.LBB77_465:
	s_or_b32 exec_lo, exec_lo, s2
	v_bfe_u32 v3, v4, 16, 1
	v_cmp_o_f32_e32 vcc_lo, v4, v4
	v_add3_u32 v3, v4, v3, 0x7fff
	v_mov_b32_e32 v4, 0x7fc0
	v_cndmask_b32_sdwa v3, v4, v3, vcc_lo dst_sel:DWORD dst_unused:UNUSED_PAD src0_sel:DWORD src1_sel:WORD_1
.LBB77_466:
	s_mov_b32 s1, -1
.LBB77_467:
	s_mov_b32 s2, 0
.LBB77_468:
	s_and_b32 vcc_lo, exec_lo, s2
	s_cbranch_vccz .LBB77_503
; %bb.469:
	s_cmp_gt_i32 s0, 22
	s_cbranch_scc0 .LBB77_479
; %bb.470:
	s_cmp_lt_i32 s0, 24
	s_cbranch_scc1 .LBB77_482
; %bb.471:
	s_cmp_gt_i32 s0, 24
	s_cbranch_scc0 .LBB77_483
; %bb.472:
	global_load_ubyte v3, v[1:2], off
	s_mov_b32 s1, 0
	s_mov_b32 s2, exec_lo
	s_waitcnt vmcnt(0)
	v_cmpx_lt_i16_e32 0x7f, v3
	s_xor_b32 s2, exec_lo, s2
	s_cbranch_execz .LBB77_495
; %bb.473:
	s_mov_b32 s1, -1
	s_mov_b32 s3, exec_lo
	v_cmpx_eq_u16_e32 0x80, v3
; %bb.474:
	s_xor_b32 s1, exec_lo, -1
; %bb.475:
	s_or_b32 exec_lo, exec_lo, s3
	s_and_b32 s1, s1, exec_lo
	s_or_saveexec_b32 s2, s2
	v_mov_b32_e32 v4, 0x7f800001
	s_xor_b32 exec_lo, exec_lo, s2
	s_cbranch_execnz .LBB77_496
.LBB77_476:
	s_or_b32 exec_lo, exec_lo, s2
	s_and_saveexec_b32 s2, s1
	s_cbranch_execz .LBB77_478
.LBB77_477:
	v_and_b32_e32 v4, 0xffff, v3
	v_lshlrev_b32_e32 v3, 24, v3
	v_and_b32_e32 v5, 3, v4
	v_bfe_u32 v9, v4, 2, 5
	v_and_b32_e32 v3, 0x80000000, v3
	v_ffbh_u32_e32 v6, v5
	v_cmp_eq_u32_e32 vcc_lo, 0, v9
	v_min_u32_e32 v6, 32, v6
	v_subrev_nc_u32_e32 v7, 29, v6
	v_sub_nc_u32_e32 v6, 30, v6
	v_lshlrev_b32_e32 v4, v7, v4
	v_cndmask_b32_e32 v6, v9, v6, vcc_lo
	v_and_b32_e32 v4, 3, v4
	v_cndmask_b32_e32 v4, v5, v4, vcc_lo
	v_lshl_add_u32 v5, v6, 23, 0x37800000
	v_lshlrev_b32_e32 v4, 21, v4
	v_or3_b32 v4, v3, v5, v4
.LBB77_478:
	s_or_b32 exec_lo, exec_lo, s2
	v_bfe_u32 v3, v4, 16, 1
	v_cmp_o_f32_e32 vcc_lo, v4, v4
	s_mov_b32 s1, 0
	v_add3_u32 v3, v4, v3, 0x7fff
	v_mov_b32_e32 v4, 0x7fc0
	v_cndmask_b32_sdwa v3, v4, v3, vcc_lo dst_sel:DWORD dst_unused:UNUSED_PAD src0_sel:DWORD src1_sel:WORD_1
	s_branch .LBB77_484
.LBB77_479:
	s_mov_b32 s2, -1
                                        ; implicit-def: $vgpr3
	s_branch .LBB77_490
.LBB77_480:
	s_or_saveexec_b32 s2, s2
	v_mov_b32_e32 v4, 0x7f800001
	s_xor_b32 exec_lo, exec_lo, s2
	s_cbranch_execz .LBB77_463
.LBB77_481:
	v_cmp_ne_u16_e32 vcc_lo, 0, v3
	v_mov_b32_e32 v4, 0
	s_andn2_b32 s1, s1, exec_lo
	s_and_b32 s3, vcc_lo, exec_lo
	s_or_b32 s1, s1, s3
	s_or_b32 exec_lo, exec_lo, s2
	s_and_saveexec_b32 s2, s1
	s_cbranch_execnz .LBB77_464
	s_branch .LBB77_465
.LBB77_482:
	s_mov_b32 s1, -1
                                        ; implicit-def: $vgpr3
	s_branch .LBB77_487
.LBB77_483:
	s_mov_b32 s1, -1
                                        ; implicit-def: $vgpr3
.LBB77_484:
	s_and_b32 vcc_lo, exec_lo, s1
	s_cbranch_vccz .LBB77_486
; %bb.485:
	global_load_ubyte v3, v[1:2], off
	s_waitcnt vmcnt(0)
	v_lshlrev_b32_e32 v3, 24, v3
	v_and_b32_e32 v4, 0x7f000000, v3
	v_ffbh_u32_e32 v5, v4
	v_add_nc_u32_e32 v7, 0x1000000, v4
	v_cmp_ne_u32_e32 vcc_lo, 0, v4
	v_min_u32_e32 v5, 32, v5
	v_sub_nc_u32_e64 v5, v5, 4 clamp
	v_lshlrev_b32_e32 v6, v5, v4
	v_lshlrev_b32_e32 v5, 23, v5
	v_lshrrev_b32_e32 v6, 4, v6
	v_sub_nc_u32_e32 v5, v6, v5
	v_ashrrev_i32_e32 v6, 8, v7
	v_add_nc_u32_e32 v5, 0x3c000000, v5
	v_and_or_b32 v5, 0x7f800000, v6, v5
	v_cndmask_b32_e32 v4, 0, v5, vcc_lo
	v_and_or_b32 v3, 0x80000000, v3, v4
	v_bfe_u32 v4, v4, 16, 1
	v_cmp_o_f32_e32 vcc_lo, v3, v3
	v_add3_u32 v3, v3, v4, 0x7fff
	v_mov_b32_e32 v4, 0x7fc0
	v_cndmask_b32_sdwa v3, v4, v3, vcc_lo dst_sel:DWORD dst_unused:UNUSED_PAD src0_sel:DWORD src1_sel:WORD_1
.LBB77_486:
	s_mov_b32 s1, 0
.LBB77_487:
	s_andn2_b32 vcc_lo, exec_lo, s1
	s_cbranch_vccnz .LBB77_489
; %bb.488:
	global_load_ubyte v3, v[1:2], off
	s_waitcnt vmcnt(0)
	v_lshlrev_b32_e32 v4, 25, v3
	v_lshlrev_b16 v3, 8, v3
	v_lshrrev_b32_e32 v5, 4, v4
	v_and_or_b32 v6, 0x7f00, v3, 0.5
	v_cmp_gt_u32_e32 vcc_lo, 0x8000000, v4
	v_bfe_i32 v3, v3, 0, 16
	v_or_b32_e32 v5, 0x70000000, v5
	v_add_f32_e32 v6, -0.5, v6
	v_mul_f32_e32 v5, 0x7800000, v5
	v_cndmask_b32_e32 v4, v5, v6, vcc_lo
	v_and_or_b32 v3, 0x80000000, v3, v4
	v_bfe_u32 v4, v4, 16, 1
	v_cmp_o_f32_e32 vcc_lo, v3, v3
	v_add3_u32 v3, v3, v4, 0x7fff
	v_mov_b32_e32 v4, 0x7fc0
	v_cndmask_b32_sdwa v3, v4, v3, vcc_lo dst_sel:DWORD dst_unused:UNUSED_PAD src0_sel:DWORD src1_sel:WORD_1
.LBB77_489:
	s_mov_b32 s2, 0
	s_mov_b32 s1, -1
.LBB77_490:
	s_andn2_b32 vcc_lo, exec_lo, s2
	s_cbranch_vccnz .LBB77_503
; %bb.491:
	s_cmp_gt_i32 s0, 14
	s_cbranch_scc0 .LBB77_494
; %bb.492:
	s_cmp_eq_u32 s0, 15
	s_cbranch_scc0 .LBB77_497
; %bb.493:
	global_load_ushort v3, v[1:2], off
	s_mov_b32 s1, -1
	s_mov_b32 s39, 0
	s_branch .LBB77_498
.LBB77_494:
	s_mov_b32 s2, -1
                                        ; implicit-def: $vgpr3
	s_branch .LBB77_499
.LBB77_495:
	s_or_saveexec_b32 s2, s2
	v_mov_b32_e32 v4, 0x7f800001
	s_xor_b32 exec_lo, exec_lo, s2
	s_cbranch_execz .LBB77_476
.LBB77_496:
	v_cmp_ne_u16_e32 vcc_lo, 0, v3
	v_mov_b32_e32 v4, 0
	s_andn2_b32 s1, s1, exec_lo
	s_and_b32 s3, vcc_lo, exec_lo
	s_or_b32 s1, s1, s3
	s_or_b32 exec_lo, exec_lo, s2
	s_and_saveexec_b32 s2, s1
	s_cbranch_execnz .LBB77_477
	s_branch .LBB77_478
.LBB77_497:
	s_mov_b32 s39, -1
                                        ; implicit-def: $vgpr3
.LBB77_498:
	s_mov_b32 s2, 0
.LBB77_499:
	s_and_b32 vcc_lo, exec_lo, s2
	s_cbranch_vccz .LBB77_503
; %bb.500:
	s_cmp_eq_u32 s0, 11
	s_cbranch_scc0 .LBB77_502
; %bb.501:
	global_load_ubyte v3, v[1:2], off
	s_mov_b32 s39, 0
	s_mov_b32 s1, -1
	s_waitcnt vmcnt(0)
	v_cmp_ne_u16_e32 vcc_lo, 0, v3
	v_cndmask_b32_e64 v3, 0, 1.0, vcc_lo
	v_lshrrev_b32_e32 v3, 16, v3
	s_branch .LBB77_503
.LBB77_502:
	s_mov_b32 s39, -1
                                        ; implicit-def: $vgpr3
.LBB77_503:
	s_branch .LBB77_299
.LBB77_504:
	s_cmp_lt_i32 s0, 5
	s_cbranch_scc1 .LBB77_509
; %bb.505:
	s_cmp_lt_i32 s0, 8
	s_cbranch_scc1 .LBB77_510
; %bb.506:
	;; [unrolled: 3-line block ×3, first 2 shown]
	s_cmp_gt_i32 s0, 9
	s_cbranch_scc0 .LBB77_512
; %bb.508:
	global_load_dwordx2 v[3:4], v[1:2], off
	s_mov_b32 s1, 0
	s_waitcnt vmcnt(0)
	v_cvt_f32_f64_e32 v3, v[3:4]
	v_bfe_u32 v4, v3, 16, 1
	v_cmp_o_f32_e32 vcc_lo, v3, v3
	v_add3_u32 v3, v3, v4, 0x7fff
	v_mov_b32_e32 v4, 0x7fc0
	v_cndmask_b32_sdwa v3, v4, v3, vcc_lo dst_sel:DWORD dst_unused:UNUSED_PAD src0_sel:DWORD src1_sel:WORD_1
	s_branch .LBB77_513
.LBB77_509:
	s_mov_b32 s1, -1
                                        ; implicit-def: $vgpr3
	s_branch .LBB77_531
.LBB77_510:
	s_mov_b32 s1, -1
                                        ; implicit-def: $vgpr3
	s_branch .LBB77_519
.LBB77_511:
	s_mov_b32 s1, -1
                                        ; implicit-def: $vgpr3
	s_branch .LBB77_516
.LBB77_512:
	s_mov_b32 s1, -1
                                        ; implicit-def: $vgpr3
.LBB77_513:
	s_andn2_b32 vcc_lo, exec_lo, s1
	s_cbranch_vccnz .LBB77_515
; %bb.514:
	global_load_dword v3, v[1:2], off
	s_waitcnt vmcnt(0)
	v_bfe_u32 v4, v3, 16, 1
	v_cmp_o_f32_e32 vcc_lo, v3, v3
	v_add3_u32 v3, v3, v4, 0x7fff
	v_mov_b32_e32 v4, 0x7fc0
	v_cndmask_b32_sdwa v3, v4, v3, vcc_lo dst_sel:DWORD dst_unused:UNUSED_PAD src0_sel:DWORD src1_sel:WORD_1
.LBB77_515:
	s_mov_b32 s1, 0
.LBB77_516:
	s_andn2_b32 vcc_lo, exec_lo, s1
	s_cbranch_vccnz .LBB77_518
; %bb.517:
	global_load_dword v3, v[1:2], off
	s_waitcnt vmcnt(0)
	v_cvt_f32_f16_e32 v4, v3
	v_cmp_o_f16_e32 vcc_lo, v3, v3
	v_bfe_u32 v5, v4, 16, 1
	v_add3_u32 v3, v4, v5, 0x7fff
	v_mov_b32_e32 v4, 0x7fc0
	v_cndmask_b32_sdwa v3, v4, v3, vcc_lo dst_sel:DWORD dst_unused:UNUSED_PAD src0_sel:DWORD src1_sel:WORD_1
.LBB77_518:
	s_mov_b32 s1, 0
.LBB77_519:
	s_andn2_b32 vcc_lo, exec_lo, s1
	s_cbranch_vccnz .LBB77_530
; %bb.520:
	s_cmp_lt_i32 s0, 6
	s_cbranch_scc1 .LBB77_523
; %bb.521:
	s_cmp_gt_i32 s0, 6
	s_cbranch_scc0 .LBB77_524
; %bb.522:
	global_load_dwordx2 v[3:4], v[1:2], off
	s_mov_b32 s1, 0
	s_waitcnt vmcnt(0)
	v_cvt_f32_f64_e32 v3, v[3:4]
	v_bfe_u32 v4, v3, 16, 1
	v_cmp_o_f32_e32 vcc_lo, v3, v3
	v_add3_u32 v3, v3, v4, 0x7fff
	v_mov_b32_e32 v4, 0x7fc0
	v_cndmask_b32_sdwa v3, v4, v3, vcc_lo dst_sel:DWORD dst_unused:UNUSED_PAD src0_sel:DWORD src1_sel:WORD_1
	s_branch .LBB77_525
.LBB77_523:
	s_mov_b32 s1, -1
                                        ; implicit-def: $vgpr3
	s_branch .LBB77_528
.LBB77_524:
	s_mov_b32 s1, -1
                                        ; implicit-def: $vgpr3
.LBB77_525:
	s_andn2_b32 vcc_lo, exec_lo, s1
	s_cbranch_vccnz .LBB77_527
; %bb.526:
	global_load_dword v3, v[1:2], off
	s_waitcnt vmcnt(0)
	v_bfe_u32 v4, v3, 16, 1
	v_cmp_o_f32_e32 vcc_lo, v3, v3
	v_add3_u32 v3, v3, v4, 0x7fff
	v_mov_b32_e32 v4, 0x7fc0
	v_cndmask_b32_sdwa v3, v4, v3, vcc_lo dst_sel:DWORD dst_unused:UNUSED_PAD src0_sel:DWORD src1_sel:WORD_1
.LBB77_527:
	s_mov_b32 s1, 0
.LBB77_528:
	s_andn2_b32 vcc_lo, exec_lo, s1
	s_cbranch_vccnz .LBB77_530
; %bb.529:
	global_load_ushort v3, v[1:2], off
	s_waitcnt vmcnt(0)
	v_cvt_f32_f16_e32 v4, v3
	v_cmp_o_f16_e32 vcc_lo, v3, v3
	v_bfe_u32 v5, v4, 16, 1
	v_add3_u32 v3, v4, v5, 0x7fff
	v_mov_b32_e32 v4, 0x7fc0
	v_cndmask_b32_sdwa v3, v4, v3, vcc_lo dst_sel:DWORD dst_unused:UNUSED_PAD src0_sel:DWORD src1_sel:WORD_1
.LBB77_530:
	s_mov_b32 s1, 0
.LBB77_531:
	s_andn2_b32 vcc_lo, exec_lo, s1
	s_cbranch_vccnz .LBB77_551
; %bb.532:
	s_cmp_lt_i32 s0, 2
	s_cbranch_scc1 .LBB77_536
; %bb.533:
	s_cmp_lt_i32 s0, 3
	s_cbranch_scc1 .LBB77_537
; %bb.534:
	s_cmp_gt_i32 s0, 3
	s_cbranch_scc0 .LBB77_538
; %bb.535:
	global_load_dwordx2 v[3:4], v[1:2], off
	s_mov_b32 s1, 0
	s_waitcnt vmcnt(0)
	v_xor_b32_e32 v5, v3, v4
	v_ffbh_i32_e32 v6, v4
	v_ashrrev_i32_e32 v5, 31, v5
	v_add_nc_u32_e32 v6, -1, v6
	v_add_nc_u32_e32 v5, 32, v5
	v_min_u32_e32 v5, v6, v5
	v_lshlrev_b64 v[3:4], v5, v[3:4]
	v_min_u32_e32 v3, 1, v3
	v_or_b32_e32 v3, v4, v3
	v_sub_nc_u32_e32 v4, 32, v5
	v_cvt_f32_i32_e32 v3, v3
	v_ldexp_f32 v3, v3, v4
	v_bfe_u32 v4, v3, 16, 1
	v_add3_u32 v3, v3, v4, 0x7fff
	v_lshrrev_b32_e32 v3, 16, v3
	s_branch .LBB77_539
.LBB77_536:
	s_mov_b32 s1, -1
                                        ; implicit-def: $vgpr3
	s_branch .LBB77_545
.LBB77_537:
	s_mov_b32 s1, -1
                                        ; implicit-def: $vgpr3
	s_branch .LBB77_542
.LBB77_538:
	s_mov_b32 s1, -1
                                        ; implicit-def: $vgpr3
.LBB77_539:
	s_andn2_b32 vcc_lo, exec_lo, s1
	s_cbranch_vccnz .LBB77_541
; %bb.540:
	global_load_dword v3, v[1:2], off
	s_waitcnt vmcnt(0)
	v_cvt_f32_i32_e32 v3, v3
	v_bfe_u32 v4, v3, 16, 1
	v_add3_u32 v3, v3, v4, 0x7fff
	v_lshrrev_b32_e32 v3, 16, v3
.LBB77_541:
	s_mov_b32 s1, 0
.LBB77_542:
	s_andn2_b32 vcc_lo, exec_lo, s1
	s_cbranch_vccnz .LBB77_544
; %bb.543:
	global_load_sshort v3, v[1:2], off
	s_waitcnt vmcnt(0)
	v_cvt_f32_i32_e32 v3, v3
	v_bfe_u32 v4, v3, 16, 1
	v_add3_u32 v3, v3, v4, 0x7fff
	v_lshrrev_b32_e32 v3, 16, v3
.LBB77_544:
	s_mov_b32 s1, 0
.LBB77_545:
	s_andn2_b32 vcc_lo, exec_lo, s1
	s_cbranch_vccnz .LBB77_551
; %bb.546:
	s_cmp_gt_i32 s0, 0
	s_mov_b32 s0, 0
	s_cbranch_scc0 .LBB77_548
; %bb.547:
	global_load_sbyte v3, v[1:2], off
	s_waitcnt vmcnt(0)
	v_cvt_f32_i32_e32 v3, v3
	v_bfe_u32 v4, v3, 16, 1
	v_add3_u32 v3, v3, v4, 0x7fff
	v_lshrrev_b32_e32 v3, 16, v3
	s_branch .LBB77_549
.LBB77_548:
	s_mov_b32 s0, -1
                                        ; implicit-def: $vgpr3
.LBB77_549:
	s_andn2_b32 vcc_lo, exec_lo, s0
	s_cbranch_vccnz .LBB77_551
; %bb.550:
	global_load_ubyte v1, v[1:2], off
	s_waitcnt vmcnt(0)
	v_cvt_f32_ubyte0_e32 v1, v1
	v_bfe_u32 v2, v1, 16, 1
	v_add3_u32 v1, v1, v2, 0x7fff
	v_lshrrev_b32_e32 v3, 16, v1
.LBB77_551:
	s_branch .LBB77_300
.LBB77_552:
	s_mov_b32 s1, 0
	s_mov_b32 s0, s36
.LBB77_553:
                                        ; implicit-def: $vgpr8
.LBB77_554:
	s_andn2_b32 s2, s36, exec_lo
	s_and_b32 s0, s0, exec_lo
	s_andn2_b32 s3, s37, exec_lo
	s_and_b32 s39, s39, exec_lo
	s_or_b32 s40, s2, s0
	s_or_b32 s39, s3, s39
	s_orn2_b32 s0, s1, exec_lo
.LBB77_555:
	s_or_b32 exec_lo, exec_lo, s41
	s_mov_b32 s1, 0
	s_mov_b32 s2, 0
	;; [unrolled: 1-line block ×3, first 2 shown]
                                        ; implicit-def: $vgpr1_vgpr2
                                        ; implicit-def: $vgpr0
                                        ; implicit-def: $vgpr4
	s_and_saveexec_b32 s41, s0
	s_cbranch_execz .LBB77_938
; %bb.556:
	s_mov_b32 s3, -1
	s_mov_b32 s43, s39
	s_mov_b32 s44, s40
	s_mov_b32 s42, exec_lo
	v_cmpx_gt_i32_e64 s33, v8
	s_cbranch_execz .LBB77_837
; %bb.557:
	s_andn2_b32 vcc_lo, exec_lo, s27
	s_cbranch_vccnz .LBB77_562
; %bb.558:
	s_andn2_b32 vcc_lo, exec_lo, s34
	s_cbranch_vccnz .LBB77_563
; %bb.559:
	s_add_i32 s44, s35, 1
	s_cmp_eq_u32 s25, 2
	s_cbranch_scc1 .LBB77_564
; %bb.560:
	v_mov_b32_e32 v2, 0
	v_mov_b32_e32 v0, 0
	;; [unrolled: 1-line block ×3, first 2 shown]
	s_and_b32 s43, s44, 28
	s_mov_b32 s45, 0
	s_mov_b64 s[0:1], s[6:7]
	s_mov_b64 s[2:3], s[22:23]
.LBB77_561:                             ; =>This Inner Loop Header: Depth=1
	s_clause 0x1
	s_load_dwordx8 s[48:55], s[0:1], 0x4
	s_load_dwordx4 s[64:67], s[0:1], 0x24
	s_load_dwordx8 s[56:63], s[2:3], 0x0
	s_add_u32 s0, s0, 48
	s_addc_u32 s1, s1, 0
	s_add_i32 s45, s45, 4
	s_add_u32 s2, s2, 32
	s_addc_u32 s3, s3, 0
	s_cmp_eq_u32 s43, s45
	s_waitcnt vmcnt(0) lgkmcnt(0)
	v_mul_hi_u32 v3, s49, v1
	v_add_nc_u32_e32 v3, v1, v3
	v_lshrrev_b32_e32 v3, s50, v3
	v_mul_hi_u32 v4, s52, v3
	v_mul_lo_u32 v6, v3, s48
	v_add_nc_u32_e32 v4, v3, v4
	v_sub_nc_u32_e32 v1, v1, v6
	v_lshrrev_b32_e32 v4, s53, v4
	v_mul_lo_u32 v6, v1, s56
	v_mul_lo_u32 v9, v1, s57
	v_mul_hi_u32 v5, s55, v4
	v_add_nc_u32_e32 v5, v4, v5
	v_lshrrev_b32_e32 v5, s64, v5
	v_mul_hi_u32 v7, s66, v5
	v_mul_lo_u32 v10, v5, s54
	v_add_nc_u32_e32 v1, v5, v7
	v_mul_lo_u32 v7, v4, s51
	v_sub_nc_u32_e32 v4, v4, v10
	v_lshrrev_b32_e32 v1, s67, v1
	v_mul_lo_u32 v10, v4, s60
	v_mul_lo_u32 v4, v4, s61
	v_sub_nc_u32_e32 v3, v3, v7
	v_mul_lo_u32 v11, v1, s65
	v_mul_lo_u32 v7, v3, s58
	;; [unrolled: 1-line block ×3, first 2 shown]
	v_sub_nc_u32_e32 v5, v5, v11
	v_add3_u32 v0, v6, v0, v7
	v_mul_lo_u32 v11, v5, s62
	v_mul_lo_u32 v5, v5, s63
	v_add3_u32 v2, v9, v2, v3
	v_add3_u32 v0, v10, v0, v11
	;; [unrolled: 1-line block ×3, first 2 shown]
	s_cbranch_scc0 .LBB77_561
	s_branch .LBB77_565
.LBB77_562:
	s_mov_b32 s0, -1
                                        ; implicit-def: $vgpr0
                                        ; implicit-def: $vgpr2
	s_branch .LBB77_569
.LBB77_563:
	v_mov_b32_e32 v0, 0
	v_mov_b32_e32 v2, 0
	s_branch .LBB77_568
.LBB77_564:
	v_mov_b32_e32 v0, 0
	v_mov_b32_e32 v2, 0
	;; [unrolled: 1-line block ×3, first 2 shown]
	s_mov_b32 s43, 0
.LBB77_565:
	s_and_b32 s44, s44, 3
	s_cmp_eq_u32 s44, 0
	s_cbranch_scc1 .LBB77_568
; %bb.566:
	s_lshl_b32 s0, s43, 3
	s_mul_i32 s2, s43, 12
	s_add_u32 s0, s6, s0
	s_addc_u32 s1, s7, 0
	s_add_u32 s0, s0, 0xc4
	s_addc_u32 s1, s1, 0
	;; [unrolled: 2-line block ×3, first 2 shown]
	.p2align	6
.LBB77_567:                             ; =>This Inner Loop Header: Depth=1
	s_clause 0x1
	s_load_dwordx2 s[46:47], s[2:3], 0x4
	s_load_dword s43, s[2:3], 0xc
	s_load_dwordx2 s[48:49], s[0:1], 0x0
	s_add_u32 s2, s2, 12
	s_addc_u32 s3, s3, 0
	s_add_u32 s0, s0, 8
	s_addc_u32 s1, s1, 0
	s_add_i32 s44, s44, -1
	s_cmp_lg_u32 s44, 0
	s_waitcnt vmcnt(0) lgkmcnt(0)
	v_mul_hi_u32 v3, s47, v1
	v_add_nc_u32_e32 v3, v1, v3
	v_lshrrev_b32_e32 v4, s43, v3
	v_mul_lo_u32 v3, v4, s46
	v_sub_nc_u32_e32 v3, v1, v3
	v_mad_u64_u32 v[0:1], null, v3, s48, v[0:1]
	v_mad_u64_u32 v[2:3], null, v3, s49, v[2:3]
	v_mov_b32_e32 v1, v4
	s_cbranch_scc1 .LBB77_567
.LBB77_568:
	s_mov_b32 s0, 0
.LBB77_569:
	s_andn2_b32 vcc_lo, exec_lo, s0
	s_cbranch_vccnz .LBB77_572
; %bb.570:
	s_waitcnt lgkmcnt(0)
	v_mul_hi_u32 v0, s17, v8
	s_andn2_b32 vcc_lo, exec_lo, s31
	v_add_nc_u32_e32 v0, v8, v0
	v_lshrrev_b32_e32 v1, s18, v0
	v_mul_lo_u32 v0, v1, s16
	v_sub_nc_u32_e32 v2, v8, v0
	v_mul_lo_u32 v0, v2, s12
	v_mul_lo_u32 v2, v2, s13
	s_cbranch_vccnz .LBB77_572
; %bb.571:
	s_waitcnt vmcnt(0)
	v_mul_hi_u32 v3, s20, v1
	v_add_nc_u32_e32 v3, v1, v3
	v_lshrrev_b32_e32 v3, s21, v3
	v_mul_lo_u32 v3, v3, s19
	v_sub_nc_u32_e32 v3, v1, v3
	v_mad_u64_u32 v[0:1], null, v3, s14, v[0:1]
	v_mad_u64_u32 v[2:3], null, v3, s15, v[2:3]
.LBB77_572:
	s_waitcnt lgkmcnt(0)
	v_add_co_u32 v1, s0, s10, v2
	v_add_co_ci_u32_e64 v2, null, s11, 0, s0
	s_and_b32 s0, 0xffff, s30
	s_cmp_lt_i32 s0, 11
	s_cbranch_scc1 .LBB77_579
; %bb.573:
	s_cmp_gt_i32 s0, 25
	s_cbranch_scc0 .LBB77_580
; %bb.574:
	s_cmp_gt_i32 s0, 28
	s_cbranch_scc0 .LBB77_581
	;; [unrolled: 3-line block ×4, first 2 shown]
; %bb.577:
	s_cmp_eq_u32 s0, 46
	s_mov_b32 s2, 0
	s_cbranch_scc0 .LBB77_588
; %bb.578:
	global_load_dword v3, v[1:2], off
	s_mov_b32 s1, -1
	s_mov_b32 s43, 0
	s_branch .LBB77_590
.LBB77_579:
	s_mov_b32 s2, -1
	s_mov_b32 s1, 0
	s_mov_b32 s43, s39
                                        ; implicit-def: $vgpr3
	s_branch .LBB77_655
.LBB77_580:
	s_mov_b32 s2, -1
	s_mov_b32 s1, 0
	s_mov_b32 s43, s39
                                        ; implicit-def: $vgpr3
	s_branch .LBB77_619
.LBB77_581:
	s_mov_b32 s2, -1
	s_mov_b32 s1, 0
	s_mov_b32 s43, s39
                                        ; implicit-def: $vgpr3
	s_branch .LBB77_600
.LBB77_582:
	s_mov_b32 s2, -1
	s_mov_b32 s1, 0
	s_mov_b32 s43, s39
                                        ; implicit-def: $vgpr3
	s_branch .LBB77_595
.LBB77_583:
	s_andn2_saveexec_b32 s42, s42
	s_cbranch_execz .LBB77_352
.LBB77_584:
	v_add_f32_e64 v4, 0x46000000, |v5|
	s_andn2_b32 s40, s40, exec_lo
	v_and_b32_e32 v4, 0xff, v4
	v_cmp_ne_u32_e32 vcc_lo, 0, v4
	s_and_b32 s43, vcc_lo, exec_lo
	s_or_b32 s40, s40, s43
	s_or_b32 exec_lo, exec_lo, s42
	v_mov_b32_e32 v6, 0
	s_and_saveexec_b32 s42, s40
	s_cbranch_execnz .LBB77_353
	s_branch .LBB77_354
.LBB77_585:
	s_mov_b32 s2, -1
	s_mov_b32 s1, 0
	s_mov_b32 s43, s39
	s_branch .LBB77_589
.LBB77_586:
	s_andn2_saveexec_b32 s42, s42
	s_cbranch_execz .LBB77_365
.LBB77_587:
	v_add_f32_e64 v4, 0x42800000, |v5|
	s_andn2_b32 s40, s40, exec_lo
	v_and_b32_e32 v4, 0xff, v4
	v_cmp_ne_u32_e32 vcc_lo, 0, v4
	s_and_b32 s43, vcc_lo, exec_lo
	s_or_b32 s40, s40, s43
	s_or_b32 exec_lo, exec_lo, s42
	v_mov_b32_e32 v6, 0
	s_and_saveexec_b32 s42, s40
	s_cbranch_execnz .LBB77_366
	s_branch .LBB77_367
.LBB77_588:
	s_mov_b32 s43, -1
	s_mov_b32 s1, 0
.LBB77_589:
                                        ; implicit-def: $vgpr3
.LBB77_590:
	s_and_b32 vcc_lo, exec_lo, s2
	s_cbranch_vccz .LBB77_594
; %bb.591:
	s_cmp_eq_u32 s0, 44
	s_cbranch_scc0 .LBB77_593
; %bb.592:
	global_load_ubyte v3, v[1:2], off
	s_mov_b32 s43, 0
	s_mov_b32 s1, -1
	s_waitcnt vmcnt(0)
	v_lshlrev_b32_e32 v4, 23, v3
	v_cmp_ne_u32_e32 vcc_lo, 0xff, v3
	v_cndmask_b32_e32 v4, 0x7f800001, v4, vcc_lo
	v_cmp_ne_u32_e32 vcc_lo, 0, v3
	v_cndmask_b32_e32 v3, 0x400000, v4, vcc_lo
	v_mov_b32_e32 v4, 0x7fc0
	v_cmp_o_f32_e32 vcc_lo, v3, v3
	v_add_nc_u32_e32 v3, 0x7fff, v3
	v_cndmask_b32_sdwa v3, v4, v3, vcc_lo dst_sel:DWORD dst_unused:UNUSED_PAD src0_sel:DWORD src1_sel:WORD_1
	s_branch .LBB77_594
.LBB77_593:
	s_mov_b32 s43, -1
                                        ; implicit-def: $vgpr3
.LBB77_594:
	s_mov_b32 s2, 0
.LBB77_595:
	s_and_b32 vcc_lo, exec_lo, s2
	s_cbranch_vccz .LBB77_599
; %bb.596:
	s_cmp_eq_u32 s0, 29
	s_cbranch_scc0 .LBB77_598
; %bb.597:
	global_load_dwordx2 v[3:4], v[1:2], off
	s_mov_b32 s1, -1
	s_mov_b32 s43, 0
	s_mov_b32 s2, 0
	s_waitcnt vmcnt(0)
	v_ffbh_u32_e32 v5, v4
	v_min_u32_e32 v5, 32, v5
	v_lshlrev_b64 v[3:4], v5, v[3:4]
	v_min_u32_e32 v3, 1, v3
	v_or_b32_e32 v3, v4, v3
	v_sub_nc_u32_e32 v4, 32, v5
	v_cvt_f32_u32_e32 v3, v3
	v_ldexp_f32 v3, v3, v4
	v_bfe_u32 v4, v3, 16, 1
	v_add3_u32 v3, v3, v4, 0x7fff
	v_lshrrev_b32_e32 v3, 16, v3
	s_branch .LBB77_600
.LBB77_598:
	s_mov_b32 s43, -1
                                        ; implicit-def: $vgpr3
.LBB77_599:
	s_mov_b32 s2, 0
.LBB77_600:
	s_and_b32 vcc_lo, exec_lo, s2
	s_cbranch_vccz .LBB77_618
; %bb.601:
	s_cmp_lt_i32 s0, 27
	s_cbranch_scc1 .LBB77_604
; %bb.602:
	s_cmp_gt_i32 s0, 27
	s_cbranch_scc0 .LBB77_605
; %bb.603:
	global_load_dword v3, v[1:2], off
	s_mov_b32 s1, 0
	s_waitcnt vmcnt(0)
	v_cvt_f32_u32_e32 v3, v3
	v_bfe_u32 v4, v3, 16, 1
	v_add3_u32 v3, v3, v4, 0x7fff
	v_lshrrev_b32_e32 v3, 16, v3
	s_branch .LBB77_606
.LBB77_604:
	s_mov_b32 s1, -1
                                        ; implicit-def: $vgpr3
	s_branch .LBB77_609
.LBB77_605:
	s_mov_b32 s1, -1
                                        ; implicit-def: $vgpr3
.LBB77_606:
	s_andn2_b32 vcc_lo, exec_lo, s1
	s_cbranch_vccnz .LBB77_608
; %bb.607:
	global_load_ushort v3, v[1:2], off
	s_waitcnt vmcnt(0)
	v_cvt_f32_u32_e32 v3, v3
	v_bfe_u32 v4, v3, 16, 1
	v_add3_u32 v3, v3, v4, 0x7fff
	v_lshrrev_b32_e32 v3, 16, v3
.LBB77_608:
	s_mov_b32 s1, 0
.LBB77_609:
	s_andn2_b32 vcc_lo, exec_lo, s1
	s_cbranch_vccnz .LBB77_617
; %bb.610:
	global_load_ubyte v3, v[1:2], off
	s_mov_b32 s1, 0
	s_mov_b32 s2, exec_lo
	s_waitcnt vmcnt(0)
	v_cmpx_lt_i16_e32 0x7f, v3
	s_xor_b32 s2, exec_lo, s2
	s_cbranch_execz .LBB77_631
; %bb.611:
	s_mov_b32 s1, -1
	s_mov_b32 s3, exec_lo
	v_cmpx_eq_u16_e32 0x80, v3
; %bb.612:
	s_xor_b32 s1, exec_lo, -1
; %bb.613:
	s_or_b32 exec_lo, exec_lo, s3
	s_and_b32 s1, s1, exec_lo
	s_or_saveexec_b32 s2, s2
	v_mov_b32_e32 v4, 0x7f800001
	s_xor_b32 exec_lo, exec_lo, s2
	s_cbranch_execnz .LBB77_632
.LBB77_614:
	s_or_b32 exec_lo, exec_lo, s2
	s_and_saveexec_b32 s2, s1
	s_cbranch_execz .LBB77_616
.LBB77_615:
	v_and_b32_e32 v4, 0xffff, v3
	v_lshlrev_b32_e32 v3, 24, v3
	v_and_b32_e32 v5, 7, v4
	v_bfe_u32 v9, v4, 3, 4
	v_and_b32_e32 v3, 0x80000000, v3
	v_ffbh_u32_e32 v6, v5
	v_cmp_eq_u32_e32 vcc_lo, 0, v9
	v_min_u32_e32 v6, 32, v6
	v_subrev_nc_u32_e32 v7, 28, v6
	v_sub_nc_u32_e32 v6, 29, v6
	v_lshlrev_b32_e32 v4, v7, v4
	v_cndmask_b32_e32 v6, v9, v6, vcc_lo
	v_and_b32_e32 v4, 7, v4
	v_cndmask_b32_e32 v4, v5, v4, vcc_lo
	v_lshl_add_u32 v5, v6, 23, 0x3b800000
	v_lshlrev_b32_e32 v4, 20, v4
	v_or3_b32 v4, v3, v5, v4
.LBB77_616:
	s_or_b32 exec_lo, exec_lo, s2
	v_bfe_u32 v3, v4, 16, 1
	v_cmp_o_f32_e32 vcc_lo, v4, v4
	v_add3_u32 v3, v4, v3, 0x7fff
	v_mov_b32_e32 v4, 0x7fc0
	v_cndmask_b32_sdwa v3, v4, v3, vcc_lo dst_sel:DWORD dst_unused:UNUSED_PAD src0_sel:DWORD src1_sel:WORD_1
.LBB77_617:
	s_mov_b32 s1, -1
.LBB77_618:
	s_mov_b32 s2, 0
.LBB77_619:
	s_and_b32 vcc_lo, exec_lo, s2
	s_cbranch_vccz .LBB77_654
; %bb.620:
	s_cmp_gt_i32 s0, 22
	s_cbranch_scc0 .LBB77_630
; %bb.621:
	s_cmp_lt_i32 s0, 24
	s_cbranch_scc1 .LBB77_633
; %bb.622:
	s_cmp_gt_i32 s0, 24
	s_cbranch_scc0 .LBB77_634
; %bb.623:
	global_load_ubyte v3, v[1:2], off
	s_mov_b32 s1, 0
	s_mov_b32 s2, exec_lo
	s_waitcnt vmcnt(0)
	v_cmpx_lt_i16_e32 0x7f, v3
	s_xor_b32 s2, exec_lo, s2
	s_cbranch_execz .LBB77_646
; %bb.624:
	s_mov_b32 s1, -1
	s_mov_b32 s3, exec_lo
	v_cmpx_eq_u16_e32 0x80, v3
; %bb.625:
	s_xor_b32 s1, exec_lo, -1
; %bb.626:
	s_or_b32 exec_lo, exec_lo, s3
	s_and_b32 s1, s1, exec_lo
	s_or_saveexec_b32 s2, s2
	v_mov_b32_e32 v4, 0x7f800001
	s_xor_b32 exec_lo, exec_lo, s2
	s_cbranch_execnz .LBB77_647
.LBB77_627:
	s_or_b32 exec_lo, exec_lo, s2
	s_and_saveexec_b32 s2, s1
	s_cbranch_execz .LBB77_629
.LBB77_628:
	v_and_b32_e32 v4, 0xffff, v3
	v_lshlrev_b32_e32 v3, 24, v3
	v_and_b32_e32 v5, 3, v4
	v_bfe_u32 v9, v4, 2, 5
	v_and_b32_e32 v3, 0x80000000, v3
	v_ffbh_u32_e32 v6, v5
	v_cmp_eq_u32_e32 vcc_lo, 0, v9
	v_min_u32_e32 v6, 32, v6
	v_subrev_nc_u32_e32 v7, 29, v6
	v_sub_nc_u32_e32 v6, 30, v6
	v_lshlrev_b32_e32 v4, v7, v4
	v_cndmask_b32_e32 v6, v9, v6, vcc_lo
	v_and_b32_e32 v4, 3, v4
	v_cndmask_b32_e32 v4, v5, v4, vcc_lo
	v_lshl_add_u32 v5, v6, 23, 0x37800000
	v_lshlrev_b32_e32 v4, 21, v4
	v_or3_b32 v4, v3, v5, v4
.LBB77_629:
	s_or_b32 exec_lo, exec_lo, s2
	v_bfe_u32 v3, v4, 16, 1
	v_cmp_o_f32_e32 vcc_lo, v4, v4
	s_mov_b32 s1, 0
	v_add3_u32 v3, v4, v3, 0x7fff
	v_mov_b32_e32 v4, 0x7fc0
	v_cndmask_b32_sdwa v3, v4, v3, vcc_lo dst_sel:DWORD dst_unused:UNUSED_PAD src0_sel:DWORD src1_sel:WORD_1
	s_branch .LBB77_635
.LBB77_630:
	s_mov_b32 s2, -1
                                        ; implicit-def: $vgpr3
	s_branch .LBB77_641
.LBB77_631:
	s_or_saveexec_b32 s2, s2
	v_mov_b32_e32 v4, 0x7f800001
	s_xor_b32 exec_lo, exec_lo, s2
	s_cbranch_execz .LBB77_614
.LBB77_632:
	v_cmp_ne_u16_e32 vcc_lo, 0, v3
	v_mov_b32_e32 v4, 0
	s_andn2_b32 s1, s1, exec_lo
	s_and_b32 s3, vcc_lo, exec_lo
	s_or_b32 s1, s1, s3
	s_or_b32 exec_lo, exec_lo, s2
	s_and_saveexec_b32 s2, s1
	s_cbranch_execnz .LBB77_615
	s_branch .LBB77_616
.LBB77_633:
	s_mov_b32 s1, -1
                                        ; implicit-def: $vgpr3
	s_branch .LBB77_638
.LBB77_634:
	s_mov_b32 s1, -1
                                        ; implicit-def: $vgpr3
.LBB77_635:
	s_and_b32 vcc_lo, exec_lo, s1
	s_cbranch_vccz .LBB77_637
; %bb.636:
	global_load_ubyte v3, v[1:2], off
	s_waitcnt vmcnt(0)
	v_lshlrev_b32_e32 v3, 24, v3
	v_and_b32_e32 v4, 0x7f000000, v3
	v_ffbh_u32_e32 v5, v4
	v_add_nc_u32_e32 v7, 0x1000000, v4
	v_cmp_ne_u32_e32 vcc_lo, 0, v4
	v_min_u32_e32 v5, 32, v5
	v_sub_nc_u32_e64 v5, v5, 4 clamp
	v_lshlrev_b32_e32 v6, v5, v4
	v_lshlrev_b32_e32 v5, 23, v5
	v_lshrrev_b32_e32 v6, 4, v6
	v_sub_nc_u32_e32 v5, v6, v5
	v_ashrrev_i32_e32 v6, 8, v7
	v_add_nc_u32_e32 v5, 0x3c000000, v5
	v_and_or_b32 v5, 0x7f800000, v6, v5
	v_cndmask_b32_e32 v4, 0, v5, vcc_lo
	v_and_or_b32 v3, 0x80000000, v3, v4
	v_bfe_u32 v4, v4, 16, 1
	v_cmp_o_f32_e32 vcc_lo, v3, v3
	v_add3_u32 v3, v3, v4, 0x7fff
	v_mov_b32_e32 v4, 0x7fc0
	v_cndmask_b32_sdwa v3, v4, v3, vcc_lo dst_sel:DWORD dst_unused:UNUSED_PAD src0_sel:DWORD src1_sel:WORD_1
.LBB77_637:
	s_mov_b32 s1, 0
.LBB77_638:
	s_andn2_b32 vcc_lo, exec_lo, s1
	s_cbranch_vccnz .LBB77_640
; %bb.639:
	global_load_ubyte v3, v[1:2], off
	s_waitcnt vmcnt(0)
	v_lshlrev_b32_e32 v4, 25, v3
	v_lshlrev_b16 v3, 8, v3
	v_lshrrev_b32_e32 v5, 4, v4
	v_and_or_b32 v6, 0x7f00, v3, 0.5
	v_cmp_gt_u32_e32 vcc_lo, 0x8000000, v4
	v_bfe_i32 v3, v3, 0, 16
	v_or_b32_e32 v5, 0x70000000, v5
	v_add_f32_e32 v6, -0.5, v6
	v_mul_f32_e32 v5, 0x7800000, v5
	v_cndmask_b32_e32 v4, v5, v6, vcc_lo
	v_and_or_b32 v3, 0x80000000, v3, v4
	v_bfe_u32 v4, v4, 16, 1
	v_cmp_o_f32_e32 vcc_lo, v3, v3
	v_add3_u32 v3, v3, v4, 0x7fff
	v_mov_b32_e32 v4, 0x7fc0
	v_cndmask_b32_sdwa v3, v4, v3, vcc_lo dst_sel:DWORD dst_unused:UNUSED_PAD src0_sel:DWORD src1_sel:WORD_1
.LBB77_640:
	s_mov_b32 s2, 0
	s_mov_b32 s1, -1
.LBB77_641:
	s_andn2_b32 vcc_lo, exec_lo, s2
	s_cbranch_vccnz .LBB77_654
; %bb.642:
	s_cmp_gt_i32 s0, 14
	s_cbranch_scc0 .LBB77_645
; %bb.643:
	s_cmp_eq_u32 s0, 15
	s_cbranch_scc0 .LBB77_648
; %bb.644:
	global_load_ushort v3, v[1:2], off
	s_mov_b32 s1, -1
	s_mov_b32 s43, 0
	s_branch .LBB77_649
.LBB77_645:
	s_mov_b32 s2, -1
                                        ; implicit-def: $vgpr3
	s_branch .LBB77_650
.LBB77_646:
	s_or_saveexec_b32 s2, s2
	v_mov_b32_e32 v4, 0x7f800001
	s_xor_b32 exec_lo, exec_lo, s2
	s_cbranch_execz .LBB77_627
.LBB77_647:
	v_cmp_ne_u16_e32 vcc_lo, 0, v3
	v_mov_b32_e32 v4, 0
	s_andn2_b32 s1, s1, exec_lo
	s_and_b32 s3, vcc_lo, exec_lo
	s_or_b32 s1, s1, s3
	s_or_b32 exec_lo, exec_lo, s2
	s_and_saveexec_b32 s2, s1
	s_cbranch_execnz .LBB77_628
	s_branch .LBB77_629
.LBB77_648:
	s_mov_b32 s43, -1
                                        ; implicit-def: $vgpr3
.LBB77_649:
	s_mov_b32 s2, 0
.LBB77_650:
	s_and_b32 vcc_lo, exec_lo, s2
	s_cbranch_vccz .LBB77_654
; %bb.651:
	s_cmp_eq_u32 s0, 11
	s_cbranch_scc0 .LBB77_653
; %bb.652:
	global_load_ubyte v3, v[1:2], off
	s_mov_b32 s43, 0
	s_mov_b32 s1, -1
	s_waitcnt vmcnt(0)
	v_cmp_ne_u16_e32 vcc_lo, 0, v3
	v_cndmask_b32_e64 v3, 0, 1.0, vcc_lo
	v_lshrrev_b32_e32 v3, 16, v3
	s_branch .LBB77_654
.LBB77_653:
	s_mov_b32 s43, -1
                                        ; implicit-def: $vgpr3
.LBB77_654:
	s_mov_b32 s2, 0
.LBB77_655:
	s_and_b32 vcc_lo, exec_lo, s2
	s_cbranch_vccz .LBB77_704
; %bb.656:
	s_cmp_lt_i32 s0, 5
	s_cbranch_scc1 .LBB77_661
; %bb.657:
	s_cmp_lt_i32 s0, 8
	s_cbranch_scc1 .LBB77_662
	;; [unrolled: 3-line block ×3, first 2 shown]
; %bb.659:
	s_cmp_gt_i32 s0, 9
	s_cbranch_scc0 .LBB77_664
; %bb.660:
	global_load_dwordx2 v[3:4], v[1:2], off
	s_mov_b32 s1, 0
	s_waitcnt vmcnt(0)
	v_cvt_f32_f64_e32 v3, v[3:4]
	v_bfe_u32 v4, v3, 16, 1
	v_cmp_o_f32_e32 vcc_lo, v3, v3
	v_add3_u32 v3, v3, v4, 0x7fff
	v_mov_b32_e32 v4, 0x7fc0
	v_cndmask_b32_sdwa v3, v4, v3, vcc_lo dst_sel:DWORD dst_unused:UNUSED_PAD src0_sel:DWORD src1_sel:WORD_1
	s_branch .LBB77_665
.LBB77_661:
	s_mov_b32 s1, -1
                                        ; implicit-def: $vgpr3
	s_branch .LBB77_683
.LBB77_662:
	s_mov_b32 s1, -1
                                        ; implicit-def: $vgpr3
	s_branch .LBB77_671
.LBB77_663:
	s_mov_b32 s1, -1
                                        ; implicit-def: $vgpr3
	s_branch .LBB77_668
.LBB77_664:
	s_mov_b32 s1, -1
                                        ; implicit-def: $vgpr3
.LBB77_665:
	s_andn2_b32 vcc_lo, exec_lo, s1
	s_cbranch_vccnz .LBB77_667
; %bb.666:
	global_load_dword v3, v[1:2], off
	s_waitcnt vmcnt(0)
	v_bfe_u32 v4, v3, 16, 1
	v_cmp_o_f32_e32 vcc_lo, v3, v3
	v_add3_u32 v3, v3, v4, 0x7fff
	v_mov_b32_e32 v4, 0x7fc0
	v_cndmask_b32_sdwa v3, v4, v3, vcc_lo dst_sel:DWORD dst_unused:UNUSED_PAD src0_sel:DWORD src1_sel:WORD_1
.LBB77_667:
	s_mov_b32 s1, 0
.LBB77_668:
	s_andn2_b32 vcc_lo, exec_lo, s1
	s_cbranch_vccnz .LBB77_670
; %bb.669:
	global_load_dword v3, v[1:2], off
	s_waitcnt vmcnt(0)
	v_cvt_f32_f16_e32 v4, v3
	v_cmp_o_f16_e32 vcc_lo, v3, v3
	v_bfe_u32 v5, v4, 16, 1
	v_add3_u32 v3, v4, v5, 0x7fff
	v_mov_b32_e32 v4, 0x7fc0
	v_cndmask_b32_sdwa v3, v4, v3, vcc_lo dst_sel:DWORD dst_unused:UNUSED_PAD src0_sel:DWORD src1_sel:WORD_1
.LBB77_670:
	s_mov_b32 s1, 0
.LBB77_671:
	s_andn2_b32 vcc_lo, exec_lo, s1
	s_cbranch_vccnz .LBB77_682
; %bb.672:
	s_cmp_lt_i32 s0, 6
	s_cbranch_scc1 .LBB77_675
; %bb.673:
	s_cmp_gt_i32 s0, 6
	s_cbranch_scc0 .LBB77_676
; %bb.674:
	global_load_dwordx2 v[3:4], v[1:2], off
	s_mov_b32 s1, 0
	s_waitcnt vmcnt(0)
	v_cvt_f32_f64_e32 v3, v[3:4]
	v_bfe_u32 v4, v3, 16, 1
	v_cmp_o_f32_e32 vcc_lo, v3, v3
	v_add3_u32 v3, v3, v4, 0x7fff
	v_mov_b32_e32 v4, 0x7fc0
	v_cndmask_b32_sdwa v3, v4, v3, vcc_lo dst_sel:DWORD dst_unused:UNUSED_PAD src0_sel:DWORD src1_sel:WORD_1
	s_branch .LBB77_677
.LBB77_675:
	s_mov_b32 s1, -1
                                        ; implicit-def: $vgpr3
	s_branch .LBB77_680
.LBB77_676:
	s_mov_b32 s1, -1
                                        ; implicit-def: $vgpr3
.LBB77_677:
	s_andn2_b32 vcc_lo, exec_lo, s1
	s_cbranch_vccnz .LBB77_679
; %bb.678:
	global_load_dword v3, v[1:2], off
	s_waitcnt vmcnt(0)
	v_bfe_u32 v4, v3, 16, 1
	v_cmp_o_f32_e32 vcc_lo, v3, v3
	v_add3_u32 v3, v3, v4, 0x7fff
	v_mov_b32_e32 v4, 0x7fc0
	v_cndmask_b32_sdwa v3, v4, v3, vcc_lo dst_sel:DWORD dst_unused:UNUSED_PAD src0_sel:DWORD src1_sel:WORD_1
.LBB77_679:
	s_mov_b32 s1, 0
.LBB77_680:
	s_andn2_b32 vcc_lo, exec_lo, s1
	s_cbranch_vccnz .LBB77_682
; %bb.681:
	global_load_ushort v3, v[1:2], off
	s_waitcnt vmcnt(0)
	v_cvt_f32_f16_e32 v4, v3
	v_cmp_o_f16_e32 vcc_lo, v3, v3
	v_bfe_u32 v5, v4, 16, 1
	v_add3_u32 v3, v4, v5, 0x7fff
	v_mov_b32_e32 v4, 0x7fc0
	v_cndmask_b32_sdwa v3, v4, v3, vcc_lo dst_sel:DWORD dst_unused:UNUSED_PAD src0_sel:DWORD src1_sel:WORD_1
.LBB77_682:
	s_mov_b32 s1, 0
.LBB77_683:
	s_andn2_b32 vcc_lo, exec_lo, s1
	s_cbranch_vccnz .LBB77_703
; %bb.684:
	s_cmp_lt_i32 s0, 2
	s_cbranch_scc1 .LBB77_688
; %bb.685:
	s_cmp_lt_i32 s0, 3
	s_cbranch_scc1 .LBB77_689
; %bb.686:
	s_cmp_gt_i32 s0, 3
	s_cbranch_scc0 .LBB77_690
; %bb.687:
	global_load_dwordx2 v[3:4], v[1:2], off
	s_mov_b32 s1, 0
	s_waitcnt vmcnt(0)
	v_xor_b32_e32 v5, v3, v4
	v_ffbh_i32_e32 v6, v4
	v_ashrrev_i32_e32 v5, 31, v5
	v_add_nc_u32_e32 v6, -1, v6
	v_add_nc_u32_e32 v5, 32, v5
	v_min_u32_e32 v5, v6, v5
	v_lshlrev_b64 v[3:4], v5, v[3:4]
	v_min_u32_e32 v3, 1, v3
	v_or_b32_e32 v3, v4, v3
	v_sub_nc_u32_e32 v4, 32, v5
	v_cvt_f32_i32_e32 v3, v3
	v_ldexp_f32 v3, v3, v4
	v_bfe_u32 v4, v3, 16, 1
	v_add3_u32 v3, v3, v4, 0x7fff
	v_lshrrev_b32_e32 v3, 16, v3
	s_branch .LBB77_691
.LBB77_688:
	s_mov_b32 s1, -1
                                        ; implicit-def: $vgpr3
	s_branch .LBB77_697
.LBB77_689:
	s_mov_b32 s1, -1
                                        ; implicit-def: $vgpr3
	s_branch .LBB77_694
.LBB77_690:
	s_mov_b32 s1, -1
                                        ; implicit-def: $vgpr3
.LBB77_691:
	s_andn2_b32 vcc_lo, exec_lo, s1
	s_cbranch_vccnz .LBB77_693
; %bb.692:
	global_load_dword v3, v[1:2], off
	s_waitcnt vmcnt(0)
	v_cvt_f32_i32_e32 v3, v3
	v_bfe_u32 v4, v3, 16, 1
	v_add3_u32 v3, v3, v4, 0x7fff
	v_lshrrev_b32_e32 v3, 16, v3
.LBB77_693:
	s_mov_b32 s1, 0
.LBB77_694:
	s_andn2_b32 vcc_lo, exec_lo, s1
	s_cbranch_vccnz .LBB77_696
; %bb.695:
	global_load_sshort v3, v[1:2], off
	s_waitcnt vmcnt(0)
	v_cvt_f32_i32_e32 v3, v3
	v_bfe_u32 v4, v3, 16, 1
	v_add3_u32 v3, v3, v4, 0x7fff
	v_lshrrev_b32_e32 v3, 16, v3
.LBB77_696:
	s_mov_b32 s1, 0
.LBB77_697:
	s_andn2_b32 vcc_lo, exec_lo, s1
	s_cbranch_vccnz .LBB77_703
; %bb.698:
	s_cmp_gt_i32 s0, 0
	s_mov_b32 s0, 0
	s_cbranch_scc0 .LBB77_700
; %bb.699:
	global_load_sbyte v3, v[1:2], off
	s_waitcnt vmcnt(0)
	v_cvt_f32_i32_e32 v3, v3
	v_bfe_u32 v4, v3, 16, 1
	v_add3_u32 v3, v3, v4, 0x7fff
	v_lshrrev_b32_e32 v3, 16, v3
	s_branch .LBB77_701
.LBB77_700:
	s_mov_b32 s0, -1
                                        ; implicit-def: $vgpr3
.LBB77_701:
	s_andn2_b32 vcc_lo, exec_lo, s0
	s_cbranch_vccnz .LBB77_703
; %bb.702:
	global_load_ubyte v1, v[1:2], off
	s_waitcnt vmcnt(0)
	v_cvt_f32_ubyte0_e32 v1, v1
	v_bfe_u32 v2, v1, 16, 1
	v_add3_u32 v1, v1, v2, 0x7fff
	v_lshrrev_b32_e32 v3, 16, v1
.LBB77_703:
	s_mov_b32 s1, -1
.LBB77_704:
	s_andn2_b32 vcc_lo, exec_lo, s1
	s_cbranch_vccnz .LBB77_718
; %bb.705:
	s_waitcnt vmcnt(0)
	v_lshlrev_b32_e32 v1, 16, v3
	v_mov_b32_e32 v3, 0
	v_mov_b32_e32 v2, 1.0
	s_mov_b32 s2, exec_lo
	v_cmpx_gt_f32_e32 0.5, v1
	s_cbranch_execz .LBB77_711
; %bb.706:
	v_mul_f32_e32 v2, 0x40490fdb, v1
                                        ; implicit-def: $vgpr5
                                        ; implicit-def: $vgpr4
	s_mov_b32 s1, exec_lo
	v_and_b32_e32 v3, 0x7fffffff, v2
	v_cmpx_ngt_f32_e64 0x48000000, |v2|
	s_xor_b32 s3, exec_lo, s1
	s_cbranch_execz .LBB77_708
; %bb.707:
	s_mov_b32 s0, 0x7fffff
	v_mov_b32_e32 v6, 0
	v_and_or_b32 v7, v3, s0, 0x800000
	v_lshrrev_b32_e32 v13, 23, v3
	v_mad_u64_u32 v[4:5], null, 0xfe5163ab, v7, 0
	v_add_nc_u32_e32 v14, 0xffffff88, v13
	v_cmp_lt_u32_e32 vcc_lo, 63, v14
	v_mad_u64_u32 v[9:10], null, 0x3c439041, v7, v[5:6]
	v_cndmask_b32_e64 v15, 0, 0xffffffc0, vcc_lo
	v_mov_b32_e32 v5, v10
	v_add_nc_u32_e32 v15, v15, v14
	v_mad_u64_u32 v[10:11], null, 0xdb629599, v7, v[5:6]
	v_cmp_lt_u32_e64 s0, 31, v15
	v_cndmask_b32_e64 v16, 0, 0xffffffe0, s0
	v_mov_b32_e32 v5, v11
	v_cndmask_b32_e32 v4, v10, v4, vcc_lo
	v_mad_u64_u32 v[11:12], null, 0xf534ddc0, v7, v[5:6]
	v_mov_b32_e32 v5, v12
	v_cndmask_b32_e32 v9, v11, v9, vcc_lo
	v_mad_u64_u32 v[12:13], null, 0xfc2757d1, v7, v[5:6]
	v_cndmask_b32_e64 v4, v9, v4, s0
	v_mov_b32_e32 v5, v13
	v_mad_u64_u32 v[13:14], null, 0x4e441529, v7, v[5:6]
	v_mov_b32_e32 v5, v14
	v_add_nc_u32_e32 v14, v16, v15
	v_cndmask_b32_e32 v15, v13, v11, vcc_lo
	v_mad_u64_u32 v[5:6], null, 0xa2f9836e, v7, v[5:6]
	v_cmp_lt_u32_e64 s1, 31, v14
	v_cndmask_b32_e64 v7, 0, 0xffffffe0, s1
	v_cndmask_b32_e32 v5, v5, v12, vcc_lo
	v_cndmask_b32_e32 v6, v6, v13, vcc_lo
	v_cndmask_b32_e32 v12, v12, v10, vcc_lo
	v_add_nc_u32_e32 v7, v7, v14
	v_cndmask_b32_e64 v11, v5, v15, s0
	v_cndmask_b32_e64 v5, v6, v5, s0
	;; [unrolled: 1-line block ×4, first 2 shown]
	v_sub_nc_u32_e32 v13, 32, v7
	v_cmp_eq_u32_e32 vcc_lo, 0, v7
	v_cndmask_b32_e64 v5, v5, v11, s1
	v_cndmask_b32_e64 v11, v11, v6, s1
	;; [unrolled: 1-line block ×4, first 2 shown]
	v_alignbit_b32 v14, v5, v11, v13
	v_alignbit_b32 v10, v11, v6, v13
	;; [unrolled: 1-line block ×3, first 2 shown]
	v_cndmask_b32_e32 v5, v14, v5, vcc_lo
	v_cndmask_b32_e32 v7, v10, v11, vcc_lo
	;; [unrolled: 1-line block ×3, first 2 shown]
	v_bfe_u32 v9, v5, 29, 1
	v_alignbit_b32 v10, v5, v7, 30
	v_alignbit_b32 v7, v7, v6, 30
	;; [unrolled: 1-line block ×3, first 2 shown]
	v_sub_nc_u32_e32 v11, 0, v9
	v_xor_b32_e32 v10, v10, v11
	v_xor_b32_e32 v6, v7, v11
	;; [unrolled: 1-line block ×3, first 2 shown]
	v_lshrrev_b32_e32 v11, 29, v5
	v_lshrrev_b32_e32 v5, 30, v5
	v_ffbh_u32_e32 v12, v10
	v_add_nc_u32_e32 v5, v9, v5
	v_min_u32_e32 v12, 32, v12
	v_sub_nc_u32_e32 v7, 31, v12
	v_lshlrev_b32_e32 v13, 23, v12
	v_alignbit_b32 v10, v10, v6, v7
	v_alignbit_b32 v4, v6, v4, v7
	v_lshlrev_b32_e32 v6, 31, v11
	v_alignbit_b32 v7, v10, v4, 9
	v_or_b32_e32 v11, 0.5, v6
	v_lshrrev_b32_e32 v10, 9, v10
	v_or_b32_e32 v6, 0x33000000, v6
	v_ffbh_u32_e32 v14, v7
	v_sub_nc_u32_e32 v11, v11, v13
	v_min_u32_e32 v13, 32, v14
	v_or_b32_e32 v10, v10, v11
	v_not_b32_e32 v11, v13
	v_mul_f32_e32 v14, 0x3fc90fda, v10
	v_add_lshl_u32 v12, v13, v12, 23
	v_alignbit_b32 v4, v7, v4, v11
	v_fma_f32 v7, 0x3fc90fda, v10, -v14
	v_sub_nc_u32_e32 v6, v6, v12
	v_lshrrev_b32_e32 v4, 9, v4
	v_fmamk_f32 v7, v10, 0x33a22168, v7
	v_or_b32_e32 v4, v6, v4
	v_fmac_f32_e32 v7, 0x3fc90fda, v4
	v_add_f32_e32 v4, v14, v7
.LBB77_708:
	s_andn2_saveexec_b32 s0, s3
; %bb.709:
	v_mul_f32_e64 v4, 0x3f22f983, |v2|
	v_rndne_f32_e32 v5, v4
	v_fma_f32 v4, 0xbfc90fda, v5, |v2|
	v_fmamk_f32 v4, v5, 0xb3a22168, v4
	v_fmamk_f32 v4, v5, 0xa7c234c4, v4
	v_cvt_i32_f32_e32 v5, v5
; %bb.710:
	s_or_b32 exec_lo, exec_lo, s0
	v_mul_f32_e32 v6, v4, v4
	s_mov_b32 s0, 0xb94c1982
	s_mov_b32 s1, 0x37d75334
	v_and_b32_e32 v10, 1, v5
	v_lshlrev_b32_e32 v5, 30, v5
	v_fmaak_f32 v7, s0, v6, 0x3c0881c4
	v_fmaak_f32 v9, s1, v6, 0xbab64f3b
	v_xor_b32_e32 v3, v3, v2
	v_cmp_eq_u32_e32 vcc_lo, 0, v10
	v_and_b32_e32 v5, 0x80000000, v5
	v_fmaak_f32 v7, v6, v7, 0xbe2aaa9d
	v_fmaak_f32 v9, v6, v9, 0x3d2aabf7
	v_sub_f32_e32 v1, 1.0, v1
	v_mul_f32_e32 v7, v6, v7
	v_fmaak_f32 v9, v6, v9, 0xbf000004
	v_fmac_f32_e32 v4, v4, v7
	v_fma_f32 v6, v6, v9, 1.0
	v_cndmask_b32_e32 v4, v6, v4, vcc_lo
	v_cmp_class_f32_e64 vcc_lo, v2, 0x1f8
	v_xor3_b32 v3, v3, v5, v4
	v_cndmask_b32_e32 v2, 0x7fc00000, v3, vcc_lo
	v_mul_f32_e32 v2, v2, v2
	v_div_scale_f32 v3, null, v2, v2, 0xc11de9e7
	v_div_scale_f32 v6, vcc_lo, 0xc11de9e7, v2, 0xc11de9e7
	v_rcp_f32_e32 v4, v3
	v_fma_f32 v5, -v3, v4, 1.0
	v_fmac_f32_e32 v4, v5, v4
	v_mul_f32_e32 v5, v6, v4
	v_fma_f32 v7, -v3, v5, v6
	v_fmac_f32_e32 v5, v7, v4
	v_fma_f32 v3, -v3, v5, v6
	v_div_fmas_f32 v3, v3, v4, v5
	v_div_fixup_f32 v2, v3, v2, 0xc11de9e7
	v_add_f32_e32 v3, 0, v2
	v_mov_b32_e32 v2, -1.0
.LBB77_711:
	s_or_b32 exec_lo, exec_lo, s2
	v_add_f32_e32 v4, 1.0, v1
	v_mul_f32_e32 v1, v1, v1
	v_mul_f32_e32 v5, v4, v4
	v_add_f32_e32 v4, 1.0, v4
	v_div_scale_f32 v6, null, v1, v1, 1.0
	v_div_scale_f32 v9, vcc_lo, 1.0, v1, 1.0
	v_mul_f32_e32 v10, v4, v4
	v_div_scale_f32 v7, null, v5, v5, 1.0
	v_rcp_f32_e32 v11, v6
	v_div_scale_f32 v14, s0, 1.0, v5, 1.0
	v_div_scale_f32 v13, null, v10, v10, 1.0
	v_rcp_f32_e32 v12, v7
	v_add_f32_e32 v4, 1.0, v4
	v_div_scale_f32 v15, s1, 1.0, v10, 1.0
	v_rcp_f32_e32 v16, v13
	v_fma_f32 v18, -v6, v11, 1.0
	v_mul_f32_e32 v17, v4, v4
	v_add_f32_e32 v4, 1.0, v4
	v_fma_f32 v19, -v7, v12, 1.0
	v_fmac_f32_e32 v11, v18, v11
	v_mul_f32_e32 v21, v4, v4
	v_add_f32_e32 v4, 1.0, v4
	v_fma_f32 v18, -v13, v16, 1.0
	v_fmac_f32_e32 v12, v19, v12
	v_mul_f32_e32 v22, v9, v11
	v_div_scale_f32 v20, null, v17, v17, 1.0
	v_fmac_f32_e32 v16, v18, v16
	v_mul_f32_e32 v23, v14, v12
	v_fma_f32 v24, -v6, v22, v9
	v_add_f32_e32 v27, 1.0, v4
	v_rcp_f32_e32 v19, v20
	v_mul_f32_e32 v26, v15, v16
	v_fma_f32 v25, -v7, v23, v14
	v_fmac_f32_e32 v22, v24, v11
	v_mul_f32_e32 v4, v4, v4
	v_div_scale_f32 v18, null, v21, v21, 1.0
	v_fma_f32 v24, -v13, v26, v15
	v_fmac_f32_e32 v23, v25, v12
	v_fma_f32 v6, -v6, v22, v9
	v_mul_f32_e32 v9, v27, v27
	v_rcp_f32_e32 v25, v18
	v_fmac_f32_e32 v26, v24, v16
	v_fma_f32 v7, -v7, v23, v14
	v_div_fmas_f32 v6, v6, v11, v22
	s_mov_b32 vcc_lo, s0
	v_fma_f32 v28, -v20, v19, 1.0
	v_fma_f32 v11, -v13, v26, v15
	v_div_fmas_f32 v7, v7, v12, v23
	s_mov_b32 vcc_lo, s1
	v_div_scale_f32 v12, null, v4, v4, 1.0
	v_div_fmas_f32 v11, v11, v16, v26
	v_div_scale_f32 v13, null, v9, v9, 1.0
	v_add_f32_e32 v16, v27, v27
	v_rcp_f32_e32 v15, v12
	v_fmac_f32_e32 v19, v28, v19
	v_rcp_f32_e32 v23, v13
	v_div_scale_f32 v14, vcc_lo, 1.0, v17, 1.0
	v_div_scale_f32 v26, null, v16, v16, 1.0
	v_fma_f32 v22, -v18, v25, 1.0
	v_mul_f32_e32 v24, v14, v19
	v_div_fixup_f32 v1, v6, v1, 1.0
	v_rcp_f32_e32 v29, v26
	v_fma_f32 v28, -v12, v15, 1.0
	v_fmac_f32_e32 v25, v22, v25
	v_div_scale_f32 v22, s0, 1.0, v21, 1.0
	v_fma_f32 v31, -v13, v23, 1.0
	v_fma_f32 v30, -v20, v24, v14
	v_fmac_f32_e32 v15, v28, v15
	v_div_scale_f32 v28, s1, 1.0, v4, 1.0
	v_mul_f32_e32 v32, v22, v25
	v_fmac_f32_e32 v23, v31, v23
	v_div_scale_f32 v31, s2, 1.0, v9, 1.0
	v_fma_f32 v33, -v26, v29, 1.0
	v_fmac_f32_e32 v24, v30, v19
	v_mul_f32_e32 v34, v28, v15
	v_fma_f32 v30, -v18, v32, v22
	v_mul_f32_e32 v35, v31, v23
	v_fmac_f32_e32 v29, v33, v29
	v_div_scale_f32 v33, s3, 1.0, v16, 1.0
	v_fma_f32 v14, -v20, v24, v14
	v_fma_f32 v20, -v12, v34, v28
	v_fmac_f32_e32 v32, v30, v25
	v_fma_f32 v30, -v13, v35, v31
	v_mul_f32_e32 v36, v33, v29
	v_div_fmas_f32 v14, v14, v19, v24
	v_fmac_f32_e32 v34, v20, v15
	v_fma_f32 v18, -v18, v32, v22
	v_fmac_f32_e32 v35, v30, v23
	v_fma_f32 v19, -v26, v36, v33
	s_mov_b32 vcc_lo, s0
	v_fma_f32 v12, -v12, v34, v28
	v_div_fmas_f32 v18, v18, v25, v32
	v_fma_f32 v13, -v13, v35, v31
	v_fmac_f32_e32 v36, v19, v29
	s_mov_b32 vcc_lo, s1
	s_mov_b32 s0, 0xbcc30c31
	v_div_fmas_f32 v12, v12, v15, v34
	s_mov_b32 vcc_lo, s2
	v_fma_f32 v15, -v26, v36, v33
	v_div_fmas_f32 v13, v13, v23, v35
	s_mov_b32 vcc_lo, s3
	v_add_f32_e32 v1, v3, v1
	v_div_fixup_f32 v3, v7, v5, 1.0
	v_div_fmas_f32 v15, v15, v29, v36
	v_div_fixup_f32 v9, v13, v9, 1.0
	s_and_b32 s1, s29, 0xff
	v_add_f32_e32 v1, v1, v3
	v_div_fixup_f32 v13, v15, v16, 1.0
	v_fmaak_f32 v15, s0, v9, 0x3d088889
	v_div_fixup_f32 v3, v11, v10, 1.0
	v_add_co_u32 v0, s0, s8, v0
	v_add_f32_e32 v13, 1.0, v13
	v_fma_f32 v15, -v9, v15, 0x3e2aaaab
	v_add_f32_e32 v1, v1, v3
	v_div_fixup_f32 v3, v14, v17, 1.0
	s_cmp_lt_i32 s1, 11
	v_fmac_f32_e32 v13, v9, v15
	v_add_f32_e32 v1, v1, v3
	v_div_fixup_f32 v3, v18, v21, 1.0
	v_div_scale_f32 v9, null, v27, v27, v13
	v_div_scale_f32 v5, vcc_lo, v13, v27, v13
	v_add_f32_e32 v1, v1, v3
	v_rcp_f32_e32 v15, v9
	v_div_fixup_f32 v3, v12, v4, 1.0
	v_add_f32_e32 v1, v1, v3
	v_fma_f32 v6, -v9, v15, 1.0
	v_fmac_f32_e32 v15, v6, v15
	v_mul_f32_e32 v6, v5, v15
	v_fma_f32 v7, -v9, v6, v5
	v_fmac_f32_e32 v6, v7, v15
	v_fma_f32 v5, -v9, v6, v5
	v_div_fmas_f32 v4, v5, v15, v6
	v_div_fixup_f32 v3, v4, v27, v13
	v_add_f32_e32 v1, v1, v3
	v_mov_b32_e32 v3, 0x7fc0
	v_mul_f32_e32 v1, v2, v1
	v_bfe_u32 v2, v1, 16, 1
	v_cmp_o_f32_e32 vcc_lo, v1, v1
	v_add3_u32 v2, v1, v2, 0x7fff
	v_add_co_ci_u32_e64 v1, null, s9, 0, s0
	v_cndmask_b32_sdwa v2, v3, v2, vcc_lo dst_sel:DWORD dst_unused:UNUSED_PAD src0_sel:DWORD src1_sel:WORD_1
	s_cbranch_scc1 .LBB77_719
; %bb.712:
	s_and_b32 s2, 0xffff, s1
	s_cmp_gt_i32 s2, 25
	s_cbranch_scc0 .LBB77_720
; %bb.713:
	s_cmp_gt_i32 s2, 28
	s_cbranch_scc0 .LBB77_721
; %bb.714:
	;; [unrolled: 3-line block ×4, first 2 shown]
	s_mov_b32 s44, 0
	s_mov_b32 s0, -1
	s_cmp_eq_u32 s2, 46
	s_mov_b32 s3, 0
	s_cbranch_scc0 .LBB77_724
; %bb.717:
	v_and_b32_e32 v3, 0xffff, v2
	s_mov_b32 s3, -1
	s_mov_b32 s0, 0
	global_store_dword v[0:1], v3, off
	s_branch .LBB77_724
.LBB77_718:
	s_mov_b32 s1, 0
	s_mov_b32 s0, s40
	s_branch .LBB77_835
.LBB77_719:
	s_mov_b32 s2, -1
	s_mov_b32 s3, 0
	s_mov_b32 s0, s40
	s_branch .LBB77_793
.LBB77_720:
	s_mov_b32 s44, -1
	s_mov_b32 s3, 0
	s_mov_b32 s0, s40
	s_branch .LBB77_751
.LBB77_721:
	s_mov_b32 s44, -1
	s_mov_b32 s3, 0
	s_mov_b32 s0, s40
	s_branch .LBB77_734
.LBB77_722:
	s_mov_b32 s44, -1
	s_mov_b32 s3, 0
	s_mov_b32 s0, s40
	s_branch .LBB77_730
.LBB77_723:
	s_mov_b32 s44, -1
	s_mov_b32 s3, 0
	s_mov_b32 s0, s40
.LBB77_724:
	s_and_b32 vcc_lo, exec_lo, s44
	s_cbranch_vccz .LBB77_729
; %bb.725:
	s_cmp_eq_u32 s2, 44
	s_mov_b32 s0, -1
	s_cbranch_scc0 .LBB77_729
; %bb.726:
	v_and_b32_e32 v3, 0xffff, v2
	v_mov_b32_e32 v4, 0xff
	s_mov_b32 s3, exec_lo
	v_bfe_u32 v5, v3, 7, 8
	v_cmpx_ne_u32_e32 0xff, v5
	s_cbranch_execz .LBB77_728
; %bb.727:
	v_lshlrev_b32_e32 v4, 16, v3
	v_and_b32_e32 v6, 64, v3
	v_lshrrev_b32_e32 v3, 7, v3
	v_and_or_b32 v4, 0x3f0000, v4, v5
	v_cmp_ne_u32_e32 vcc_lo, 0, v6
	v_cmp_ne_u32_e64 s0, 0, v4
	s_and_b32 s0, vcc_lo, s0
	v_cndmask_b32_e64 v4, 0, 1, s0
	v_add_nc_u32_e32 v4, v3, v4
.LBB77_728:
	s_or_b32 exec_lo, exec_lo, s3
	s_mov_b32 s3, -1
	s_mov_b32 s0, 0
	global_store_byte v[0:1], v4, off
.LBB77_729:
	s_mov_b32 s44, 0
.LBB77_730:
	s_and_b32 vcc_lo, exec_lo, s44
	s_cbranch_vccz .LBB77_733
; %bb.731:
	s_cmp_eq_u32 s2, 29
	s_mov_b32 s0, -1
	s_cbranch_scc0 .LBB77_733
; %bb.732:
	v_lshlrev_b32_e32 v3, 16, v2
	s_mov_b32 s3, -1
	s_mov_b32 s0, 0
	s_mov_b32 s44, 0
	v_trunc_f32_e32 v3, v3
	v_mul_f32_e32 v4, 0x2f800000, v3
	v_floor_f32_e32 v4, v4
	v_fmamk_f32 v3, v4, 0xcf800000, v3
	v_cvt_u32_f32_e32 v4, v4
	v_cvt_u32_f32_e32 v3, v3
	global_store_dwordx2 v[0:1], v[3:4], off
	s_branch .LBB77_734
.LBB77_733:
	s_mov_b32 s44, 0
.LBB77_734:
	s_and_b32 vcc_lo, exec_lo, s44
	s_cbranch_vccz .LBB77_750
; %bb.735:
	s_cmp_lt_i32 s2, 27
	s_mov_b32 s3, -1
	s_cbranch_scc1 .LBB77_741
; %bb.736:
	s_cmp_gt_i32 s2, 27
	s_cbranch_scc0 .LBB77_738
; %bb.737:
	v_lshlrev_b32_e32 v3, 16, v2
	s_mov_b32 s3, 0
	v_cvt_u32_f32_e32 v3, v3
	global_store_dword v[0:1], v3, off
.LBB77_738:
	s_andn2_b32 vcc_lo, exec_lo, s3
	s_cbranch_vccnz .LBB77_740
; %bb.739:
	v_lshlrev_b32_e32 v3, 16, v2
	v_cvt_u32_f32_e32 v3, v3
	global_store_short v[0:1], v3, off
.LBB77_740:
	s_mov_b32 s3, 0
.LBB77_741:
	s_andn2_b32 vcc_lo, exec_lo, s3
	s_cbranch_vccnz .LBB77_749
; %bb.742:
	v_lshlrev_b32_e32 v5, 16, v2
	v_mov_b32_e32 v6, 0x80
	s_mov_b32 s3, exec_lo
	v_and_b32_e32 v4, 0x7fffffff, v5
	v_cmpx_gt_u32_e32 0x43800000, v4
	s_cbranch_execz .LBB77_748
; %bb.743:
	v_and_b32_e32 v3, 0xffff, v2
	v_cmp_lt_u32_e32 vcc_lo, 0x3bffffff, v4
	s_mov_b32 s44, 0
                                        ; implicit-def: $vgpr4
	s_and_saveexec_b32 s45, vcc_lo
	s_xor_b32 s45, exec_lo, s45
	s_cbranch_execz .LBB77_865
; %bb.744:
	v_bfe_u32 v4, v3, 4, 1
	s_mov_b32 s44, exec_lo
	v_add3_u32 v4, v5, v4, 0x487ffff
                                        ; implicit-def: $vgpr5
	v_lshrrev_b32_e32 v4, 20, v4
	s_andn2_saveexec_b32 s45, s45
	s_cbranch_execnz .LBB77_866
.LBB77_745:
	s_or_b32 exec_lo, exec_lo, s45
	v_mov_b32_e32 v6, 0
	s_and_saveexec_b32 s45, s44
.LBB77_746:
	v_lshrrev_b32_e32 v3, 8, v3
	v_and_or_b32 v6, 0x80, v3, v4
.LBB77_747:
	s_or_b32 exec_lo, exec_lo, s45
.LBB77_748:
	s_or_b32 exec_lo, exec_lo, s3
	global_store_byte v[0:1], v6, off
.LBB77_749:
	s_mov_b32 s3, -1
.LBB77_750:
	s_mov_b32 s44, 0
.LBB77_751:
	s_and_b32 vcc_lo, exec_lo, s44
	s_cbranch_vccz .LBB77_792
; %bb.752:
	s_cmp_gt_i32 s2, 22
	s_mov_b32 s44, -1
	s_cbranch_scc0 .LBB77_784
; %bb.753:
	s_cmp_lt_i32 s2, 24
	s_mov_b32 s3, -1
	s_cbranch_scc1 .LBB77_773
; %bb.754:
	s_cmp_gt_i32 s2, 24
	s_cbranch_scc0 .LBB77_762
; %bb.755:
	v_lshlrev_b32_e32 v5, 16, v2
	v_mov_b32_e32 v6, 0x80
	s_mov_b32 s3, exec_lo
	v_and_b32_e32 v4, 0x7fffffff, v5
	v_cmpx_gt_u32_e32 0x47800000, v4
	s_cbranch_execz .LBB77_761
; %bb.756:
	v_and_b32_e32 v3, 0xffff, v2
	v_cmp_lt_u32_e32 vcc_lo, 0x37ffffff, v4
	s_mov_b32 s44, 0
                                        ; implicit-def: $vgpr4
	s_and_saveexec_b32 s45, vcc_lo
	s_xor_b32 s45, exec_lo, s45
	s_cbranch_execz .LBB77_868
; %bb.757:
	v_bfe_u32 v4, v3, 5, 1
	s_mov_b32 s44, exec_lo
	v_add3_u32 v4, v5, v4, 0x88fffff
                                        ; implicit-def: $vgpr5
	v_lshrrev_b32_e32 v4, 21, v4
	s_andn2_saveexec_b32 s45, s45
	s_cbranch_execnz .LBB77_869
.LBB77_758:
	s_or_b32 exec_lo, exec_lo, s45
	v_mov_b32_e32 v6, 0
	s_and_saveexec_b32 s45, s44
.LBB77_759:
	v_lshrrev_b32_e32 v3, 8, v3
	v_and_or_b32 v6, 0x80, v3, v4
.LBB77_760:
	s_or_b32 exec_lo, exec_lo, s45
.LBB77_761:
	s_or_b32 exec_lo, exec_lo, s3
	s_mov_b32 s3, 0
	global_store_byte v[0:1], v6, off
.LBB77_762:
	s_and_b32 vcc_lo, exec_lo, s3
	s_cbranch_vccz .LBB77_772
; %bb.763:
	v_lshlrev_b32_e32 v5, 16, v2
	v_and_b32_e32 v3, 0xffff, v2
	s_mov_b32 s3, exec_lo
                                        ; implicit-def: $vgpr4
	v_and_b32_e32 v6, 0x7fffffff, v5
	v_cmpx_gt_u32_e32 0x43f00000, v6
	s_xor_b32 s3, exec_lo, s3
	s_cbranch_execz .LBB77_769
; %bb.764:
	s_mov_b32 s44, exec_lo
                                        ; implicit-def: $vgpr4
	v_cmpx_lt_u32_e32 0x3c7fffff, v6
	s_xor_b32 s44, exec_lo, s44
; %bb.765:
	v_bfe_u32 v4, v3, 4, 1
	v_add3_u32 v4, v5, v4, 0x407ffff
	v_and_b32_e32 v5, 0xff00000, v4
	v_lshrrev_b32_e32 v4, 20, v4
	v_cmp_ne_u32_e32 vcc_lo, 0x7f00000, v5
                                        ; implicit-def: $vgpr5
	v_cndmask_b32_e32 v4, 0x7e, v4, vcc_lo
; %bb.766:
	s_andn2_saveexec_b32 s44, s44
; %bb.767:
	v_add_f32_e64 v4, 0x46800000, |v5|
; %bb.768:
	s_or_b32 exec_lo, exec_lo, s44
                                        ; implicit-def: $vgpr6
.LBB77_769:
	s_andn2_saveexec_b32 s3, s3
; %bb.770:
	v_mov_b32_e32 v4, 0x7f
	v_cmp_lt_u32_e32 vcc_lo, 0x7f800000, v6
	v_cndmask_b32_e32 v4, 0x7e, v4, vcc_lo
; %bb.771:
	s_or_b32 exec_lo, exec_lo, s3
	v_lshrrev_b32_e32 v3, 8, v3
	v_and_or_b32 v3, 0x80, v3, v4
	global_store_byte v[0:1], v3, off
.LBB77_772:
	s_mov_b32 s3, 0
.LBB77_773:
	s_andn2_b32 vcc_lo, exec_lo, s3
	s_cbranch_vccnz .LBB77_783
; %bb.774:
	v_lshlrev_b32_e32 v5, 16, v2
	v_and_b32_e32 v3, 0xffff, v2
	s_mov_b32 s3, exec_lo
                                        ; implicit-def: $vgpr4
	v_and_b32_e32 v6, 0x7fffffff, v5
	v_cmpx_gt_u32_e32 0x47800000, v6
	s_xor_b32 s3, exec_lo, s3
	s_cbranch_execz .LBB77_780
; %bb.775:
	s_mov_b32 s44, exec_lo
                                        ; implicit-def: $vgpr4
	v_cmpx_lt_u32_e32 0x387fffff, v6
	s_xor_b32 s44, exec_lo, s44
; %bb.776:
	v_bfe_u32 v4, v3, 5, 1
	v_add3_u32 v4, v5, v4, 0x80fffff
                                        ; implicit-def: $vgpr5
	v_lshrrev_b32_e32 v4, 21, v4
; %bb.777:
	s_andn2_saveexec_b32 s44, s44
; %bb.778:
	v_add_f32_e64 v4, 0x43000000, |v5|
; %bb.779:
	s_or_b32 exec_lo, exec_lo, s44
                                        ; implicit-def: $vgpr6
.LBB77_780:
	s_andn2_saveexec_b32 s3, s3
; %bb.781:
	v_mov_b32_e32 v4, 0x7f
	v_cmp_lt_u32_e32 vcc_lo, 0x7f800000, v6
	v_cndmask_b32_e32 v4, 0x7c, v4, vcc_lo
; %bb.782:
	s_or_b32 exec_lo, exec_lo, s3
	v_lshrrev_b32_e32 v3, 8, v3
	v_and_or_b32 v3, 0x80, v3, v4
	global_store_byte v[0:1], v3, off
.LBB77_783:
	s_mov_b32 s44, 0
	s_mov_b32 s3, -1
.LBB77_784:
	s_andn2_b32 vcc_lo, exec_lo, s44
	s_cbranch_vccnz .LBB77_792
; %bb.785:
	s_cmp_gt_i32 s2, 14
	s_mov_b32 s44, -1
	s_cbranch_scc0 .LBB77_789
; %bb.786:
	s_cmp_eq_u32 s2, 15
	s_mov_b32 s0, -1
	s_cbranch_scc0 .LBB77_788
; %bb.787:
	s_mov_b32 s3, -1
	s_mov_b32 s0, 0
	global_store_short v[0:1], v2, off
.LBB77_788:
	s_mov_b32 s44, 0
.LBB77_789:
	s_and_b32 vcc_lo, exec_lo, s44
	s_cbranch_vccz .LBB77_792
; %bb.790:
	s_cmp_eq_u32 s2, 11
	s_mov_b32 s0, -1
	s_cbranch_scc0 .LBB77_792
; %bb.791:
	v_and_b32_e32 v3, 0x7fff, v2
	s_mov_b32 s0, 0
	s_mov_b32 s3, -1
	v_cmp_ne_u16_e32 vcc_lo, 0, v3
	v_cndmask_b32_e64 v3, 0, 1, vcc_lo
	global_store_byte v[0:1], v3, off
.LBB77_792:
	s_mov_b32 s2, 0
.LBB77_793:
	s_and_b32 vcc_lo, exec_lo, s2
	s_cbranch_vccz .LBB77_832
; %bb.794:
	s_and_b32 s1, 0xffff, s1
	s_mov_b32 s2, -1
	s_cmp_lt_i32 s1, 5
	s_cbranch_scc1 .LBB77_815
; %bb.795:
	s_cmp_lt_i32 s1, 8
	s_cbranch_scc1 .LBB77_805
; %bb.796:
	;; [unrolled: 3-line block ×3, first 2 shown]
	s_cmp_gt_i32 s1, 9
	s_cbranch_scc0 .LBB77_799
; %bb.798:
	v_lshlrev_b32_e32 v3, 16, v2
	v_mov_b32_e32 v5, 0
	s_mov_b32 s2, 0
	v_cvt_f64_f32_e32 v[3:4], v3
	v_mov_b32_e32 v6, v5
	global_store_dwordx4 v[0:1], v[3:6], off
.LBB77_799:
	s_andn2_b32 vcc_lo, exec_lo, s2
	s_cbranch_vccnz .LBB77_801
; %bb.800:
	v_lshlrev_b32_e32 v3, 16, v2
	v_mov_b32_e32 v4, 0
	global_store_dwordx2 v[0:1], v[3:4], off
.LBB77_801:
	s_mov_b32 s2, 0
.LBB77_802:
	s_andn2_b32 vcc_lo, exec_lo, s2
	s_cbranch_vccnz .LBB77_804
; %bb.803:
	v_lshlrev_b32_e32 v3, 16, v2
	v_cvt_f16_f32_e32 v3, v3
	v_and_b32_e32 v3, 0xffff, v3
	global_store_dword v[0:1], v3, off
.LBB77_804:
	s_mov_b32 s2, 0
.LBB77_805:
	s_andn2_b32 vcc_lo, exec_lo, s2
	s_cbranch_vccnz .LBB77_814
; %bb.806:
	s_cmp_lt_i32 s1, 6
	s_mov_b32 s2, -1
	s_cbranch_scc1 .LBB77_812
; %bb.807:
	s_cmp_gt_i32 s1, 6
	s_cbranch_scc0 .LBB77_809
; %bb.808:
	v_lshlrev_b32_e32 v3, 16, v2
	s_mov_b32 s2, 0
	v_cvt_f64_f32_e32 v[3:4], v3
	global_store_dwordx2 v[0:1], v[3:4], off
.LBB77_809:
	s_andn2_b32 vcc_lo, exec_lo, s2
	s_cbranch_vccnz .LBB77_811
; %bb.810:
	v_lshlrev_b32_e32 v3, 16, v2
	global_store_dword v[0:1], v3, off
.LBB77_811:
	s_mov_b32 s2, 0
.LBB77_812:
	s_andn2_b32 vcc_lo, exec_lo, s2
	s_cbranch_vccnz .LBB77_814
; %bb.813:
	v_lshlrev_b32_e32 v3, 16, v2
	v_cvt_f16_f32_e32 v3, v3
	global_store_short v[0:1], v3, off
.LBB77_814:
	s_mov_b32 s2, 0
.LBB77_815:
	s_andn2_b32 vcc_lo, exec_lo, s2
	s_cbranch_vccnz .LBB77_831
; %bb.816:
	s_cmp_lt_i32 s1, 2
	s_mov_b32 s2, -1
	s_cbranch_scc1 .LBB77_826
; %bb.817:
	s_cmp_lt_i32 s1, 3
	s_cbranch_scc1 .LBB77_823
; %bb.818:
	s_cmp_gt_i32 s1, 3
	s_cbranch_scc0 .LBB77_820
; %bb.819:
	v_lshlrev_b32_e32 v3, 16, v2
	s_mov_b32 s2, 0
	v_trunc_f32_e32 v3, v3
	v_mul_f32_e64 v4, 0x2f800000, |v3|
	v_ashrrev_i32_e32 v6, 31, v3
	v_floor_f32_e32 v4, v4
	v_fma_f32 v5, 0xcf800000, v4, |v3|
	v_cvt_u32_f32_e32 v4, v4
	v_cvt_u32_f32_e32 v3, v5
	v_xor_b32_e32 v4, v4, v6
	v_xor_b32_e32 v3, v3, v6
	v_sub_co_u32 v3, vcc_lo, v3, v6
	v_sub_co_ci_u32_e64 v4, null, v4, v6, vcc_lo
	global_store_dwordx2 v[0:1], v[3:4], off
.LBB77_820:
	s_andn2_b32 vcc_lo, exec_lo, s2
	s_cbranch_vccnz .LBB77_822
; %bb.821:
	v_lshlrev_b32_e32 v3, 16, v2
	v_cvt_i32_f32_e32 v3, v3
	global_store_dword v[0:1], v3, off
.LBB77_822:
	s_mov_b32 s2, 0
.LBB77_823:
	s_andn2_b32 vcc_lo, exec_lo, s2
	s_cbranch_vccnz .LBB77_825
; %bb.824:
	v_lshlrev_b32_e32 v3, 16, v2
	v_cvt_i32_f32_e32 v3, v3
	global_store_short v[0:1], v3, off
.LBB77_825:
	s_mov_b32 s2, 0
.LBB77_826:
	s_andn2_b32 vcc_lo, exec_lo, s2
	s_cbranch_vccnz .LBB77_831
; %bb.827:
	v_lshlrev_b32_e32 v2, 16, v2
	s_cmp_gt_i32 s1, 0
	s_mov_b32 s1, -1
	s_cbranch_scc0 .LBB77_829
; %bb.828:
	v_cvt_i32_f32_e32 v3, v2
	s_mov_b32 s1, 0
	global_store_byte v[0:1], v3, off
.LBB77_829:
	s_andn2_b32 vcc_lo, exec_lo, s1
	s_cbranch_vccnz .LBB77_831
; %bb.830:
	v_trunc_f32_e32 v2, v2
	v_mul_f32_e64 v3, 0x2f800000, |v2|
	v_floor_f32_e32 v3, v3
	v_fma_f32 v3, 0xcf800000, v3, |v2|
	v_ashrrev_i32_e32 v2, 31, v2
	v_cvt_u32_f32_e32 v3, v3
	v_xor_b32_e32 v3, v3, v2
	v_sub_nc_u32_e32 v2, v3, v2
	global_store_byte v[0:1], v2, off
.LBB77_831:
	s_mov_b32 s3, -1
.LBB77_832:
	s_andn2_b32 vcc_lo, exec_lo, s3
	s_cbranch_vccnz .LBB77_834
; %bb.833:
	v_add_nc_u32_e32 v8, 0x80, v8
	s_mov_b32 s1, -1
	s_branch .LBB77_836
.LBB77_834:
	s_mov_b32 s1, 0
.LBB77_835:
                                        ; implicit-def: $vgpr8
.LBB77_836:
	s_andn2_b32 s2, s40, exec_lo
	s_and_b32 s0, s0, exec_lo
	s_andn2_b32 s3, s39, exec_lo
	s_and_b32 s43, s43, exec_lo
	s_or_b32 s44, s2, s0
	s_or_b32 s43, s3, s43
	s_orn2_b32 s3, s1, exec_lo
.LBB77_837:
	s_or_b32 exec_lo, exec_lo, s42
	s_mov_b32 s0, 0
	s_mov_b32 s1, 0
	;; [unrolled: 1-line block ×3, first 2 shown]
                                        ; implicit-def: $vgpr1_vgpr2
                                        ; implicit-def: $vgpr0
                                        ; implicit-def: $vgpr4
	s_and_saveexec_b32 s42, s3
	s_cbranch_execz .LBB77_937
; %bb.838:
	v_cmp_gt_i32_e32 vcc_lo, s33, v8
	s_mov_b32 s45, s43
	s_mov_b32 s3, 0
	;; [unrolled: 1-line block ×3, first 2 shown]
                                        ; implicit-def: $vgpr1_vgpr2
                                        ; implicit-def: $vgpr0
                                        ; implicit-def: $vgpr4
	s_and_saveexec_b32 s33, vcc_lo
	s_cbranch_execz .LBB77_936
; %bb.839:
	s_andn2_b32 vcc_lo, exec_lo, s27
	s_cbranch_vccnz .LBB77_844
; %bb.840:
	s_andn2_b32 vcc_lo, exec_lo, s34
	s_cbranch_vccnz .LBB77_845
; %bb.841:
	s_add_i32 s35, s35, 1
	s_cmp_eq_u32 s25, 2
	s_cbranch_scc1 .LBB77_846
; %bb.842:
	v_mov_b32_e32 v2, 0
	v_mov_b32_e32 v0, 0
	;; [unrolled: 1-line block ×3, first 2 shown]
	s_and_b32 s2, s35, 28
	s_mov_b64 s[0:1], s[6:7]
.LBB77_843:                             ; =>This Inner Loop Header: Depth=1
	s_clause 0x1
	s_load_dwordx8 s[48:55], s[0:1], 0x4
	s_load_dwordx4 s[64:67], s[0:1], 0x24
	s_load_dwordx8 s[56:63], s[22:23], 0x0
	s_add_u32 s0, s0, 48
	s_addc_u32 s1, s1, 0
	s_add_i32 s3, s3, 4
	s_add_u32 s22, s22, 32
	s_addc_u32 s23, s23, 0
	s_cmp_eq_u32 s2, s3
	s_waitcnt vmcnt(0) lgkmcnt(0)
	v_mul_hi_u32 v3, s49, v1
	v_add_nc_u32_e32 v3, v1, v3
	v_lshrrev_b32_e32 v3, s50, v3
	v_mul_hi_u32 v4, s52, v3
	v_mul_lo_u32 v6, v3, s48
	v_add_nc_u32_e32 v4, v3, v4
	v_sub_nc_u32_e32 v1, v1, v6
	v_lshrrev_b32_e32 v4, s53, v4
	v_mul_lo_u32 v6, v1, s56
	v_mul_lo_u32 v9, v1, s57
	v_mul_hi_u32 v5, s55, v4
	v_add_nc_u32_e32 v5, v4, v5
	v_lshrrev_b32_e32 v5, s64, v5
	v_mul_hi_u32 v7, s66, v5
	v_mul_lo_u32 v10, v5, s54
	v_add_nc_u32_e32 v1, v5, v7
	v_mul_lo_u32 v7, v4, s51
	v_sub_nc_u32_e32 v4, v4, v10
	v_lshrrev_b32_e32 v1, s67, v1
	v_mul_lo_u32 v10, v4, s60
	v_mul_lo_u32 v4, v4, s61
	v_sub_nc_u32_e32 v3, v3, v7
	v_mul_lo_u32 v11, v1, s65
	v_mul_lo_u32 v7, v3, s58
	;; [unrolled: 1-line block ×3, first 2 shown]
	v_sub_nc_u32_e32 v5, v5, v11
	v_add3_u32 v0, v6, v0, v7
	v_mul_lo_u32 v11, v5, s62
	v_mul_lo_u32 v5, v5, s63
	v_add3_u32 v2, v9, v2, v3
	v_add3_u32 v0, v10, v0, v11
	;; [unrolled: 1-line block ×3, first 2 shown]
	s_cbranch_scc0 .LBB77_843
	s_branch .LBB77_847
.LBB77_844:
	s_mov_b32 s0, -1
                                        ; implicit-def: $vgpr0
                                        ; implicit-def: $vgpr2
	s_branch .LBB77_851
.LBB77_845:
	v_mov_b32_e32 v0, 0
	v_mov_b32_e32 v2, 0
	s_branch .LBB77_850
.LBB77_846:
	v_mov_b32_e32 v0, 0
	v_mov_b32_e32 v2, 0
	v_mov_b32_e32 v1, v8
.LBB77_847:
	s_and_b32 s22, s35, 3
	s_cmp_eq_u32 s22, 0
	s_cbranch_scc1 .LBB77_850
; %bb.848:
	s_lshl_b32 s0, s2, 3
	s_mul_i32 s2, s2, 12
	s_add_u32 s0, s6, s0
	s_addc_u32 s1, s7, 0
	s_add_u32 s0, s0, 0xc4
	s_addc_u32 s1, s1, 0
	;; [unrolled: 2-line block ×3, first 2 shown]
.LBB77_849:                             ; =>This Inner Loop Header: Depth=1
	s_clause 0x1
	s_load_dwordx2 s[34:35], s[2:3], 0x4
	s_load_dword s23, s[2:3], 0xc
	s_load_dwordx2 s[46:47], s[0:1], 0x0
	s_add_u32 s2, s2, 12
	s_addc_u32 s3, s3, 0
	s_add_u32 s0, s0, 8
	s_addc_u32 s1, s1, 0
	s_add_i32 s22, s22, -1
	s_cmp_lg_u32 s22, 0
	s_waitcnt vmcnt(0) lgkmcnt(0)
	v_mul_hi_u32 v3, s35, v1
	v_add_nc_u32_e32 v3, v1, v3
	v_lshrrev_b32_e32 v4, s23, v3
	v_mul_lo_u32 v3, v4, s34
	v_sub_nc_u32_e32 v3, v1, v3
	v_mad_u64_u32 v[0:1], null, v3, s46, v[0:1]
	v_mad_u64_u32 v[2:3], null, v3, s47, v[2:3]
	v_mov_b32_e32 v1, v4
	s_cbranch_scc1 .LBB77_849
.LBB77_850:
	s_mov_b32 s0, 0
.LBB77_851:
	s_andn2_b32 vcc_lo, exec_lo, s0
	s_cbranch_vccnz .LBB77_854
; %bb.852:
	s_waitcnt lgkmcnt(0)
	v_mul_hi_u32 v0, s17, v8
	s_andn2_b32 vcc_lo, exec_lo, s31
	v_add_nc_u32_e32 v0, v8, v0
	v_lshrrev_b32_e32 v1, s18, v0
	v_mul_lo_u32 v0, v1, s16
	v_sub_nc_u32_e32 v2, v8, v0
	v_mul_lo_u32 v0, v2, s12
	v_mul_lo_u32 v2, v2, s13
	s_cbranch_vccnz .LBB77_854
; %bb.853:
	s_waitcnt vmcnt(0)
	v_mul_hi_u32 v3, s20, v1
	v_add_nc_u32_e32 v3, v1, v3
	v_lshrrev_b32_e32 v3, s21, v3
	v_mul_lo_u32 v3, v3, s19
	v_sub_nc_u32_e32 v3, v1, v3
	v_mad_u64_u32 v[0:1], null, v3, s14, v[0:1]
	v_mad_u64_u32 v[2:3], null, v3, s15, v[2:3]
.LBB77_854:
	s_waitcnt lgkmcnt(0)
	v_add_co_u32 v1, s0, s10, v2
	v_add_co_ci_u32_e64 v2, null, s11, 0, s0
	s_and_b32 s0, 0xffff, s30
	s_cmp_lt_i32 s0, 11
	s_cbranch_scc1 .LBB77_861
; %bb.855:
	s_cmp_gt_i32 s0, 25
	s_mov_b32 s2, 0
	s_cbranch_scc0 .LBB77_862
; %bb.856:
	s_cmp_gt_i32 s0, 28
	s_cbranch_scc0 .LBB77_863
; %bb.857:
	s_cmp_gt_i32 s0, 43
	;; [unrolled: 3-line block ×3, first 2 shown]
	s_cbranch_scc0 .LBB77_867
; %bb.859:
	s_cmp_eq_u32 s0, 46
	s_mov_b32 s10, 0
	s_cbranch_scc0 .LBB77_870
; %bb.860:
	global_load_dword v4, v[1:2], off
	s_mov_b32 s1, 0
	s_mov_b32 s3, -1
	s_branch .LBB77_872
.LBB77_861:
	s_mov_b32 s0, -1
	s_mov_b32 s3, 0
	s_mov_b32 s2, 0
	;; [unrolled: 1-line block ×3, first 2 shown]
                                        ; implicit-def: $vgpr4
	s_branch .LBB77_935
.LBB77_862:
	s_mov_b32 s10, -1
	s_mov_b32 s3, 0
	s_mov_b32 s1, s43
                                        ; implicit-def: $vgpr4
	s_branch .LBB77_901
.LBB77_863:
	s_mov_b32 s10, -1
	s_mov_b32 s3, 0
	s_mov_b32 s1, s43
                                        ; implicit-def: $vgpr4
	s_branch .LBB77_882
.LBB77_864:
	s_mov_b32 s10, -1
	s_mov_b32 s3, 0
	s_mov_b32 s1, s43
                                        ; implicit-def: $vgpr4
	s_branch .LBB77_877
.LBB77_865:
	s_andn2_saveexec_b32 s45, s45
	s_cbranch_execz .LBB77_745
.LBB77_866:
	v_add_f32_e64 v4, 0x46000000, |v5|
	s_andn2_b32 s44, s44, exec_lo
	v_and_b32_e32 v4, 0xff, v4
	v_cmp_ne_u32_e32 vcc_lo, 0, v4
	s_and_b32 s46, vcc_lo, exec_lo
	s_or_b32 s44, s44, s46
	s_or_b32 exec_lo, exec_lo, s45
	v_mov_b32_e32 v6, 0
	s_and_saveexec_b32 s45, s44
	s_cbranch_execnz .LBB77_746
	s_branch .LBB77_747
.LBB77_867:
	s_mov_b32 s10, -1
	s_mov_b32 s3, 0
	s_mov_b32 s1, s43
	s_branch .LBB77_871
.LBB77_868:
	s_andn2_saveexec_b32 s45, s45
	s_cbranch_execz .LBB77_758
.LBB77_869:
	v_add_f32_e64 v4, 0x42800000, |v5|
	s_andn2_b32 s44, s44, exec_lo
	v_and_b32_e32 v4, 0xff, v4
	v_cmp_ne_u32_e32 vcc_lo, 0, v4
	s_and_b32 s46, vcc_lo, exec_lo
	s_or_b32 s44, s44, s46
	s_or_b32 exec_lo, exec_lo, s45
	v_mov_b32_e32 v6, 0
	s_and_saveexec_b32 s45, s44
	s_cbranch_execnz .LBB77_759
	s_branch .LBB77_760
.LBB77_870:
	s_mov_b32 s1, -1
	s_mov_b32 s3, 0
.LBB77_871:
                                        ; implicit-def: $vgpr4
.LBB77_872:
	s_and_b32 vcc_lo, exec_lo, s10
	s_cbranch_vccz .LBB77_876
; %bb.873:
	s_cmp_eq_u32 s0, 44
	s_cbranch_scc0 .LBB77_875
; %bb.874:
	global_load_ubyte v3, v[1:2], off
	s_mov_b32 s1, 0
	s_mov_b32 s3, -1
	s_waitcnt vmcnt(0)
	v_lshlrev_b32_e32 v4, 23, v3
	v_cmp_ne_u32_e32 vcc_lo, 0xff, v3
	v_cndmask_b32_e32 v4, 0x7f800001, v4, vcc_lo
	v_cmp_ne_u32_e32 vcc_lo, 0, v3
	v_cndmask_b32_e32 v3, 0x400000, v4, vcc_lo
	v_mov_b32_e32 v4, 0x7fc0
	v_cmp_o_f32_e32 vcc_lo, v3, v3
	v_add_nc_u32_e32 v3, 0x7fff, v3
	v_cndmask_b32_sdwa v4, v4, v3, vcc_lo dst_sel:DWORD dst_unused:UNUSED_PAD src0_sel:DWORD src1_sel:WORD_1
	s_branch .LBB77_876
.LBB77_875:
	s_mov_b32 s1, -1
                                        ; implicit-def: $vgpr4
.LBB77_876:
	s_mov_b32 s10, 0
.LBB77_877:
	s_and_b32 vcc_lo, exec_lo, s10
	s_cbranch_vccz .LBB77_881
; %bb.878:
	s_cmp_eq_u32 s0, 29
	s_cbranch_scc0 .LBB77_880
; %bb.879:
	global_load_dwordx2 v[3:4], v[1:2], off
	s_mov_b32 s1, 0
	s_mov_b32 s3, -1
	s_mov_b32 s10, 0
	s_waitcnt vmcnt(0)
	v_ffbh_u32_e32 v5, v4
	v_min_u32_e32 v5, 32, v5
	v_lshlrev_b64 v[3:4], v5, v[3:4]
	v_min_u32_e32 v3, 1, v3
	v_or_b32_e32 v3, v4, v3
	v_sub_nc_u32_e32 v4, 32, v5
	v_cvt_f32_u32_e32 v3, v3
	v_ldexp_f32 v3, v3, v4
	v_bfe_u32 v4, v3, 16, 1
	v_add3_u32 v3, v3, v4, 0x7fff
	v_lshrrev_b32_e32 v4, 16, v3
	s_branch .LBB77_882
.LBB77_880:
	s_mov_b32 s1, -1
                                        ; implicit-def: $vgpr4
.LBB77_881:
	s_mov_b32 s10, 0
.LBB77_882:
	s_and_b32 vcc_lo, exec_lo, s10
	s_cbranch_vccz .LBB77_900
; %bb.883:
	s_cmp_lt_i32 s0, 27
	s_cbranch_scc1 .LBB77_886
; %bb.884:
	s_cmp_gt_i32 s0, 27
	s_cbranch_scc0 .LBB77_887
; %bb.885:
	global_load_dword v3, v[1:2], off
	s_mov_b32 s3, 0
	s_waitcnt vmcnt(0)
	v_cvt_f32_u32_e32 v3, v3
	v_bfe_u32 v4, v3, 16, 1
	v_add3_u32 v3, v3, v4, 0x7fff
	v_lshrrev_b32_e32 v4, 16, v3
	s_branch .LBB77_888
.LBB77_886:
	s_mov_b32 s3, -1
                                        ; implicit-def: $vgpr4
	s_branch .LBB77_891
.LBB77_887:
	s_mov_b32 s3, -1
                                        ; implicit-def: $vgpr4
.LBB77_888:
	s_andn2_b32 vcc_lo, exec_lo, s3
	s_cbranch_vccnz .LBB77_890
; %bb.889:
	global_load_ushort v3, v[1:2], off
	s_waitcnt vmcnt(0)
	v_cvt_f32_u32_e32 v3, v3
	v_bfe_u32 v4, v3, 16, 1
	v_add3_u32 v3, v3, v4, 0x7fff
	v_lshrrev_b32_e32 v4, 16, v3
.LBB77_890:
	s_mov_b32 s3, 0
.LBB77_891:
	s_andn2_b32 vcc_lo, exec_lo, s3
	s_cbranch_vccnz .LBB77_899
; %bb.892:
	global_load_ubyte v3, v[1:2], off
	s_mov_b32 s3, 0
	s_mov_b32 s10, exec_lo
	s_waitcnt vmcnt(0)
	v_cmpx_lt_i16_e32 0x7f, v3
	s_xor_b32 s10, exec_lo, s10
	s_cbranch_execz .LBB77_913
; %bb.893:
	s_mov_b32 s3, -1
	s_mov_b32 s11, exec_lo
	v_cmpx_eq_u16_e32 0x80, v3
; %bb.894:
	s_xor_b32 s3, exec_lo, -1
; %bb.895:
	s_or_b32 exec_lo, exec_lo, s11
	s_and_b32 s3, s3, exec_lo
	s_or_saveexec_b32 s10, s10
	v_mov_b32_e32 v4, 0x7f800001
	s_xor_b32 exec_lo, exec_lo, s10
	s_cbranch_execnz .LBB77_914
.LBB77_896:
	s_or_b32 exec_lo, exec_lo, s10
	s_and_saveexec_b32 s10, s3
	s_cbranch_execz .LBB77_898
.LBB77_897:
	v_and_b32_e32 v4, 0xffff, v3
	v_lshlrev_b32_e32 v3, 24, v3
	v_and_b32_e32 v5, 7, v4
	v_bfe_u32 v8, v4, 3, 4
	v_and_b32_e32 v3, 0x80000000, v3
	v_ffbh_u32_e32 v6, v5
	v_cmp_eq_u32_e32 vcc_lo, 0, v8
	v_min_u32_e32 v6, 32, v6
	v_subrev_nc_u32_e32 v7, 28, v6
	v_sub_nc_u32_e32 v6, 29, v6
	v_lshlrev_b32_e32 v4, v7, v4
	v_cndmask_b32_e32 v6, v8, v6, vcc_lo
	v_and_b32_e32 v4, 7, v4
	v_cndmask_b32_e32 v4, v5, v4, vcc_lo
	v_lshl_add_u32 v5, v6, 23, 0x3b800000
	v_lshlrev_b32_e32 v4, 20, v4
	v_or3_b32 v4, v3, v5, v4
.LBB77_898:
	s_or_b32 exec_lo, exec_lo, s10
	v_bfe_u32 v3, v4, 16, 1
	v_cmp_o_f32_e32 vcc_lo, v4, v4
	v_add3_u32 v3, v4, v3, 0x7fff
	v_mov_b32_e32 v4, 0x7fc0
	v_cndmask_b32_sdwa v4, v4, v3, vcc_lo dst_sel:DWORD dst_unused:UNUSED_PAD src0_sel:DWORD src1_sel:WORD_1
.LBB77_899:
	s_mov_b32 s3, -1
.LBB77_900:
	s_mov_b32 s10, 0
.LBB77_901:
	s_and_b32 vcc_lo, exec_lo, s10
	s_cbranch_vccz .LBB77_934
; %bb.902:
	s_cmp_gt_i32 s0, 22
	s_cbranch_scc0 .LBB77_912
; %bb.903:
	s_cmp_lt_i32 s0, 24
	s_cbranch_scc1 .LBB77_915
; %bb.904:
	s_cmp_gt_i32 s0, 24
	s_cbranch_scc0 .LBB77_916
; %bb.905:
	global_load_ubyte v3, v[1:2], off
	s_mov_b32 s3, exec_lo
	s_waitcnt vmcnt(0)
	v_cmpx_lt_i16_e32 0x7f, v3
	s_xor_b32 s3, exec_lo, s3
	s_cbranch_execz .LBB77_928
; %bb.906:
	s_mov_b32 s2, -1
	s_mov_b32 s10, exec_lo
	v_cmpx_eq_u16_e32 0x80, v3
; %bb.907:
	s_xor_b32 s2, exec_lo, -1
; %bb.908:
	s_or_b32 exec_lo, exec_lo, s10
	s_and_b32 s2, s2, exec_lo
	s_or_saveexec_b32 s3, s3
	v_mov_b32_e32 v4, 0x7f800001
	s_xor_b32 exec_lo, exec_lo, s3
	s_cbranch_execnz .LBB77_929
.LBB77_909:
	s_or_b32 exec_lo, exec_lo, s3
	s_and_saveexec_b32 s3, s2
	s_cbranch_execz .LBB77_911
.LBB77_910:
	v_and_b32_e32 v4, 0xffff, v3
	v_lshlrev_b32_e32 v3, 24, v3
	v_and_b32_e32 v5, 3, v4
	v_bfe_u32 v8, v4, 2, 5
	v_and_b32_e32 v3, 0x80000000, v3
	v_ffbh_u32_e32 v6, v5
	v_cmp_eq_u32_e32 vcc_lo, 0, v8
	v_min_u32_e32 v6, 32, v6
	v_subrev_nc_u32_e32 v7, 29, v6
	v_sub_nc_u32_e32 v6, 30, v6
	v_lshlrev_b32_e32 v4, v7, v4
	v_cndmask_b32_e32 v6, v8, v6, vcc_lo
	v_and_b32_e32 v4, 3, v4
	v_cndmask_b32_e32 v4, v5, v4, vcc_lo
	v_lshl_add_u32 v5, v6, 23, 0x37800000
	v_lshlrev_b32_e32 v4, 21, v4
	v_or3_b32 v4, v3, v5, v4
.LBB77_911:
	s_or_b32 exec_lo, exec_lo, s3
	v_bfe_u32 v3, v4, 16, 1
	v_cmp_o_f32_e32 vcc_lo, v4, v4
	s_mov_b32 s2, 0
	v_add3_u32 v3, v4, v3, 0x7fff
	v_mov_b32_e32 v4, 0x7fc0
	v_cndmask_b32_sdwa v4, v4, v3, vcc_lo dst_sel:DWORD dst_unused:UNUSED_PAD src0_sel:DWORD src1_sel:WORD_1
	s_branch .LBB77_917
.LBB77_912:
	s_mov_b32 s2, -1
                                        ; implicit-def: $vgpr4
	s_branch .LBB77_923
.LBB77_913:
	s_or_saveexec_b32 s10, s10
	v_mov_b32_e32 v4, 0x7f800001
	s_xor_b32 exec_lo, exec_lo, s10
	s_cbranch_execz .LBB77_896
.LBB77_914:
	v_cmp_ne_u16_e32 vcc_lo, 0, v3
	v_mov_b32_e32 v4, 0
	s_andn2_b32 s3, s3, exec_lo
	s_and_b32 s11, vcc_lo, exec_lo
	s_or_b32 s3, s3, s11
	s_or_b32 exec_lo, exec_lo, s10
	s_and_saveexec_b32 s10, s3
	s_cbranch_execnz .LBB77_897
	s_branch .LBB77_898
.LBB77_915:
	s_mov_b32 s2, -1
                                        ; implicit-def: $vgpr4
	s_branch .LBB77_920
.LBB77_916:
	s_mov_b32 s2, -1
                                        ; implicit-def: $vgpr4
.LBB77_917:
	s_and_b32 vcc_lo, exec_lo, s2
	s_cbranch_vccz .LBB77_919
; %bb.918:
	global_load_ubyte v3, v[1:2], off
	s_waitcnt vmcnt(0)
	v_lshlrev_b32_e32 v3, 24, v3
	v_and_b32_e32 v4, 0x7f000000, v3
	v_ffbh_u32_e32 v5, v4
	v_add_nc_u32_e32 v7, 0x1000000, v4
	v_cmp_ne_u32_e32 vcc_lo, 0, v4
	v_min_u32_e32 v5, 32, v5
	v_sub_nc_u32_e64 v5, v5, 4 clamp
	v_lshlrev_b32_e32 v6, v5, v4
	v_lshlrev_b32_e32 v5, 23, v5
	v_lshrrev_b32_e32 v6, 4, v6
	v_sub_nc_u32_e32 v5, v6, v5
	v_ashrrev_i32_e32 v6, 8, v7
	v_add_nc_u32_e32 v5, 0x3c000000, v5
	v_and_or_b32 v5, 0x7f800000, v6, v5
	v_cndmask_b32_e32 v4, 0, v5, vcc_lo
	v_and_or_b32 v3, 0x80000000, v3, v4
	v_bfe_u32 v4, v4, 16, 1
	v_cmp_o_f32_e32 vcc_lo, v3, v3
	v_add3_u32 v3, v3, v4, 0x7fff
	v_mov_b32_e32 v4, 0x7fc0
	v_cndmask_b32_sdwa v4, v4, v3, vcc_lo dst_sel:DWORD dst_unused:UNUSED_PAD src0_sel:DWORD src1_sel:WORD_1
.LBB77_919:
	s_mov_b32 s2, 0
.LBB77_920:
	s_andn2_b32 vcc_lo, exec_lo, s2
	s_cbranch_vccnz .LBB77_922
; %bb.921:
	global_load_ubyte v3, v[1:2], off
	s_waitcnt vmcnt(0)
	v_lshlrev_b32_e32 v4, 25, v3
	v_lshlrev_b16 v3, 8, v3
	v_lshrrev_b32_e32 v5, 4, v4
	v_and_or_b32 v6, 0x7f00, v3, 0.5
	v_cmp_gt_u32_e32 vcc_lo, 0x8000000, v4
	v_bfe_i32 v3, v3, 0, 16
	v_or_b32_e32 v5, 0x70000000, v5
	v_add_f32_e32 v6, -0.5, v6
	v_mul_f32_e32 v5, 0x7800000, v5
	v_cndmask_b32_e32 v4, v5, v6, vcc_lo
	v_and_or_b32 v3, 0x80000000, v3, v4
	v_bfe_u32 v4, v4, 16, 1
	v_cmp_o_f32_e32 vcc_lo, v3, v3
	v_add3_u32 v3, v3, v4, 0x7fff
	v_mov_b32_e32 v4, 0x7fc0
	v_cndmask_b32_sdwa v4, v4, v3, vcc_lo dst_sel:DWORD dst_unused:UNUSED_PAD src0_sel:DWORD src1_sel:WORD_1
.LBB77_922:
	s_mov_b32 s2, 0
	s_mov_b32 s3, -1
.LBB77_923:
	s_andn2_b32 vcc_lo, exec_lo, s2
	s_mov_b32 s2, 0
	s_cbranch_vccnz .LBB77_934
; %bb.924:
	s_cmp_gt_i32 s0, 14
	s_cbranch_scc0 .LBB77_927
; %bb.925:
	s_cmp_eq_u32 s0, 15
	s_cbranch_scc0 .LBB77_930
; %bb.926:
	global_load_ushort v4, v[1:2], off
	s_mov_b32 s1, 0
	s_mov_b32 s3, -1
	s_branch .LBB77_932
.LBB77_927:
	s_mov_b32 s2, -1
	s_branch .LBB77_931
.LBB77_928:
	s_or_saveexec_b32 s3, s3
	v_mov_b32_e32 v4, 0x7f800001
	s_xor_b32 exec_lo, exec_lo, s3
	s_cbranch_execz .LBB77_909
.LBB77_929:
	v_cmp_ne_u16_e32 vcc_lo, 0, v3
	v_mov_b32_e32 v4, 0
	s_andn2_b32 s2, s2, exec_lo
	s_and_b32 s10, vcc_lo, exec_lo
	s_or_b32 s2, s2, s10
	s_or_b32 exec_lo, exec_lo, s3
	s_and_saveexec_b32 s3, s2
	s_cbranch_execnz .LBB77_910
	s_branch .LBB77_911
.LBB77_930:
	s_mov_b32 s1, -1
.LBB77_931:
                                        ; implicit-def: $vgpr4
.LBB77_932:
	s_and_b32 vcc_lo, exec_lo, s2
	s_mov_b32 s2, 0
	s_cbranch_vccz .LBB77_934
; %bb.933:
	s_cmp_lg_u32 s0, 11
	s_mov_b32 s2, -1
	s_cselect_b32 s0, -1, 0
	s_andn2_b32 s1, s1, exec_lo
	s_and_b32 s0, s0, exec_lo
	s_or_b32 s1, s1, s0
.LBB77_934:
	s_mov_b32 s0, 0
.LBB77_935:
	s_andn2_b32 s10, s43, exec_lo
	s_and_b32 s1, s1, exec_lo
	s_and_b32 s46, s3, exec_lo
	;; [unrolled: 1-line block ×4, first 2 shown]
	s_or_b32 s45, s10, s1
.LBB77_936:
	s_or_b32 exec_lo, exec_lo, s33
	s_and_b32 s1, s3, exec_lo
	s_andn2_b32 s3, s43, exec_lo
	s_waitcnt lgkmcnt(0)
	s_and_b32 s10, s45, exec_lo
	s_and_b32 s2, s46, exec_lo
	;; [unrolled: 1-line block ×3, first 2 shown]
	s_or_b32 s43, s3, s10
.LBB77_937:
	s_or_b32 exec_lo, exec_lo, s42
	s_andn2_b32 s3, s40, exec_lo
	s_waitcnt lgkmcnt(0)
	s_and_b32 s10, s44, exec_lo
	s_and_b32 s11, s43, exec_lo
	s_or_b32 s40, s3, s10
	s_andn2_b32 s10, s39, exec_lo
	s_and_b32 s3, s2, exec_lo
	s_and_b32 s2, s1, exec_lo
	;; [unrolled: 1-line block ×3, first 2 shown]
	s_or_b32 s39, s10, s11
.LBB77_938:
	s_or_b32 exec_lo, exec_lo, s41
	s_andn2_b32 s0, s36, exec_lo
	s_waitcnt lgkmcnt(0)
	s_and_b32 s10, s40, exec_lo
	s_and_b32 s2, s2, exec_lo
	s_or_b32 s36, s0, s10
	s_and_b32 s0, s3, exec_lo
	s_andn2_b32 s3, s37, exec_lo
	s_and_b32 s10, s39, exec_lo
	s_and_b32 s39, s1, exec_lo
	s_or_b32 s37, s3, s10
	s_or_b32 exec_lo, exec_lo, s38
	s_mov_b32 s10, 0
	s_and_saveexec_b32 s1, s37
	s_cbranch_execz .LBB77_280
.LBB77_939:
	s_mov_b32 s10, exec_lo
	s_andn2_b32 s39, s39, exec_lo
	s_trap 2
	s_or_b32 exec_lo, exec_lo, s1
	s_and_saveexec_b32 s1, s39
	s_xor_b32 s1, exec_lo, s1
	s_cbranch_execnz .LBB77_281
.LBB77_940:
	s_or_b32 exec_lo, exec_lo, s1
	s_and_saveexec_b32 s1, s2
	s_cbranch_execz .LBB77_986
.LBB77_941:
	s_sext_i32_i16 s2, s30
	s_cmp_lt_i32 s2, 5
	s_cbranch_scc1 .LBB77_946
; %bb.942:
	s_cmp_lt_i32 s2, 8
	s_cbranch_scc1 .LBB77_947
; %bb.943:
	;; [unrolled: 3-line block ×3, first 2 shown]
	s_cmp_gt_i32 s2, 9
	s_cbranch_scc0 .LBB77_949
; %bb.945:
	global_load_dwordx2 v[3:4], v[1:2], off
	s_mov_b32 s2, 0
	s_waitcnt vmcnt(0)
	v_cvt_f32_f64_e32 v3, v[3:4]
	v_bfe_u32 v4, v3, 16, 1
	v_cmp_o_f32_e32 vcc_lo, v3, v3
	v_add3_u32 v3, v3, v4, 0x7fff
	v_mov_b32_e32 v4, 0x7fc0
	v_cndmask_b32_sdwa v4, v4, v3, vcc_lo dst_sel:DWORD dst_unused:UNUSED_PAD src0_sel:DWORD src1_sel:WORD_1
	s_branch .LBB77_950
.LBB77_946:
                                        ; implicit-def: $vgpr4
	s_branch .LBB77_967
.LBB77_947:
                                        ; implicit-def: $vgpr4
	s_branch .LBB77_956
.LBB77_948:
	s_mov_b32 s2, -1
                                        ; implicit-def: $vgpr4
	s_branch .LBB77_953
.LBB77_949:
	s_mov_b32 s2, -1
                                        ; implicit-def: $vgpr4
.LBB77_950:
	s_andn2_b32 vcc_lo, exec_lo, s2
	s_cbranch_vccnz .LBB77_952
; %bb.951:
	global_load_dword v3, v[1:2], off
	s_waitcnt vmcnt(0)
	v_bfe_u32 v4, v3, 16, 1
	v_cmp_o_f32_e32 vcc_lo, v3, v3
	v_add3_u32 v3, v3, v4, 0x7fff
	v_mov_b32_e32 v4, 0x7fc0
	v_cndmask_b32_sdwa v4, v4, v3, vcc_lo dst_sel:DWORD dst_unused:UNUSED_PAD src0_sel:DWORD src1_sel:WORD_1
.LBB77_952:
	s_mov_b32 s2, 0
.LBB77_953:
	s_andn2_b32 vcc_lo, exec_lo, s2
	s_cbranch_vccnz .LBB77_955
; %bb.954:
	global_load_dword v3, v[1:2], off
	s_waitcnt vmcnt(0)
	v_cvt_f32_f16_e32 v4, v3
	v_cmp_o_f16_e32 vcc_lo, v3, v3
	v_bfe_u32 v5, v4, 16, 1
	v_add3_u32 v3, v4, v5, 0x7fff
	v_mov_b32_e32 v4, 0x7fc0
	v_cndmask_b32_sdwa v4, v4, v3, vcc_lo dst_sel:DWORD dst_unused:UNUSED_PAD src0_sel:DWORD src1_sel:WORD_1
.LBB77_955:
	s_cbranch_execnz .LBB77_966
.LBB77_956:
	s_sext_i32_i16 s2, s30
	s_cmp_lt_i32 s2, 6
	s_cbranch_scc1 .LBB77_959
; %bb.957:
	s_cmp_gt_i32 s2, 6
	s_cbranch_scc0 .LBB77_960
; %bb.958:
	global_load_dwordx2 v[3:4], v[1:2], off
	s_mov_b32 s2, 0
	s_waitcnt vmcnt(0)
	v_cvt_f32_f64_e32 v3, v[3:4]
	v_bfe_u32 v4, v3, 16, 1
	v_cmp_o_f32_e32 vcc_lo, v3, v3
	v_add3_u32 v3, v3, v4, 0x7fff
	v_mov_b32_e32 v4, 0x7fc0
	v_cndmask_b32_sdwa v4, v4, v3, vcc_lo dst_sel:DWORD dst_unused:UNUSED_PAD src0_sel:DWORD src1_sel:WORD_1
	s_branch .LBB77_961
.LBB77_959:
	s_mov_b32 s2, -1
                                        ; implicit-def: $vgpr4
	s_branch .LBB77_964
.LBB77_960:
	s_mov_b32 s2, -1
                                        ; implicit-def: $vgpr4
.LBB77_961:
	s_andn2_b32 vcc_lo, exec_lo, s2
	s_cbranch_vccnz .LBB77_963
; %bb.962:
	global_load_dword v3, v[1:2], off
	s_waitcnt vmcnt(0)
	v_bfe_u32 v4, v3, 16, 1
	v_cmp_o_f32_e32 vcc_lo, v3, v3
	v_add3_u32 v3, v3, v4, 0x7fff
	v_mov_b32_e32 v4, 0x7fc0
	v_cndmask_b32_sdwa v4, v4, v3, vcc_lo dst_sel:DWORD dst_unused:UNUSED_PAD src0_sel:DWORD src1_sel:WORD_1
.LBB77_963:
	s_mov_b32 s2, 0
.LBB77_964:
	s_andn2_b32 vcc_lo, exec_lo, s2
	s_cbranch_vccnz .LBB77_966
; %bb.965:
	global_load_ushort v3, v[1:2], off
	s_waitcnt vmcnt(0)
	v_cvt_f32_f16_e32 v4, v3
	v_cmp_o_f16_e32 vcc_lo, v3, v3
	v_bfe_u32 v5, v4, 16, 1
	v_add3_u32 v3, v4, v5, 0x7fff
	v_mov_b32_e32 v4, 0x7fc0
	v_cndmask_b32_sdwa v4, v4, v3, vcc_lo dst_sel:DWORD dst_unused:UNUSED_PAD src0_sel:DWORD src1_sel:WORD_1
.LBB77_966:
	s_cbranch_execnz .LBB77_985
.LBB77_967:
	s_sext_i32_i16 s2, s30
	s_cmp_lt_i32 s2, 2
	s_cbranch_scc1 .LBB77_971
; %bb.968:
	s_cmp_lt_i32 s2, 3
	s_cbranch_scc1 .LBB77_972
; %bb.969:
	s_cmp_gt_i32 s2, 3
	s_cbranch_scc0 .LBB77_973
; %bb.970:
	global_load_dwordx2 v[3:4], v[1:2], off
	s_mov_b32 s2, 0
	s_waitcnt vmcnt(0)
	v_xor_b32_e32 v5, v3, v4
	v_ffbh_i32_e32 v6, v4
	v_ashrrev_i32_e32 v5, 31, v5
	v_add_nc_u32_e32 v6, -1, v6
	v_add_nc_u32_e32 v5, 32, v5
	v_min_u32_e32 v5, v6, v5
	v_lshlrev_b64 v[3:4], v5, v[3:4]
	v_min_u32_e32 v3, 1, v3
	v_or_b32_e32 v3, v4, v3
	v_sub_nc_u32_e32 v4, 32, v5
	v_cvt_f32_i32_e32 v3, v3
	v_ldexp_f32 v3, v3, v4
	v_bfe_u32 v4, v3, 16, 1
	v_add3_u32 v3, v3, v4, 0x7fff
	v_lshrrev_b32_e32 v4, 16, v3
	s_branch .LBB77_974
.LBB77_971:
                                        ; implicit-def: $vgpr4
	s_branch .LBB77_980
.LBB77_972:
	s_mov_b32 s2, -1
                                        ; implicit-def: $vgpr4
	s_branch .LBB77_977
.LBB77_973:
	s_mov_b32 s2, -1
                                        ; implicit-def: $vgpr4
.LBB77_974:
	s_andn2_b32 vcc_lo, exec_lo, s2
	s_cbranch_vccnz .LBB77_976
; %bb.975:
	global_load_dword v3, v[1:2], off
	s_waitcnt vmcnt(0)
	v_cvt_f32_i32_e32 v3, v3
	v_bfe_u32 v4, v3, 16, 1
	v_add3_u32 v3, v3, v4, 0x7fff
	v_lshrrev_b32_e32 v4, 16, v3
.LBB77_976:
	s_mov_b32 s2, 0
.LBB77_977:
	s_andn2_b32 vcc_lo, exec_lo, s2
	s_cbranch_vccnz .LBB77_979
; %bb.978:
	global_load_sshort v3, v[1:2], off
	s_waitcnt vmcnt(0)
	v_cvt_f32_i32_e32 v3, v3
	v_bfe_u32 v4, v3, 16, 1
	v_add3_u32 v3, v3, v4, 0x7fff
	v_lshrrev_b32_e32 v4, 16, v3
.LBB77_979:
	s_cbranch_execnz .LBB77_985
.LBB77_980:
	s_sext_i32_i16 s2, s30
	s_cmp_gt_i32 s2, 0
	s_mov_b32 s2, 0
	s_cbranch_scc0 .LBB77_982
; %bb.981:
	global_load_sbyte v3, v[1:2], off
	s_waitcnt vmcnt(0)
	v_cvt_f32_i32_e32 v3, v3
	v_bfe_u32 v4, v3, 16, 1
	v_add3_u32 v3, v3, v4, 0x7fff
	v_lshrrev_b32_e32 v4, 16, v3
	s_branch .LBB77_983
.LBB77_982:
	s_mov_b32 s2, -1
                                        ; implicit-def: $vgpr4
.LBB77_983:
	s_andn2_b32 vcc_lo, exec_lo, s2
	s_cbranch_vccnz .LBB77_985
; %bb.984:
	global_load_ubyte v1, v[1:2], off
	s_waitcnt vmcnt(0)
	v_cvt_f32_ubyte0_e32 v1, v1
	v_bfe_u32 v2, v1, 16, 1
	v_add3_u32 v1, v1, v2, 0x7fff
	v_lshrrev_b32_e32 v4, 16, v1
.LBB77_985:
	s_or_b32 s0, s0, exec_lo
.LBB77_986:
	s_or_b32 exec_lo, exec_lo, s1
	s_mov_b32 s3, 0
	s_mov_b32 s2, 0
                                        ; implicit-def: $sgpr1
                                        ; implicit-def: $vgpr1_vgpr2
                                        ; implicit-def: $vgpr3
	s_and_saveexec_b32 s11, s0
	s_cbranch_execz .LBB77_1000
; %bb.987:
	s_waitcnt vmcnt(0)
	v_lshlrev_b32_e32 v1, 16, v4
	v_mov_b32_e32 v3, 0
	v_mov_b32_e32 v2, 1.0
	s_mov_b32 s2, exec_lo
	v_cmpx_gt_f32_e32 0.5, v1
	s_cbranch_execz .LBB77_993
; %bb.988:
	v_mul_f32_e32 v2, 0x40490fdb, v1
                                        ; implicit-def: $vgpr5
                                        ; implicit-def: $vgpr4
	s_mov_b32 s1, exec_lo
	v_and_b32_e32 v3, 0x7fffffff, v2
	v_cmpx_ngt_f32_e64 0x48000000, |v2|
	s_xor_b32 s3, exec_lo, s1
	s_cbranch_execz .LBB77_990
; %bb.989:
	s_mov_b32 s0, 0x7fffff
	v_mov_b32_e32 v6, 0
	v_and_or_b32 v13, v3, s0, 0x800000
	v_lshrrev_b32_e32 v11, 23, v3
	v_mad_u64_u32 v[4:5], null, 0xfe5163ab, v13, 0
	v_add_nc_u32_e32 v12, 0xffffff88, v11
	v_cmp_lt_u32_e32 vcc_lo, 63, v12
	v_mad_u64_u32 v[7:8], null, 0x3c439041, v13, v[5:6]
	v_cndmask_b32_e64 v14, 0, 0xffffffc0, vcc_lo
	v_mov_b32_e32 v5, v8
	v_add_nc_u32_e32 v14, v14, v12
	v_mad_u64_u32 v[8:9], null, 0xdb629599, v13, v[5:6]
	v_cmp_lt_u32_e64 s0, 31, v14
	v_cndmask_b32_e64 v15, 0, 0xffffffe0, s0
	v_mov_b32_e32 v5, v9
	v_cndmask_b32_e32 v4, v8, v4, vcc_lo
	v_mad_u64_u32 v[9:10], null, 0xf534ddc0, v13, v[5:6]
	v_mov_b32_e32 v5, v10
	v_cndmask_b32_e32 v7, v9, v7, vcc_lo
	v_mad_u64_u32 v[10:11], null, 0xfc2757d1, v13, v[5:6]
	v_cndmask_b32_e64 v4, v7, v4, s0
	v_mov_b32_e32 v5, v11
	v_mad_u64_u32 v[11:12], null, 0x4e441529, v13, v[5:6]
	v_mov_b32_e32 v5, v12
	v_add_nc_u32_e32 v12, v15, v14
	v_cndmask_b32_e32 v14, v11, v9, vcc_lo
	v_mad_u64_u32 v[5:6], null, 0xa2f9836e, v13, v[5:6]
	v_cmp_lt_u32_e64 s1, 31, v12
	v_cndmask_b32_e64 v13, 0, 0xffffffe0, s1
	v_cndmask_b32_e32 v5, v5, v10, vcc_lo
	v_cndmask_b32_e32 v6, v6, v11, vcc_lo
	;; [unrolled: 1-line block ×3, first 2 shown]
	v_add_nc_u32_e32 v11, v13, v12
	v_cndmask_b32_e64 v9, v5, v14, s0
	v_cndmask_b32_e64 v5, v6, v5, s0
	v_cndmask_b32_e64 v6, v14, v10, s0
	v_cndmask_b32_e64 v10, v10, v7, s0
	v_sub_nc_u32_e32 v12, 32, v11
	v_cmp_eq_u32_e32 vcc_lo, 0, v11
	v_cndmask_b32_e64 v5, v5, v9, s1
	v_cndmask_b32_e64 v9, v9, v6, s1
	;; [unrolled: 1-line block ×4, first 2 shown]
	v_alignbit_b32 v13, v5, v9, v12
	v_alignbit_b32 v8, v9, v6, v12
	;; [unrolled: 1-line block ×3, first 2 shown]
	v_cndmask_b32_e32 v5, v13, v5, vcc_lo
	v_cndmask_b32_e32 v7, v8, v9, vcc_lo
	;; [unrolled: 1-line block ×3, first 2 shown]
	v_bfe_u32 v8, v5, 29, 1
	v_alignbit_b32 v9, v5, v7, 30
	v_alignbit_b32 v7, v7, v6, 30
	;; [unrolled: 1-line block ×3, first 2 shown]
	v_sub_nc_u32_e32 v10, 0, v8
	v_xor_b32_e32 v9, v9, v10
	v_xor_b32_e32 v6, v7, v10
	v_xor_b32_e32 v4, v4, v10
	v_lshrrev_b32_e32 v10, 29, v5
	v_lshrrev_b32_e32 v5, 30, v5
	v_ffbh_u32_e32 v11, v9
	v_add_nc_u32_e32 v5, v8, v5
	v_min_u32_e32 v11, 32, v11
	v_sub_nc_u32_e32 v7, 31, v11
	v_lshlrev_b32_e32 v12, 23, v11
	v_alignbit_b32 v9, v9, v6, v7
	v_alignbit_b32 v4, v6, v4, v7
	v_lshlrev_b32_e32 v6, 31, v10
	v_alignbit_b32 v7, v9, v4, 9
	v_or_b32_e32 v10, 0.5, v6
	v_lshrrev_b32_e32 v9, 9, v9
	v_or_b32_e32 v6, 0x33000000, v6
	v_ffbh_u32_e32 v13, v7
	v_sub_nc_u32_e32 v10, v10, v12
	v_min_u32_e32 v12, 32, v13
	v_or_b32_e32 v9, v9, v10
	v_not_b32_e32 v10, v12
	v_mul_f32_e32 v13, 0x3fc90fda, v9
	v_add_lshl_u32 v11, v12, v11, 23
	v_alignbit_b32 v4, v7, v4, v10
	v_fma_f32 v7, 0x3fc90fda, v9, -v13
	v_sub_nc_u32_e32 v6, v6, v11
	v_lshrrev_b32_e32 v4, 9, v4
	v_fmamk_f32 v7, v9, 0x33a22168, v7
	v_or_b32_e32 v4, v6, v4
	v_fmac_f32_e32 v7, 0x3fc90fda, v4
	v_add_f32_e32 v4, v13, v7
.LBB77_990:
	s_andn2_saveexec_b32 s0, s3
; %bb.991:
	v_mul_f32_e64 v4, 0x3f22f983, |v2|
	v_rndne_f32_e32 v5, v4
	v_fma_f32 v4, 0xbfc90fda, v5, |v2|
	v_fmamk_f32 v4, v5, 0xb3a22168, v4
	v_fmamk_f32 v4, v5, 0xa7c234c4, v4
	v_cvt_i32_f32_e32 v5, v5
; %bb.992:
	s_or_b32 exec_lo, exec_lo, s0
	v_mul_f32_e32 v6, v4, v4
	s_mov_b32 s0, 0xb94c1982
	s_mov_b32 s1, 0x37d75334
	v_and_b32_e32 v9, 1, v5
	v_lshlrev_b32_e32 v5, 30, v5
	v_fmaak_f32 v7, s0, v6, 0x3c0881c4
	v_fmaak_f32 v8, s1, v6, 0xbab64f3b
	v_xor_b32_e32 v3, v3, v2
	v_cmp_eq_u32_e32 vcc_lo, 0, v9
	v_and_b32_e32 v5, 0x80000000, v5
	v_fmaak_f32 v7, v6, v7, 0xbe2aaa9d
	v_fmaak_f32 v8, v6, v8, 0x3d2aabf7
	v_sub_f32_e32 v1, 1.0, v1
	v_mul_f32_e32 v7, v6, v7
	v_fmaak_f32 v8, v6, v8, 0xbf000004
	v_fmac_f32_e32 v4, v4, v7
	v_fma_f32 v6, v6, v8, 1.0
	v_cndmask_b32_e32 v4, v6, v4, vcc_lo
	v_cmp_class_f32_e64 vcc_lo, v2, 0x1f8
	v_xor3_b32 v3, v3, v5, v4
	v_cndmask_b32_e32 v2, 0x7fc00000, v3, vcc_lo
	v_mul_f32_e32 v2, v2, v2
	v_div_scale_f32 v3, null, v2, v2, 0xc11de9e7
	v_div_scale_f32 v6, vcc_lo, 0xc11de9e7, v2, 0xc11de9e7
	v_rcp_f32_e32 v4, v3
	v_fma_f32 v5, -v3, v4, 1.0
	v_fmac_f32_e32 v4, v5, v4
	v_mul_f32_e32 v5, v6, v4
	v_fma_f32 v7, -v3, v5, v6
	v_fmac_f32_e32 v5, v7, v4
	v_fma_f32 v3, -v3, v5, v6
	v_div_fmas_f32 v3, v3, v4, v5
	v_div_fixup_f32 v2, v3, v2, 0xc11de9e7
	v_add_f32_e32 v3, 0, v2
	v_mov_b32_e32 v2, -1.0
.LBB77_993:
	s_or_b32 exec_lo, exec_lo, s2
	v_add_f32_e32 v4, 1.0, v1
	v_mul_f32_e32 v1, v1, v1
	v_mul_f32_e32 v5, v4, v4
	v_add_f32_e32 v4, 1.0, v4
	v_div_scale_f32 v6, null, v1, v1, 1.0
	v_div_scale_f32 v8, vcc_lo, 1.0, v1, 1.0
	v_mul_f32_e32 v9, v4, v4
	v_div_scale_f32 v7, null, v5, v5, 1.0
	v_rcp_f32_e32 v10, v6
	v_div_scale_f32 v13, s0, 1.0, v5, 1.0
	v_div_scale_f32 v12, null, v9, v9, 1.0
	v_rcp_f32_e32 v11, v7
	v_add_f32_e32 v4, 1.0, v4
	v_div_scale_f32 v14, s1, 1.0, v9, 1.0
	v_rcp_f32_e32 v15, v12
	v_fma_f32 v17, -v6, v10, 1.0
	v_mul_f32_e32 v16, v4, v4
	v_add_f32_e32 v4, 1.0, v4
	v_fma_f32 v18, -v7, v11, 1.0
	v_fmac_f32_e32 v10, v17, v10
	v_mul_f32_e32 v20, v4, v4
	v_add_f32_e32 v4, 1.0, v4
	v_fma_f32 v17, -v12, v15, 1.0
	v_fmac_f32_e32 v11, v18, v11
	v_mul_f32_e32 v21, v8, v10
	v_div_scale_f32 v19, null, v16, v16, 1.0
	v_fmac_f32_e32 v15, v17, v15
	v_mul_f32_e32 v22, v13, v11
	v_fma_f32 v23, -v6, v21, v8
	v_add_f32_e32 v26, 1.0, v4
	v_rcp_f32_e32 v18, v19
	v_mul_f32_e32 v25, v14, v15
	v_fma_f32 v24, -v7, v22, v13
	v_fmac_f32_e32 v21, v23, v10
	v_mul_f32_e32 v4, v4, v4
	v_div_scale_f32 v17, null, v20, v20, 1.0
	v_fma_f32 v23, -v12, v25, v14
	v_fmac_f32_e32 v22, v24, v11
	v_fma_f32 v6, -v6, v21, v8
	v_mul_f32_e32 v8, v26, v26
	v_rcp_f32_e32 v24, v17
	v_fmac_f32_e32 v25, v23, v15
	v_fma_f32 v7, -v7, v22, v13
	v_div_fmas_f32 v6, v6, v10, v21
	s_mov_b32 vcc_lo, s0
	v_fma_f32 v27, -v19, v18, 1.0
	v_fma_f32 v10, -v12, v25, v14
	v_div_fmas_f32 v7, v7, v11, v22
	s_mov_b32 vcc_lo, s1
	v_div_scale_f32 v11, null, v4, v4, 1.0
	v_div_fmas_f32 v10, v10, v15, v25
	v_div_scale_f32 v12, null, v8, v8, 1.0
	v_add_f32_e32 v15, v26, v26
	v_rcp_f32_e32 v14, v11
	v_fmac_f32_e32 v18, v27, v18
	v_rcp_f32_e32 v22, v12
	v_div_scale_f32 v13, vcc_lo, 1.0, v16, 1.0
	v_div_scale_f32 v25, null, v15, v15, 1.0
	v_fma_f32 v21, -v17, v24, 1.0
	v_mul_f32_e32 v23, v13, v18
	v_div_fixup_f32 v1, v6, v1, 1.0
	v_rcp_f32_e32 v28, v25
	v_fma_f32 v27, -v11, v14, 1.0
	v_fmac_f32_e32 v24, v21, v24
	v_div_scale_f32 v21, s0, 1.0, v20, 1.0
	v_fma_f32 v30, -v12, v22, 1.0
	v_fma_f32 v29, -v19, v23, v13
	v_fmac_f32_e32 v14, v27, v14
	v_div_scale_f32 v27, s1, 1.0, v4, 1.0
	v_mul_f32_e32 v31, v21, v24
	v_fmac_f32_e32 v22, v30, v22
	v_div_scale_f32 v30, s2, 1.0, v8, 1.0
	v_fma_f32 v32, -v25, v28, 1.0
	v_fmac_f32_e32 v23, v29, v18
	v_mul_f32_e32 v33, v27, v14
	v_fma_f32 v29, -v17, v31, v21
	v_mul_f32_e32 v34, v30, v22
	v_fmac_f32_e32 v28, v32, v28
	v_div_scale_f32 v32, s3, 1.0, v15, 1.0
	v_fma_f32 v13, -v19, v23, v13
	v_fma_f32 v19, -v11, v33, v27
	v_fmac_f32_e32 v31, v29, v24
	v_fma_f32 v29, -v12, v34, v30
	v_mul_f32_e32 v35, v32, v28
	v_div_fmas_f32 v13, v13, v18, v23
	v_fmac_f32_e32 v33, v19, v14
	v_fma_f32 v17, -v17, v31, v21
	v_fmac_f32_e32 v34, v29, v22
	v_fma_f32 v18, -v25, v35, v32
	s_mov_b32 vcc_lo, s0
	v_fma_f32 v11, -v11, v33, v27
	v_div_fmas_f32 v17, v17, v24, v31
	v_fma_f32 v12, -v12, v34, v30
	v_fmac_f32_e32 v35, v18, v28
	s_mov_b32 vcc_lo, s1
	s_mov_b32 s0, 0xbcc30c31
	v_div_fmas_f32 v11, v11, v14, v33
	s_mov_b32 vcc_lo, s2
	v_fma_f32 v14, -v25, v35, v32
	v_div_fmas_f32 v12, v12, v22, v34
	s_mov_b32 vcc_lo, s3
	v_add_f32_e32 v1, v3, v1
	v_div_fixup_f32 v3, v7, v5, 1.0
	v_div_fmas_f32 v14, v14, v28, v35
	v_div_fixup_f32 v8, v12, v8, 1.0
	s_and_b32 s1, s29, 0xff
	v_add_f32_e32 v1, v1, v3
	v_div_fixup_f32 v12, v14, v15, 1.0
	v_fmaak_f32 v14, s0, v8, 0x3d088889
	v_div_fixup_f32 v3, v10, v9, 1.0
	s_cmp_lt_i32 s1, 11
	v_add_f32_e32 v12, 1.0, v12
	v_fma_f32 v14, -v8, v14, 0x3e2aaaab
	v_add_f32_e32 v1, v1, v3
	v_div_fixup_f32 v3, v13, v16, 1.0
	v_fmac_f32_e32 v12, v8, v14
	v_add_f32_e32 v1, v1, v3
	v_div_fixup_f32 v3, v17, v20, 1.0
	v_div_scale_f32 v8, null, v26, v26, v12
	v_div_scale_f32 v5, vcc_lo, v12, v26, v12
	v_add_f32_e32 v1, v1, v3
	v_rcp_f32_e32 v14, v8
	v_div_fixup_f32 v3, v11, v4, 1.0
	v_add_f32_e32 v1, v1, v3
	v_fma_f32 v6, -v8, v14, 1.0
	v_fmac_f32_e32 v14, v6, v14
	v_mul_f32_e32 v6, v5, v14
	v_fma_f32 v7, -v8, v6, v5
	v_fmac_f32_e32 v6, v7, v14
	v_fma_f32 v5, -v8, v6, v5
	v_div_fmas_f32 v4, v5, v14, v6
	v_div_fixup_f32 v3, v4, v26, v12
	v_add_f32_e32 v1, v1, v3
	v_mov_b32_e32 v3, 0x7fc0
	v_mul_f32_e32 v1, v2, v1
	v_bfe_u32 v2, v1, 16, 1
	v_cmp_o_f32_e32 vcc_lo, v1, v1
	v_add3_u32 v4, v1, v2, 0x7fff
	v_add_co_u32 v1, s0, s8, v0
	v_add_co_ci_u32_e64 v2, null, s9, 0, s0
	v_cndmask_b32_sdwa v3, v3, v4, vcc_lo dst_sel:DWORD dst_unused:UNUSED_PAD src0_sel:DWORD src1_sel:WORD_1
	s_cbranch_scc1 .LBB77_1003
; %bb.994:
	s_and_b32 s2, 0xffff, s1
	s_mov_b32 s3, -1
	s_cmp_gt_i32 s2, 25
	s_mov_b32 s0, s36
	s_cbranch_scc0 .LBB77_1031
; %bb.995:
	s_cmp_gt_i32 s2, 28
	s_mov_b32 s0, s36
	s_cbranch_scc0 .LBB77_1015
; %bb.996:
	;; [unrolled: 4-line block ×4, first 2 shown]
	s_cmp_eq_u32 s2, 46
	s_mov_b32 s0, -1
	s_cbranch_scc0 .LBB77_1004
; %bb.999:
	v_and_b32_e32 v0, 0xffff, v3
	s_mov_b32 s0, 0
	s_mov_b32 s3, 0
	global_store_dword v[1:2], v0, off
	s_branch .LBB77_1005
.LBB77_1000:
	s_or_b32 exec_lo, exec_lo, s11
	s_and_saveexec_b32 s0, s36
	s_cbranch_execnz .LBB77_1073
.LBB77_1001:
	s_or_b32 exec_lo, exec_lo, s0
	s_and_saveexec_b32 s0, s3
	s_xor_b32 s0, exec_lo, s0
	s_cbranch_execz .LBB77_1074
.LBB77_1002:
	s_waitcnt vmcnt(0)
	v_and_b32_e32 v0, 0x7fff, v3
	v_cmp_ne_u16_e32 vcc_lo, 0, v0
	v_cndmask_b32_e64 v0, 0, 1, vcc_lo
	global_store_byte v[1:2], v0, off
	s_or_b32 exec_lo, exec_lo, s0
	s_and_saveexec_b32 s0, s2
	s_xor_b32 s0, exec_lo, s0
	s_cbranch_execz .LBB77_1112
	s_branch .LBB77_1075
.LBB77_1003:
	s_mov_b32 s8, 0
	s_mov_b32 s3, -1
	s_mov_b32 s0, s36
	s_branch .LBB77_1072
.LBB77_1004:
	s_mov_b32 s3, 0
.LBB77_1005:
	s_and_b32 vcc_lo, exec_lo, s3
	s_cbranch_vccz .LBB77_1010
; %bb.1006:
	s_cmp_eq_u32 s2, 44
	s_mov_b32 s0, -1
	s_cbranch_scc0 .LBB77_1010
; %bb.1007:
	v_and_b32_e32 v0, 0xffff, v3
	v_mov_b32_e32 v4, 0xff
	s_mov_b32 s3, exec_lo
	v_bfe_u32 v5, v0, 7, 8
	v_cmpx_ne_u32_e32 0xff, v5
	s_cbranch_execz .LBB77_1009
; %bb.1008:
	v_lshlrev_b32_e32 v4, 16, v0
	v_and_b32_e32 v6, 64, v0
	v_lshrrev_b32_e32 v0, 7, v0
	v_and_or_b32 v4, 0x3f0000, v4, v5
	v_cmp_ne_u32_e32 vcc_lo, 0, v6
	v_cmp_ne_u32_e64 s0, 0, v4
	s_and_b32 s0, vcc_lo, s0
	v_cndmask_b32_e64 v4, 0, 1, s0
	v_add_nc_u32_e32 v4, v0, v4
.LBB77_1009:
	s_or_b32 exec_lo, exec_lo, s3
	s_mov_b32 s0, 0
	global_store_byte v[1:2], v4, off
.LBB77_1010:
	s_mov_b32 s3, 0
.LBB77_1011:
	s_and_b32 vcc_lo, exec_lo, s3
	s_cbranch_vccz .LBB77_1014
; %bb.1012:
	s_cmp_eq_u32 s2, 29
	s_mov_b32 s0, -1
	s_cbranch_scc0 .LBB77_1014
; %bb.1013:
	v_lshlrev_b32_e32 v0, 16, v3
	s_mov_b32 s0, 0
	s_mov_b32 s3, 0
	v_trunc_f32_e32 v0, v0
	v_mul_f32_e32 v4, 0x2f800000, v0
	v_floor_f32_e32 v4, v4
	v_fmamk_f32 v0, v4, 0xcf800000, v0
	v_cvt_u32_f32_e32 v5, v4
	v_cvt_u32_f32_e32 v4, v0
	global_store_dwordx2 v[1:2], v[4:5], off
	s_branch .LBB77_1015
.LBB77_1014:
	s_mov_b32 s3, 0
.LBB77_1015:
	s_and_b32 vcc_lo, exec_lo, s3
	s_cbranch_vccz .LBB77_1030
; %bb.1016:
	s_cmp_lt_i32 s2, 27
	s_mov_b32 s3, -1
	s_cbranch_scc1 .LBB77_1022
; %bb.1017:
	s_cmp_gt_i32 s2, 27
	s_cbranch_scc0 .LBB77_1019
; %bb.1018:
	v_lshlrev_b32_e32 v0, 16, v3
	s_mov_b32 s3, 0
	v_cvt_u32_f32_e32 v0, v0
	global_store_dword v[1:2], v0, off
.LBB77_1019:
	s_andn2_b32 vcc_lo, exec_lo, s3
	s_cbranch_vccnz .LBB77_1021
; %bb.1020:
	v_lshlrev_b32_e32 v0, 16, v3
	v_cvt_u32_f32_e32 v0, v0
	global_store_short v[1:2], v0, off
.LBB77_1021:
	s_mov_b32 s3, 0
.LBB77_1022:
	s_andn2_b32 vcc_lo, exec_lo, s3
	s_cbranch_vccnz .LBB77_1030
; %bb.1023:
	v_lshlrev_b32_e32 v5, 16, v3
	v_mov_b32_e32 v6, 0x80
	s_mov_b32 s3, exec_lo
	v_and_b32_e32 v4, 0x7fffffff, v5
	v_cmpx_gt_u32_e32 0x43800000, v4
	s_cbranch_execz .LBB77_1029
; %bb.1024:
	v_and_b32_e32 v0, 0xffff, v3
	v_cmp_lt_u32_e32 vcc_lo, 0x3bffffff, v4
	s_mov_b32 s8, 0
                                        ; implicit-def: $vgpr4
	s_and_saveexec_b32 s9, vcc_lo
	s_xor_b32 s9, exec_lo, s9
	s_cbranch_execz .LBB77_1183
; %bb.1025:
	v_bfe_u32 v4, v0, 4, 1
	s_mov_b32 s8, exec_lo
	v_add3_u32 v4, v5, v4, 0x487ffff
                                        ; implicit-def: $vgpr5
	v_lshrrev_b32_e32 v4, 20, v4
	s_andn2_saveexec_b32 s9, s9
	s_cbranch_execnz .LBB77_1184
.LBB77_1026:
	s_or_b32 exec_lo, exec_lo, s9
	v_mov_b32_e32 v6, 0
	s_and_saveexec_b32 s9, s8
.LBB77_1027:
	v_lshrrev_b32_e32 v0, 8, v0
	v_and_or_b32 v6, 0x80, v0, v4
.LBB77_1028:
	s_or_b32 exec_lo, exec_lo, s9
.LBB77_1029:
	s_or_b32 exec_lo, exec_lo, s3
	global_store_byte v[1:2], v6, off
.LBB77_1030:
	s_mov_b32 s3, 0
.LBB77_1031:
	s_and_b32 vcc_lo, exec_lo, s3
	s_mov_b32 s3, 0
	s_cbranch_vccz .LBB77_1071
; %bb.1032:
	s_cmp_gt_i32 s2, 22
	s_mov_b32 s8, -1
	s_cbranch_scc0 .LBB77_1064
; %bb.1033:
	s_cmp_lt_i32 s2, 24
	s_cbranch_scc1 .LBB77_1053
; %bb.1034:
	s_cmp_gt_i32 s2, 24
	s_cbranch_scc0 .LBB77_1042
; %bb.1035:
	v_lshlrev_b32_e32 v5, 16, v3
	v_mov_b32_e32 v6, 0x80
	s_mov_b32 s8, exec_lo
	v_and_b32_e32 v4, 0x7fffffff, v5
	v_cmpx_gt_u32_e32 0x47800000, v4
	s_cbranch_execz .LBB77_1041
; %bb.1036:
	v_and_b32_e32 v0, 0xffff, v3
	v_cmp_lt_u32_e32 vcc_lo, 0x37ffffff, v4
	s_mov_b32 s9, 0
                                        ; implicit-def: $vgpr4
	s_and_saveexec_b32 s12, vcc_lo
	s_xor_b32 s12, exec_lo, s12
	s_cbranch_execz .LBB77_1315
; %bb.1037:
	v_bfe_u32 v4, v0, 5, 1
	s_mov_b32 s9, exec_lo
	v_add3_u32 v4, v5, v4, 0x88fffff
                                        ; implicit-def: $vgpr5
	v_lshrrev_b32_e32 v4, 21, v4
	s_andn2_saveexec_b32 s12, s12
	s_cbranch_execnz .LBB77_1316
.LBB77_1038:
	s_or_b32 exec_lo, exec_lo, s12
	v_mov_b32_e32 v6, 0
	s_and_saveexec_b32 s12, s9
.LBB77_1039:
	v_lshrrev_b32_e32 v0, 8, v0
	v_and_or_b32 v6, 0x80, v0, v4
.LBB77_1040:
	s_or_b32 exec_lo, exec_lo, s12
.LBB77_1041:
	s_or_b32 exec_lo, exec_lo, s8
	s_mov_b32 s8, 0
	global_store_byte v[1:2], v6, off
.LBB77_1042:
	s_and_b32 vcc_lo, exec_lo, s8
	s_cbranch_vccz .LBB77_1052
; %bb.1043:
	v_lshlrev_b32_e32 v5, 16, v3
	v_and_b32_e32 v0, 0xffff, v3
	s_mov_b32 s8, exec_lo
                                        ; implicit-def: $vgpr4
	v_and_b32_e32 v6, 0x7fffffff, v5
	v_cmpx_gt_u32_e32 0x43f00000, v6
	s_xor_b32 s8, exec_lo, s8
	s_cbranch_execz .LBB77_1049
; %bb.1044:
	s_mov_b32 s9, exec_lo
                                        ; implicit-def: $vgpr4
	v_cmpx_lt_u32_e32 0x3c7fffff, v6
	s_xor_b32 s9, exec_lo, s9
; %bb.1045:
	v_bfe_u32 v4, v0, 4, 1
	v_add3_u32 v4, v5, v4, 0x407ffff
	v_and_b32_e32 v5, 0xff00000, v4
	v_lshrrev_b32_e32 v4, 20, v4
	v_cmp_ne_u32_e32 vcc_lo, 0x7f00000, v5
                                        ; implicit-def: $vgpr5
	v_cndmask_b32_e32 v4, 0x7e, v4, vcc_lo
; %bb.1046:
	s_andn2_saveexec_b32 s9, s9
; %bb.1047:
	v_add_f32_e64 v4, 0x46800000, |v5|
; %bb.1048:
	s_or_b32 exec_lo, exec_lo, s9
                                        ; implicit-def: $vgpr6
.LBB77_1049:
	s_andn2_saveexec_b32 s8, s8
; %bb.1050:
	v_mov_b32_e32 v4, 0x7f
	v_cmp_lt_u32_e32 vcc_lo, 0x7f800000, v6
	v_cndmask_b32_e32 v4, 0x7e, v4, vcc_lo
; %bb.1051:
	s_or_b32 exec_lo, exec_lo, s8
	v_lshrrev_b32_e32 v0, 8, v0
	v_and_or_b32 v0, 0x80, v0, v4
	global_store_byte v[1:2], v0, off
.LBB77_1052:
	s_mov_b32 s8, 0
.LBB77_1053:
	s_andn2_b32 vcc_lo, exec_lo, s8
	s_cbranch_vccnz .LBB77_1063
; %bb.1054:
	v_lshlrev_b32_e32 v5, 16, v3
	v_and_b32_e32 v0, 0xffff, v3
	s_mov_b32 s8, exec_lo
                                        ; implicit-def: $vgpr4
	v_and_b32_e32 v6, 0x7fffffff, v5
	v_cmpx_gt_u32_e32 0x47800000, v6
	s_xor_b32 s8, exec_lo, s8
	s_cbranch_execz .LBB77_1060
; %bb.1055:
	s_mov_b32 s9, exec_lo
                                        ; implicit-def: $vgpr4
	v_cmpx_lt_u32_e32 0x387fffff, v6
	s_xor_b32 s9, exec_lo, s9
; %bb.1056:
	v_bfe_u32 v4, v0, 5, 1
	v_add3_u32 v4, v5, v4, 0x80fffff
                                        ; implicit-def: $vgpr5
	v_lshrrev_b32_e32 v4, 21, v4
; %bb.1057:
	s_andn2_saveexec_b32 s9, s9
; %bb.1058:
	v_add_f32_e64 v4, 0x43000000, |v5|
; %bb.1059:
	s_or_b32 exec_lo, exec_lo, s9
                                        ; implicit-def: $vgpr6
.LBB77_1060:
	s_andn2_saveexec_b32 s8, s8
; %bb.1061:
	v_mov_b32_e32 v4, 0x7f
	v_cmp_lt_u32_e32 vcc_lo, 0x7f800000, v6
	v_cndmask_b32_e32 v4, 0x7c, v4, vcc_lo
; %bb.1062:
	s_or_b32 exec_lo, exec_lo, s8
	v_lshrrev_b32_e32 v0, 8, v0
	v_and_or_b32 v0, 0x80, v0, v4
	global_store_byte v[1:2], v0, off
.LBB77_1063:
	s_mov_b32 s8, 0
.LBB77_1064:
	s_andn2_b32 vcc_lo, exec_lo, s8
	s_mov_b32 s8, 0
	s_cbranch_vccnz .LBB77_1072
; %bb.1065:
	s_cmp_gt_i32 s2, 14
	s_mov_b32 s8, -1
	s_cbranch_scc0 .LBB77_1069
; %bb.1066:
	s_cmp_eq_u32 s2, 15
	s_mov_b32 s0, -1
	s_cbranch_scc0 .LBB77_1068
; %bb.1067:
	s_mov_b32 s0, 0
	global_store_short v[1:2], v3, off
.LBB77_1068:
	s_mov_b32 s8, 0
.LBB77_1069:
	s_and_b32 vcc_lo, exec_lo, s8
	s_mov_b32 s8, 0
	s_cbranch_vccz .LBB77_1072
; %bb.1070:
	s_cmp_lg_u32 s2, 11
	s_mov_b32 s8, -1
	s_cselect_b32 s2, -1, 0
	s_andn2_b32 s0, s0, exec_lo
	s_and_b32 s2, s2, exec_lo
	s_or_b32 s0, s0, s2
	s_branch .LBB77_1072
.LBB77_1071:
	s_mov_b32 s8, 0
.LBB77_1072:
	s_andn2_b32 s9, s36, exec_lo
	s_and_b32 s0, s0, exec_lo
	s_and_b32 s2, s3, exec_lo
	;; [unrolled: 1-line block ×3, first 2 shown]
	s_or_b32 s36, s9, s0
	s_or_b32 exec_lo, exec_lo, s11
	s_and_saveexec_b32 s0, s36
	s_cbranch_execz .LBB77_1001
.LBB77_1073:
	s_or_b32 s10, s10, exec_lo
	s_andn2_b32 s3, s3, exec_lo
	s_trap 2
	s_or_b32 exec_lo, exec_lo, s0
	s_and_saveexec_b32 s0, s3
	s_xor_b32 s0, exec_lo, s0
	s_cbranch_execnz .LBB77_1002
.LBB77_1074:
	s_or_b32 exec_lo, exec_lo, s0
	s_and_saveexec_b32 s0, s2
	s_xor_b32 s0, exec_lo, s0
	s_cbranch_execz .LBB77_1112
.LBB77_1075:
	s_sext_i32_i16 s3, s1
	s_mov_b32 s2, -1
	s_cmp_lt_i32 s3, 5
	s_cbranch_scc1 .LBB77_1096
; %bb.1076:
	s_cmp_lt_i32 s3, 8
	s_cbranch_scc1 .LBB77_1086
; %bb.1077:
	;; [unrolled: 3-line block ×3, first 2 shown]
	s_cmp_gt_i32 s3, 9
	s_cbranch_scc0 .LBB77_1080
; %bb.1079:
	s_waitcnt vmcnt(0)
	v_lshlrev_b32_e32 v0, 16, v3
	v_mov_b32_e32 v6, 0
	s_mov_b32 s2, 0
	v_cvt_f64_f32_e32 v[4:5], v0
	v_mov_b32_e32 v7, v6
	global_store_dwordx4 v[1:2], v[4:7], off
.LBB77_1080:
	s_andn2_b32 vcc_lo, exec_lo, s2
	s_cbranch_vccnz .LBB77_1082
; %bb.1081:
	s_waitcnt vmcnt(0)
	v_lshlrev_b32_e32 v4, 16, v3
	v_mov_b32_e32 v5, 0
	global_store_dwordx2 v[1:2], v[4:5], off
.LBB77_1082:
	s_mov_b32 s2, 0
.LBB77_1083:
	s_andn2_b32 vcc_lo, exec_lo, s2
	s_cbranch_vccnz .LBB77_1085
; %bb.1084:
	s_waitcnt vmcnt(0)
	v_lshlrev_b32_e32 v0, 16, v3
	v_cvt_f16_f32_e32 v0, v0
	v_and_b32_e32 v0, 0xffff, v0
	global_store_dword v[1:2], v0, off
.LBB77_1085:
	s_mov_b32 s2, 0
.LBB77_1086:
	s_andn2_b32 vcc_lo, exec_lo, s2
	s_cbranch_vccnz .LBB77_1095
; %bb.1087:
	s_sext_i32_i16 s3, s1
	s_mov_b32 s2, -1
	s_cmp_lt_i32 s3, 6
	s_cbranch_scc1 .LBB77_1093
; %bb.1088:
	s_cmp_gt_i32 s3, 6
	s_cbranch_scc0 .LBB77_1090
; %bb.1089:
	s_waitcnt vmcnt(0)
	v_lshlrev_b32_e32 v0, 16, v3
	s_mov_b32 s2, 0
	v_cvt_f64_f32_e32 v[4:5], v0
	global_store_dwordx2 v[1:2], v[4:5], off
.LBB77_1090:
	s_andn2_b32 vcc_lo, exec_lo, s2
	s_cbranch_vccnz .LBB77_1092
; %bb.1091:
	s_waitcnt vmcnt(0)
	v_lshlrev_b32_e32 v0, 16, v3
	global_store_dword v[1:2], v0, off
.LBB77_1092:
	s_mov_b32 s2, 0
.LBB77_1093:
	s_andn2_b32 vcc_lo, exec_lo, s2
	s_cbranch_vccnz .LBB77_1095
; %bb.1094:
	s_waitcnt vmcnt(0)
	v_lshlrev_b32_e32 v0, 16, v3
	v_cvt_f16_f32_e32 v0, v0
	global_store_short v[1:2], v0, off
.LBB77_1095:
	s_mov_b32 s2, 0
.LBB77_1096:
	s_andn2_b32 vcc_lo, exec_lo, s2
	s_cbranch_vccnz .LBB77_1112
; %bb.1097:
	s_sext_i32_i16 s3, s1
	s_mov_b32 s2, -1
	s_cmp_lt_i32 s3, 2
	s_cbranch_scc1 .LBB77_1107
; %bb.1098:
	s_cmp_lt_i32 s3, 3
	s_cbranch_scc1 .LBB77_1104
; %bb.1099:
	s_cmp_gt_i32 s3, 3
	s_cbranch_scc0 .LBB77_1101
; %bb.1100:
	s_waitcnt vmcnt(0)
	v_lshlrev_b32_e32 v0, 16, v3
	s_mov_b32 s2, 0
	v_trunc_f32_e32 v0, v0
	v_mul_f32_e64 v4, 0x2f800000, |v0|
	v_floor_f32_e32 v4, v4
	v_fma_f32 v5, 0xcf800000, v4, |v0|
	v_ashrrev_i32_e32 v0, 31, v0
	v_cvt_u32_f32_e32 v4, v4
	v_cvt_u32_f32_e32 v5, v5
	v_xor_b32_e32 v6, v4, v0
	v_xor_b32_e32 v5, v5, v0
	v_sub_co_u32 v4, vcc_lo, v5, v0
	v_sub_co_ci_u32_e64 v5, null, v6, v0, vcc_lo
	global_store_dwordx2 v[1:2], v[4:5], off
.LBB77_1101:
	s_andn2_b32 vcc_lo, exec_lo, s2
	s_cbranch_vccnz .LBB77_1103
; %bb.1102:
	s_waitcnt vmcnt(0)
	v_lshlrev_b32_e32 v0, 16, v3
	v_cvt_i32_f32_e32 v0, v0
	global_store_dword v[1:2], v0, off
.LBB77_1103:
	s_mov_b32 s2, 0
.LBB77_1104:
	s_andn2_b32 vcc_lo, exec_lo, s2
	s_cbranch_vccnz .LBB77_1106
; %bb.1105:
	s_waitcnt vmcnt(0)
	v_lshlrev_b32_e32 v0, 16, v3
	v_cvt_i32_f32_e32 v0, v0
	global_store_short v[1:2], v0, off
.LBB77_1106:
	s_mov_b32 s2, 0
.LBB77_1107:
	s_andn2_b32 vcc_lo, exec_lo, s2
	s_cbranch_vccnz .LBB77_1112
; %bb.1108:
	s_sext_i32_i16 s1, s1
	s_cmp_gt_i32 s1, 0
	s_mov_b32 s1, -1
	s_cbranch_scc0 .LBB77_1110
; %bb.1109:
	s_waitcnt vmcnt(0)
	v_lshlrev_b32_e32 v0, 16, v3
	s_mov_b32 s1, 0
	v_cvt_i32_f32_e32 v0, v0
	global_store_byte v[1:2], v0, off
.LBB77_1110:
	s_andn2_b32 vcc_lo, exec_lo, s1
	s_cbranch_vccnz .LBB77_1112
; %bb.1111:
	s_waitcnt vmcnt(0)
	v_lshlrev_b32_e32 v0, 16, v3
	v_trunc_f32_e32 v0, v0
	v_mul_f32_e64 v3, 0x2f800000, |v0|
	v_floor_f32_e32 v3, v3
	v_fma_f32 v3, 0xcf800000, v3, |v0|
	v_ashrrev_i32_e32 v0, 31, v0
	v_cvt_u32_f32_e32 v3, v3
	v_xor_b32_e32 v3, v3, v0
	v_sub_nc_u32_e32 v0, v3, v0
	global_store_byte v[1:2], v0, off
.LBB77_1112:
	s_or_b32 exec_lo, exec_lo, s0
	s_and_b32 s12, s10, exec_lo
                                        ; implicit-def: $vgpr15
                                        ; implicit-def: $vgpr8
.LBB77_1113:
	s_or_saveexec_b32 s13, s28
	s_mov_b32 s0, 0
                                        ; implicit-def: $vgpr0_vgpr1
                                        ; implicit-def: $sgpr10
                                        ; implicit-def: $vgpr2
	s_xor_b32 exec_lo, exec_lo, s13
	s_cbranch_execz .LBB77_2145
; %bb.1114:
	v_cndmask_b32_e64 v0, 0, 1, s27
	s_andn2_b32 vcc_lo, exec_lo, s27
	s_cbranch_vccnz .LBB77_1120
; %bb.1115:
	s_cmp_lg_u32 s24, 0
	s_mov_b32 s8, 0
	s_cbranch_scc0 .LBB77_1121
; %bb.1116:
	s_min_u32 s10, s25, 15
	s_add_i32 s10, s10, 1
	s_cmp_eq_u32 s25, 2
	s_cbranch_scc1 .LBB77_1122
; %bb.1117:
	v_mov_b32_e32 v13, 0
	v_mov_b32_e32 v6, 0
	;; [unrolled: 1-line block ×3, first 2 shown]
	s_and_b32 s9, s10, 28
	s_add_u32 s0, s6, 0xc4
	s_addc_u32 s1, s7, 0
	s_mov_b32 s11, 0
	s_mov_b64 s[2:3], s[6:7]
.LBB77_1118:                            ; =>This Inner Loop Header: Depth=1
	s_clause 0x1
	s_load_dwordx8 s[16:23], s[2:3], 0x4
	s_load_dwordx4 s[28:31], s[2:3], 0x24
	s_load_dwordx8 s[36:43], s[0:1], 0x0
	s_add_u32 s2, s2, 48
	s_addc_u32 s3, s3, 0
	s_add_i32 s11, s11, 4
	s_add_u32 s0, s0, 32
	s_addc_u32 s1, s1, 0
	s_cmp_lg_u32 s9, s11
	s_waitcnt lgkmcnt(0)
	v_mul_hi_u32 v2, s17, v1
	v_add_nc_u32_e32 v2, v1, v2
	v_lshrrev_b32_e32 v2, s18, v2
	s_waitcnt vmcnt(0)
	v_mul_hi_u32 v3, s20, v2
	v_mul_lo_u32 v5, v2, s16
	v_add_nc_u32_e32 v3, v2, v3
	v_sub_nc_u32_e32 v1, v1, v5
	v_lshrrev_b32_e32 v3, s21, v3
	v_mul_lo_u32 v5, v1, s36
	v_mul_lo_u32 v9, v1, s37
	v_mul_hi_u32 v4, s23, v3
	v_add_nc_u32_e32 v4, v3, v4
	v_lshrrev_b32_e32 v4, s28, v4
	v_mul_hi_u32 v7, s30, v4
	v_mul_lo_u32 v10, v4, s22
	v_add_nc_u32_e32 v1, v4, v7
	v_mul_lo_u32 v7, v3, s19
	v_sub_nc_u32_e32 v3, v3, v10
	v_lshrrev_b32_e32 v1, s31, v1
	v_mul_lo_u32 v10, v3, s40
	v_mul_lo_u32 v3, v3, s41
	v_sub_nc_u32_e32 v2, v2, v7
	v_mul_lo_u32 v11, v1, s29
	v_mul_lo_u32 v7, v2, s38
	;; [unrolled: 1-line block ×3, first 2 shown]
	v_sub_nc_u32_e32 v4, v4, v11
	v_add3_u32 v5, v5, v6, v7
	v_mul_lo_u32 v11, v4, s42
	v_mul_lo_u32 v4, v4, s43
	v_add3_u32 v2, v9, v13, v2
	v_add3_u32 v6, v10, v5, v11
	v_add3_u32 v13, v3, v2, v4
	s_cbranch_scc1 .LBB77_1118
; %bb.1119:
	s_and_b32 s10, s10, 3
	s_cmp_eq_u32 s10, 0
	s_cbranch_scc0 .LBB77_1123
	s_branch .LBB77_1125
.LBB77_1120:
	s_mov_b32 s8, -1
                                        ; implicit-def: $vgpr6
                                        ; implicit-def: $vgpr13
	s_branch .LBB77_1125
.LBB77_1121:
	v_mov_b32_e32 v6, 0
	v_mov_b32_e32 v13, 0
	s_branch .LBB77_1125
.LBB77_1122:
	v_mov_b32_e32 v6, 0
	v_mov_b32_e32 v13, 0
	;; [unrolled: 1-line block ×3, first 2 shown]
	s_mov_b32 s9, 0
	s_and_b32 s10, s10, 3
	s_cmp_eq_u32 s10, 0
	s_cbranch_scc1 .LBB77_1125
.LBB77_1123:
	s_lshl_b32 s0, s9, 3
	s_mul_i32 s2, s9, 12
	s_add_u32 s0, s6, s0
	s_addc_u32 s1, s7, 0
	s_add_u32 s0, s0, 0xc4
	s_addc_u32 s1, s1, 0
	;; [unrolled: 2-line block ×3, first 2 shown]
	.p2align	6
.LBB77_1124:                            ; =>This Inner Loop Header: Depth=1
	s_clause 0x1
	s_load_dwordx2 s[14:15], s[2:3], 0x4
	s_load_dword s9, s[2:3], 0xc
	s_load_dwordx2 s[16:17], s[0:1], 0x0
	s_add_u32 s2, s2, 12
	s_addc_u32 s3, s3, 0
	s_add_u32 s0, s0, 8
	s_addc_u32 s1, s1, 0
	s_add_i32 s10, s10, -1
	s_cmp_lg_u32 s10, 0
	s_waitcnt lgkmcnt(0)
	v_mul_hi_u32 v2, s15, v1
	v_add_nc_u32_e32 v2, v1, v2
	v_lshrrev_b32_e32 v2, s9, v2
	s_waitcnt vmcnt(0)
	v_mul_lo_u32 v3, v2, s14
	v_sub_nc_u32_e32 v1, v1, v3
	v_mad_u64_u32 v[6:7], null, v1, s16, v[6:7]
	v_mad_u64_u32 v[13:14], null, v1, s17, v[13:14]
	v_mov_b32_e32 v1, v2
	s_cbranch_scc1 .LBB77_1124
.LBB77_1125:
	s_andn2_b32 vcc_lo, exec_lo, s8
	s_cbranch_vccnz .LBB77_1128
; %bb.1126:
	s_clause 0x1
	s_load_dwordx4 s[0:3], s[6:7], 0x4
	s_load_dwordx2 s[8:9], s[6:7], 0xc4
	s_cmp_lt_u32 s24, 2
	s_waitcnt lgkmcnt(0)
	v_mul_hi_u32 v1, s1, v8
	v_add_nc_u32_e32 v1, v8, v1
	v_lshrrev_b32_e32 v1, s2, v1
	v_mul_lo_u32 v2, v1, s0
	v_sub_nc_u32_e32 v2, v8, v2
	v_mul_lo_u32 v6, v2, s8
	v_mul_lo_u32 v13, v2, s9
	s_cbranch_scc1 .LBB77_1128
; %bb.1127:
	s_clause 0x1
	s_load_dwordx4 s[0:3], s[6:7], 0x10
	s_load_dwordx2 s[8:9], s[6:7], 0xcc
	s_waitcnt lgkmcnt(0)
	v_mul_hi_u32 v2, s1, v1
	v_add_nc_u32_e32 v2, v1, v2
	v_lshrrev_b32_e32 v2, s2, v2
	v_mul_lo_u32 v2, v2, s0
	v_sub_nc_u32_e32 v1, v1, v2
	v_mad_u64_u32 v[6:7], null, v1, s8, v[6:7]
	v_mad_u64_u32 v[13:14], null, v1, s9, v[13:14]
.LBB77_1128:
	v_cmp_ne_u32_e32 vcc_lo, 1, v0
	v_add_nc_u32_e32 v1, 0x80, v8
	s_cbranch_vccnz .LBB77_1134
; %bb.1129:
	s_cmp_lg_u32 s24, 0
	s_mov_b32 s8, 0
	s_cbranch_scc0 .LBB77_1135
; %bb.1130:
	s_min_u32 s10, s25, 15
	s_add_i32 s10, s10, 1
	s_cmp_eq_u32 s25, 2
	s_cbranch_scc1 .LBB77_1136
; %bb.1131:
	v_mov_b32_e32 v11, 0
	s_waitcnt vmcnt(0)
	v_mov_b32_e32 v4, 0
	v_mov_b32_e32 v2, v1
	s_and_b32 s9, s10, 28
	s_add_u32 s0, s6, 0xc4
	s_addc_u32 s1, s7, 0
	s_mov_b32 s11, 0
	s_mov_b64 s[2:3], s[6:7]
.LBB77_1132:                            ; =>This Inner Loop Header: Depth=1
	s_clause 0x1
	s_load_dwordx8 s[16:23], s[2:3], 0x4
	s_load_dwordx4 s[28:31], s[2:3], 0x24
	s_load_dwordx8 s[36:43], s[0:1], 0x0
	s_add_u32 s2, s2, 48
	s_addc_u32 s3, s3, 0
	s_add_i32 s11, s11, 4
	s_add_u32 s0, s0, 32
	s_addc_u32 s1, s1, 0
	s_cmp_lg_u32 s9, s11
	s_waitcnt lgkmcnt(0)
	v_mul_hi_u32 v3, s17, v2
	v_add_nc_u32_e32 v3, v2, v3
	v_lshrrev_b32_e32 v3, s18, v3
	v_mul_hi_u32 v5, s20, v3
	v_mul_lo_u32 v9, v3, s16
	v_add_nc_u32_e32 v5, v3, v5
	v_sub_nc_u32_e32 v2, v2, v9
	v_lshrrev_b32_e32 v5, s21, v5
	v_mul_lo_u32 v9, v2, s36
	v_mul_lo_u32 v12, v2, s37
	v_mul_hi_u32 v7, s23, v5
	v_add_nc_u32_e32 v7, v5, v7
	v_lshrrev_b32_e32 v7, s28, v7
	v_mul_hi_u32 v10, s30, v7
	v_mul_lo_u32 v14, v7, s22
	v_add_nc_u32_e32 v2, v7, v10
	v_mul_lo_u32 v10, v5, s19
	v_sub_nc_u32_e32 v5, v5, v14
	v_lshrrev_b32_e32 v2, s31, v2
	v_mul_lo_u32 v14, v5, s40
	v_mul_lo_u32 v5, v5, s41
	v_sub_nc_u32_e32 v3, v3, v10
	v_mul_lo_u32 v16, v2, s29
	v_mul_lo_u32 v10, v3, s38
	;; [unrolled: 1-line block ×3, first 2 shown]
	v_sub_nc_u32_e32 v7, v7, v16
	v_add3_u32 v4, v9, v4, v10
	v_mul_lo_u32 v16, v7, s42
	v_mul_lo_u32 v7, v7, s43
	v_add3_u32 v3, v12, v11, v3
	v_add3_u32 v4, v14, v4, v16
	;; [unrolled: 1-line block ×3, first 2 shown]
	s_cbranch_scc1 .LBB77_1132
; %bb.1133:
	s_and_b32 s10, s10, 3
	s_cmp_eq_u32 s10, 0
	s_cbranch_scc0 .LBB77_1137
	s_branch .LBB77_1139
.LBB77_1134:
	s_mov_b32 s8, -1
                                        ; implicit-def: $vgpr4
                                        ; implicit-def: $vgpr11
	s_branch .LBB77_1139
.LBB77_1135:
	s_waitcnt vmcnt(0)
	v_mov_b32_e32 v4, 0
	v_mov_b32_e32 v11, 0
	s_branch .LBB77_1139
.LBB77_1136:
	s_waitcnt vmcnt(0)
	v_mov_b32_e32 v4, 0
	v_mov_b32_e32 v11, 0
	;; [unrolled: 1-line block ×3, first 2 shown]
	s_mov_b32 s9, 0
	s_and_b32 s10, s10, 3
	s_cmp_eq_u32 s10, 0
	s_cbranch_scc1 .LBB77_1139
.LBB77_1137:
	s_lshl_b32 s0, s9, 3
	s_mul_i32 s2, s9, 12
	s_add_u32 s0, s6, s0
	s_addc_u32 s1, s7, 0
	s_add_u32 s0, s0, 0xc4
	s_addc_u32 s1, s1, 0
	;; [unrolled: 2-line block ×3, first 2 shown]
	.p2align	6
.LBB77_1138:                            ; =>This Inner Loop Header: Depth=1
	s_clause 0x1
	s_load_dwordx2 s[14:15], s[2:3], 0x4
	s_load_dword s9, s[2:3], 0xc
	s_load_dwordx2 s[16:17], s[0:1], 0x0
	s_add_u32 s2, s2, 12
	s_addc_u32 s3, s3, 0
	s_add_u32 s0, s0, 8
	s_addc_u32 s1, s1, 0
	s_add_i32 s10, s10, -1
	s_cmp_lg_u32 s10, 0
	s_waitcnt lgkmcnt(0)
	v_mul_hi_u32 v3, s15, v2
	v_add_nc_u32_e32 v3, v2, v3
	v_lshrrev_b32_e32 v3, s9, v3
	v_mul_lo_u32 v5, v3, s14
	v_sub_nc_u32_e32 v2, v2, v5
	v_mad_u64_u32 v[4:5], null, v2, s16, v[4:5]
	v_mad_u64_u32 v[11:12], null, v2, s17, v[11:12]
	v_mov_b32_e32 v2, v3
	s_cbranch_scc1 .LBB77_1138
.LBB77_1139:
	s_andn2_b32 vcc_lo, exec_lo, s8
	s_cbranch_vccnz .LBB77_1142
; %bb.1140:
	s_clause 0x1
	s_load_dwordx4 s[0:3], s[6:7], 0x4
	s_load_dwordx2 s[8:9], s[6:7], 0xc4
	s_cmp_lt_u32 s24, 2
	s_waitcnt lgkmcnt(0)
	v_mul_hi_u32 v2, s1, v1
	v_add_nc_u32_e32 v2, v1, v2
	v_lshrrev_b32_e32 v2, s2, v2
	s_waitcnt vmcnt(0)
	v_mul_lo_u32 v3, v2, s0
	v_sub_nc_u32_e32 v1, v1, v3
	v_mul_lo_u32 v4, v1, s8
	v_mul_lo_u32 v11, v1, s9
	s_cbranch_scc1 .LBB77_1142
; %bb.1141:
	s_clause 0x1
	s_load_dwordx4 s[0:3], s[6:7], 0x10
	s_load_dwordx2 s[8:9], s[6:7], 0xcc
	s_waitcnt lgkmcnt(0)
	v_mul_hi_u32 v1, s1, v2
	v_add_nc_u32_e32 v1, v2, v1
	v_lshrrev_b32_e32 v1, s2, v1
	v_mul_lo_u32 v1, v1, s0
	v_sub_nc_u32_e32 v1, v2, v1
	v_mad_u64_u32 v[4:5], null, v1, s8, v[4:5]
	v_mad_u64_u32 v[11:12], null, v1, s9, v[11:12]
.LBB77_1142:
	v_cmp_ne_u32_e32 vcc_lo, 1, v0
	v_add_nc_u32_e32 v1, 0x100, v8
	s_cbranch_vccnz .LBB77_1148
; %bb.1143:
	s_cmp_lg_u32 s24, 0
	s_mov_b32 s8, 0
	s_cbranch_scc0 .LBB77_1149
; %bb.1144:
	s_min_u32 s10, s25, 15
	s_add_i32 s10, s10, 1
	s_cmp_eq_u32 s25, 2
	s_cbranch_scc1 .LBB77_1150
; %bb.1145:
	v_mov_b32_e32 v9, 0
	v_mov_b32_e32 v2, 0
	s_waitcnt vmcnt(0)
	v_mov_b32_e32 v3, v1
	s_and_b32 s9, s10, 28
	s_add_u32 s0, s6, 0xc4
	s_addc_u32 s1, s7, 0
	s_mov_b32 s11, 0
	s_mov_b64 s[2:3], s[6:7]
.LBB77_1146:                            ; =>This Inner Loop Header: Depth=1
	s_clause 0x1
	s_load_dwordx8 s[16:23], s[2:3], 0x4
	s_load_dwordx4 s[28:31], s[2:3], 0x24
	s_load_dwordx8 s[36:43], s[0:1], 0x0
	s_add_u32 s2, s2, 48
	s_addc_u32 s3, s3, 0
	s_add_i32 s11, s11, 4
	s_add_u32 s0, s0, 32
	s_addc_u32 s1, s1, 0
	s_cmp_lg_u32 s9, s11
	s_waitcnt lgkmcnt(0)
	v_mul_hi_u32 v5, s17, v3
	v_add_nc_u32_e32 v5, v3, v5
	v_lshrrev_b32_e32 v5, s18, v5
	v_mul_hi_u32 v7, s20, v5
	v_mul_lo_u32 v10, v5, s16
	v_add_nc_u32_e32 v7, v5, v7
	v_sub_nc_u32_e32 v3, v3, v10
	v_lshrrev_b32_e32 v7, s21, v7
	v_mul_lo_u32 v10, v3, s36
	v_mul_lo_u32 v14, v3, s37
	v_mul_hi_u32 v8, s23, v7
	v_add_nc_u32_e32 v8, v7, v8
	v_lshrrev_b32_e32 v8, s28, v8
	v_mul_hi_u32 v12, s30, v8
	v_mul_lo_u32 v16, v8, s22
	v_add_nc_u32_e32 v3, v8, v12
	v_mul_lo_u32 v12, v7, s19
	v_sub_nc_u32_e32 v7, v7, v16
	v_lshrrev_b32_e32 v3, s31, v3
	v_mul_lo_u32 v16, v7, s40
	v_mul_lo_u32 v7, v7, s41
	v_sub_nc_u32_e32 v5, v5, v12
	v_mul_lo_u32 v17, v3, s29
	v_mul_lo_u32 v12, v5, s38
	;; [unrolled: 1-line block ×3, first 2 shown]
	v_sub_nc_u32_e32 v8, v8, v17
	v_add3_u32 v2, v10, v2, v12
	v_mul_lo_u32 v17, v8, s42
	v_mul_lo_u32 v8, v8, s43
	v_add3_u32 v5, v14, v9, v5
	v_add3_u32 v2, v16, v2, v17
	;; [unrolled: 1-line block ×3, first 2 shown]
	s_cbranch_scc1 .LBB77_1146
; %bb.1147:
	s_and_b32 s10, s10, 3
	s_cmp_eq_u32 s10, 0
	s_cbranch_scc0 .LBB77_1151
	s_branch .LBB77_1153
.LBB77_1148:
	s_mov_b32 s8, -1
                                        ; implicit-def: $vgpr2
                                        ; implicit-def: $vgpr9
	s_branch .LBB77_1153
.LBB77_1149:
	v_mov_b32_e32 v2, 0
	v_mov_b32_e32 v9, 0
	s_branch .LBB77_1153
.LBB77_1150:
	v_mov_b32_e32 v2, 0
	v_mov_b32_e32 v9, 0
	s_waitcnt vmcnt(0)
	v_mov_b32_e32 v3, v1
	s_mov_b32 s9, 0
	s_and_b32 s10, s10, 3
	s_cmp_eq_u32 s10, 0
	s_cbranch_scc1 .LBB77_1153
.LBB77_1151:
	s_lshl_b32 s0, s9, 3
	s_mul_i32 s2, s9, 12
	s_add_u32 s0, s6, s0
	s_addc_u32 s1, s7, 0
	s_add_u32 s0, s0, 0xc4
	s_addc_u32 s1, s1, 0
	;; [unrolled: 2-line block ×3, first 2 shown]
	.p2align	6
.LBB77_1152:                            ; =>This Inner Loop Header: Depth=1
	s_clause 0x1
	s_load_dwordx2 s[14:15], s[2:3], 0x4
	s_load_dword s9, s[2:3], 0xc
	s_load_dwordx2 s[16:17], s[0:1], 0x0
	s_add_u32 s2, s2, 12
	s_addc_u32 s3, s3, 0
	s_add_u32 s0, s0, 8
	s_addc_u32 s1, s1, 0
	s_add_i32 s10, s10, -1
	s_cmp_lg_u32 s10, 0
	s_waitcnt lgkmcnt(0)
	v_mul_hi_u32 v5, s15, v3
	v_add_nc_u32_e32 v5, v3, v5
	v_lshrrev_b32_e32 v5, s9, v5
	v_mul_lo_u32 v7, v5, s14
	v_sub_nc_u32_e32 v7, v3, v7
	v_mad_u64_u32 v[2:3], null, v7, s16, v[2:3]
	v_mad_u64_u32 v[9:10], null, v7, s17, v[9:10]
	v_mov_b32_e32 v3, v5
	s_cbranch_scc1 .LBB77_1152
.LBB77_1153:
	s_andn2_b32 vcc_lo, exec_lo, s8
	s_cbranch_vccnz .LBB77_1156
; %bb.1154:
	s_clause 0x1
	s_load_dwordx4 s[0:3], s[6:7], 0x4
	s_load_dwordx2 s[8:9], s[6:7], 0xc4
	s_cmp_lt_u32 s24, 2
	s_waitcnt lgkmcnt(0)
	v_mul_hi_u32 v2, s1, v1
	v_add_nc_u32_e32 v2, v1, v2
	s_waitcnt vmcnt(0)
	v_lshrrev_b32_e32 v3, s2, v2
	v_mul_lo_u32 v2, v3, s0
	v_sub_nc_u32_e32 v1, v1, v2
	v_mul_lo_u32 v2, v1, s8
	v_mul_lo_u32 v9, v1, s9
	s_cbranch_scc1 .LBB77_1156
; %bb.1155:
	s_clause 0x1
	s_load_dwordx4 s[0:3], s[6:7], 0x10
	s_load_dwordx2 s[8:9], s[6:7], 0xcc
	s_waitcnt lgkmcnt(0)
	v_mul_hi_u32 v1, s1, v3
	v_add_nc_u32_e32 v1, v3, v1
	v_lshrrev_b32_e32 v1, s2, v1
	v_mul_lo_u32 v1, v1, s0
	v_sub_nc_u32_e32 v1, v3, v1
	v_mad_u64_u32 v[2:3], null, v1, s8, v[2:3]
	v_mad_u64_u32 v[9:10], null, v1, s9, v[9:10]
.LBB77_1156:
	v_cmp_ne_u32_e32 vcc_lo, 1, v0
	s_cbranch_vccnz .LBB77_1162
; %bb.1157:
	s_cmp_lg_u32 s24, 0
	s_mov_b32 s8, 0
	s_cbranch_scc0 .LBB77_1163
; %bb.1158:
	s_min_u32 s10, s25, 15
	s_add_i32 s10, s10, 1
	s_cmp_eq_u32 s25, 2
	s_cbranch_scc1 .LBB77_1164
; %bb.1159:
	v_mov_b32_e32 v7, 0
	v_mov_b32_e32 v0, 0
	;; [unrolled: 1-line block ×3, first 2 shown]
	s_and_b32 s9, s10, 28
	s_add_u32 s0, s6, 0xc4
	s_addc_u32 s1, s7, 0
	s_mov_b32 s11, 0
	s_mov_b64 s[2:3], s[6:7]
.LBB77_1160:                            ; =>This Inner Loop Header: Depth=1
	s_clause 0x1
	s_load_dwordx8 s[16:23], s[2:3], 0x4
	s_load_dwordx4 s[28:31], s[2:3], 0x24
	s_load_dwordx8 s[36:43], s[0:1], 0x0
	s_add_u32 s2, s2, 48
	s_addc_u32 s3, s3, 0
	s_add_i32 s11, s11, 4
	s_add_u32 s0, s0, 32
	s_addc_u32 s1, s1, 0
	s_cmp_lg_u32 s9, s11
	s_waitcnt vmcnt(0) lgkmcnt(0)
	v_mul_hi_u32 v3, s17, v1
	v_add_nc_u32_e32 v3, v1, v3
	v_lshrrev_b32_e32 v3, s18, v3
	v_mul_hi_u32 v5, s20, v3
	v_mul_lo_u32 v10, v3, s16
	v_add_nc_u32_e32 v5, v3, v5
	v_sub_nc_u32_e32 v1, v1, v10
	v_lshrrev_b32_e32 v5, s21, v5
	v_mul_lo_u32 v10, v1, s36
	v_mul_lo_u32 v14, v1, s37
	v_mul_hi_u32 v8, s23, v5
	v_add_nc_u32_e32 v8, v5, v8
	v_lshrrev_b32_e32 v8, s28, v8
	v_mul_hi_u32 v12, s30, v8
	v_mul_lo_u32 v16, v8, s22
	v_add_nc_u32_e32 v1, v8, v12
	v_mul_lo_u32 v12, v5, s19
	v_sub_nc_u32_e32 v5, v5, v16
	v_lshrrev_b32_e32 v1, s31, v1
	v_mul_lo_u32 v16, v5, s40
	v_mul_lo_u32 v5, v5, s41
	v_sub_nc_u32_e32 v3, v3, v12
	v_mul_lo_u32 v17, v1, s29
	v_mul_lo_u32 v12, v3, s38
	;; [unrolled: 1-line block ×3, first 2 shown]
	v_sub_nc_u32_e32 v8, v8, v17
	v_add3_u32 v0, v10, v0, v12
	v_mul_lo_u32 v17, v8, s42
	v_mul_lo_u32 v8, v8, s43
	v_add3_u32 v3, v14, v7, v3
	v_add3_u32 v0, v16, v0, v17
	v_add3_u32 v7, v5, v3, v8
	s_cbranch_scc1 .LBB77_1160
; %bb.1161:
	s_and_b32 s10, s10, 3
	s_cmp_eq_u32 s10, 0
	s_cbranch_scc0 .LBB77_1165
	s_branch .LBB77_1167
.LBB77_1162:
	s_mov_b32 s8, -1
                                        ; implicit-def: $vgpr0
                                        ; implicit-def: $vgpr7
	s_branch .LBB77_1167
.LBB77_1163:
	v_mov_b32_e32 v0, 0
	v_mov_b32_e32 v7, 0
	s_branch .LBB77_1167
.LBB77_1164:
	v_mov_b32_e32 v0, 0
	v_mov_b32_e32 v7, 0
	;; [unrolled: 1-line block ×3, first 2 shown]
	s_mov_b32 s9, 0
	s_and_b32 s10, s10, 3
	s_cmp_eq_u32 s10, 0
	s_cbranch_scc1 .LBB77_1167
.LBB77_1165:
	s_lshl_b32 s0, s9, 3
	s_mul_i32 s2, s9, 12
	s_add_u32 s0, s6, s0
	s_addc_u32 s1, s7, 0
	s_add_u32 s0, s0, 0xc4
	s_addc_u32 s1, s1, 0
	;; [unrolled: 2-line block ×3, first 2 shown]
	.p2align	6
.LBB77_1166:                            ; =>This Inner Loop Header: Depth=1
	s_clause 0x1
	s_load_dwordx2 s[14:15], s[2:3], 0x4
	s_load_dword s9, s[2:3], 0xc
	s_load_dwordx2 s[16:17], s[0:1], 0x0
	s_add_u32 s2, s2, 12
	s_addc_u32 s3, s3, 0
	s_add_u32 s0, s0, 8
	s_addc_u32 s1, s1, 0
	s_add_i32 s10, s10, -1
	s_cmp_lg_u32 s10, 0
	s_waitcnt vmcnt(0) lgkmcnt(0)
	v_mul_hi_u32 v3, s15, v1
	v_add_nc_u32_e32 v3, v1, v3
	v_lshrrev_b32_e32 v3, s9, v3
	v_mul_lo_u32 v5, v3, s14
	v_sub_nc_u32_e32 v5, v1, v5
	v_mad_u64_u32 v[0:1], null, v5, s16, v[0:1]
	v_mad_u64_u32 v[7:8], null, v5, s17, v[7:8]
	v_mov_b32_e32 v1, v3
	s_cbranch_scc1 .LBB77_1166
.LBB77_1167:
	s_andn2_b32 vcc_lo, exec_lo, s8
	s_cbranch_vccnz .LBB77_1170
; %bb.1168:
	s_clause 0x1
	s_load_dwordx4 s[0:3], s[6:7], 0x4
	s_load_dwordx2 s[8:9], s[6:7], 0xc4
	s_cmp_lt_u32 s24, 2
	s_waitcnt lgkmcnt(0)
	v_mul_hi_u32 v0, s1, v15
	v_add_nc_u32_e32 v0, v15, v0
	v_lshrrev_b32_e32 v1, s2, v0
	v_mul_lo_u32 v0, v1, s0
	s_waitcnt vmcnt(0)
	v_sub_nc_u32_e32 v3, v15, v0
	v_mul_lo_u32 v0, v3, s8
	v_mul_lo_u32 v7, v3, s9
	s_cbranch_scc1 .LBB77_1170
; %bb.1169:
	s_clause 0x1
	s_load_dwordx4 s[0:3], s[6:7], 0x10
	s_load_dwordx2 s[8:9], s[6:7], 0xcc
	s_waitcnt lgkmcnt(0)
	v_mul_hi_u32 v3, s1, v1
	v_add_nc_u32_e32 v3, v1, v3
	v_lshrrev_b32_e32 v3, s2, v3
	v_mul_lo_u32 v3, v3, s0
	v_sub_nc_u32_e32 v3, v1, v3
	v_mad_u64_u32 v[0:1], null, v3, s8, v[0:1]
	v_mad_u64_u32 v[7:8], null, v3, s9, v[7:8]
.LBB77_1170:
	s_clause 0x1
	s_load_dwordx4 s[8:11], s[6:7], 0x148
	s_load_dword s5, s[4:5], 0x160
	s_waitcnt lgkmcnt(0)
	v_add_co_u32 v12, s0, s10, v13
	v_add_co_ci_u32_e64 v13, null, s11, 0, s0
	s_bfe_u32 s0, s5, 0x80010
	s_cmp_lt_i32 s0, 11
	s_cbranch_scc1 .LBB77_1177
; %bb.1171:
	s_and_b32 s1, 0xffff, s0
	s_mov_b32 s3, 0
	s_cmp_gt_i32 s1, 25
	s_cbranch_scc0 .LBB77_1179
; %bb.1172:
	s_cmp_gt_i32 s1, 28
	s_cbranch_scc0 .LBB77_1180
; %bb.1173:
	;; [unrolled: 3-line block ×4, first 2 shown]
	s_cmp_eq_u32 s1, 46
	s_mov_b32 s4, 0
	s_cbranch_scc0 .LBB77_1185
; %bb.1176:
	global_load_dword v1, v[12:13], off
	s_mov_b32 s2, 0
	s_mov_b32 s6, -1
	s_branch .LBB77_1187
.LBB77_1177:
	s_mov_b32 s6, 0
	s_mov_b32 s4, s12
                                        ; implicit-def: $vgpr1
	s_cbranch_execnz .LBB77_1250
.LBB77_1178:
	s_andn2_b32 vcc_lo, exec_lo, s6
	s_cbranch_vccz .LBB77_1295
	s_branch .LBB77_2143
.LBB77_1179:
	s_mov_b32 s6, 0
	s_mov_b32 s2, 0
                                        ; implicit-def: $vgpr1
	s_cbranch_execnz .LBB77_1215
	s_branch .LBB77_1246
.LBB77_1180:
	s_mov_b32 s4, -1
	s_mov_b32 s6, 0
	s_mov_b32 s2, 0
                                        ; implicit-def: $vgpr1
	s_branch .LBB77_1196
.LBB77_1181:
	s_mov_b32 s6, 0
	s_mov_b32 s2, 0
                                        ; implicit-def: $vgpr1
	s_cbranch_execnz .LBB77_1192
	s_branch .LBB77_1195
.LBB77_1182:
	s_mov_b32 s4, -1
	s_mov_b32 s6, 0
	s_mov_b32 s2, 0
	s_branch .LBB77_1186
.LBB77_1183:
	s_andn2_saveexec_b32 s9, s9
	s_cbranch_execz .LBB77_1026
.LBB77_1184:
	v_add_f32_e64 v4, 0x46000000, |v5|
	s_andn2_b32 s8, s8, exec_lo
	v_and_b32_e32 v4, 0xff, v4
	v_cmp_ne_u32_e32 vcc_lo, 0, v4
	s_and_b32 s12, vcc_lo, exec_lo
	s_or_b32 s8, s8, s12
	s_or_b32 exec_lo, exec_lo, s9
	v_mov_b32_e32 v6, 0
	s_and_saveexec_b32 s9, s8
	s_cbranch_execnz .LBB77_1027
	s_branch .LBB77_1028
.LBB77_1185:
	s_mov_b32 s2, -1
	s_mov_b32 s6, 0
.LBB77_1186:
                                        ; implicit-def: $vgpr1
.LBB77_1187:
	s_and_b32 vcc_lo, exec_lo, s4
	s_cbranch_vccz .LBB77_1190
; %bb.1188:
	s_cmp_eq_u32 s1, 44
	s_cbranch_scc0 .LBB77_1191
; %bb.1189:
	global_load_ubyte v1, v[12:13], off
	s_mov_b32 s2, 0
	s_mov_b32 s6, -1
	s_waitcnt vmcnt(0)
	v_lshlrev_b32_e32 v3, 23, v1
	v_cmp_ne_u32_e32 vcc_lo, 0xff, v1
	v_cndmask_b32_e32 v3, 0x7f800001, v3, vcc_lo
	v_cmp_ne_u32_e32 vcc_lo, 0, v1
	v_cndmask_b32_e32 v1, 0x400000, v3, vcc_lo
	v_mov_b32_e32 v3, 0x7fc0
	v_cmp_o_f32_e32 vcc_lo, v1, v1
	v_add_nc_u32_e32 v1, 0x7fff, v1
	v_cndmask_b32_sdwa v1, v3, v1, vcc_lo dst_sel:DWORD dst_unused:UNUSED_PAD src0_sel:DWORD src1_sel:WORD_1
.LBB77_1190:
	s_branch .LBB77_1195
.LBB77_1191:
	s_mov_b32 s2, -1
                                        ; implicit-def: $vgpr1
	s_branch .LBB77_1195
.LBB77_1192:
	s_cmp_eq_u32 s1, 29
	s_cbranch_scc0 .LBB77_1194
; %bb.1193:
	global_load_dwordx2 v[14:15], v[12:13], off
	s_mov_b32 s2, 0
	s_mov_b32 s6, -1
	s_mov_b32 s4, 0
	s_waitcnt vmcnt(0)
	v_ffbh_u32_e32 v1, v15
	v_min_u32_e32 v1, 32, v1
	v_lshlrev_b64 v[14:15], v1, v[14:15]
	v_sub_nc_u32_e32 v1, 32, v1
	v_min_u32_e32 v3, 1, v14
	v_or_b32_e32 v3, v15, v3
	v_cvt_f32_u32_e32 v3, v3
	v_ldexp_f32 v1, v3, v1
	v_bfe_u32 v3, v1, 16, 1
	v_add3_u32 v1, v1, v3, 0x7fff
	v_lshrrev_b32_e32 v1, 16, v1
	s_branch .LBB77_1196
.LBB77_1194:
	s_mov_b32 s2, -1
                                        ; implicit-def: $vgpr1
.LBB77_1195:
	s_mov_b32 s4, 0
.LBB77_1196:
	s_and_b32 vcc_lo, exec_lo, s4
	s_cbranch_vccz .LBB77_1214
; %bb.1197:
	s_cmp_lt_i32 s1, 27
	s_cbranch_scc1 .LBB77_1200
; %bb.1198:
	s_cmp_gt_i32 s1, 27
	s_cbranch_scc0 .LBB77_1201
; %bb.1199:
	global_load_dword v1, v[12:13], off
	s_mov_b32 s4, 0
	s_waitcnt vmcnt(0)
	v_cvt_f32_u32_e32 v1, v1
	v_bfe_u32 v3, v1, 16, 1
	v_add3_u32 v1, v1, v3, 0x7fff
	v_lshrrev_b32_e32 v1, 16, v1
	s_branch .LBB77_1202
.LBB77_1200:
	s_mov_b32 s4, -1
                                        ; implicit-def: $vgpr1
	s_branch .LBB77_1205
.LBB77_1201:
	s_mov_b32 s4, -1
                                        ; implicit-def: $vgpr1
.LBB77_1202:
	s_andn2_b32 vcc_lo, exec_lo, s4
	s_cbranch_vccnz .LBB77_1204
; %bb.1203:
	global_load_ushort v1, v[12:13], off
	s_waitcnt vmcnt(0)
	v_cvt_f32_u32_e32 v1, v1
	v_bfe_u32 v3, v1, 16, 1
	v_add3_u32 v1, v1, v3, 0x7fff
	v_lshrrev_b32_e32 v1, 16, v1
.LBB77_1204:
	s_mov_b32 s4, 0
.LBB77_1205:
	s_andn2_b32 vcc_lo, exec_lo, s4
	s_cbranch_vccnz .LBB77_1213
; %bb.1206:
	global_load_ubyte v1, v[12:13], off
	s_mov_b32 s4, 0
	s_mov_b32 s6, exec_lo
	s_waitcnt vmcnt(0)
	v_cmpx_lt_i16_e32 0x7f, v1
	s_xor_b32 s6, exec_lo, s6
	s_cbranch_execz .LBB77_1226
; %bb.1207:
	s_mov_b32 s4, -1
	s_mov_b32 s7, exec_lo
	v_cmpx_eq_u16_e32 0x80, v1
; %bb.1208:
	s_xor_b32 s4, exec_lo, -1
; %bb.1209:
	s_or_b32 exec_lo, exec_lo, s7
	s_and_b32 s4, s4, exec_lo
	s_or_saveexec_b32 s6, s6
	v_mov_b32_e32 v3, 0x7f800001
	s_xor_b32 exec_lo, exec_lo, s6
	s_cbranch_execnz .LBB77_1227
.LBB77_1210:
	s_or_b32 exec_lo, exec_lo, s6
	s_and_saveexec_b32 s6, s4
	s_cbranch_execz .LBB77_1212
.LBB77_1211:
	v_and_b32_e32 v3, 0xffff, v1
	v_lshlrev_b32_e32 v1, 24, v1
	v_and_b32_e32 v5, 7, v3
	v_bfe_u32 v14, v3, 3, 4
	v_and_b32_e32 v1, 0x80000000, v1
	v_ffbh_u32_e32 v8, v5
	v_cmp_eq_u32_e32 vcc_lo, 0, v14
	v_min_u32_e32 v8, 32, v8
	v_subrev_nc_u32_e32 v10, 28, v8
	v_sub_nc_u32_e32 v8, 29, v8
	v_lshlrev_b32_e32 v3, v10, v3
	v_cndmask_b32_e32 v8, v14, v8, vcc_lo
	v_and_b32_e32 v3, 7, v3
	v_cndmask_b32_e32 v3, v5, v3, vcc_lo
	v_lshl_add_u32 v5, v8, 23, 0x3b800000
	v_lshlrev_b32_e32 v3, 20, v3
	v_or3_b32 v3, v1, v5, v3
.LBB77_1212:
	s_or_b32 exec_lo, exec_lo, s6
	v_bfe_u32 v1, v3, 16, 1
	v_cmp_o_f32_e32 vcc_lo, v3, v3
	v_add3_u32 v1, v3, v1, 0x7fff
	v_mov_b32_e32 v3, 0x7fc0
	v_cndmask_b32_sdwa v1, v3, v1, vcc_lo dst_sel:DWORD dst_unused:UNUSED_PAD src0_sel:DWORD src1_sel:WORD_1
.LBB77_1213:
	s_mov_b32 s6, -1
.LBB77_1214:
	s_branch .LBB77_1246
.LBB77_1215:
	s_cmp_gt_i32 s1, 22
	s_cbranch_scc0 .LBB77_1225
; %bb.1216:
	s_cmp_lt_i32 s1, 24
	s_cbranch_scc1 .LBB77_1228
; %bb.1217:
	s_cmp_gt_i32 s1, 24
	s_cbranch_scc0 .LBB77_1229
; %bb.1218:
	global_load_ubyte v1, v[12:13], off
	s_mov_b32 s4, exec_lo
	s_waitcnt vmcnt(0)
	v_cmpx_lt_i16_e32 0x7f, v1
	s_xor_b32 s4, exec_lo, s4
	s_cbranch_execz .LBB77_1240
; %bb.1219:
	s_mov_b32 s3, -1
	s_mov_b32 s6, exec_lo
	v_cmpx_eq_u16_e32 0x80, v1
; %bb.1220:
	s_xor_b32 s3, exec_lo, -1
; %bb.1221:
	s_or_b32 exec_lo, exec_lo, s6
	s_and_b32 s3, s3, exec_lo
	s_or_saveexec_b32 s4, s4
	v_mov_b32_e32 v3, 0x7f800001
	s_xor_b32 exec_lo, exec_lo, s4
	s_cbranch_execnz .LBB77_1241
.LBB77_1222:
	s_or_b32 exec_lo, exec_lo, s4
	s_and_saveexec_b32 s4, s3
	s_cbranch_execz .LBB77_1224
.LBB77_1223:
	v_and_b32_e32 v3, 0xffff, v1
	v_lshlrev_b32_e32 v1, 24, v1
	v_and_b32_e32 v5, 3, v3
	v_bfe_u32 v14, v3, 2, 5
	v_and_b32_e32 v1, 0x80000000, v1
	v_ffbh_u32_e32 v8, v5
	v_cmp_eq_u32_e32 vcc_lo, 0, v14
	v_min_u32_e32 v8, 32, v8
	v_subrev_nc_u32_e32 v10, 29, v8
	v_sub_nc_u32_e32 v8, 30, v8
	v_lshlrev_b32_e32 v3, v10, v3
	v_cndmask_b32_e32 v8, v14, v8, vcc_lo
	v_and_b32_e32 v3, 3, v3
	v_cndmask_b32_e32 v3, v5, v3, vcc_lo
	v_lshl_add_u32 v5, v8, 23, 0x37800000
	v_lshlrev_b32_e32 v3, 21, v3
	v_or3_b32 v3, v1, v5, v3
.LBB77_1224:
	s_or_b32 exec_lo, exec_lo, s4
	v_bfe_u32 v1, v3, 16, 1
	v_cmp_o_f32_e32 vcc_lo, v3, v3
	s_mov_b32 s3, 0
	v_add3_u32 v1, v3, v1, 0x7fff
	v_mov_b32_e32 v3, 0x7fc0
	v_cndmask_b32_sdwa v1, v3, v1, vcc_lo dst_sel:DWORD dst_unused:UNUSED_PAD src0_sel:DWORD src1_sel:WORD_1
	s_branch .LBB77_1230
.LBB77_1225:
                                        ; implicit-def: $vgpr1
	s_mov_b32 s3, 0
	s_branch .LBB77_1236
.LBB77_1226:
	s_or_saveexec_b32 s6, s6
	v_mov_b32_e32 v3, 0x7f800001
	s_xor_b32 exec_lo, exec_lo, s6
	s_cbranch_execz .LBB77_1210
.LBB77_1227:
	v_cmp_ne_u16_e32 vcc_lo, 0, v1
	v_mov_b32_e32 v3, 0
	s_andn2_b32 s4, s4, exec_lo
	s_and_b32 s7, vcc_lo, exec_lo
	s_or_b32 s4, s4, s7
	s_or_b32 exec_lo, exec_lo, s6
	s_and_saveexec_b32 s6, s4
	s_cbranch_execnz .LBB77_1211
	s_branch .LBB77_1212
.LBB77_1228:
	s_mov_b32 s3, -1
                                        ; implicit-def: $vgpr1
	s_branch .LBB77_1233
.LBB77_1229:
	s_mov_b32 s3, -1
                                        ; implicit-def: $vgpr1
.LBB77_1230:
	s_and_b32 vcc_lo, exec_lo, s3
	s_cbranch_vccz .LBB77_1232
; %bb.1231:
	global_load_ubyte v1, v[12:13], off
	s_waitcnt vmcnt(0)
	v_lshlrev_b32_e32 v1, 24, v1
	v_and_b32_e32 v3, 0x7f000000, v1
	v_ffbh_u32_e32 v5, v3
	v_add_nc_u32_e32 v10, 0x1000000, v3
	v_cmp_ne_u32_e32 vcc_lo, 0, v3
	v_min_u32_e32 v5, 32, v5
	v_sub_nc_u32_e64 v5, v5, 4 clamp
	v_lshlrev_b32_e32 v8, v5, v3
	v_lshlrev_b32_e32 v5, 23, v5
	v_lshrrev_b32_e32 v8, 4, v8
	v_sub_nc_u32_e32 v5, v8, v5
	v_ashrrev_i32_e32 v8, 8, v10
	v_add_nc_u32_e32 v5, 0x3c000000, v5
	v_and_or_b32 v5, 0x7f800000, v8, v5
	v_cndmask_b32_e32 v3, 0, v5, vcc_lo
	v_and_or_b32 v1, 0x80000000, v1, v3
	v_bfe_u32 v3, v3, 16, 1
	v_cmp_o_f32_e32 vcc_lo, v1, v1
	v_add3_u32 v1, v1, v3, 0x7fff
	v_mov_b32_e32 v3, 0x7fc0
	v_cndmask_b32_sdwa v1, v3, v1, vcc_lo dst_sel:DWORD dst_unused:UNUSED_PAD src0_sel:DWORD src1_sel:WORD_1
.LBB77_1232:
	s_mov_b32 s3, 0
.LBB77_1233:
	s_andn2_b32 vcc_lo, exec_lo, s3
	s_cbranch_vccnz .LBB77_1235
; %bb.1234:
	global_load_ubyte v1, v[12:13], off
	s_waitcnt vmcnt(0)
	v_lshlrev_b32_e32 v3, 25, v1
	v_lshlrev_b16 v1, 8, v1
	v_lshrrev_b32_e32 v5, 4, v3
	v_and_or_b32 v8, 0x7f00, v1, 0.5
	v_cmp_gt_u32_e32 vcc_lo, 0x8000000, v3
	v_bfe_i32 v1, v1, 0, 16
	v_or_b32_e32 v5, 0x70000000, v5
	v_add_f32_e32 v8, -0.5, v8
	v_mul_f32_e32 v5, 0x7800000, v5
	v_cndmask_b32_e32 v3, v5, v8, vcc_lo
	v_and_or_b32 v1, 0x80000000, v1, v3
	v_bfe_u32 v3, v3, 16, 1
	v_cmp_o_f32_e32 vcc_lo, v1, v1
	v_add3_u32 v1, v1, v3, 0x7fff
	v_mov_b32_e32 v3, 0x7fc0
	v_cndmask_b32_sdwa v1, v3, v1, vcc_lo dst_sel:DWORD dst_unused:UNUSED_PAD src0_sel:DWORD src1_sel:WORD_1
.LBB77_1235:
	s_mov_b32 s6, -1
	s_mov_b32 s3, 0
	s_cbranch_execnz .LBB77_1246
.LBB77_1236:
	s_cmp_gt_i32 s1, 14
	s_cbranch_scc0 .LBB77_1239
; %bb.1237:
	s_cmp_eq_u32 s1, 15
	s_cbranch_scc0 .LBB77_1242
; %bb.1238:
	global_load_ushort v1, v[12:13], off
	s_mov_b32 s2, 0
	s_mov_b32 s6, -1
	s_branch .LBB77_1244
.LBB77_1239:
	s_mov_b32 s3, -1
	s_branch .LBB77_1243
.LBB77_1240:
	s_or_saveexec_b32 s4, s4
	v_mov_b32_e32 v3, 0x7f800001
	s_xor_b32 exec_lo, exec_lo, s4
	s_cbranch_execz .LBB77_1222
.LBB77_1241:
	v_cmp_ne_u16_e32 vcc_lo, 0, v1
	v_mov_b32_e32 v3, 0
	s_andn2_b32 s3, s3, exec_lo
	s_and_b32 s6, vcc_lo, exec_lo
	s_or_b32 s3, s3, s6
	s_or_b32 exec_lo, exec_lo, s4
	s_and_saveexec_b32 s4, s3
	s_cbranch_execnz .LBB77_1223
	s_branch .LBB77_1224
.LBB77_1242:
	s_mov_b32 s2, -1
.LBB77_1243:
                                        ; implicit-def: $vgpr1
.LBB77_1244:
	s_and_b32 vcc_lo, exec_lo, s3
	s_mov_b32 s3, 0
	s_cbranch_vccz .LBB77_1246
; %bb.1245:
	s_cmp_lg_u32 s1, 11
	s_mov_b32 s3, -1
	s_cselect_b32 s2, -1, 0
.LBB77_1246:
	s_and_b32 vcc_lo, exec_lo, s2
	s_mov_b32 s4, s12
	s_cbranch_vccnz .LBB77_1313
; %bb.1247:
	s_andn2_b32 vcc_lo, exec_lo, s3
	s_cbranch_vccnz .LBB77_1249
.LBB77_1248:
	global_load_ubyte v1, v[12:13], off
	s_mov_b32 s6, -1
	s_waitcnt vmcnt(0)
	v_cmp_ne_u16_e32 vcc_lo, 0, v1
	v_cndmask_b32_e64 v1, 0, 1.0, vcc_lo
	v_lshrrev_b32_e32 v1, 16, v1
.LBB77_1249:
	s_branch .LBB77_1178
.LBB77_1250:
	s_and_b32 s0, 0xffff, s0
	s_cmp_lt_i32 s0, 5
	s_cbranch_scc1 .LBB77_1255
; %bb.1251:
	s_cmp_lt_i32 s0, 8
	s_cbranch_scc1 .LBB77_1256
; %bb.1252:
	;; [unrolled: 3-line block ×3, first 2 shown]
	s_cmp_gt_i32 s0, 9
	s_cbranch_scc0 .LBB77_1258
; %bb.1254:
	global_load_dwordx2 v[14:15], v[12:13], off
	s_mov_b32 s1, 0
	s_waitcnt vmcnt(0)
	v_cvt_f32_f64_e32 v1, v[14:15]
	v_bfe_u32 v3, v1, 16, 1
	v_cmp_o_f32_e32 vcc_lo, v1, v1
	v_add3_u32 v1, v1, v3, 0x7fff
	v_mov_b32_e32 v3, 0x7fc0
	v_cndmask_b32_sdwa v1, v3, v1, vcc_lo dst_sel:DWORD dst_unused:UNUSED_PAD src0_sel:DWORD src1_sel:WORD_1
	s_branch .LBB77_1259
.LBB77_1255:
                                        ; implicit-def: $vgpr1
	s_branch .LBB77_1276
.LBB77_1256:
                                        ; implicit-def: $vgpr1
	s_branch .LBB77_1265
.LBB77_1257:
	s_mov_b32 s1, -1
                                        ; implicit-def: $vgpr1
	s_branch .LBB77_1262
.LBB77_1258:
	s_mov_b32 s1, -1
                                        ; implicit-def: $vgpr1
.LBB77_1259:
	s_andn2_b32 vcc_lo, exec_lo, s1
	s_cbranch_vccnz .LBB77_1261
; %bb.1260:
	global_load_dword v1, v[12:13], off
	s_waitcnt vmcnt(0)
	v_bfe_u32 v3, v1, 16, 1
	v_cmp_o_f32_e32 vcc_lo, v1, v1
	v_add3_u32 v1, v1, v3, 0x7fff
	v_mov_b32_e32 v3, 0x7fc0
	v_cndmask_b32_sdwa v1, v3, v1, vcc_lo dst_sel:DWORD dst_unused:UNUSED_PAD src0_sel:DWORD src1_sel:WORD_1
.LBB77_1261:
	s_mov_b32 s1, 0
.LBB77_1262:
	s_andn2_b32 vcc_lo, exec_lo, s1
	s_cbranch_vccnz .LBB77_1264
; %bb.1263:
	global_load_dword v1, v[12:13], off
	s_waitcnt vmcnt(0)
	v_cvt_f32_f16_e32 v3, v1
	v_cmp_o_f16_e32 vcc_lo, v1, v1
	v_bfe_u32 v5, v3, 16, 1
	v_add3_u32 v1, v3, v5, 0x7fff
	v_mov_b32_e32 v3, 0x7fc0
	v_cndmask_b32_sdwa v1, v3, v1, vcc_lo dst_sel:DWORD dst_unused:UNUSED_PAD src0_sel:DWORD src1_sel:WORD_1
.LBB77_1264:
	s_cbranch_execnz .LBB77_1275
.LBB77_1265:
	s_cmp_lt_i32 s0, 6
	s_cbranch_scc1 .LBB77_1268
; %bb.1266:
	s_cmp_gt_i32 s0, 6
	s_cbranch_scc0 .LBB77_1269
; %bb.1267:
	global_load_dwordx2 v[14:15], v[12:13], off
	s_mov_b32 s1, 0
	s_waitcnt vmcnt(0)
	v_cvt_f32_f64_e32 v1, v[14:15]
	v_bfe_u32 v3, v1, 16, 1
	v_cmp_o_f32_e32 vcc_lo, v1, v1
	v_add3_u32 v1, v1, v3, 0x7fff
	v_mov_b32_e32 v3, 0x7fc0
	v_cndmask_b32_sdwa v1, v3, v1, vcc_lo dst_sel:DWORD dst_unused:UNUSED_PAD src0_sel:DWORD src1_sel:WORD_1
	s_branch .LBB77_1270
.LBB77_1268:
	s_mov_b32 s1, -1
                                        ; implicit-def: $vgpr1
	s_branch .LBB77_1273
.LBB77_1269:
	s_mov_b32 s1, -1
                                        ; implicit-def: $vgpr1
.LBB77_1270:
	s_andn2_b32 vcc_lo, exec_lo, s1
	s_cbranch_vccnz .LBB77_1272
; %bb.1271:
	global_load_dword v1, v[12:13], off
	s_waitcnt vmcnt(0)
	v_bfe_u32 v3, v1, 16, 1
	v_cmp_o_f32_e32 vcc_lo, v1, v1
	v_add3_u32 v1, v1, v3, 0x7fff
	v_mov_b32_e32 v3, 0x7fc0
	v_cndmask_b32_sdwa v1, v3, v1, vcc_lo dst_sel:DWORD dst_unused:UNUSED_PAD src0_sel:DWORD src1_sel:WORD_1
.LBB77_1272:
	s_mov_b32 s1, 0
.LBB77_1273:
	s_andn2_b32 vcc_lo, exec_lo, s1
	s_cbranch_vccnz .LBB77_1275
; %bb.1274:
	global_load_ushort v1, v[12:13], off
	s_waitcnt vmcnt(0)
	v_cvt_f32_f16_e32 v3, v1
	v_cmp_o_f16_e32 vcc_lo, v1, v1
	v_bfe_u32 v5, v3, 16, 1
	v_add3_u32 v1, v3, v5, 0x7fff
	v_mov_b32_e32 v3, 0x7fc0
	v_cndmask_b32_sdwa v1, v3, v1, vcc_lo dst_sel:DWORD dst_unused:UNUSED_PAD src0_sel:DWORD src1_sel:WORD_1
.LBB77_1275:
	s_cbranch_execnz .LBB77_1294
.LBB77_1276:
	s_cmp_lt_i32 s0, 2
	s_cbranch_scc1 .LBB77_1280
; %bb.1277:
	s_cmp_lt_i32 s0, 3
	s_cbranch_scc1 .LBB77_1281
; %bb.1278:
	s_cmp_gt_i32 s0, 3
	s_cbranch_scc0 .LBB77_1282
; %bb.1279:
	global_load_dwordx2 v[14:15], v[12:13], off
	s_mov_b32 s1, 0
	s_waitcnt vmcnt(0)
	v_xor_b32_e32 v1, v14, v15
	v_ffbh_i32_e32 v3, v15
	v_ashrrev_i32_e32 v1, 31, v1
	v_add_nc_u32_e32 v3, -1, v3
	v_add_nc_u32_e32 v1, 32, v1
	v_min_u32_e32 v1, v3, v1
	v_lshlrev_b64 v[14:15], v1, v[14:15]
	v_sub_nc_u32_e32 v1, 32, v1
	v_min_u32_e32 v3, 1, v14
	v_or_b32_e32 v3, v15, v3
	v_cvt_f32_i32_e32 v3, v3
	v_ldexp_f32 v1, v3, v1
	v_bfe_u32 v3, v1, 16, 1
	v_add3_u32 v1, v1, v3, 0x7fff
	v_lshrrev_b32_e32 v1, 16, v1
	s_branch .LBB77_1283
.LBB77_1280:
                                        ; implicit-def: $vgpr1
	s_branch .LBB77_1289
.LBB77_1281:
	s_mov_b32 s1, -1
                                        ; implicit-def: $vgpr1
	s_branch .LBB77_1286
.LBB77_1282:
	s_mov_b32 s1, -1
                                        ; implicit-def: $vgpr1
.LBB77_1283:
	s_andn2_b32 vcc_lo, exec_lo, s1
	s_cbranch_vccnz .LBB77_1285
; %bb.1284:
	global_load_dword v1, v[12:13], off
	s_waitcnt vmcnt(0)
	v_cvt_f32_i32_e32 v1, v1
	v_bfe_u32 v3, v1, 16, 1
	v_add3_u32 v1, v1, v3, 0x7fff
	v_lshrrev_b32_e32 v1, 16, v1
.LBB77_1285:
	s_mov_b32 s1, 0
.LBB77_1286:
	s_andn2_b32 vcc_lo, exec_lo, s1
	s_cbranch_vccnz .LBB77_1288
; %bb.1287:
	global_load_sshort v1, v[12:13], off
	s_waitcnt vmcnt(0)
	v_cvt_f32_i32_e32 v1, v1
	v_bfe_u32 v3, v1, 16, 1
	v_add3_u32 v1, v1, v3, 0x7fff
	v_lshrrev_b32_e32 v1, 16, v1
.LBB77_1288:
	s_cbranch_execnz .LBB77_1294
.LBB77_1289:
	s_cmp_gt_i32 s0, 0
	s_mov_b32 s0, 0
	s_cbranch_scc0 .LBB77_1291
; %bb.1290:
	global_load_sbyte v1, v[12:13], off
	s_waitcnt vmcnt(0)
	v_cvt_f32_i32_e32 v1, v1
	v_bfe_u32 v3, v1, 16, 1
	v_add3_u32 v1, v1, v3, 0x7fff
	v_lshrrev_b32_e32 v1, 16, v1
	s_branch .LBB77_1292
.LBB77_1291:
	s_mov_b32 s0, -1
                                        ; implicit-def: $vgpr1
.LBB77_1292:
	s_andn2_b32 vcc_lo, exec_lo, s0
	s_cbranch_vccnz .LBB77_1294
; %bb.1293:
	global_load_ubyte v1, v[12:13], off
	s_waitcnt vmcnt(0)
	v_cvt_f32_ubyte0_e32 v1, v1
	v_bfe_u32 v3, v1, 16, 1
	v_add3_u32 v1, v1, v3, 0x7fff
	v_lshrrev_b32_e32 v1, 16, v1
.LBB77_1294:
.LBB77_1295:
	s_waitcnt vmcnt(0)
	v_lshlrev_b32_e32 v1, 16, v1
	v_mov_b32_e32 v5, 0
	v_mov_b32_e32 v3, 1.0
	s_mov_b32 s2, exec_lo
	v_cmpx_gt_f32_e32 0.5, v1
	s_cbranch_execz .LBB77_1301
; %bb.1296:
	v_mul_f32_e32 v3, 0x40490fdb, v1
                                        ; implicit-def: $vgpr10
                                        ; implicit-def: $vgpr8
	s_mov_b32 s1, exec_lo
	v_and_b32_e32 v5, 0x7fffffff, v3
	v_cmpx_ngt_f32_e64 0x48000000, |v3|
	s_xor_b32 s3, exec_lo, s1
	s_cbranch_execz .LBB77_1298
; %bb.1297:
	s_mov_b32 s0, 0x7fffff
	v_mov_b32_e32 v14, 0
	v_and_or_b32 v8, v5, s0, 0x800000
	v_lshrrev_b32_e32 v10, 23, v5
	v_mad_u64_u32 v[12:13], null, 0xfe5163ab, v8, 0
	v_add_nc_u32_e32 v10, 0xffffff88, v10
	v_cmp_lt_u32_e32 vcc_lo, 63, v10
	v_mad_u64_u32 v[15:16], null, 0x3c439041, v8, v[13:14]
	v_cndmask_b32_e64 v20, 0, 0xffffffc0, vcc_lo
	v_mov_b32_e32 v13, v16
	v_add_nc_u32_e32 v10, v20, v10
	v_mad_u64_u32 v[16:17], null, 0xdb629599, v8, v[13:14]
	v_cmp_lt_u32_e64 s0, 31, v10
	v_cndmask_b32_e64 v21, 0, 0xffffffe0, s0
	v_mov_b32_e32 v13, v17
	v_cndmask_b32_e32 v12, v16, v12, vcc_lo
	v_add_nc_u32_e32 v10, v21, v10
	v_mad_u64_u32 v[17:18], null, 0xf534ddc0, v8, v[13:14]
	v_cmp_lt_u32_e64 s1, 31, v10
	v_mov_b32_e32 v13, v18
	v_mad_u64_u32 v[18:19], null, 0xfc2757d1, v8, v[13:14]
	v_mov_b32_e32 v13, v19
	v_mad_u64_u32 v[19:20], null, 0x4e441529, v8, v[13:14]
	v_mov_b32_e32 v13, v20
	v_cndmask_b32_e32 v20, v19, v17, vcc_lo
	v_mad_u64_u32 v[13:14], null, 0xa2f9836e, v8, v[13:14]
	v_cndmask_b32_e64 v8, 0, 0xffffffe0, s1
	v_add_nc_u32_e32 v8, v8, v10
	v_cndmask_b32_e32 v13, v13, v18, vcc_lo
	v_cndmask_b32_e32 v14, v14, v19, vcc_lo
	;; [unrolled: 1-line block ×4, first 2 shown]
	v_sub_nc_u32_e32 v17, 32, v8
	v_cndmask_b32_e64 v15, v13, v20, s0
	v_cndmask_b32_e64 v13, v14, v13, s0
	;; [unrolled: 1-line block ×4, first 2 shown]
	v_cmp_eq_u32_e32 vcc_lo, 0, v8
	v_cndmask_b32_e64 v10, v10, v12, s0
	v_cndmask_b32_e64 v13, v13, v15, s1
	;; [unrolled: 1-line block ×5, first 2 shown]
	v_alignbit_b32 v19, v13, v15, v17
	v_alignbit_b32 v16, v15, v14, v17
	;; [unrolled: 1-line block ×3, first 2 shown]
	v_cndmask_b32_e32 v8, v19, v13, vcc_lo
	v_cndmask_b32_e32 v12, v16, v15, vcc_lo
	;; [unrolled: 1-line block ×3, first 2 shown]
	v_bfe_u32 v13, v8, 29, 1
	v_alignbit_b32 v15, v8, v12, 30
	v_alignbit_b32 v12, v12, v14, 30
	;; [unrolled: 1-line block ×3, first 2 shown]
	v_sub_nc_u32_e32 v16, 0, v13
	v_xor_b32_e32 v15, v15, v16
	v_xor_b32_e32 v12, v12, v16
	;; [unrolled: 1-line block ×3, first 2 shown]
	v_lshrrev_b32_e32 v16, 29, v8
	v_ffbh_u32_e32 v17, v15
	v_min_u32_e32 v17, 32, v17
	v_sub_nc_u32_e32 v14, 31, v17
	v_lshlrev_b32_e32 v18, 23, v17
	v_alignbit_b32 v15, v15, v12, v14
	v_alignbit_b32 v10, v12, v10, v14
	v_lshlrev_b32_e32 v12, 31, v16
	v_alignbit_b32 v14, v15, v10, 9
	v_or_b32_e32 v16, 0.5, v12
	v_lshrrev_b32_e32 v15, 9, v15
	v_or_b32_e32 v12, 0x33000000, v12
	v_ffbh_u32_e32 v19, v14
	v_sub_nc_u32_e32 v16, v16, v18
	v_min_u32_e32 v18, 32, v19
	v_or_b32_e32 v15, v15, v16
	v_not_b32_e32 v16, v18
	v_mul_f32_e32 v19, 0x3fc90fda, v15
	v_add_lshl_u32 v17, v18, v17, 23
	v_alignbit_b32 v10, v14, v10, v16
	v_fma_f32 v14, 0x3fc90fda, v15, -v19
	v_sub_nc_u32_e32 v12, v12, v17
	v_lshrrev_b32_e32 v10, 9, v10
	v_fmamk_f32 v14, v15, 0x33a22168, v14
	v_or_b32_e32 v10, v12, v10
	v_fmac_f32_e32 v14, 0x3fc90fda, v10
	v_lshrrev_b32_e32 v10, 30, v8
	v_add_f32_e32 v8, v19, v14
	v_add_nc_u32_e32 v10, v13, v10
.LBB77_1298:
	s_andn2_saveexec_b32 s0, s3
; %bb.1299:
	v_mul_f32_e64 v8, 0x3f22f983, |v3|
	v_rndne_f32_e32 v10, v8
	v_fma_f32 v8, 0xbfc90fda, v10, |v3|
	v_fmamk_f32 v8, v10, 0xb3a22168, v8
	v_fmamk_f32 v8, v10, 0xa7c234c4, v8
	v_cvt_i32_f32_e32 v10, v10
; %bb.1300:
	s_or_b32 exec_lo, exec_lo, s0
	v_mul_f32_e32 v12, v8, v8
	s_mov_b32 s0, 0xb94c1982
	s_mov_b32 s1, 0x37d75334
	v_and_b32_e32 v15, 1, v10
	v_lshlrev_b32_e32 v10, 30, v10
	v_fmaak_f32 v13, s0, v12, 0x3c0881c4
	v_fmaak_f32 v14, s1, v12, 0xbab64f3b
	v_xor_b32_e32 v5, v5, v3
	v_cmp_eq_u32_e32 vcc_lo, 0, v15
	v_and_b32_e32 v10, 0x80000000, v10
	v_fmaak_f32 v13, v12, v13, 0xbe2aaa9d
	v_fmaak_f32 v14, v12, v14, 0x3d2aabf7
	v_sub_f32_e32 v1, 1.0, v1
	v_mul_f32_e32 v13, v12, v13
	v_fmaak_f32 v14, v12, v14, 0xbf000004
	v_fmac_f32_e32 v8, v8, v13
	v_fma_f32 v12, v12, v14, 1.0
	v_cndmask_b32_e32 v8, v12, v8, vcc_lo
	v_cmp_class_f32_e64 vcc_lo, v3, 0x1f8
	v_xor3_b32 v5, v5, v10, v8
	v_cndmask_b32_e32 v3, 0x7fc00000, v5, vcc_lo
	v_mul_f32_e32 v3, v3, v3
	v_div_scale_f32 v5, null, v3, v3, 0xc11de9e7
	v_div_scale_f32 v12, vcc_lo, 0xc11de9e7, v3, 0xc11de9e7
	v_rcp_f32_e32 v8, v5
	v_fma_f32 v10, -v5, v8, 1.0
	v_fmac_f32_e32 v8, v10, v8
	v_mul_f32_e32 v10, v12, v8
	v_fma_f32 v13, -v5, v10, v12
	v_fmac_f32_e32 v10, v13, v8
	v_fma_f32 v5, -v5, v10, v12
	v_div_fmas_f32 v5, v5, v8, v10
	v_div_fixup_f32 v3, v5, v3, 0xc11de9e7
	v_add_f32_e32 v5, 0, v3
	v_mov_b32_e32 v3, -1.0
.LBB77_1301:
	s_or_b32 exec_lo, exec_lo, s2
	v_add_co_u32 v10, s1, s10, v11
	s_lshr_b32 s0, s5, 16
	v_add_co_ci_u32_e64 v11, null, s11, 0, s1
	s_and_b32 s2, s0, 0xff
	s_cmp_lt_i32 s2, 11
	s_cbranch_scc1 .LBB77_1308
; %bb.1302:
	s_and_b32 s0, 0xffff, s2
	s_mov_b32 s3, 0
	s_cmp_gt_i32 s0, 25
	s_cbranch_scc0 .LBB77_1310
; %bb.1303:
	s_cmp_gt_i32 s0, 28
	s_cbranch_scc0 .LBB77_1311
; %bb.1304:
	s_cmp_gt_i32 s0, 43
	s_cbranch_scc0 .LBB77_1312
; %bb.1305:
	s_cmp_gt_i32 s0, 45
	s_cbranch_scc0 .LBB77_1314
; %bb.1306:
	s_cmp_eq_u32 s0, 46
	s_mov_b32 s7, 0
	s_cbranch_scc0 .LBB77_1317
; %bb.1307:
	global_load_dword v8, v[10:11], off
	s_mov_b32 s1, 0
	s_mov_b32 s6, -1
	s_branch .LBB77_1319
.LBB77_1308:
	s_mov_b32 s6, 0
                                        ; implicit-def: $vgpr8
	s_cbranch_execnz .LBB77_1384
.LBB77_1309:
	s_andn2_b32 vcc_lo, exec_lo, s6
	s_cbranch_vccnz .LBB77_2143
	s_branch .LBB77_1431
.LBB77_1310:
	s_mov_b32 s6, 0
	s_mov_b32 s1, 0
                                        ; implicit-def: $vgpr8
	s_cbranch_execnz .LBB77_1348
	s_branch .LBB77_1380
.LBB77_1311:
	s_mov_b32 s7, -1
	s_mov_b32 s6, 0
	s_mov_b32 s1, 0
                                        ; implicit-def: $vgpr8
	s_branch .LBB77_1329
.LBB77_1312:
	s_mov_b32 s7, -1
	s_mov_b32 s6, 0
	s_mov_b32 s1, 0
                                        ; implicit-def: $vgpr8
	s_branch .LBB77_1324
.LBB77_1313:
	s_or_b32 s4, s12, exec_lo
	s_trap 2
	s_cbranch_execz .LBB77_1248
	s_branch .LBB77_1249
.LBB77_1314:
	s_mov_b32 s7, -1
	s_mov_b32 s6, 0
	s_mov_b32 s1, 0
	s_branch .LBB77_1318
.LBB77_1315:
	s_andn2_saveexec_b32 s12, s12
	s_cbranch_execz .LBB77_1038
.LBB77_1316:
	v_add_f32_e64 v4, 0x42800000, |v5|
	s_andn2_b32 s9, s9, exec_lo
	v_and_b32_e32 v4, 0xff, v4
	v_cmp_ne_u32_e32 vcc_lo, 0, v4
	s_and_b32 s13, vcc_lo, exec_lo
	s_or_b32 s9, s9, s13
	s_or_b32 exec_lo, exec_lo, s12
	v_mov_b32_e32 v6, 0
	s_and_saveexec_b32 s12, s9
	s_cbranch_execnz .LBB77_1039
	s_branch .LBB77_1040
.LBB77_1317:
	s_mov_b32 s1, -1
	s_mov_b32 s6, 0
.LBB77_1318:
                                        ; implicit-def: $vgpr8
.LBB77_1319:
	s_and_b32 vcc_lo, exec_lo, s7
	s_cbranch_vccz .LBB77_1323
; %bb.1320:
	s_cmp_eq_u32 s0, 44
	s_cbranch_scc0 .LBB77_1322
; %bb.1321:
	global_load_ubyte v8, v[10:11], off
	s_mov_b32 s1, 0
	s_mov_b32 s6, -1
	s_waitcnt vmcnt(0)
	v_lshlrev_b32_e32 v12, 23, v8
	v_cmp_ne_u32_e32 vcc_lo, 0xff, v8
	v_cndmask_b32_e32 v12, 0x7f800001, v12, vcc_lo
	v_cmp_ne_u32_e32 vcc_lo, 0, v8
	v_cndmask_b32_e32 v8, 0x400000, v12, vcc_lo
	v_mov_b32_e32 v12, 0x7fc0
	v_cmp_o_f32_e32 vcc_lo, v8, v8
	v_add_nc_u32_e32 v8, 0x7fff, v8
	v_cndmask_b32_sdwa v8, v12, v8, vcc_lo dst_sel:DWORD dst_unused:UNUSED_PAD src0_sel:DWORD src1_sel:WORD_1
	s_branch .LBB77_1323
.LBB77_1322:
	s_mov_b32 s1, -1
                                        ; implicit-def: $vgpr8
.LBB77_1323:
	s_mov_b32 s7, 0
.LBB77_1324:
	s_and_b32 vcc_lo, exec_lo, s7
	s_cbranch_vccz .LBB77_1328
; %bb.1325:
	s_cmp_eq_u32 s0, 29
	s_cbranch_scc0 .LBB77_1327
; %bb.1326:
	global_load_dwordx2 v[12:13], v[10:11], off
	s_mov_b32 s1, 0
	s_mov_b32 s6, -1
	s_mov_b32 s7, 0
	s_waitcnt vmcnt(0)
	v_ffbh_u32_e32 v8, v13
	v_min_u32_e32 v8, 32, v8
	v_lshlrev_b64 v[12:13], v8, v[12:13]
	v_sub_nc_u32_e32 v8, 32, v8
	v_min_u32_e32 v12, 1, v12
	v_or_b32_e32 v12, v13, v12
	v_cvt_f32_u32_e32 v12, v12
	v_ldexp_f32 v8, v12, v8
	v_bfe_u32 v12, v8, 16, 1
	v_add3_u32 v8, v8, v12, 0x7fff
	v_lshrrev_b32_e32 v8, 16, v8
	s_branch .LBB77_1329
.LBB77_1327:
	s_mov_b32 s1, -1
                                        ; implicit-def: $vgpr8
.LBB77_1328:
	s_mov_b32 s7, 0
.LBB77_1329:
	s_and_b32 vcc_lo, exec_lo, s7
	s_cbranch_vccz .LBB77_1347
; %bb.1330:
	s_cmp_lt_i32 s0, 27
	s_cbranch_scc1 .LBB77_1333
; %bb.1331:
	s_cmp_gt_i32 s0, 27
	s_cbranch_scc0 .LBB77_1334
; %bb.1332:
	global_load_dword v8, v[10:11], off
	s_mov_b32 s6, 0
	s_waitcnt vmcnt(0)
	v_cvt_f32_u32_e32 v8, v8
	v_bfe_u32 v12, v8, 16, 1
	v_add3_u32 v8, v8, v12, 0x7fff
	v_lshrrev_b32_e32 v8, 16, v8
	s_branch .LBB77_1335
.LBB77_1333:
	s_mov_b32 s6, -1
                                        ; implicit-def: $vgpr8
	s_branch .LBB77_1338
.LBB77_1334:
	s_mov_b32 s6, -1
                                        ; implicit-def: $vgpr8
.LBB77_1335:
	s_andn2_b32 vcc_lo, exec_lo, s6
	s_cbranch_vccnz .LBB77_1337
; %bb.1336:
	global_load_ushort v8, v[10:11], off
	s_waitcnt vmcnt(0)
	v_cvt_f32_u32_e32 v8, v8
	v_bfe_u32 v12, v8, 16, 1
	v_add3_u32 v8, v8, v12, 0x7fff
	v_lshrrev_b32_e32 v8, 16, v8
.LBB77_1337:
	s_mov_b32 s6, 0
.LBB77_1338:
	s_andn2_b32 vcc_lo, exec_lo, s6
	s_cbranch_vccnz .LBB77_1346
; %bb.1339:
	global_load_ubyte v8, v[10:11], off
	s_mov_b32 s6, 0
	s_mov_b32 s7, exec_lo
	s_waitcnt vmcnt(0)
	v_cmpx_lt_i16_e32 0x7f, v8
	s_xor_b32 s7, exec_lo, s7
	s_cbranch_execz .LBB77_1359
; %bb.1340:
	s_mov_b32 s6, -1
	s_mov_b32 s14, exec_lo
	v_cmpx_eq_u16_e32 0x80, v8
; %bb.1341:
	s_xor_b32 s6, exec_lo, -1
; %bb.1342:
	s_or_b32 exec_lo, exec_lo, s14
	s_and_b32 s6, s6, exec_lo
	s_or_saveexec_b32 s7, s7
	v_mov_b32_e32 v12, 0x7f800001
	s_xor_b32 exec_lo, exec_lo, s7
	s_cbranch_execnz .LBB77_1360
.LBB77_1343:
	s_or_b32 exec_lo, exec_lo, s7
	s_and_saveexec_b32 s7, s6
	s_cbranch_execz .LBB77_1345
.LBB77_1344:
	v_and_b32_e32 v12, 0xffff, v8
	v_lshlrev_b32_e32 v8, 24, v8
	v_and_b32_e32 v13, 7, v12
	v_bfe_u32 v16, v12, 3, 4
	v_and_b32_e32 v8, 0x80000000, v8
	v_ffbh_u32_e32 v14, v13
	v_cmp_eq_u32_e32 vcc_lo, 0, v16
	v_min_u32_e32 v14, 32, v14
	v_subrev_nc_u32_e32 v15, 28, v14
	v_sub_nc_u32_e32 v14, 29, v14
	v_lshlrev_b32_e32 v12, v15, v12
	v_cndmask_b32_e32 v14, v16, v14, vcc_lo
	v_and_b32_e32 v12, 7, v12
	v_cndmask_b32_e32 v12, v13, v12, vcc_lo
	v_lshl_add_u32 v13, v14, 23, 0x3b800000
	v_lshlrev_b32_e32 v12, 20, v12
	v_or3_b32 v12, v8, v13, v12
.LBB77_1345:
	s_or_b32 exec_lo, exec_lo, s7
	v_bfe_u32 v8, v12, 16, 1
	v_cmp_o_f32_e32 vcc_lo, v12, v12
	v_add3_u32 v8, v12, v8, 0x7fff
	v_mov_b32_e32 v12, 0x7fc0
	v_cndmask_b32_sdwa v8, v12, v8, vcc_lo dst_sel:DWORD dst_unused:UNUSED_PAD src0_sel:DWORD src1_sel:WORD_1
.LBB77_1346:
	s_mov_b32 s6, -1
.LBB77_1347:
	s_branch .LBB77_1380
.LBB77_1348:
	s_cmp_gt_i32 s0, 22
	s_cbranch_scc0 .LBB77_1358
; %bb.1349:
	s_cmp_lt_i32 s0, 24
	s_cbranch_scc1 .LBB77_1361
; %bb.1350:
	s_cmp_gt_i32 s0, 24
	s_cbranch_scc0 .LBB77_1362
; %bb.1351:
	global_load_ubyte v8, v[10:11], off
	s_mov_b32 s6, exec_lo
	s_waitcnt vmcnt(0)
	v_cmpx_lt_i16_e32 0x7f, v8
	s_xor_b32 s6, exec_lo, s6
	s_cbranch_execz .LBB77_1374
; %bb.1352:
	s_mov_b32 s3, -1
	s_mov_b32 s7, exec_lo
	v_cmpx_eq_u16_e32 0x80, v8
; %bb.1353:
	s_xor_b32 s3, exec_lo, -1
; %bb.1354:
	s_or_b32 exec_lo, exec_lo, s7
	s_and_b32 s3, s3, exec_lo
	s_or_saveexec_b32 s6, s6
	v_mov_b32_e32 v12, 0x7f800001
	s_xor_b32 exec_lo, exec_lo, s6
	s_cbranch_execnz .LBB77_1375
.LBB77_1355:
	s_or_b32 exec_lo, exec_lo, s6
	s_and_saveexec_b32 s6, s3
	s_cbranch_execz .LBB77_1357
.LBB77_1356:
	v_and_b32_e32 v12, 0xffff, v8
	v_lshlrev_b32_e32 v8, 24, v8
	v_and_b32_e32 v13, 3, v12
	v_bfe_u32 v16, v12, 2, 5
	v_and_b32_e32 v8, 0x80000000, v8
	v_ffbh_u32_e32 v14, v13
	v_cmp_eq_u32_e32 vcc_lo, 0, v16
	v_min_u32_e32 v14, 32, v14
	v_subrev_nc_u32_e32 v15, 29, v14
	v_sub_nc_u32_e32 v14, 30, v14
	v_lshlrev_b32_e32 v12, v15, v12
	v_cndmask_b32_e32 v14, v16, v14, vcc_lo
	v_and_b32_e32 v12, 3, v12
	v_cndmask_b32_e32 v12, v13, v12, vcc_lo
	v_lshl_add_u32 v13, v14, 23, 0x37800000
	v_lshlrev_b32_e32 v12, 21, v12
	v_or3_b32 v12, v8, v13, v12
.LBB77_1357:
	s_or_b32 exec_lo, exec_lo, s6
	v_bfe_u32 v8, v12, 16, 1
	v_cmp_o_f32_e32 vcc_lo, v12, v12
	s_mov_b32 s3, 0
	v_add3_u32 v8, v12, v8, 0x7fff
	v_mov_b32_e32 v12, 0x7fc0
	v_cndmask_b32_sdwa v8, v12, v8, vcc_lo dst_sel:DWORD dst_unused:UNUSED_PAD src0_sel:DWORD src1_sel:WORD_1
	s_branch .LBB77_1363
.LBB77_1358:
	s_mov_b32 s3, -1
                                        ; implicit-def: $vgpr8
	s_branch .LBB77_1369
.LBB77_1359:
	s_or_saveexec_b32 s7, s7
	v_mov_b32_e32 v12, 0x7f800001
	s_xor_b32 exec_lo, exec_lo, s7
	s_cbranch_execz .LBB77_1343
.LBB77_1360:
	v_cmp_ne_u16_e32 vcc_lo, 0, v8
	v_mov_b32_e32 v12, 0
	s_andn2_b32 s6, s6, exec_lo
	s_and_b32 s14, vcc_lo, exec_lo
	s_or_b32 s6, s6, s14
	s_or_b32 exec_lo, exec_lo, s7
	s_and_saveexec_b32 s7, s6
	s_cbranch_execnz .LBB77_1344
	s_branch .LBB77_1345
.LBB77_1361:
	s_mov_b32 s3, -1
                                        ; implicit-def: $vgpr8
	s_branch .LBB77_1366
.LBB77_1362:
	s_mov_b32 s3, -1
                                        ; implicit-def: $vgpr8
.LBB77_1363:
	s_and_b32 vcc_lo, exec_lo, s3
	s_cbranch_vccz .LBB77_1365
; %bb.1364:
	global_load_ubyte v8, v[10:11], off
	s_waitcnt vmcnt(0)
	v_lshlrev_b32_e32 v8, 24, v8
	v_and_b32_e32 v12, 0x7f000000, v8
	v_ffbh_u32_e32 v13, v12
	v_add_nc_u32_e32 v15, 0x1000000, v12
	v_cmp_ne_u32_e32 vcc_lo, 0, v12
	v_min_u32_e32 v13, 32, v13
	v_sub_nc_u32_e64 v13, v13, 4 clamp
	v_lshlrev_b32_e32 v14, v13, v12
	v_lshlrev_b32_e32 v13, 23, v13
	v_lshrrev_b32_e32 v14, 4, v14
	v_sub_nc_u32_e32 v13, v14, v13
	v_ashrrev_i32_e32 v14, 8, v15
	v_add_nc_u32_e32 v13, 0x3c000000, v13
	v_and_or_b32 v13, 0x7f800000, v14, v13
	v_cndmask_b32_e32 v12, 0, v13, vcc_lo
	v_and_or_b32 v8, 0x80000000, v8, v12
	v_bfe_u32 v12, v12, 16, 1
	v_cmp_o_f32_e32 vcc_lo, v8, v8
	v_add3_u32 v8, v8, v12, 0x7fff
	v_mov_b32_e32 v12, 0x7fc0
	v_cndmask_b32_sdwa v8, v12, v8, vcc_lo dst_sel:DWORD dst_unused:UNUSED_PAD src0_sel:DWORD src1_sel:WORD_1
.LBB77_1365:
	s_mov_b32 s3, 0
.LBB77_1366:
	s_andn2_b32 vcc_lo, exec_lo, s3
	s_cbranch_vccnz .LBB77_1368
; %bb.1367:
	global_load_ubyte v8, v[10:11], off
	s_waitcnt vmcnt(0)
	v_lshlrev_b32_e32 v12, 25, v8
	v_lshlrev_b16 v8, 8, v8
	v_lshrrev_b32_e32 v13, 4, v12
	v_and_or_b32 v14, 0x7f00, v8, 0.5
	v_cmp_gt_u32_e32 vcc_lo, 0x8000000, v12
	v_bfe_i32 v8, v8, 0, 16
	v_or_b32_e32 v13, 0x70000000, v13
	v_add_f32_e32 v14, -0.5, v14
	v_mul_f32_e32 v13, 0x7800000, v13
	v_cndmask_b32_e32 v12, v13, v14, vcc_lo
	v_and_or_b32 v8, 0x80000000, v8, v12
	v_bfe_u32 v12, v12, 16, 1
	v_cmp_o_f32_e32 vcc_lo, v8, v8
	v_add3_u32 v8, v8, v12, 0x7fff
	v_mov_b32_e32 v12, 0x7fc0
	v_cndmask_b32_sdwa v8, v12, v8, vcc_lo dst_sel:DWORD dst_unused:UNUSED_PAD src0_sel:DWORD src1_sel:WORD_1
.LBB77_1368:
	s_mov_b32 s3, 0
	s_mov_b32 s6, -1
.LBB77_1369:
	s_andn2_b32 vcc_lo, exec_lo, s3
	s_mov_b32 s3, 0
	s_cbranch_vccnz .LBB77_1380
; %bb.1370:
	s_cmp_gt_i32 s0, 14
	s_cbranch_scc0 .LBB77_1373
; %bb.1371:
	s_cmp_eq_u32 s0, 15
	s_cbranch_scc0 .LBB77_1376
; %bb.1372:
	global_load_ushort v8, v[10:11], off
	s_mov_b32 s1, 0
	s_mov_b32 s6, -1
	s_branch .LBB77_1378
.LBB77_1373:
	s_mov_b32 s3, -1
	s_branch .LBB77_1377
.LBB77_1374:
	s_or_saveexec_b32 s6, s6
	v_mov_b32_e32 v12, 0x7f800001
	s_xor_b32 exec_lo, exec_lo, s6
	s_cbranch_execz .LBB77_1355
.LBB77_1375:
	v_cmp_ne_u16_e32 vcc_lo, 0, v8
	v_mov_b32_e32 v12, 0
	s_andn2_b32 s3, s3, exec_lo
	s_and_b32 s7, vcc_lo, exec_lo
	s_or_b32 s3, s3, s7
	s_or_b32 exec_lo, exec_lo, s6
	s_and_saveexec_b32 s6, s3
	s_cbranch_execnz .LBB77_1356
	s_branch .LBB77_1357
.LBB77_1376:
	s_mov_b32 s1, -1
.LBB77_1377:
                                        ; implicit-def: $vgpr8
.LBB77_1378:
	s_and_b32 vcc_lo, exec_lo, s3
	s_mov_b32 s3, 0
	s_cbranch_vccz .LBB77_1380
; %bb.1379:
	s_cmp_lg_u32 s0, 11
	s_mov_b32 s3, -1
	s_cselect_b32 s1, -1, 0
.LBB77_1380:
	s_and_b32 vcc_lo, exec_lo, s1
	s_cbranch_vccnz .LBB77_1449
; %bb.1381:
	s_andn2_b32 vcc_lo, exec_lo, s3
	s_cbranch_vccnz .LBB77_1383
.LBB77_1382:
	global_load_ubyte v8, v[10:11], off
	s_mov_b32 s6, -1
	s_waitcnt vmcnt(0)
	v_cmp_ne_u16_e32 vcc_lo, 0, v8
	v_cndmask_b32_e64 v8, 0, 1.0, vcc_lo
	v_lshrrev_b32_e32 v8, 16, v8
.LBB77_1383:
	s_branch .LBB77_1309
.LBB77_1384:
	s_and_b32 s0, 0xffff, s2
	s_cmp_lt_i32 s0, 5
	s_cbranch_scc1 .LBB77_1389
; %bb.1385:
	s_cmp_lt_i32 s0, 8
	s_cbranch_scc1 .LBB77_1390
; %bb.1386:
	s_cmp_lt_i32 s0, 9
	s_cbranch_scc1 .LBB77_1391
; %bb.1387:
	s_cmp_gt_i32 s0, 9
	s_cbranch_scc0 .LBB77_1392
; %bb.1388:
	global_load_dwordx2 v[12:13], v[10:11], off
	s_mov_b32 s1, 0
	s_waitcnt vmcnt(0)
	v_cvt_f32_f64_e32 v8, v[12:13]
	v_bfe_u32 v12, v8, 16, 1
	v_cmp_o_f32_e32 vcc_lo, v8, v8
	v_add3_u32 v8, v8, v12, 0x7fff
	v_mov_b32_e32 v12, 0x7fc0
	v_cndmask_b32_sdwa v8, v12, v8, vcc_lo dst_sel:DWORD dst_unused:UNUSED_PAD src0_sel:DWORD src1_sel:WORD_1
	s_branch .LBB77_1393
.LBB77_1389:
                                        ; implicit-def: $vgpr8
	s_branch .LBB77_1411
.LBB77_1390:
	s_mov_b32 s1, -1
                                        ; implicit-def: $vgpr8
	s_branch .LBB77_1399
.LBB77_1391:
	s_mov_b32 s1, -1
                                        ; implicit-def: $vgpr8
	s_branch .LBB77_1396
.LBB77_1392:
	s_mov_b32 s1, -1
                                        ; implicit-def: $vgpr8
.LBB77_1393:
	s_andn2_b32 vcc_lo, exec_lo, s1
	s_cbranch_vccnz .LBB77_1395
; %bb.1394:
	global_load_dword v8, v[10:11], off
	s_waitcnt vmcnt(0)
	v_bfe_u32 v12, v8, 16, 1
	v_cmp_o_f32_e32 vcc_lo, v8, v8
	v_add3_u32 v8, v8, v12, 0x7fff
	v_mov_b32_e32 v12, 0x7fc0
	v_cndmask_b32_sdwa v8, v12, v8, vcc_lo dst_sel:DWORD dst_unused:UNUSED_PAD src0_sel:DWORD src1_sel:WORD_1
.LBB77_1395:
	s_mov_b32 s1, 0
.LBB77_1396:
	s_andn2_b32 vcc_lo, exec_lo, s1
	s_cbranch_vccnz .LBB77_1398
; %bb.1397:
	global_load_dword v8, v[10:11], off
	s_waitcnt vmcnt(0)
	v_cvt_f32_f16_e32 v12, v8
	v_cmp_o_f16_e32 vcc_lo, v8, v8
	v_bfe_u32 v13, v12, 16, 1
	v_add3_u32 v8, v12, v13, 0x7fff
	v_mov_b32_e32 v12, 0x7fc0
	v_cndmask_b32_sdwa v8, v12, v8, vcc_lo dst_sel:DWORD dst_unused:UNUSED_PAD src0_sel:DWORD src1_sel:WORD_1
.LBB77_1398:
	s_mov_b32 s1, 0
.LBB77_1399:
	s_andn2_b32 vcc_lo, exec_lo, s1
	s_cbranch_vccnz .LBB77_1410
; %bb.1400:
	s_cmp_lt_i32 s0, 6
	s_cbranch_scc1 .LBB77_1403
; %bb.1401:
	s_cmp_gt_i32 s0, 6
	s_cbranch_scc0 .LBB77_1404
; %bb.1402:
	global_load_dwordx2 v[12:13], v[10:11], off
	s_mov_b32 s1, 0
	s_waitcnt vmcnt(0)
	v_cvt_f32_f64_e32 v8, v[12:13]
	v_bfe_u32 v12, v8, 16, 1
	v_cmp_o_f32_e32 vcc_lo, v8, v8
	v_add3_u32 v8, v8, v12, 0x7fff
	v_mov_b32_e32 v12, 0x7fc0
	v_cndmask_b32_sdwa v8, v12, v8, vcc_lo dst_sel:DWORD dst_unused:UNUSED_PAD src0_sel:DWORD src1_sel:WORD_1
	s_branch .LBB77_1405
.LBB77_1403:
	s_mov_b32 s1, -1
                                        ; implicit-def: $vgpr8
	s_branch .LBB77_1408
.LBB77_1404:
	s_mov_b32 s1, -1
                                        ; implicit-def: $vgpr8
.LBB77_1405:
	s_andn2_b32 vcc_lo, exec_lo, s1
	s_cbranch_vccnz .LBB77_1407
; %bb.1406:
	global_load_dword v8, v[10:11], off
	s_waitcnt vmcnt(0)
	v_bfe_u32 v12, v8, 16, 1
	v_cmp_o_f32_e32 vcc_lo, v8, v8
	v_add3_u32 v8, v8, v12, 0x7fff
	v_mov_b32_e32 v12, 0x7fc0
	v_cndmask_b32_sdwa v8, v12, v8, vcc_lo dst_sel:DWORD dst_unused:UNUSED_PAD src0_sel:DWORD src1_sel:WORD_1
.LBB77_1407:
	s_mov_b32 s1, 0
.LBB77_1408:
	s_andn2_b32 vcc_lo, exec_lo, s1
	s_cbranch_vccnz .LBB77_1410
; %bb.1409:
	global_load_ushort v8, v[10:11], off
	s_waitcnt vmcnt(0)
	v_cvt_f32_f16_e32 v12, v8
	v_cmp_o_f16_e32 vcc_lo, v8, v8
	v_bfe_u32 v13, v12, 16, 1
	v_add3_u32 v8, v12, v13, 0x7fff
	v_mov_b32_e32 v12, 0x7fc0
	v_cndmask_b32_sdwa v8, v12, v8, vcc_lo dst_sel:DWORD dst_unused:UNUSED_PAD src0_sel:DWORD src1_sel:WORD_1
.LBB77_1410:
	s_cbranch_execnz .LBB77_1430
.LBB77_1411:
	s_cmp_lt_i32 s0, 2
	s_cbranch_scc1 .LBB77_1415
; %bb.1412:
	s_cmp_lt_i32 s0, 3
	s_cbranch_scc1 .LBB77_1416
; %bb.1413:
	s_cmp_gt_i32 s0, 3
	s_cbranch_scc0 .LBB77_1417
; %bb.1414:
	global_load_dwordx2 v[12:13], v[10:11], off
	s_mov_b32 s1, 0
	s_waitcnt vmcnt(0)
	v_xor_b32_e32 v8, v12, v13
	v_ffbh_i32_e32 v14, v13
	v_ashrrev_i32_e32 v8, 31, v8
	v_add_nc_u32_e32 v14, -1, v14
	v_add_nc_u32_e32 v8, 32, v8
	v_min_u32_e32 v8, v14, v8
	v_lshlrev_b64 v[12:13], v8, v[12:13]
	v_sub_nc_u32_e32 v8, 32, v8
	v_min_u32_e32 v12, 1, v12
	v_or_b32_e32 v12, v13, v12
	v_cvt_f32_i32_e32 v12, v12
	v_ldexp_f32 v8, v12, v8
	v_bfe_u32 v12, v8, 16, 1
	v_add3_u32 v8, v8, v12, 0x7fff
	v_lshrrev_b32_e32 v8, 16, v8
	s_branch .LBB77_1418
.LBB77_1415:
	s_mov_b32 s1, -1
                                        ; implicit-def: $vgpr8
	s_branch .LBB77_1424
.LBB77_1416:
	s_mov_b32 s1, -1
                                        ; implicit-def: $vgpr8
	s_branch .LBB77_1421
.LBB77_1417:
	s_mov_b32 s1, -1
                                        ; implicit-def: $vgpr8
.LBB77_1418:
	s_andn2_b32 vcc_lo, exec_lo, s1
	s_cbranch_vccnz .LBB77_1420
; %bb.1419:
	global_load_dword v8, v[10:11], off
	s_waitcnt vmcnt(0)
	v_cvt_f32_i32_e32 v8, v8
	v_bfe_u32 v12, v8, 16, 1
	v_add3_u32 v8, v8, v12, 0x7fff
	v_lshrrev_b32_e32 v8, 16, v8
.LBB77_1420:
	s_mov_b32 s1, 0
.LBB77_1421:
	s_andn2_b32 vcc_lo, exec_lo, s1
	s_cbranch_vccnz .LBB77_1423
; %bb.1422:
	global_load_sshort v8, v[10:11], off
	s_waitcnt vmcnt(0)
	v_cvt_f32_i32_e32 v8, v8
	v_bfe_u32 v12, v8, 16, 1
	v_add3_u32 v8, v8, v12, 0x7fff
	v_lshrrev_b32_e32 v8, 16, v8
.LBB77_1423:
	s_mov_b32 s1, 0
.LBB77_1424:
	s_andn2_b32 vcc_lo, exec_lo, s1
	s_cbranch_vccnz .LBB77_1430
; %bb.1425:
	s_cmp_gt_i32 s0, 0
	s_mov_b32 s0, 0
	s_cbranch_scc0 .LBB77_1427
; %bb.1426:
	global_load_sbyte v8, v[10:11], off
	s_waitcnt vmcnt(0)
	v_cvt_f32_i32_e32 v8, v8
	v_bfe_u32 v12, v8, 16, 1
	v_add3_u32 v8, v8, v12, 0x7fff
	v_lshrrev_b32_e32 v8, 16, v8
	s_branch .LBB77_1428
.LBB77_1427:
	s_mov_b32 s0, -1
                                        ; implicit-def: $vgpr8
.LBB77_1428:
	s_andn2_b32 vcc_lo, exec_lo, s0
	s_cbranch_vccnz .LBB77_1430
; %bb.1429:
	global_load_ubyte v8, v[10:11], off
	s_waitcnt vmcnt(0)
	v_cvt_f32_ubyte0_e32 v8, v8
	v_bfe_u32 v10, v8, 16, 1
	v_add3_u32 v8, v8, v10, 0x7fff
	v_lshrrev_b32_e32 v8, 16, v8
.LBB77_1430:
.LBB77_1431:
	s_waitcnt vmcnt(0)
	v_lshlrev_b32_e32 v10, 16, v8
	v_mov_b32_e32 v12, 0
	v_mov_b32_e32 v11, 1.0
	s_mov_b32 s3, exec_lo
	v_cmpx_gt_f32_e32 0.5, v10
	s_cbranch_execz .LBB77_1437
; %bb.1432:
	v_mul_f32_e32 v8, 0x40490fdb, v10
                                        ; implicit-def: $vgpr13
                                        ; implicit-def: $vgpr12
	s_mov_b32 s1, exec_lo
	v_and_b32_e32 v11, 0x7fffffff, v8
	v_cmpx_ngt_f32_e64 0x48000000, |v8|
	s_xor_b32 s6, exec_lo, s1
	s_cbranch_execz .LBB77_1434
; %bb.1433:
	s_mov_b32 s0, 0x7fffff
	v_mov_b32_e32 v14, 0
	v_and_or_b32 v21, v11, s0, 0x800000
	v_lshrrev_b32_e32 v19, 23, v11
	v_mad_u64_u32 v[12:13], null, 0xfe5163ab, v21, 0
	v_add_nc_u32_e32 v20, 0xffffff88, v19
	v_cmp_lt_u32_e32 vcc_lo, 63, v20
	v_mad_u64_u32 v[15:16], null, 0x3c439041, v21, v[13:14]
	v_cndmask_b32_e64 v22, 0, 0xffffffc0, vcc_lo
	v_mov_b32_e32 v13, v16
	v_add_nc_u32_e32 v22, v22, v20
	v_mad_u64_u32 v[16:17], null, 0xdb629599, v21, v[13:14]
	v_cmp_lt_u32_e64 s0, 31, v22
	v_cndmask_b32_e64 v23, 0, 0xffffffe0, s0
	v_mov_b32_e32 v13, v17
	v_cndmask_b32_e32 v12, v16, v12, vcc_lo
	v_mad_u64_u32 v[17:18], null, 0xf534ddc0, v21, v[13:14]
	v_mov_b32_e32 v13, v18
	v_cndmask_b32_e32 v15, v17, v15, vcc_lo
	v_mad_u64_u32 v[18:19], null, 0xfc2757d1, v21, v[13:14]
	v_cndmask_b32_e64 v12, v15, v12, s0
	v_mov_b32_e32 v13, v19
	v_mad_u64_u32 v[19:20], null, 0x4e441529, v21, v[13:14]
	v_mov_b32_e32 v13, v20
	v_add_nc_u32_e32 v20, v23, v22
	v_cndmask_b32_e32 v22, v19, v17, vcc_lo
	v_mad_u64_u32 v[13:14], null, 0xa2f9836e, v21, v[13:14]
	v_cmp_lt_u32_e64 s1, 31, v20
	v_cndmask_b32_e64 v21, 0, 0xffffffe0, s1
	v_cndmask_b32_e32 v13, v13, v18, vcc_lo
	v_cndmask_b32_e32 v14, v14, v19, vcc_lo
	;; [unrolled: 1-line block ×3, first 2 shown]
	v_add_nc_u32_e32 v19, v21, v20
	v_cndmask_b32_e64 v17, v13, v22, s0
	v_cndmask_b32_e64 v13, v14, v13, s0
	;; [unrolled: 1-line block ×4, first 2 shown]
	v_sub_nc_u32_e32 v20, 32, v19
	v_cmp_eq_u32_e32 vcc_lo, 0, v19
	v_cndmask_b32_e64 v13, v13, v17, s1
	v_cndmask_b32_e64 v17, v17, v14, s1
	v_cndmask_b32_e64 v14, v14, v18, s1
	v_cndmask_b32_e64 v12, v18, v12, s1
	v_alignbit_b32 v21, v13, v17, v20
	v_alignbit_b32 v16, v17, v14, v20
	;; [unrolled: 1-line block ×3, first 2 shown]
	v_cndmask_b32_e32 v13, v21, v13, vcc_lo
	v_cndmask_b32_e32 v15, v16, v17, vcc_lo
	;; [unrolled: 1-line block ×3, first 2 shown]
	v_bfe_u32 v16, v13, 29, 1
	v_alignbit_b32 v17, v13, v15, 30
	v_alignbit_b32 v15, v15, v14, 30
	;; [unrolled: 1-line block ×3, first 2 shown]
	v_sub_nc_u32_e32 v18, 0, v16
	v_xor_b32_e32 v17, v17, v18
	v_xor_b32_e32 v14, v15, v18
	;; [unrolled: 1-line block ×3, first 2 shown]
	v_lshrrev_b32_e32 v18, 29, v13
	v_lshrrev_b32_e32 v13, 30, v13
	v_ffbh_u32_e32 v19, v17
	v_add_nc_u32_e32 v13, v16, v13
	v_min_u32_e32 v19, 32, v19
	v_sub_nc_u32_e32 v15, 31, v19
	v_lshlrev_b32_e32 v20, 23, v19
	v_alignbit_b32 v17, v17, v14, v15
	v_alignbit_b32 v12, v14, v12, v15
	v_lshlrev_b32_e32 v14, 31, v18
	v_alignbit_b32 v15, v17, v12, 9
	v_or_b32_e32 v18, 0.5, v14
	v_lshrrev_b32_e32 v17, 9, v17
	v_or_b32_e32 v14, 0x33000000, v14
	v_ffbh_u32_e32 v21, v15
	v_sub_nc_u32_e32 v18, v18, v20
	v_min_u32_e32 v20, 32, v21
	v_or_b32_e32 v17, v17, v18
	v_not_b32_e32 v18, v20
	v_mul_f32_e32 v21, 0x3fc90fda, v17
	v_add_lshl_u32 v19, v20, v19, 23
	v_alignbit_b32 v12, v15, v12, v18
	v_fma_f32 v15, 0x3fc90fda, v17, -v21
	v_sub_nc_u32_e32 v14, v14, v19
	v_lshrrev_b32_e32 v12, 9, v12
	v_fmamk_f32 v15, v17, 0x33a22168, v15
	v_or_b32_e32 v12, v14, v12
	v_fmac_f32_e32 v15, 0x3fc90fda, v12
	v_add_f32_e32 v12, v21, v15
.LBB77_1434:
	s_andn2_saveexec_b32 s0, s6
; %bb.1435:
	v_mul_f32_e64 v12, 0x3f22f983, |v8|
	v_rndne_f32_e32 v13, v12
	v_fma_f32 v12, 0xbfc90fda, v13, |v8|
	v_fmamk_f32 v12, v13, 0xb3a22168, v12
	v_fmamk_f32 v12, v13, 0xa7c234c4, v12
	v_cvt_i32_f32_e32 v13, v13
; %bb.1436:
	s_or_b32 exec_lo, exec_lo, s0
	v_mul_f32_e32 v14, v12, v12
	s_mov_b32 s0, 0xb94c1982
	s_mov_b32 s1, 0x37d75334
	v_and_b32_e32 v17, 1, v13
	v_lshlrev_b32_e32 v13, 30, v13
	v_fmaak_f32 v15, s0, v14, 0x3c0881c4
	v_fmaak_f32 v16, s1, v14, 0xbab64f3b
	v_xor_b32_e32 v11, v11, v8
	v_cmp_eq_u32_e32 vcc_lo, 0, v17
	v_and_b32_e32 v13, 0x80000000, v13
	v_fmaak_f32 v15, v14, v15, 0xbe2aaa9d
	v_fmaak_f32 v16, v14, v16, 0x3d2aabf7
	v_sub_f32_e32 v10, 1.0, v10
	v_mul_f32_e32 v15, v14, v15
	v_fmaak_f32 v16, v14, v16, 0xbf000004
	v_fmac_f32_e32 v12, v12, v15
	v_fma_f32 v14, v14, v16, 1.0
	v_cndmask_b32_e32 v12, v14, v12, vcc_lo
	v_cmp_class_f32_e64 vcc_lo, v8, 0x1f8
	v_xor3_b32 v11, v11, v13, v12
	v_cndmask_b32_e32 v8, 0x7fc00000, v11, vcc_lo
	v_mul_f32_e32 v8, v8, v8
	v_div_scale_f32 v11, null, v8, v8, 0xc11de9e7
	v_div_scale_f32 v14, vcc_lo, 0xc11de9e7, v8, 0xc11de9e7
	v_rcp_f32_e32 v12, v11
	v_fma_f32 v13, -v11, v12, 1.0
	v_fmac_f32_e32 v12, v13, v12
	v_mul_f32_e32 v13, v14, v12
	v_fma_f32 v15, -v11, v13, v14
	v_fmac_f32_e32 v13, v15, v12
	v_fma_f32 v11, -v11, v13, v14
	v_div_fmas_f32 v11, v11, v12, v13
	v_div_fixup_f32 v8, v11, v8, 0xc11de9e7
	v_mov_b32_e32 v11, -1.0
	v_add_f32_e32 v12, 0, v8
.LBB77_1437:
	s_or_b32 exec_lo, exec_lo, s3
	v_add_co_u32 v8, s0, s10, v9
	v_add_co_ci_u32_e64 v9, null, s11, 0, s0
	s_cmp_lt_i32 s2, 11
	s_cbranch_scc1 .LBB77_1444
; %bb.1438:
	s_and_b32 s0, 0xffff, s2
	s_mov_b32 s3, 0
	s_cmp_gt_i32 s0, 25
	s_cbranch_scc0 .LBB77_1446
; %bb.1439:
	s_cmp_gt_i32 s0, 28
	s_cbranch_scc0 .LBB77_1447
; %bb.1440:
	;; [unrolled: 3-line block ×4, first 2 shown]
	s_cmp_eq_u32 s0, 46
	s_mov_b32 s7, 0
	s_cbranch_scc0 .LBB77_1451
; %bb.1443:
	global_load_dword v13, v[8:9], off
	s_mov_b32 s1, 0
	s_mov_b32 s6, -1
	s_branch .LBB77_1453
.LBB77_1444:
	s_mov_b32 s6, 0
                                        ; implicit-def: $vgpr13
	s_cbranch_execnz .LBB77_1519
.LBB77_1445:
	s_andn2_b32 vcc_lo, exec_lo, s6
	s_cbranch_vccnz .LBB77_2143
	s_branch .LBB77_1567
.LBB77_1446:
	s_mov_b32 s7, -1
	s_mov_b32 s6, 0
	s_mov_b32 s1, 0
                                        ; implicit-def: $vgpr13
	s_branch .LBB77_1482
.LBB77_1447:
	s_mov_b32 s7, -1
	s_mov_b32 s6, 0
	s_mov_b32 s1, 0
                                        ; implicit-def: $vgpr13
	s_branch .LBB77_1463
.LBB77_1448:
	s_mov_b32 s7, -1
	s_mov_b32 s6, 0
	s_mov_b32 s1, 0
                                        ; implicit-def: $vgpr13
	s_branch .LBB77_1458
.LBB77_1449:
	s_or_b32 s4, s4, exec_lo
	s_trap 2
	s_cbranch_execz .LBB77_1382
	s_branch .LBB77_1383
.LBB77_1450:
	s_mov_b32 s7, -1
	s_mov_b32 s6, 0
	s_mov_b32 s1, 0
	s_branch .LBB77_1452
.LBB77_1451:
	s_mov_b32 s1, -1
	s_mov_b32 s6, 0
.LBB77_1452:
                                        ; implicit-def: $vgpr13
.LBB77_1453:
	s_and_b32 vcc_lo, exec_lo, s7
	s_cbranch_vccz .LBB77_1457
; %bb.1454:
	s_cmp_eq_u32 s0, 44
	s_cbranch_scc0 .LBB77_1456
; %bb.1455:
	global_load_ubyte v13, v[8:9], off
	s_mov_b32 s1, 0
	s_mov_b32 s6, -1
	s_waitcnt vmcnt(0)
	v_lshlrev_b32_e32 v14, 23, v13
	v_cmp_ne_u32_e32 vcc_lo, 0xff, v13
	v_cndmask_b32_e32 v14, 0x7f800001, v14, vcc_lo
	v_cmp_ne_u32_e32 vcc_lo, 0, v13
	v_cndmask_b32_e32 v13, 0x400000, v14, vcc_lo
	v_mov_b32_e32 v14, 0x7fc0
	v_cmp_o_f32_e32 vcc_lo, v13, v13
	v_add_nc_u32_e32 v13, 0x7fff, v13
	v_cndmask_b32_sdwa v13, v14, v13, vcc_lo dst_sel:DWORD dst_unused:UNUSED_PAD src0_sel:DWORD src1_sel:WORD_1
	s_branch .LBB77_1457
.LBB77_1456:
	s_mov_b32 s1, -1
                                        ; implicit-def: $vgpr13
.LBB77_1457:
	s_mov_b32 s7, 0
.LBB77_1458:
	s_and_b32 vcc_lo, exec_lo, s7
	s_cbranch_vccz .LBB77_1462
; %bb.1459:
	s_cmp_eq_u32 s0, 29
	s_cbranch_scc0 .LBB77_1461
; %bb.1460:
	global_load_dwordx2 v[13:14], v[8:9], off
	s_mov_b32 s1, 0
	s_mov_b32 s6, -1
	s_mov_b32 s7, 0
	s_waitcnt vmcnt(0)
	v_ffbh_u32_e32 v15, v14
	v_min_u32_e32 v15, 32, v15
	v_lshlrev_b64 v[13:14], v15, v[13:14]
	v_min_u32_e32 v13, 1, v13
	v_or_b32_e32 v13, v14, v13
	v_sub_nc_u32_e32 v14, 32, v15
	v_cvt_f32_u32_e32 v13, v13
	v_ldexp_f32 v13, v13, v14
	v_bfe_u32 v14, v13, 16, 1
	v_add3_u32 v13, v13, v14, 0x7fff
	v_lshrrev_b32_e32 v13, 16, v13
	s_branch .LBB77_1463
.LBB77_1461:
	s_mov_b32 s1, -1
                                        ; implicit-def: $vgpr13
.LBB77_1462:
	s_mov_b32 s7, 0
.LBB77_1463:
	s_and_b32 vcc_lo, exec_lo, s7
	s_cbranch_vccz .LBB77_1481
; %bb.1464:
	s_cmp_lt_i32 s0, 27
	s_cbranch_scc1 .LBB77_1467
; %bb.1465:
	s_cmp_gt_i32 s0, 27
	s_cbranch_scc0 .LBB77_1468
; %bb.1466:
	global_load_dword v13, v[8:9], off
	s_mov_b32 s6, 0
	s_waitcnt vmcnt(0)
	v_cvt_f32_u32_e32 v13, v13
	v_bfe_u32 v14, v13, 16, 1
	v_add3_u32 v13, v13, v14, 0x7fff
	v_lshrrev_b32_e32 v13, 16, v13
	s_branch .LBB77_1469
.LBB77_1467:
	s_mov_b32 s6, -1
                                        ; implicit-def: $vgpr13
	s_branch .LBB77_1472
.LBB77_1468:
	s_mov_b32 s6, -1
                                        ; implicit-def: $vgpr13
.LBB77_1469:
	s_andn2_b32 vcc_lo, exec_lo, s6
	s_cbranch_vccnz .LBB77_1471
; %bb.1470:
	global_load_ushort v13, v[8:9], off
	s_waitcnt vmcnt(0)
	v_cvt_f32_u32_e32 v13, v13
	v_bfe_u32 v14, v13, 16, 1
	v_add3_u32 v13, v13, v14, 0x7fff
	v_lshrrev_b32_e32 v13, 16, v13
.LBB77_1471:
	s_mov_b32 s6, 0
.LBB77_1472:
	s_andn2_b32 vcc_lo, exec_lo, s6
	s_cbranch_vccnz .LBB77_1480
; %bb.1473:
	global_load_ubyte v13, v[8:9], off
	s_mov_b32 s6, 0
	s_mov_b32 s7, exec_lo
	s_waitcnt vmcnt(0)
	v_cmpx_lt_i16_e32 0x7f, v13
	s_xor_b32 s7, exec_lo, s7
	s_cbranch_execz .LBB77_1494
; %bb.1474:
	s_mov_b32 s6, -1
	s_mov_b32 s14, exec_lo
	v_cmpx_eq_u16_e32 0x80, v13
; %bb.1475:
	s_xor_b32 s6, exec_lo, -1
; %bb.1476:
	s_or_b32 exec_lo, exec_lo, s14
	s_and_b32 s6, s6, exec_lo
	s_or_saveexec_b32 s7, s7
	v_mov_b32_e32 v14, 0x7f800001
	s_xor_b32 exec_lo, exec_lo, s7
	s_cbranch_execnz .LBB77_1495
.LBB77_1477:
	s_or_b32 exec_lo, exec_lo, s7
	s_and_saveexec_b32 s7, s6
	s_cbranch_execz .LBB77_1479
.LBB77_1478:
	v_and_b32_e32 v14, 0xffff, v13
	v_lshlrev_b32_e32 v13, 24, v13
	v_and_b32_e32 v15, 7, v14
	v_bfe_u32 v18, v14, 3, 4
	v_and_b32_e32 v13, 0x80000000, v13
	v_ffbh_u32_e32 v16, v15
	v_cmp_eq_u32_e32 vcc_lo, 0, v18
	v_min_u32_e32 v16, 32, v16
	v_subrev_nc_u32_e32 v17, 28, v16
	v_sub_nc_u32_e32 v16, 29, v16
	v_lshlrev_b32_e32 v14, v17, v14
	v_cndmask_b32_e32 v16, v18, v16, vcc_lo
	v_and_b32_e32 v14, 7, v14
	v_cndmask_b32_e32 v14, v15, v14, vcc_lo
	v_lshl_add_u32 v15, v16, 23, 0x3b800000
	v_lshlrev_b32_e32 v14, 20, v14
	v_or3_b32 v14, v13, v15, v14
.LBB77_1479:
	s_or_b32 exec_lo, exec_lo, s7
	v_bfe_u32 v13, v14, 16, 1
	v_cmp_o_f32_e32 vcc_lo, v14, v14
	v_add3_u32 v13, v14, v13, 0x7fff
	v_mov_b32_e32 v14, 0x7fc0
	v_cndmask_b32_sdwa v13, v14, v13, vcc_lo dst_sel:DWORD dst_unused:UNUSED_PAD src0_sel:DWORD src1_sel:WORD_1
.LBB77_1480:
	s_mov_b32 s6, -1
.LBB77_1481:
	s_mov_b32 s7, 0
.LBB77_1482:
	s_and_b32 vcc_lo, exec_lo, s7
	s_cbranch_vccz .LBB77_1515
; %bb.1483:
	s_cmp_gt_i32 s0, 22
	s_cbranch_scc0 .LBB77_1493
; %bb.1484:
	s_cmp_lt_i32 s0, 24
	s_cbranch_scc1 .LBB77_1496
; %bb.1485:
	s_cmp_gt_i32 s0, 24
	s_cbranch_scc0 .LBB77_1497
; %bb.1486:
	global_load_ubyte v13, v[8:9], off
	s_mov_b32 s6, exec_lo
	s_waitcnt vmcnt(0)
	v_cmpx_lt_i16_e32 0x7f, v13
	s_xor_b32 s6, exec_lo, s6
	s_cbranch_execz .LBB77_1509
; %bb.1487:
	s_mov_b32 s3, -1
	s_mov_b32 s7, exec_lo
	v_cmpx_eq_u16_e32 0x80, v13
; %bb.1488:
	s_xor_b32 s3, exec_lo, -1
; %bb.1489:
	s_or_b32 exec_lo, exec_lo, s7
	s_and_b32 s3, s3, exec_lo
	s_or_saveexec_b32 s6, s6
	v_mov_b32_e32 v14, 0x7f800001
	s_xor_b32 exec_lo, exec_lo, s6
	s_cbranch_execnz .LBB77_1510
.LBB77_1490:
	s_or_b32 exec_lo, exec_lo, s6
	s_and_saveexec_b32 s6, s3
	s_cbranch_execz .LBB77_1492
.LBB77_1491:
	v_and_b32_e32 v14, 0xffff, v13
	v_lshlrev_b32_e32 v13, 24, v13
	v_and_b32_e32 v15, 3, v14
	v_bfe_u32 v18, v14, 2, 5
	v_and_b32_e32 v13, 0x80000000, v13
	v_ffbh_u32_e32 v16, v15
	v_cmp_eq_u32_e32 vcc_lo, 0, v18
	v_min_u32_e32 v16, 32, v16
	v_subrev_nc_u32_e32 v17, 29, v16
	v_sub_nc_u32_e32 v16, 30, v16
	v_lshlrev_b32_e32 v14, v17, v14
	v_cndmask_b32_e32 v16, v18, v16, vcc_lo
	v_and_b32_e32 v14, 3, v14
	v_cndmask_b32_e32 v14, v15, v14, vcc_lo
	v_lshl_add_u32 v15, v16, 23, 0x37800000
	v_lshlrev_b32_e32 v14, 21, v14
	v_or3_b32 v14, v13, v15, v14
.LBB77_1492:
	s_or_b32 exec_lo, exec_lo, s6
	v_bfe_u32 v13, v14, 16, 1
	v_cmp_o_f32_e32 vcc_lo, v14, v14
	s_mov_b32 s3, 0
	v_add3_u32 v13, v14, v13, 0x7fff
	v_mov_b32_e32 v14, 0x7fc0
	v_cndmask_b32_sdwa v13, v14, v13, vcc_lo dst_sel:DWORD dst_unused:UNUSED_PAD src0_sel:DWORD src1_sel:WORD_1
	s_branch .LBB77_1498
.LBB77_1493:
	s_mov_b32 s3, -1
                                        ; implicit-def: $vgpr13
	s_branch .LBB77_1504
.LBB77_1494:
	s_or_saveexec_b32 s7, s7
	v_mov_b32_e32 v14, 0x7f800001
	s_xor_b32 exec_lo, exec_lo, s7
	s_cbranch_execz .LBB77_1477
.LBB77_1495:
	v_cmp_ne_u16_e32 vcc_lo, 0, v13
	v_mov_b32_e32 v14, 0
	s_andn2_b32 s6, s6, exec_lo
	s_and_b32 s14, vcc_lo, exec_lo
	s_or_b32 s6, s6, s14
	s_or_b32 exec_lo, exec_lo, s7
	s_and_saveexec_b32 s7, s6
	s_cbranch_execnz .LBB77_1478
	s_branch .LBB77_1479
.LBB77_1496:
	s_mov_b32 s3, -1
                                        ; implicit-def: $vgpr13
	s_branch .LBB77_1501
.LBB77_1497:
	s_mov_b32 s3, -1
                                        ; implicit-def: $vgpr13
.LBB77_1498:
	s_and_b32 vcc_lo, exec_lo, s3
	s_cbranch_vccz .LBB77_1500
; %bb.1499:
	global_load_ubyte v13, v[8:9], off
	s_waitcnt vmcnt(0)
	v_lshlrev_b32_e32 v13, 24, v13
	v_and_b32_e32 v14, 0x7f000000, v13
	v_ffbh_u32_e32 v15, v14
	v_add_nc_u32_e32 v17, 0x1000000, v14
	v_cmp_ne_u32_e32 vcc_lo, 0, v14
	v_min_u32_e32 v15, 32, v15
	v_sub_nc_u32_e64 v15, v15, 4 clamp
	v_lshlrev_b32_e32 v16, v15, v14
	v_lshlrev_b32_e32 v15, 23, v15
	v_lshrrev_b32_e32 v16, 4, v16
	v_sub_nc_u32_e32 v15, v16, v15
	v_ashrrev_i32_e32 v16, 8, v17
	v_add_nc_u32_e32 v15, 0x3c000000, v15
	v_and_or_b32 v15, 0x7f800000, v16, v15
	v_cndmask_b32_e32 v14, 0, v15, vcc_lo
	v_and_or_b32 v13, 0x80000000, v13, v14
	v_bfe_u32 v14, v14, 16, 1
	v_cmp_o_f32_e32 vcc_lo, v13, v13
	v_add3_u32 v13, v13, v14, 0x7fff
	v_mov_b32_e32 v14, 0x7fc0
	v_cndmask_b32_sdwa v13, v14, v13, vcc_lo dst_sel:DWORD dst_unused:UNUSED_PAD src0_sel:DWORD src1_sel:WORD_1
.LBB77_1500:
	s_mov_b32 s3, 0
.LBB77_1501:
	s_andn2_b32 vcc_lo, exec_lo, s3
	s_cbranch_vccnz .LBB77_1503
; %bb.1502:
	global_load_ubyte v13, v[8:9], off
	s_waitcnt vmcnt(0)
	v_lshlrev_b32_e32 v14, 25, v13
	v_lshlrev_b16 v13, 8, v13
	v_lshrrev_b32_e32 v15, 4, v14
	v_and_or_b32 v16, 0x7f00, v13, 0.5
	v_cmp_gt_u32_e32 vcc_lo, 0x8000000, v14
	v_bfe_i32 v13, v13, 0, 16
	v_or_b32_e32 v15, 0x70000000, v15
	v_add_f32_e32 v16, -0.5, v16
	v_mul_f32_e32 v15, 0x7800000, v15
	v_cndmask_b32_e32 v14, v15, v16, vcc_lo
	v_and_or_b32 v13, 0x80000000, v13, v14
	v_bfe_u32 v14, v14, 16, 1
	v_cmp_o_f32_e32 vcc_lo, v13, v13
	v_add3_u32 v13, v13, v14, 0x7fff
	v_mov_b32_e32 v14, 0x7fc0
	v_cndmask_b32_sdwa v13, v14, v13, vcc_lo dst_sel:DWORD dst_unused:UNUSED_PAD src0_sel:DWORD src1_sel:WORD_1
.LBB77_1503:
	s_mov_b32 s3, 0
	s_mov_b32 s6, -1
.LBB77_1504:
	s_andn2_b32 vcc_lo, exec_lo, s3
	s_mov_b32 s3, 0
	s_cbranch_vccnz .LBB77_1515
; %bb.1505:
	s_cmp_gt_i32 s0, 14
	s_cbranch_scc0 .LBB77_1508
; %bb.1506:
	s_cmp_eq_u32 s0, 15
	s_cbranch_scc0 .LBB77_1511
; %bb.1507:
	global_load_ushort v13, v[8:9], off
	s_mov_b32 s1, 0
	s_mov_b32 s6, -1
	s_branch .LBB77_1513
.LBB77_1508:
	s_mov_b32 s3, -1
	s_branch .LBB77_1512
.LBB77_1509:
	s_or_saveexec_b32 s6, s6
	v_mov_b32_e32 v14, 0x7f800001
	s_xor_b32 exec_lo, exec_lo, s6
	s_cbranch_execz .LBB77_1490
.LBB77_1510:
	v_cmp_ne_u16_e32 vcc_lo, 0, v13
	v_mov_b32_e32 v14, 0
	s_andn2_b32 s3, s3, exec_lo
	s_and_b32 s7, vcc_lo, exec_lo
	s_or_b32 s3, s3, s7
	s_or_b32 exec_lo, exec_lo, s6
	s_and_saveexec_b32 s6, s3
	s_cbranch_execnz .LBB77_1491
	s_branch .LBB77_1492
.LBB77_1511:
	s_mov_b32 s1, -1
.LBB77_1512:
                                        ; implicit-def: $vgpr13
.LBB77_1513:
	s_and_b32 vcc_lo, exec_lo, s3
	s_mov_b32 s3, 0
	s_cbranch_vccz .LBB77_1515
; %bb.1514:
	s_cmp_lg_u32 s0, 11
	s_mov_b32 s3, -1
	s_cselect_b32 s1, -1, 0
.LBB77_1515:
	s_and_b32 vcc_lo, exec_lo, s1
	s_cbranch_vccnz .LBB77_1584
; %bb.1516:
	s_andn2_b32 vcc_lo, exec_lo, s3
	s_cbranch_vccnz .LBB77_1518
.LBB77_1517:
	global_load_ubyte v13, v[8:9], off
	s_mov_b32 s6, -1
	s_waitcnt vmcnt(0)
	v_cmp_ne_u16_e32 vcc_lo, 0, v13
	v_cndmask_b32_e64 v13, 0, 1.0, vcc_lo
	v_lshrrev_b32_e32 v13, 16, v13
.LBB77_1518:
	s_branch .LBB77_1445
.LBB77_1519:
	s_and_b32 s0, 0xffff, s2
	s_cmp_lt_i32 s0, 5
	s_cbranch_scc1 .LBB77_1524
; %bb.1520:
	s_cmp_lt_i32 s0, 8
	s_cbranch_scc1 .LBB77_1525
; %bb.1521:
	;; [unrolled: 3-line block ×3, first 2 shown]
	s_cmp_gt_i32 s0, 9
	s_cbranch_scc0 .LBB77_1527
; %bb.1523:
	global_load_dwordx2 v[13:14], v[8:9], off
	s_mov_b32 s1, 0
	s_waitcnt vmcnt(0)
	v_cvt_f32_f64_e32 v13, v[13:14]
	v_bfe_u32 v14, v13, 16, 1
	v_cmp_o_f32_e32 vcc_lo, v13, v13
	v_add3_u32 v13, v13, v14, 0x7fff
	v_mov_b32_e32 v14, 0x7fc0
	v_cndmask_b32_sdwa v13, v14, v13, vcc_lo dst_sel:DWORD dst_unused:UNUSED_PAD src0_sel:DWORD src1_sel:WORD_1
	s_branch .LBB77_1528
.LBB77_1524:
	s_mov_b32 s1, -1
                                        ; implicit-def: $vgpr13
	s_branch .LBB77_1546
.LBB77_1525:
	s_mov_b32 s1, -1
                                        ; implicit-def: $vgpr13
	s_branch .LBB77_1534
.LBB77_1526:
	s_mov_b32 s1, -1
                                        ; implicit-def: $vgpr13
	s_branch .LBB77_1531
.LBB77_1527:
	s_mov_b32 s1, -1
                                        ; implicit-def: $vgpr13
.LBB77_1528:
	s_andn2_b32 vcc_lo, exec_lo, s1
	s_cbranch_vccnz .LBB77_1530
; %bb.1529:
	global_load_dword v13, v[8:9], off
	s_waitcnt vmcnt(0)
	v_bfe_u32 v14, v13, 16, 1
	v_cmp_o_f32_e32 vcc_lo, v13, v13
	v_add3_u32 v13, v13, v14, 0x7fff
	v_mov_b32_e32 v14, 0x7fc0
	v_cndmask_b32_sdwa v13, v14, v13, vcc_lo dst_sel:DWORD dst_unused:UNUSED_PAD src0_sel:DWORD src1_sel:WORD_1
.LBB77_1530:
	s_mov_b32 s1, 0
.LBB77_1531:
	s_andn2_b32 vcc_lo, exec_lo, s1
	s_cbranch_vccnz .LBB77_1533
; %bb.1532:
	global_load_dword v13, v[8:9], off
	s_waitcnt vmcnt(0)
	v_cvt_f32_f16_e32 v14, v13
	v_cmp_o_f16_e32 vcc_lo, v13, v13
	v_bfe_u32 v15, v14, 16, 1
	v_add3_u32 v13, v14, v15, 0x7fff
	v_mov_b32_e32 v14, 0x7fc0
	v_cndmask_b32_sdwa v13, v14, v13, vcc_lo dst_sel:DWORD dst_unused:UNUSED_PAD src0_sel:DWORD src1_sel:WORD_1
.LBB77_1533:
	s_mov_b32 s1, 0
.LBB77_1534:
	s_andn2_b32 vcc_lo, exec_lo, s1
	s_cbranch_vccnz .LBB77_1545
; %bb.1535:
	s_cmp_lt_i32 s0, 6
	s_cbranch_scc1 .LBB77_1538
; %bb.1536:
	s_cmp_gt_i32 s0, 6
	s_cbranch_scc0 .LBB77_1539
; %bb.1537:
	global_load_dwordx2 v[13:14], v[8:9], off
	s_mov_b32 s1, 0
	s_waitcnt vmcnt(0)
	v_cvt_f32_f64_e32 v13, v[13:14]
	v_bfe_u32 v14, v13, 16, 1
	v_cmp_o_f32_e32 vcc_lo, v13, v13
	v_add3_u32 v13, v13, v14, 0x7fff
	v_mov_b32_e32 v14, 0x7fc0
	v_cndmask_b32_sdwa v13, v14, v13, vcc_lo dst_sel:DWORD dst_unused:UNUSED_PAD src0_sel:DWORD src1_sel:WORD_1
	s_branch .LBB77_1540
.LBB77_1538:
	s_mov_b32 s1, -1
                                        ; implicit-def: $vgpr13
	s_branch .LBB77_1543
.LBB77_1539:
	s_mov_b32 s1, -1
                                        ; implicit-def: $vgpr13
.LBB77_1540:
	s_andn2_b32 vcc_lo, exec_lo, s1
	s_cbranch_vccnz .LBB77_1542
; %bb.1541:
	global_load_dword v13, v[8:9], off
	s_waitcnt vmcnt(0)
	v_bfe_u32 v14, v13, 16, 1
	v_cmp_o_f32_e32 vcc_lo, v13, v13
	v_add3_u32 v13, v13, v14, 0x7fff
	v_mov_b32_e32 v14, 0x7fc0
	v_cndmask_b32_sdwa v13, v14, v13, vcc_lo dst_sel:DWORD dst_unused:UNUSED_PAD src0_sel:DWORD src1_sel:WORD_1
.LBB77_1542:
	s_mov_b32 s1, 0
.LBB77_1543:
	s_andn2_b32 vcc_lo, exec_lo, s1
	s_cbranch_vccnz .LBB77_1545
; %bb.1544:
	global_load_ushort v13, v[8:9], off
	s_waitcnt vmcnt(0)
	v_cvt_f32_f16_e32 v14, v13
	v_cmp_o_f16_e32 vcc_lo, v13, v13
	v_bfe_u32 v15, v14, 16, 1
	v_add3_u32 v13, v14, v15, 0x7fff
	v_mov_b32_e32 v14, 0x7fc0
	v_cndmask_b32_sdwa v13, v14, v13, vcc_lo dst_sel:DWORD dst_unused:UNUSED_PAD src0_sel:DWORD src1_sel:WORD_1
.LBB77_1545:
	s_mov_b32 s1, 0
.LBB77_1546:
	s_andn2_b32 vcc_lo, exec_lo, s1
	s_cbranch_vccnz .LBB77_1566
; %bb.1547:
	s_cmp_lt_i32 s0, 2
	s_cbranch_scc1 .LBB77_1551
; %bb.1548:
	s_cmp_lt_i32 s0, 3
	s_cbranch_scc1 .LBB77_1552
; %bb.1549:
	s_cmp_gt_i32 s0, 3
	s_cbranch_scc0 .LBB77_1553
; %bb.1550:
	global_load_dwordx2 v[13:14], v[8:9], off
	s_mov_b32 s1, 0
	s_waitcnt vmcnt(0)
	v_xor_b32_e32 v15, v13, v14
	v_ffbh_i32_e32 v16, v14
	v_ashrrev_i32_e32 v15, 31, v15
	v_add_nc_u32_e32 v16, -1, v16
	v_add_nc_u32_e32 v15, 32, v15
	v_min_u32_e32 v15, v16, v15
	v_lshlrev_b64 v[13:14], v15, v[13:14]
	v_min_u32_e32 v13, 1, v13
	v_or_b32_e32 v13, v14, v13
	v_sub_nc_u32_e32 v14, 32, v15
	v_cvt_f32_i32_e32 v13, v13
	v_ldexp_f32 v13, v13, v14
	v_bfe_u32 v14, v13, 16, 1
	v_add3_u32 v13, v13, v14, 0x7fff
	v_lshrrev_b32_e32 v13, 16, v13
	s_branch .LBB77_1554
.LBB77_1551:
	s_mov_b32 s1, -1
                                        ; implicit-def: $vgpr13
	s_branch .LBB77_1560
.LBB77_1552:
	s_mov_b32 s1, -1
                                        ; implicit-def: $vgpr13
	s_branch .LBB77_1557
.LBB77_1553:
	s_mov_b32 s1, -1
                                        ; implicit-def: $vgpr13
.LBB77_1554:
	s_andn2_b32 vcc_lo, exec_lo, s1
	s_cbranch_vccnz .LBB77_1556
; %bb.1555:
	global_load_dword v13, v[8:9], off
	s_waitcnt vmcnt(0)
	v_cvt_f32_i32_e32 v13, v13
	v_bfe_u32 v14, v13, 16, 1
	v_add3_u32 v13, v13, v14, 0x7fff
	v_lshrrev_b32_e32 v13, 16, v13
.LBB77_1556:
	s_mov_b32 s1, 0
.LBB77_1557:
	s_andn2_b32 vcc_lo, exec_lo, s1
	s_cbranch_vccnz .LBB77_1559
; %bb.1558:
	global_load_sshort v13, v[8:9], off
	s_waitcnt vmcnt(0)
	v_cvt_f32_i32_e32 v13, v13
	v_bfe_u32 v14, v13, 16, 1
	v_add3_u32 v13, v13, v14, 0x7fff
	v_lshrrev_b32_e32 v13, 16, v13
.LBB77_1559:
	s_mov_b32 s1, 0
.LBB77_1560:
	s_andn2_b32 vcc_lo, exec_lo, s1
	s_cbranch_vccnz .LBB77_1566
; %bb.1561:
	s_cmp_gt_i32 s0, 0
	s_mov_b32 s0, 0
	s_cbranch_scc0 .LBB77_1563
; %bb.1562:
	global_load_sbyte v13, v[8:9], off
	s_waitcnt vmcnt(0)
	v_cvt_f32_i32_e32 v13, v13
	v_bfe_u32 v14, v13, 16, 1
	v_add3_u32 v13, v13, v14, 0x7fff
	v_lshrrev_b32_e32 v13, 16, v13
	s_branch .LBB77_1564
.LBB77_1563:
	s_mov_b32 s0, -1
                                        ; implicit-def: $vgpr13
.LBB77_1564:
	s_andn2_b32 vcc_lo, exec_lo, s0
	s_cbranch_vccnz .LBB77_1566
; %bb.1565:
	global_load_ubyte v8, v[8:9], off
	s_waitcnt vmcnt(0)
	v_cvt_f32_ubyte0_e32 v8, v8
	v_bfe_u32 v9, v8, 16, 1
	v_add3_u32 v8, v8, v9, 0x7fff
	v_lshrrev_b32_e32 v13, 16, v8
.LBB77_1566:
.LBB77_1567:
	s_waitcnt vmcnt(0)
	v_lshlrev_b32_e32 v9, 16, v13
	v_mov_b32_e32 v14, 0
	v_mov_b32_e32 v13, 1.0
	s_mov_b32 s3, exec_lo
	v_cmpx_gt_f32_e32 0.5, v9
	s_cbranch_execz .LBB77_1573
; %bb.1568:
	v_mul_f32_e32 v8, 0x40490fdb, v9
                                        ; implicit-def: $vgpr15
                                        ; implicit-def: $vgpr14
	s_mov_b32 s1, exec_lo
	v_and_b32_e32 v13, 0x7fffffff, v8
	v_cmpx_ngt_f32_e64 0x48000000, |v8|
	s_xor_b32 s6, exec_lo, s1
	s_cbranch_execz .LBB77_1570
; %bb.1569:
	s_mov_b32 s0, 0x7fffff
	v_mov_b32_e32 v16, 0
	v_and_or_b32 v23, v13, s0, 0x800000
	v_lshrrev_b32_e32 v21, 23, v13
	v_mad_u64_u32 v[14:15], null, 0xfe5163ab, v23, 0
	v_add_nc_u32_e32 v22, 0xffffff88, v21
	v_cmp_lt_u32_e32 vcc_lo, 63, v22
	v_mad_u64_u32 v[17:18], null, 0x3c439041, v23, v[15:16]
	v_cndmask_b32_e64 v24, 0, 0xffffffc0, vcc_lo
	v_mov_b32_e32 v15, v18
	v_add_nc_u32_e32 v24, v24, v22
	v_mad_u64_u32 v[18:19], null, 0xdb629599, v23, v[15:16]
	v_cmp_lt_u32_e64 s0, 31, v24
	v_cndmask_b32_e64 v25, 0, 0xffffffe0, s0
	v_mov_b32_e32 v15, v19
	v_cndmask_b32_e32 v14, v18, v14, vcc_lo
	v_mad_u64_u32 v[19:20], null, 0xf534ddc0, v23, v[15:16]
	v_mov_b32_e32 v15, v20
	v_cndmask_b32_e32 v17, v19, v17, vcc_lo
	v_mad_u64_u32 v[20:21], null, 0xfc2757d1, v23, v[15:16]
	v_cndmask_b32_e64 v14, v17, v14, s0
	v_mov_b32_e32 v15, v21
	v_mad_u64_u32 v[21:22], null, 0x4e441529, v23, v[15:16]
	v_mov_b32_e32 v15, v22
	v_add_nc_u32_e32 v22, v25, v24
	v_cndmask_b32_e32 v24, v21, v19, vcc_lo
	v_mad_u64_u32 v[15:16], null, 0xa2f9836e, v23, v[15:16]
	v_cmp_lt_u32_e64 s1, 31, v22
	v_cndmask_b32_e64 v23, 0, 0xffffffe0, s1
	v_cndmask_b32_e32 v15, v15, v20, vcc_lo
	v_cndmask_b32_e32 v16, v16, v21, vcc_lo
	;; [unrolled: 1-line block ×3, first 2 shown]
	v_add_nc_u32_e32 v21, v23, v22
	v_cndmask_b32_e64 v19, v15, v24, s0
	v_cndmask_b32_e64 v15, v16, v15, s0
	;; [unrolled: 1-line block ×4, first 2 shown]
	v_sub_nc_u32_e32 v22, 32, v21
	v_cmp_eq_u32_e32 vcc_lo, 0, v21
	v_cndmask_b32_e64 v15, v15, v19, s1
	v_cndmask_b32_e64 v19, v19, v16, s1
	;; [unrolled: 1-line block ×4, first 2 shown]
	v_alignbit_b32 v23, v15, v19, v22
	v_alignbit_b32 v18, v19, v16, v22
	;; [unrolled: 1-line block ×3, first 2 shown]
	v_cndmask_b32_e32 v15, v23, v15, vcc_lo
	v_cndmask_b32_e32 v17, v18, v19, vcc_lo
	;; [unrolled: 1-line block ×3, first 2 shown]
	v_bfe_u32 v18, v15, 29, 1
	v_alignbit_b32 v19, v15, v17, 30
	v_alignbit_b32 v17, v17, v16, 30
	;; [unrolled: 1-line block ×3, first 2 shown]
	v_sub_nc_u32_e32 v20, 0, v18
	v_xor_b32_e32 v19, v19, v20
	v_xor_b32_e32 v16, v17, v20
	;; [unrolled: 1-line block ×3, first 2 shown]
	v_lshrrev_b32_e32 v20, 29, v15
	v_lshrrev_b32_e32 v15, 30, v15
	v_ffbh_u32_e32 v21, v19
	v_add_nc_u32_e32 v15, v18, v15
	v_min_u32_e32 v21, 32, v21
	v_sub_nc_u32_e32 v17, 31, v21
	v_lshlrev_b32_e32 v22, 23, v21
	v_alignbit_b32 v19, v19, v16, v17
	v_alignbit_b32 v14, v16, v14, v17
	v_lshlrev_b32_e32 v16, 31, v20
	v_alignbit_b32 v17, v19, v14, 9
	v_or_b32_e32 v20, 0.5, v16
	v_lshrrev_b32_e32 v19, 9, v19
	v_or_b32_e32 v16, 0x33000000, v16
	v_ffbh_u32_e32 v23, v17
	v_sub_nc_u32_e32 v20, v20, v22
	v_min_u32_e32 v22, 32, v23
	v_or_b32_e32 v19, v19, v20
	v_not_b32_e32 v20, v22
	v_mul_f32_e32 v23, 0x3fc90fda, v19
	v_add_lshl_u32 v21, v22, v21, 23
	v_alignbit_b32 v14, v17, v14, v20
	v_fma_f32 v17, 0x3fc90fda, v19, -v23
	v_sub_nc_u32_e32 v16, v16, v21
	v_lshrrev_b32_e32 v14, 9, v14
	v_fmamk_f32 v17, v19, 0x33a22168, v17
	v_or_b32_e32 v14, v16, v14
	v_fmac_f32_e32 v17, 0x3fc90fda, v14
	v_add_f32_e32 v14, v23, v17
.LBB77_1570:
	s_andn2_saveexec_b32 s0, s6
; %bb.1571:
	v_mul_f32_e64 v14, 0x3f22f983, |v8|
	v_rndne_f32_e32 v15, v14
	v_fma_f32 v14, 0xbfc90fda, v15, |v8|
	v_fmamk_f32 v14, v15, 0xb3a22168, v14
	v_fmamk_f32 v14, v15, 0xa7c234c4, v14
	v_cvt_i32_f32_e32 v15, v15
; %bb.1572:
	s_or_b32 exec_lo, exec_lo, s0
	v_mul_f32_e32 v16, v14, v14
	s_mov_b32 s0, 0xb94c1982
	s_mov_b32 s1, 0x37d75334
	v_and_b32_e32 v19, 1, v15
	v_lshlrev_b32_e32 v15, 30, v15
	v_fmaak_f32 v17, s0, v16, 0x3c0881c4
	v_fmaak_f32 v18, s1, v16, 0xbab64f3b
	v_xor_b32_e32 v13, v13, v8
	v_cmp_eq_u32_e32 vcc_lo, 0, v19
	v_and_b32_e32 v15, 0x80000000, v15
	v_fmaak_f32 v17, v16, v17, 0xbe2aaa9d
	v_fmaak_f32 v18, v16, v18, 0x3d2aabf7
	v_sub_f32_e32 v9, 1.0, v9
	v_mul_f32_e32 v17, v16, v17
	v_fmaak_f32 v18, v16, v18, 0xbf000004
	v_fmac_f32_e32 v14, v14, v17
	v_fma_f32 v16, v16, v18, 1.0
	v_cndmask_b32_e32 v14, v16, v14, vcc_lo
	v_cmp_class_f32_e64 vcc_lo, v8, 0x1f8
	v_xor3_b32 v13, v13, v15, v14
	v_cndmask_b32_e32 v8, 0x7fc00000, v13, vcc_lo
	v_mul_f32_e32 v8, v8, v8
	v_div_scale_f32 v13, null, v8, v8, 0xc11de9e7
	v_div_scale_f32 v16, vcc_lo, 0xc11de9e7, v8, 0xc11de9e7
	v_rcp_f32_e32 v14, v13
	v_fma_f32 v15, -v13, v14, 1.0
	v_fmac_f32_e32 v14, v15, v14
	v_mul_f32_e32 v15, v16, v14
	v_fma_f32 v17, -v13, v15, v16
	v_fmac_f32_e32 v15, v17, v14
	v_fma_f32 v13, -v13, v15, v16
	v_div_fmas_f32 v13, v13, v14, v15
	v_div_fixup_f32 v8, v13, v8, 0xc11de9e7
	v_mov_b32_e32 v13, -1.0
	v_add_f32_e32 v14, 0, v8
.LBB77_1573:
	s_or_b32 exec_lo, exec_lo, s3
	v_add_co_u32 v7, s0, s10, v7
	v_add_co_ci_u32_e64 v8, null, s11, 0, s0
	s_cmp_lt_i32 s2, 11
	s_cbranch_scc1 .LBB77_1580
; %bb.1574:
	s_and_b32 s0, 0xffff, s2
	s_mov_b32 s3, 0
	s_cmp_gt_i32 s0, 25
	s_cbranch_scc0 .LBB77_1581
; %bb.1575:
	s_cmp_gt_i32 s0, 28
	s_cbranch_scc0 .LBB77_1582
; %bb.1576:
	;; [unrolled: 3-line block ×4, first 2 shown]
	s_cmp_eq_u32 s0, 46
	s_mov_b32 s7, 0
	s_cbranch_scc0 .LBB77_1586
; %bb.1579:
	global_load_dword v15, v[7:8], off
	s_mov_b32 s1, 0
	s_mov_b32 s6, -1
	s_branch .LBB77_1588
.LBB77_1580:
	s_mov_b32 s0, -1
	s_mov_b32 s6, 0
                                        ; implicit-def: $vgpr15
	s_branch .LBB77_1654
.LBB77_1581:
	s_mov_b32 s7, -1
	s_mov_b32 s6, 0
	s_mov_b32 s1, 0
                                        ; implicit-def: $vgpr15
	s_branch .LBB77_1617
.LBB77_1582:
	s_mov_b32 s7, -1
	s_mov_b32 s6, 0
	s_mov_b32 s1, 0
                                        ; implicit-def: $vgpr15
	s_branch .LBB77_1598
.LBB77_1583:
	s_mov_b32 s7, -1
	s_mov_b32 s6, 0
	s_mov_b32 s1, 0
                                        ; implicit-def: $vgpr15
	s_branch .LBB77_1593
.LBB77_1584:
	s_or_b32 s4, s4, exec_lo
	s_trap 2
	s_cbranch_execz .LBB77_1517
	s_branch .LBB77_1518
.LBB77_1585:
	s_mov_b32 s7, -1
	s_mov_b32 s6, 0
	s_mov_b32 s1, 0
	s_branch .LBB77_1587
.LBB77_1586:
	s_mov_b32 s1, -1
	s_mov_b32 s6, 0
.LBB77_1587:
                                        ; implicit-def: $vgpr15
.LBB77_1588:
	s_and_b32 vcc_lo, exec_lo, s7
	s_cbranch_vccz .LBB77_1592
; %bb.1589:
	s_cmp_eq_u32 s0, 44
	s_cbranch_scc0 .LBB77_1591
; %bb.1590:
	global_load_ubyte v15, v[7:8], off
	s_mov_b32 s1, 0
	s_mov_b32 s6, -1
	s_waitcnt vmcnt(0)
	v_lshlrev_b32_e32 v16, 23, v15
	v_cmp_ne_u32_e32 vcc_lo, 0xff, v15
	v_cndmask_b32_e32 v16, 0x7f800001, v16, vcc_lo
	v_cmp_ne_u32_e32 vcc_lo, 0, v15
	v_cndmask_b32_e32 v15, 0x400000, v16, vcc_lo
	v_mov_b32_e32 v16, 0x7fc0
	v_cmp_o_f32_e32 vcc_lo, v15, v15
	v_add_nc_u32_e32 v15, 0x7fff, v15
	v_cndmask_b32_sdwa v15, v16, v15, vcc_lo dst_sel:DWORD dst_unused:UNUSED_PAD src0_sel:DWORD src1_sel:WORD_1
	s_branch .LBB77_1592
.LBB77_1591:
	s_mov_b32 s1, -1
                                        ; implicit-def: $vgpr15
.LBB77_1592:
	s_mov_b32 s7, 0
.LBB77_1593:
	s_and_b32 vcc_lo, exec_lo, s7
	s_cbranch_vccz .LBB77_1597
; %bb.1594:
	s_cmp_eq_u32 s0, 29
	s_cbranch_scc0 .LBB77_1596
; %bb.1595:
	global_load_dwordx2 v[15:16], v[7:8], off
	s_mov_b32 s1, 0
	s_mov_b32 s6, -1
	s_mov_b32 s7, 0
	s_waitcnt vmcnt(0)
	v_ffbh_u32_e32 v17, v16
	v_min_u32_e32 v17, 32, v17
	v_lshlrev_b64 v[15:16], v17, v[15:16]
	v_min_u32_e32 v15, 1, v15
	v_or_b32_e32 v15, v16, v15
	v_sub_nc_u32_e32 v16, 32, v17
	v_cvt_f32_u32_e32 v15, v15
	v_ldexp_f32 v15, v15, v16
	v_bfe_u32 v16, v15, 16, 1
	v_add3_u32 v15, v15, v16, 0x7fff
	v_lshrrev_b32_e32 v15, 16, v15
	s_branch .LBB77_1598
.LBB77_1596:
	s_mov_b32 s1, -1
                                        ; implicit-def: $vgpr15
.LBB77_1597:
	s_mov_b32 s7, 0
.LBB77_1598:
	s_and_b32 vcc_lo, exec_lo, s7
	s_cbranch_vccz .LBB77_1616
; %bb.1599:
	s_cmp_lt_i32 s0, 27
	s_cbranch_scc1 .LBB77_1602
; %bb.1600:
	s_cmp_gt_i32 s0, 27
	s_cbranch_scc0 .LBB77_1603
; %bb.1601:
	global_load_dword v15, v[7:8], off
	s_mov_b32 s6, 0
	s_waitcnt vmcnt(0)
	v_cvt_f32_u32_e32 v15, v15
	v_bfe_u32 v16, v15, 16, 1
	v_add3_u32 v15, v15, v16, 0x7fff
	v_lshrrev_b32_e32 v15, 16, v15
	s_branch .LBB77_1604
.LBB77_1602:
	s_mov_b32 s6, -1
                                        ; implicit-def: $vgpr15
	s_branch .LBB77_1607
.LBB77_1603:
	s_mov_b32 s6, -1
                                        ; implicit-def: $vgpr15
.LBB77_1604:
	s_andn2_b32 vcc_lo, exec_lo, s6
	s_cbranch_vccnz .LBB77_1606
; %bb.1605:
	global_load_ushort v15, v[7:8], off
	s_waitcnt vmcnt(0)
	v_cvt_f32_u32_e32 v15, v15
	v_bfe_u32 v16, v15, 16, 1
	v_add3_u32 v15, v15, v16, 0x7fff
	v_lshrrev_b32_e32 v15, 16, v15
.LBB77_1606:
	s_mov_b32 s6, 0
.LBB77_1607:
	s_andn2_b32 vcc_lo, exec_lo, s6
	s_cbranch_vccnz .LBB77_1615
; %bb.1608:
	global_load_ubyte v15, v[7:8], off
	s_mov_b32 s6, 0
	s_mov_b32 s7, exec_lo
	s_waitcnt vmcnt(0)
	v_cmpx_lt_i16_e32 0x7f, v15
	s_xor_b32 s7, exec_lo, s7
	s_cbranch_execz .LBB77_1629
; %bb.1609:
	s_mov_b32 s6, -1
	s_mov_b32 s10, exec_lo
	v_cmpx_eq_u16_e32 0x80, v15
; %bb.1610:
	s_xor_b32 s6, exec_lo, -1
; %bb.1611:
	s_or_b32 exec_lo, exec_lo, s10
	s_and_b32 s6, s6, exec_lo
	s_or_saveexec_b32 s7, s7
	v_mov_b32_e32 v16, 0x7f800001
	s_xor_b32 exec_lo, exec_lo, s7
	s_cbranch_execnz .LBB77_1630
.LBB77_1612:
	s_or_b32 exec_lo, exec_lo, s7
	s_and_saveexec_b32 s7, s6
	s_cbranch_execz .LBB77_1614
.LBB77_1613:
	v_and_b32_e32 v16, 0xffff, v15
	v_lshlrev_b32_e32 v15, 24, v15
	v_and_b32_e32 v17, 7, v16
	v_bfe_u32 v20, v16, 3, 4
	v_and_b32_e32 v15, 0x80000000, v15
	v_ffbh_u32_e32 v18, v17
	v_cmp_eq_u32_e32 vcc_lo, 0, v20
	v_min_u32_e32 v18, 32, v18
	v_subrev_nc_u32_e32 v19, 28, v18
	v_sub_nc_u32_e32 v18, 29, v18
	v_lshlrev_b32_e32 v16, v19, v16
	v_cndmask_b32_e32 v18, v20, v18, vcc_lo
	v_and_b32_e32 v16, 7, v16
	v_cndmask_b32_e32 v16, v17, v16, vcc_lo
	v_lshl_add_u32 v17, v18, 23, 0x3b800000
	v_lshlrev_b32_e32 v16, 20, v16
	v_or3_b32 v16, v15, v17, v16
.LBB77_1614:
	s_or_b32 exec_lo, exec_lo, s7
	v_bfe_u32 v15, v16, 16, 1
	v_cmp_o_f32_e32 vcc_lo, v16, v16
	v_add3_u32 v15, v16, v15, 0x7fff
	v_mov_b32_e32 v16, 0x7fc0
	v_cndmask_b32_sdwa v15, v16, v15, vcc_lo dst_sel:DWORD dst_unused:UNUSED_PAD src0_sel:DWORD src1_sel:WORD_1
.LBB77_1615:
	s_mov_b32 s6, -1
.LBB77_1616:
	s_mov_b32 s7, 0
.LBB77_1617:
	s_and_b32 vcc_lo, exec_lo, s7
	s_cbranch_vccz .LBB77_1650
; %bb.1618:
	s_cmp_gt_i32 s0, 22
	s_cbranch_scc0 .LBB77_1628
; %bb.1619:
	s_cmp_lt_i32 s0, 24
	s_cbranch_scc1 .LBB77_1631
; %bb.1620:
	s_cmp_gt_i32 s0, 24
	s_cbranch_scc0 .LBB77_1632
; %bb.1621:
	global_load_ubyte v15, v[7:8], off
	s_mov_b32 s6, exec_lo
	s_waitcnt vmcnt(0)
	v_cmpx_lt_i16_e32 0x7f, v15
	s_xor_b32 s6, exec_lo, s6
	s_cbranch_execz .LBB77_1644
; %bb.1622:
	s_mov_b32 s3, -1
	s_mov_b32 s7, exec_lo
	v_cmpx_eq_u16_e32 0x80, v15
; %bb.1623:
	s_xor_b32 s3, exec_lo, -1
; %bb.1624:
	s_or_b32 exec_lo, exec_lo, s7
	s_and_b32 s3, s3, exec_lo
	s_or_saveexec_b32 s6, s6
	v_mov_b32_e32 v16, 0x7f800001
	s_xor_b32 exec_lo, exec_lo, s6
	s_cbranch_execnz .LBB77_1645
.LBB77_1625:
	s_or_b32 exec_lo, exec_lo, s6
	s_and_saveexec_b32 s6, s3
	s_cbranch_execz .LBB77_1627
.LBB77_1626:
	v_and_b32_e32 v16, 0xffff, v15
	v_lshlrev_b32_e32 v15, 24, v15
	v_and_b32_e32 v17, 3, v16
	v_bfe_u32 v20, v16, 2, 5
	v_and_b32_e32 v15, 0x80000000, v15
	v_ffbh_u32_e32 v18, v17
	v_cmp_eq_u32_e32 vcc_lo, 0, v20
	v_min_u32_e32 v18, 32, v18
	v_subrev_nc_u32_e32 v19, 29, v18
	v_sub_nc_u32_e32 v18, 30, v18
	v_lshlrev_b32_e32 v16, v19, v16
	v_cndmask_b32_e32 v18, v20, v18, vcc_lo
	v_and_b32_e32 v16, 3, v16
	v_cndmask_b32_e32 v16, v17, v16, vcc_lo
	v_lshl_add_u32 v17, v18, 23, 0x37800000
	v_lshlrev_b32_e32 v16, 21, v16
	v_or3_b32 v16, v15, v17, v16
.LBB77_1627:
	s_or_b32 exec_lo, exec_lo, s6
	v_bfe_u32 v15, v16, 16, 1
	v_cmp_o_f32_e32 vcc_lo, v16, v16
	s_mov_b32 s3, 0
	v_add3_u32 v15, v16, v15, 0x7fff
	v_mov_b32_e32 v16, 0x7fc0
	v_cndmask_b32_sdwa v15, v16, v15, vcc_lo dst_sel:DWORD dst_unused:UNUSED_PAD src0_sel:DWORD src1_sel:WORD_1
	s_branch .LBB77_1633
.LBB77_1628:
	s_mov_b32 s3, -1
                                        ; implicit-def: $vgpr15
	s_branch .LBB77_1639
.LBB77_1629:
	s_or_saveexec_b32 s7, s7
	v_mov_b32_e32 v16, 0x7f800001
	s_xor_b32 exec_lo, exec_lo, s7
	s_cbranch_execz .LBB77_1612
.LBB77_1630:
	v_cmp_ne_u16_e32 vcc_lo, 0, v15
	v_mov_b32_e32 v16, 0
	s_andn2_b32 s6, s6, exec_lo
	s_and_b32 s10, vcc_lo, exec_lo
	s_or_b32 s6, s6, s10
	s_or_b32 exec_lo, exec_lo, s7
	s_and_saveexec_b32 s7, s6
	s_cbranch_execnz .LBB77_1613
	s_branch .LBB77_1614
.LBB77_1631:
	s_mov_b32 s3, -1
                                        ; implicit-def: $vgpr15
	s_branch .LBB77_1636
.LBB77_1632:
	s_mov_b32 s3, -1
                                        ; implicit-def: $vgpr15
.LBB77_1633:
	s_and_b32 vcc_lo, exec_lo, s3
	s_cbranch_vccz .LBB77_1635
; %bb.1634:
	global_load_ubyte v15, v[7:8], off
	s_waitcnt vmcnt(0)
	v_lshlrev_b32_e32 v15, 24, v15
	v_and_b32_e32 v16, 0x7f000000, v15
	v_ffbh_u32_e32 v17, v16
	v_add_nc_u32_e32 v19, 0x1000000, v16
	v_cmp_ne_u32_e32 vcc_lo, 0, v16
	v_min_u32_e32 v17, 32, v17
	v_sub_nc_u32_e64 v17, v17, 4 clamp
	v_lshlrev_b32_e32 v18, v17, v16
	v_lshlrev_b32_e32 v17, 23, v17
	v_lshrrev_b32_e32 v18, 4, v18
	v_sub_nc_u32_e32 v17, v18, v17
	v_ashrrev_i32_e32 v18, 8, v19
	v_add_nc_u32_e32 v17, 0x3c000000, v17
	v_and_or_b32 v17, 0x7f800000, v18, v17
	v_cndmask_b32_e32 v16, 0, v17, vcc_lo
	v_and_or_b32 v15, 0x80000000, v15, v16
	v_bfe_u32 v16, v16, 16, 1
	v_cmp_o_f32_e32 vcc_lo, v15, v15
	v_add3_u32 v15, v15, v16, 0x7fff
	v_mov_b32_e32 v16, 0x7fc0
	v_cndmask_b32_sdwa v15, v16, v15, vcc_lo dst_sel:DWORD dst_unused:UNUSED_PAD src0_sel:DWORD src1_sel:WORD_1
.LBB77_1635:
	s_mov_b32 s3, 0
.LBB77_1636:
	s_andn2_b32 vcc_lo, exec_lo, s3
	s_cbranch_vccnz .LBB77_1638
; %bb.1637:
	global_load_ubyte v15, v[7:8], off
	s_waitcnt vmcnt(0)
	v_lshlrev_b32_e32 v16, 25, v15
	v_lshlrev_b16 v15, 8, v15
	v_lshrrev_b32_e32 v17, 4, v16
	v_and_or_b32 v18, 0x7f00, v15, 0.5
	v_cmp_gt_u32_e32 vcc_lo, 0x8000000, v16
	v_bfe_i32 v15, v15, 0, 16
	v_or_b32_e32 v17, 0x70000000, v17
	v_add_f32_e32 v18, -0.5, v18
	v_mul_f32_e32 v17, 0x7800000, v17
	v_cndmask_b32_e32 v16, v17, v18, vcc_lo
	v_and_or_b32 v15, 0x80000000, v15, v16
	v_bfe_u32 v16, v16, 16, 1
	v_cmp_o_f32_e32 vcc_lo, v15, v15
	v_add3_u32 v15, v15, v16, 0x7fff
	v_mov_b32_e32 v16, 0x7fc0
	v_cndmask_b32_sdwa v15, v16, v15, vcc_lo dst_sel:DWORD dst_unused:UNUSED_PAD src0_sel:DWORD src1_sel:WORD_1
.LBB77_1638:
	s_mov_b32 s3, 0
	s_mov_b32 s6, -1
.LBB77_1639:
	s_andn2_b32 vcc_lo, exec_lo, s3
	s_mov_b32 s3, 0
	s_cbranch_vccnz .LBB77_1650
; %bb.1640:
	s_cmp_gt_i32 s0, 14
	s_cbranch_scc0 .LBB77_1643
; %bb.1641:
	s_cmp_eq_u32 s0, 15
	s_cbranch_scc0 .LBB77_1646
; %bb.1642:
	global_load_ushort v15, v[7:8], off
	s_mov_b32 s1, 0
	s_mov_b32 s6, -1
	s_branch .LBB77_1648
.LBB77_1643:
	s_mov_b32 s3, -1
	s_branch .LBB77_1647
.LBB77_1644:
	s_or_saveexec_b32 s6, s6
	v_mov_b32_e32 v16, 0x7f800001
	s_xor_b32 exec_lo, exec_lo, s6
	s_cbranch_execz .LBB77_1625
.LBB77_1645:
	v_cmp_ne_u16_e32 vcc_lo, 0, v15
	v_mov_b32_e32 v16, 0
	s_andn2_b32 s3, s3, exec_lo
	s_and_b32 s7, vcc_lo, exec_lo
	s_or_b32 s3, s3, s7
	s_or_b32 exec_lo, exec_lo, s6
	s_and_saveexec_b32 s6, s3
	s_cbranch_execnz .LBB77_1626
	s_branch .LBB77_1627
.LBB77_1646:
	s_mov_b32 s1, -1
.LBB77_1647:
                                        ; implicit-def: $vgpr15
.LBB77_1648:
	s_and_b32 vcc_lo, exec_lo, s3
	s_mov_b32 s3, 0
	s_cbranch_vccz .LBB77_1650
; %bb.1649:
	s_cmp_lg_u32 s0, 11
	s_mov_b32 s3, -1
	s_cselect_b32 s1, -1, 0
.LBB77_1650:
	s_and_b32 vcc_lo, exec_lo, s1
	s_cbranch_vccnz .LBB77_2189
; %bb.1651:
	s_andn2_b32 vcc_lo, exec_lo, s3
	s_cbranch_vccnz .LBB77_1653
.LBB77_1652:
	global_load_ubyte v15, v[7:8], off
	s_mov_b32 s6, -1
	s_waitcnt vmcnt(0)
	v_cmp_ne_u16_e32 vcc_lo, 0, v15
	v_cndmask_b32_e64 v15, 0, 1.0, vcc_lo
	v_lshrrev_b32_e32 v15, 16, v15
.LBB77_1653:
	s_mov_b32 s0, 0
.LBB77_1654:
	s_and_b32 vcc_lo, exec_lo, s0
	s_cbranch_vccz .LBB77_1703
; %bb.1655:
	s_and_b32 s0, 0xffff, s2
	s_cmp_lt_i32 s0, 5
	s_cbranch_scc1 .LBB77_1660
; %bb.1656:
	s_cmp_lt_i32 s0, 8
	s_cbranch_scc1 .LBB77_1661
; %bb.1657:
	;; [unrolled: 3-line block ×3, first 2 shown]
	s_cmp_gt_i32 s0, 9
	s_cbranch_scc0 .LBB77_1663
; %bb.1659:
	global_load_dwordx2 v[15:16], v[7:8], off
	s_mov_b32 s1, 0
	s_waitcnt vmcnt(0)
	v_cvt_f32_f64_e32 v15, v[15:16]
	v_bfe_u32 v16, v15, 16, 1
	v_cmp_o_f32_e32 vcc_lo, v15, v15
	v_add3_u32 v15, v15, v16, 0x7fff
	v_mov_b32_e32 v16, 0x7fc0
	v_cndmask_b32_sdwa v15, v16, v15, vcc_lo dst_sel:DWORD dst_unused:UNUSED_PAD src0_sel:DWORD src1_sel:WORD_1
	s_branch .LBB77_1664
.LBB77_1660:
	s_mov_b32 s1, -1
                                        ; implicit-def: $vgpr15
	s_branch .LBB77_1682
.LBB77_1661:
	s_mov_b32 s1, -1
                                        ; implicit-def: $vgpr15
	s_branch .LBB77_1670
.LBB77_1662:
	s_mov_b32 s1, -1
                                        ; implicit-def: $vgpr15
	s_branch .LBB77_1667
.LBB77_1663:
	s_mov_b32 s1, -1
                                        ; implicit-def: $vgpr15
.LBB77_1664:
	s_andn2_b32 vcc_lo, exec_lo, s1
	s_cbranch_vccnz .LBB77_1666
; %bb.1665:
	global_load_dword v15, v[7:8], off
	s_waitcnt vmcnt(0)
	v_bfe_u32 v16, v15, 16, 1
	v_cmp_o_f32_e32 vcc_lo, v15, v15
	v_add3_u32 v15, v15, v16, 0x7fff
	v_mov_b32_e32 v16, 0x7fc0
	v_cndmask_b32_sdwa v15, v16, v15, vcc_lo dst_sel:DWORD dst_unused:UNUSED_PAD src0_sel:DWORD src1_sel:WORD_1
.LBB77_1666:
	s_mov_b32 s1, 0
.LBB77_1667:
	s_andn2_b32 vcc_lo, exec_lo, s1
	s_cbranch_vccnz .LBB77_1669
; %bb.1668:
	global_load_dword v15, v[7:8], off
	s_waitcnt vmcnt(0)
	v_cvt_f32_f16_e32 v16, v15
	v_cmp_o_f16_e32 vcc_lo, v15, v15
	v_bfe_u32 v17, v16, 16, 1
	v_add3_u32 v15, v16, v17, 0x7fff
	v_mov_b32_e32 v16, 0x7fc0
	v_cndmask_b32_sdwa v15, v16, v15, vcc_lo dst_sel:DWORD dst_unused:UNUSED_PAD src0_sel:DWORD src1_sel:WORD_1
.LBB77_1669:
	s_mov_b32 s1, 0
.LBB77_1670:
	s_andn2_b32 vcc_lo, exec_lo, s1
	s_cbranch_vccnz .LBB77_1681
; %bb.1671:
	s_cmp_lt_i32 s0, 6
	s_cbranch_scc1 .LBB77_1674
; %bb.1672:
	s_cmp_gt_i32 s0, 6
	s_cbranch_scc0 .LBB77_1675
; %bb.1673:
	global_load_dwordx2 v[15:16], v[7:8], off
	s_mov_b32 s1, 0
	s_waitcnt vmcnt(0)
	v_cvt_f32_f64_e32 v15, v[15:16]
	v_bfe_u32 v16, v15, 16, 1
	v_cmp_o_f32_e32 vcc_lo, v15, v15
	v_add3_u32 v15, v15, v16, 0x7fff
	v_mov_b32_e32 v16, 0x7fc0
	v_cndmask_b32_sdwa v15, v16, v15, vcc_lo dst_sel:DWORD dst_unused:UNUSED_PAD src0_sel:DWORD src1_sel:WORD_1
	s_branch .LBB77_1676
.LBB77_1674:
	s_mov_b32 s1, -1
                                        ; implicit-def: $vgpr15
	s_branch .LBB77_1679
.LBB77_1675:
	s_mov_b32 s1, -1
                                        ; implicit-def: $vgpr15
.LBB77_1676:
	s_andn2_b32 vcc_lo, exec_lo, s1
	s_cbranch_vccnz .LBB77_1678
; %bb.1677:
	global_load_dword v15, v[7:8], off
	s_waitcnt vmcnt(0)
	v_bfe_u32 v16, v15, 16, 1
	v_cmp_o_f32_e32 vcc_lo, v15, v15
	v_add3_u32 v15, v15, v16, 0x7fff
	v_mov_b32_e32 v16, 0x7fc0
	v_cndmask_b32_sdwa v15, v16, v15, vcc_lo dst_sel:DWORD dst_unused:UNUSED_PAD src0_sel:DWORD src1_sel:WORD_1
.LBB77_1678:
	s_mov_b32 s1, 0
.LBB77_1679:
	s_andn2_b32 vcc_lo, exec_lo, s1
	s_cbranch_vccnz .LBB77_1681
; %bb.1680:
	global_load_ushort v15, v[7:8], off
	s_waitcnt vmcnt(0)
	v_cvt_f32_f16_e32 v16, v15
	v_cmp_o_f16_e32 vcc_lo, v15, v15
	v_bfe_u32 v17, v16, 16, 1
	v_add3_u32 v15, v16, v17, 0x7fff
	v_mov_b32_e32 v16, 0x7fc0
	v_cndmask_b32_sdwa v15, v16, v15, vcc_lo dst_sel:DWORD dst_unused:UNUSED_PAD src0_sel:DWORD src1_sel:WORD_1
.LBB77_1681:
	s_mov_b32 s1, 0
.LBB77_1682:
	s_andn2_b32 vcc_lo, exec_lo, s1
	s_cbranch_vccnz .LBB77_1702
; %bb.1683:
	s_cmp_lt_i32 s0, 2
	s_cbranch_scc1 .LBB77_1687
; %bb.1684:
	s_cmp_lt_i32 s0, 3
	s_cbranch_scc1 .LBB77_1688
; %bb.1685:
	s_cmp_gt_i32 s0, 3
	s_cbranch_scc0 .LBB77_1689
; %bb.1686:
	global_load_dwordx2 v[15:16], v[7:8], off
	s_mov_b32 s1, 0
	s_waitcnt vmcnt(0)
	v_xor_b32_e32 v17, v15, v16
	v_ffbh_i32_e32 v18, v16
	v_ashrrev_i32_e32 v17, 31, v17
	v_add_nc_u32_e32 v18, -1, v18
	v_add_nc_u32_e32 v17, 32, v17
	v_min_u32_e32 v17, v18, v17
	v_lshlrev_b64 v[15:16], v17, v[15:16]
	v_min_u32_e32 v15, 1, v15
	v_or_b32_e32 v15, v16, v15
	v_sub_nc_u32_e32 v16, 32, v17
	v_cvt_f32_i32_e32 v15, v15
	v_ldexp_f32 v15, v15, v16
	v_bfe_u32 v16, v15, 16, 1
	v_add3_u32 v15, v15, v16, 0x7fff
	v_lshrrev_b32_e32 v15, 16, v15
	s_branch .LBB77_1690
.LBB77_1687:
	s_mov_b32 s1, -1
                                        ; implicit-def: $vgpr15
	s_branch .LBB77_1696
.LBB77_1688:
	s_mov_b32 s1, -1
                                        ; implicit-def: $vgpr15
	s_branch .LBB77_1693
.LBB77_1689:
	s_mov_b32 s1, -1
                                        ; implicit-def: $vgpr15
.LBB77_1690:
	s_andn2_b32 vcc_lo, exec_lo, s1
	s_cbranch_vccnz .LBB77_1692
; %bb.1691:
	global_load_dword v15, v[7:8], off
	s_waitcnt vmcnt(0)
	v_cvt_f32_i32_e32 v15, v15
	v_bfe_u32 v16, v15, 16, 1
	v_add3_u32 v15, v15, v16, 0x7fff
	v_lshrrev_b32_e32 v15, 16, v15
.LBB77_1692:
	s_mov_b32 s1, 0
.LBB77_1693:
	s_andn2_b32 vcc_lo, exec_lo, s1
	s_cbranch_vccnz .LBB77_1695
; %bb.1694:
	global_load_sshort v15, v[7:8], off
	s_waitcnt vmcnt(0)
	v_cvt_f32_i32_e32 v15, v15
	v_bfe_u32 v16, v15, 16, 1
	v_add3_u32 v15, v15, v16, 0x7fff
	v_lshrrev_b32_e32 v15, 16, v15
.LBB77_1695:
	s_mov_b32 s1, 0
.LBB77_1696:
	s_andn2_b32 vcc_lo, exec_lo, s1
	s_cbranch_vccnz .LBB77_1702
; %bb.1697:
	s_cmp_gt_i32 s0, 0
	s_mov_b32 s0, 0
	s_cbranch_scc0 .LBB77_1699
; %bb.1698:
	global_load_sbyte v15, v[7:8], off
	s_waitcnt vmcnt(0)
	v_cvt_f32_i32_e32 v15, v15
	v_bfe_u32 v16, v15, 16, 1
	v_add3_u32 v15, v15, v16, 0x7fff
	v_lshrrev_b32_e32 v15, 16, v15
	s_branch .LBB77_1700
.LBB77_1699:
	s_mov_b32 s0, -1
                                        ; implicit-def: $vgpr15
.LBB77_1700:
	s_andn2_b32 vcc_lo, exec_lo, s0
	s_cbranch_vccnz .LBB77_1702
; %bb.1701:
	global_load_ubyte v7, v[7:8], off
	s_waitcnt vmcnt(0)
	v_cvt_f32_ubyte0_e32 v7, v7
	v_bfe_u32 v8, v7, 16, 1
	v_add3_u32 v7, v7, v8, 0x7fff
	v_lshrrev_b32_e32 v15, 16, v7
.LBB77_1702:
	s_mov_b32 s6, -1
.LBB77_1703:
	s_andn2_b32 vcc_lo, exec_lo, s6
	s_cbranch_vccnz .LBB77_2143
; %bb.1704:
	s_waitcnt vmcnt(0)
	v_lshlrev_b32_e32 v7, 16, v15
	v_mov_b32_e32 v15, 0
	v_mov_b32_e32 v8, 1.0
	s_mov_b32 s2, exec_lo
	v_cmpx_gt_f32_e32 0.5, v7
	s_cbranch_execz .LBB77_1710
; %bb.1705:
	v_mul_f32_e32 v8, 0x40490fdb, v7
                                        ; implicit-def: $vgpr17
                                        ; implicit-def: $vgpr16
	s_mov_b32 s1, exec_lo
	v_and_b32_e32 v15, 0x7fffffff, v8
	v_cmpx_ngt_f32_e64 0x48000000, |v8|
	s_xor_b32 s3, exec_lo, s1
	s_cbranch_execz .LBB77_1707
; %bb.1706:
	s_mov_b32 s0, 0x7fffff
	v_mov_b32_e32 v18, 0
	v_and_or_b32 v25, v15, s0, 0x800000
	v_lshrrev_b32_e32 v23, 23, v15
	v_mad_u64_u32 v[16:17], null, 0xfe5163ab, v25, 0
	v_add_nc_u32_e32 v24, 0xffffff88, v23
	v_cmp_lt_u32_e32 vcc_lo, 63, v24
	v_mad_u64_u32 v[19:20], null, 0x3c439041, v25, v[17:18]
	v_cndmask_b32_e64 v26, 0, 0xffffffc0, vcc_lo
	v_mov_b32_e32 v17, v20
	v_add_nc_u32_e32 v26, v26, v24
	v_mad_u64_u32 v[20:21], null, 0xdb629599, v25, v[17:18]
	v_cmp_lt_u32_e64 s0, 31, v26
	v_cndmask_b32_e64 v27, 0, 0xffffffe0, s0
	v_mov_b32_e32 v17, v21
	v_cndmask_b32_e32 v16, v20, v16, vcc_lo
	v_mad_u64_u32 v[21:22], null, 0xf534ddc0, v25, v[17:18]
	v_mov_b32_e32 v17, v22
	v_cndmask_b32_e32 v19, v21, v19, vcc_lo
	v_mad_u64_u32 v[22:23], null, 0xfc2757d1, v25, v[17:18]
	v_cndmask_b32_e64 v16, v19, v16, s0
	v_mov_b32_e32 v17, v23
	v_mad_u64_u32 v[23:24], null, 0x4e441529, v25, v[17:18]
	v_mov_b32_e32 v17, v24
	v_add_nc_u32_e32 v24, v27, v26
	v_cndmask_b32_e32 v26, v23, v21, vcc_lo
	v_mad_u64_u32 v[17:18], null, 0xa2f9836e, v25, v[17:18]
	v_cmp_lt_u32_e64 s1, 31, v24
	v_cndmask_b32_e64 v25, 0, 0xffffffe0, s1
	v_cndmask_b32_e32 v17, v17, v22, vcc_lo
	v_cndmask_b32_e32 v18, v18, v23, vcc_lo
	v_cndmask_b32_e32 v22, v22, v20, vcc_lo
	v_add_nc_u32_e32 v23, v25, v24
	v_cndmask_b32_e64 v21, v17, v26, s0
	v_cndmask_b32_e64 v17, v18, v17, s0
	;; [unrolled: 1-line block ×4, first 2 shown]
	v_sub_nc_u32_e32 v24, 32, v23
	v_cmp_eq_u32_e32 vcc_lo, 0, v23
	v_cndmask_b32_e64 v17, v17, v21, s1
	v_cndmask_b32_e64 v21, v21, v18, s1
	;; [unrolled: 1-line block ×4, first 2 shown]
	v_alignbit_b32 v25, v17, v21, v24
	v_alignbit_b32 v20, v21, v18, v24
	;; [unrolled: 1-line block ×3, first 2 shown]
	v_cndmask_b32_e32 v17, v25, v17, vcc_lo
	v_cndmask_b32_e32 v19, v20, v21, vcc_lo
	;; [unrolled: 1-line block ×3, first 2 shown]
	v_bfe_u32 v20, v17, 29, 1
	v_alignbit_b32 v21, v17, v19, 30
	v_alignbit_b32 v19, v19, v18, 30
	;; [unrolled: 1-line block ×3, first 2 shown]
	v_sub_nc_u32_e32 v22, 0, v20
	v_xor_b32_e32 v21, v21, v22
	v_xor_b32_e32 v18, v19, v22
	;; [unrolled: 1-line block ×3, first 2 shown]
	v_lshrrev_b32_e32 v22, 29, v17
	v_lshrrev_b32_e32 v17, 30, v17
	v_ffbh_u32_e32 v23, v21
	v_add_nc_u32_e32 v17, v20, v17
	v_min_u32_e32 v23, 32, v23
	v_sub_nc_u32_e32 v19, 31, v23
	v_lshlrev_b32_e32 v24, 23, v23
	v_alignbit_b32 v21, v21, v18, v19
	v_alignbit_b32 v16, v18, v16, v19
	v_lshlrev_b32_e32 v18, 31, v22
	v_alignbit_b32 v19, v21, v16, 9
	v_or_b32_e32 v22, 0.5, v18
	v_lshrrev_b32_e32 v21, 9, v21
	v_or_b32_e32 v18, 0x33000000, v18
	v_ffbh_u32_e32 v25, v19
	v_sub_nc_u32_e32 v22, v22, v24
	v_min_u32_e32 v24, 32, v25
	v_or_b32_e32 v21, v21, v22
	v_not_b32_e32 v22, v24
	v_mul_f32_e32 v25, 0x3fc90fda, v21
	v_add_lshl_u32 v23, v24, v23, 23
	v_alignbit_b32 v16, v19, v16, v22
	v_fma_f32 v19, 0x3fc90fda, v21, -v25
	v_sub_nc_u32_e32 v18, v18, v23
	v_lshrrev_b32_e32 v16, 9, v16
	v_fmamk_f32 v19, v21, 0x33a22168, v19
	v_or_b32_e32 v16, v18, v16
	v_fmac_f32_e32 v19, 0x3fc90fda, v16
	v_add_f32_e32 v16, v25, v19
.LBB77_1707:
	s_andn2_saveexec_b32 s0, s3
; %bb.1708:
	v_mul_f32_e64 v16, 0x3f22f983, |v8|
	v_rndne_f32_e32 v17, v16
	v_fma_f32 v16, 0xbfc90fda, v17, |v8|
	v_fmamk_f32 v16, v17, 0xb3a22168, v16
	v_fmamk_f32 v16, v17, 0xa7c234c4, v16
	v_cvt_i32_f32_e32 v17, v17
; %bb.1709:
	s_or_b32 exec_lo, exec_lo, s0
	v_mul_f32_e32 v18, v16, v16
	s_mov_b32 s0, 0xb94c1982
	s_mov_b32 s1, 0x37d75334
	v_and_b32_e32 v21, 1, v17
	v_lshlrev_b32_e32 v17, 30, v17
	v_fmaak_f32 v19, s0, v18, 0x3c0881c4
	v_fmaak_f32 v20, s1, v18, 0xbab64f3b
	v_xor_b32_e32 v15, v15, v8
	v_cmp_eq_u32_e32 vcc_lo, 0, v21
	v_and_b32_e32 v17, 0x80000000, v17
	v_fmaak_f32 v19, v18, v19, 0xbe2aaa9d
	v_fmaak_f32 v20, v18, v20, 0x3d2aabf7
	v_sub_f32_e32 v7, 1.0, v7
	v_mul_f32_e32 v19, v18, v19
	v_fmaak_f32 v20, v18, v20, 0xbf000004
	v_fmac_f32_e32 v16, v16, v19
	v_fma_f32 v18, v18, v20, 1.0
	v_cndmask_b32_e32 v16, v18, v16, vcc_lo
	v_cmp_class_f32_e64 vcc_lo, v8, 0x1f8
	v_xor3_b32 v15, v15, v17, v16
	v_cndmask_b32_e32 v8, 0x7fc00000, v15, vcc_lo
	v_mul_f32_e32 v8, v8, v8
	v_div_scale_f32 v15, null, v8, v8, 0xc11de9e7
	v_div_scale_f32 v18, vcc_lo, 0xc11de9e7, v8, 0xc11de9e7
	v_rcp_f32_e32 v16, v15
	v_fma_f32 v17, -v15, v16, 1.0
	v_fmac_f32_e32 v16, v17, v16
	v_mul_f32_e32 v17, v18, v16
	v_fma_f32 v19, -v15, v17, v18
	v_fmac_f32_e32 v17, v19, v16
	v_fma_f32 v15, -v15, v17, v18
	v_div_fmas_f32 v15, v15, v16, v17
	v_div_fixup_f32 v8, v15, v8, 0xc11de9e7
	v_add_f32_e32 v15, 0, v8
	v_mov_b32_e32 v8, -1.0
.LBB77_1710:
	s_or_b32 exec_lo, exec_lo, s2
	v_add_f32_e32 v16, 1.0, v1
	v_mul_f32_e32 v1, v1, v1
	v_mul_f32_e32 v17, v16, v16
	v_add_f32_e32 v16, 1.0, v16
	v_div_scale_f32 v18, null, v1, v1, 1.0
	v_div_scale_f32 v20, vcc_lo, 1.0, v1, 1.0
	v_mul_f32_e32 v21, v16, v16
	v_div_scale_f32 v19, null, v17, v17, 1.0
	v_rcp_f32_e32 v22, v18
	v_div_scale_f32 v25, s0, 1.0, v17, 1.0
	v_div_scale_f32 v24, null, v21, v21, 1.0
	v_rcp_f32_e32 v23, v19
	v_add_f32_e32 v16, 1.0, v16
	v_div_scale_f32 v26, s1, 1.0, v21, 1.0
	v_rcp_f32_e32 v27, v24
	v_fma_f32 v29, -v18, v22, 1.0
	v_mul_f32_e32 v28, v16, v16
	v_add_f32_e32 v16, 1.0, v16
	v_fma_f32 v30, -v19, v23, 1.0
	v_fmac_f32_e32 v22, v29, v22
	v_mul_f32_e32 v32, v16, v16
	v_add_f32_e32 v16, 1.0, v16
	v_fma_f32 v29, -v24, v27, 1.0
	v_fmac_f32_e32 v23, v30, v23
	v_mul_f32_e32 v33, v20, v22
	v_div_scale_f32 v31, null, v28, v28, 1.0
	v_fmac_f32_e32 v27, v29, v27
	v_mul_f32_e32 v34, v25, v23
	v_fma_f32 v35, -v18, v33, v20
	v_add_f32_e32 v38, 1.0, v16
	v_rcp_f32_e32 v30, v31
	v_mul_f32_e32 v37, v26, v27
	v_fma_f32 v36, -v19, v34, v25
	v_fmac_f32_e32 v33, v35, v22
	v_mul_f32_e32 v16, v16, v16
	v_div_scale_f32 v29, null, v32, v32, 1.0
	v_fma_f32 v35, -v24, v37, v26
	v_fmac_f32_e32 v34, v36, v23
	v_fma_f32 v18, -v18, v33, v20
	v_mul_f32_e32 v20, v38, v38
	v_rcp_f32_e32 v36, v29
	v_fmac_f32_e32 v37, v35, v27
	v_fma_f32 v19, -v19, v34, v25
	v_div_fmas_f32 v18, v18, v22, v33
	s_mov_b32 vcc_lo, s0
	v_fma_f32 v39, -v31, v30, 1.0
	v_fma_f32 v22, -v24, v37, v26
	v_div_fmas_f32 v19, v19, v23, v34
	s_mov_b32 vcc_lo, s1
	v_div_scale_f32 v23, null, v16, v16, 1.0
	v_div_fmas_f32 v22, v22, v27, v37
	v_div_scale_f32 v24, null, v20, v20, 1.0
	v_add_f32_e32 v27, v38, v38
	v_rcp_f32_e32 v26, v23
	v_fmac_f32_e32 v30, v39, v30
	v_rcp_f32_e32 v34, v24
	v_div_scale_f32 v25, vcc_lo, 1.0, v28, 1.0
	v_div_scale_f32 v37, null, v27, v27, 1.0
	v_fma_f32 v33, -v29, v36, 1.0
	v_mul_f32_e32 v35, v25, v30
	v_div_fixup_f32 v1, v18, v1, 1.0
	v_rcp_f32_e32 v40, v37
	v_fma_f32 v39, -v23, v26, 1.0
	v_fmac_f32_e32 v36, v33, v36
	v_div_scale_f32 v33, s0, 1.0, v32, 1.0
	v_fma_f32 v42, -v24, v34, 1.0
	v_fma_f32 v41, -v31, v35, v25
	v_fmac_f32_e32 v26, v39, v26
	v_div_scale_f32 v39, s1, 1.0, v16, 1.0
	v_mul_f32_e32 v43, v33, v36
	v_fmac_f32_e32 v34, v42, v34
	v_div_scale_f32 v42, s2, 1.0, v20, 1.0
	v_fma_f32 v44, -v37, v40, 1.0
	v_fmac_f32_e32 v35, v41, v30
	v_mul_f32_e32 v45, v39, v26
	v_fma_f32 v41, -v29, v43, v33
	v_mul_f32_e32 v46, v42, v34
	v_fmac_f32_e32 v40, v44, v40
	v_div_scale_f32 v44, s3, 1.0, v27, 1.0
	v_fma_f32 v25, -v31, v35, v25
	v_fma_f32 v31, -v23, v45, v39
	v_fmac_f32_e32 v43, v41, v36
	v_fma_f32 v41, -v24, v46, v42
	v_mul_f32_e32 v47, v44, v40
	v_div_fmas_f32 v25, v25, v30, v35
	v_fmac_f32_e32 v45, v31, v26
	v_fma_f32 v29, -v29, v43, v33
	v_fmac_f32_e32 v46, v41, v34
	v_fma_f32 v30, -v37, v47, v44
	s_mov_b32 vcc_lo, s0
	v_fma_f32 v23, -v23, v45, v39
	v_div_fmas_f32 v29, v29, v36, v43
	v_fma_f32 v24, -v24, v46, v42
	v_fmac_f32_e32 v47, v30, v40
	s_mov_b32 vcc_lo, s1
	s_mov_b32 s0, 0xbcc30c31
	v_div_fmas_f32 v23, v23, v26, v45
	s_mov_b32 vcc_lo, s2
	v_fma_f32 v26, -v37, v47, v44
	v_div_fmas_f32 v24, v24, v34, v46
	s_mov_b32 vcc_lo, s3
	v_add_f32_e32 v1, v5, v1
	v_div_fixup_f32 v5, v19, v17, 1.0
	v_div_fmas_f32 v26, v26, v40, v47
	v_div_fixup_f32 v20, v24, v20, 1.0
	s_bfe_u32 s1, s5, 0x80008
	v_add_f32_e32 v1, v1, v5
	v_div_fixup_f32 v24, v26, v27, 1.0
	v_fmaak_f32 v26, s0, v20, 0x3d088889
	v_div_fixup_f32 v5, v22, v21, 1.0
	s_cmp_lt_i32 s1, 11
	v_add_f32_e32 v24, 1.0, v24
	v_fma_f32 v26, -v20, v26, 0x3e2aaaab
	v_add_f32_e32 v1, v1, v5
	v_div_fixup_f32 v5, v25, v28, 1.0
	v_fmac_f32_e32 v24, v20, v26
	v_add_f32_e32 v1, v1, v5
	v_div_fixup_f32 v5, v29, v32, 1.0
	v_div_scale_f32 v20, null, v38, v38, v24
	v_div_scale_f32 v17, vcc_lo, v24, v38, v24
	v_add_f32_e32 v1, v1, v5
	v_rcp_f32_e32 v26, v20
	v_div_fixup_f32 v5, v23, v16, 1.0
	v_add_f32_e32 v1, v1, v5
	v_fma_f32 v18, -v20, v26, 1.0
	v_fmac_f32_e32 v26, v18, v26
	v_mul_f32_e32 v18, v17, v26
	v_fma_f32 v19, -v20, v18, v17
	v_fmac_f32_e32 v18, v19, v26
	v_fma_f32 v17, -v20, v18, v17
	v_div_fmas_f32 v16, v17, v26, v18
	v_div_fixup_f32 v5, v16, v38, v24
	v_add_f32_e32 v1, v1, v5
	v_mov_b32_e32 v5, 0x7fc0
	v_mul_f32_e32 v1, v3, v1
	v_bfe_u32 v3, v1, 16, 1
	v_cmp_o_f32_e32 vcc_lo, v1, v1
	v_add3_u32 v1, v1, v3, 0x7fff
	v_cndmask_b32_sdwa v1, v5, v1, vcc_lo dst_sel:DWORD dst_unused:UNUSED_PAD src0_sel:DWORD src1_sel:WORD_1
	v_add_co_u32 v5, s0, s8, v6
	v_add_co_ci_u32_e64 v6, null, s9, 0, s0
	s_cbranch_scc1 .LBB77_1788
; %bb.1711:
	s_and_b32 s2, 0xffff, s1
	s_mov_b32 s7, -1
	s_mov_b32 s3, 0
	s_cmp_gt_i32 s2, 25
	s_mov_b32 s6, 0
	s_mov_b32 s0, 0
	s_cbranch_scc0 .LBB77_1744
; %bb.1712:
	s_cmp_gt_i32 s2, 28
	s_cbranch_scc0 .LBB77_1727
; %bb.1713:
	s_cmp_gt_i32 s2, 43
	;; [unrolled: 3-line block ×3, first 2 shown]
	s_cbranch_scc0 .LBB77_1717
; %bb.1715:
	s_mov_b32 s0, -1
	s_mov_b32 s7, 0
	s_cmp_eq_u32 s2, 46
	s_cbranch_scc0 .LBB77_1717
; %bb.1716:
	v_and_b32_e32 v3, 0xffff, v1
	s_mov_b32 s0, 0
	s_mov_b32 s6, -1
	global_store_dword v[5:6], v3, off
.LBB77_1717:
	s_and_b32 vcc_lo, exec_lo, s7
	s_cbranch_vccz .LBB77_1722
; %bb.1718:
	s_cmp_eq_u32 s2, 44
	s_mov_b32 s0, -1
	s_cbranch_scc0 .LBB77_1722
; %bb.1719:
	v_and_b32_e32 v3, 0xffff, v1
	v_mov_b32_e32 v16, 0xff
	s_mov_b32 s6, exec_lo
	v_bfe_u32 v17, v3, 7, 8
	v_cmpx_ne_u32_e32 0xff, v17
	s_cbranch_execz .LBB77_1721
; %bb.1720:
	v_lshlrev_b32_e32 v16, 16, v3
	v_and_b32_e32 v18, 64, v3
	v_lshrrev_b32_e32 v3, 7, v3
	v_and_or_b32 v16, 0x3f0000, v16, v17
	v_cmp_ne_u32_e32 vcc_lo, 0, v18
	v_cmp_ne_u32_e64 s0, 0, v16
	s_and_b32 s0, vcc_lo, s0
	v_cndmask_b32_e64 v16, 0, 1, s0
	v_add_nc_u32_e32 v16, v3, v16
.LBB77_1721:
	s_or_b32 exec_lo, exec_lo, s6
	s_mov_b32 s0, 0
	s_mov_b32 s6, -1
	global_store_byte v[5:6], v16, off
.LBB77_1722:
	s_mov_b32 s7, 0
.LBB77_1723:
	s_and_b32 vcc_lo, exec_lo, s7
	s_cbranch_vccz .LBB77_1726
; %bb.1724:
	s_cmp_eq_u32 s2, 29
	s_mov_b32 s0, -1
	s_cbranch_scc0 .LBB77_1726
; %bb.1725:
	v_lshlrev_b32_e32 v3, 16, v1
	s_mov_b32 s0, 0
	s_mov_b32 s6, -1
	v_trunc_f32_e32 v3, v3
	v_mul_f32_e32 v16, 0x2f800000, v3
	v_floor_f32_e32 v16, v16
	v_fmamk_f32 v3, v16, 0xcf800000, v3
	v_cvt_u32_f32_e32 v17, v16
	v_cvt_u32_f32_e32 v16, v3
	global_store_dwordx2 v[5:6], v[16:17], off
.LBB77_1726:
	s_mov_b32 s7, 0
.LBB77_1727:
	s_and_b32 vcc_lo, exec_lo, s7
	s_cbranch_vccz .LBB77_1743
; %bb.1728:
	s_cmp_lt_i32 s2, 27
	s_mov_b32 s6, -1
	s_cbranch_scc1 .LBB77_1734
; %bb.1729:
	s_cmp_gt_i32 s2, 27
	s_cbranch_scc0 .LBB77_1731
; %bb.1730:
	v_lshlrev_b32_e32 v3, 16, v1
	s_mov_b32 s6, 0
	v_cvt_u32_f32_e32 v3, v3
	global_store_dword v[5:6], v3, off
.LBB77_1731:
	s_andn2_b32 vcc_lo, exec_lo, s6
	s_cbranch_vccnz .LBB77_1733
; %bb.1732:
	v_lshlrev_b32_e32 v3, 16, v1
	v_cvt_u32_f32_e32 v3, v3
	global_store_short v[5:6], v3, off
.LBB77_1733:
	s_mov_b32 s6, 0
.LBB77_1734:
	s_andn2_b32 vcc_lo, exec_lo, s6
	s_cbranch_vccnz .LBB77_1742
; %bb.1735:
	v_lshlrev_b32_e32 v17, 16, v1
	v_mov_b32_e32 v18, 0x80
	s_mov_b32 s6, exec_lo
	v_and_b32_e32 v16, 0x7fffffff, v17
	v_cmpx_gt_u32_e32 0x43800000, v16
	s_cbranch_execz .LBB77_1741
; %bb.1736:
	v_and_b32_e32 v3, 0xffff, v1
	v_cmp_lt_u32_e32 vcc_lo, 0x3bffffff, v16
	s_mov_b32 s7, 0
                                        ; implicit-def: $vgpr16
	s_and_saveexec_b32 s10, vcc_lo
	s_xor_b32 s10, exec_lo, s10
	s_cbranch_execz .LBB77_2190
; %bb.1737:
	v_bfe_u32 v16, v3, 4, 1
	s_mov_b32 s7, exec_lo
	v_add3_u32 v16, v17, v16, 0x487ffff
                                        ; implicit-def: $vgpr17
	v_lshrrev_b32_e32 v16, 20, v16
	s_andn2_saveexec_b32 s10, s10
	s_cbranch_execnz .LBB77_2191
.LBB77_1738:
	s_or_b32 exec_lo, exec_lo, s10
	v_mov_b32_e32 v18, 0
	s_and_saveexec_b32 s10, s7
.LBB77_1739:
	v_lshrrev_b32_e32 v3, 8, v3
	v_and_or_b32 v18, 0x80, v3, v16
.LBB77_1740:
	s_or_b32 exec_lo, exec_lo, s10
.LBB77_1741:
	s_or_b32 exec_lo, exec_lo, s6
	global_store_byte v[5:6], v18, off
.LBB77_1742:
	s_mov_b32 s6, -1
.LBB77_1743:
	s_mov_b32 s7, 0
.LBB77_1744:
	s_and_b32 vcc_lo, exec_lo, s7
	s_cbranch_vccz .LBB77_1784
; %bb.1745:
	s_cmp_gt_i32 s2, 22
	s_mov_b32 s3, -1
	s_cbranch_scc0 .LBB77_1777
; %bb.1746:
	s_cmp_lt_i32 s2, 24
	s_cbranch_scc1 .LBB77_1766
; %bb.1747:
	s_cmp_gt_i32 s2, 24
	s_cbranch_scc0 .LBB77_1755
; %bb.1748:
	v_lshlrev_b32_e32 v17, 16, v1
	v_mov_b32_e32 v18, 0x80
	s_mov_b32 s3, exec_lo
	v_and_b32_e32 v16, 0x7fffffff, v17
	v_cmpx_gt_u32_e32 0x47800000, v16
	s_cbranch_execz .LBB77_1754
; %bb.1749:
	v_and_b32_e32 v3, 0xffff, v1
	v_cmp_lt_u32_e32 vcc_lo, 0x37ffffff, v16
	s_mov_b32 s6, 0
                                        ; implicit-def: $vgpr16
	s_and_saveexec_b32 s7, vcc_lo
	s_xor_b32 s7, exec_lo, s7
	s_cbranch_execz .LBB77_2193
; %bb.1750:
	v_bfe_u32 v16, v3, 5, 1
	s_mov_b32 s6, exec_lo
	v_add3_u32 v16, v17, v16, 0x88fffff
                                        ; implicit-def: $vgpr17
	v_lshrrev_b32_e32 v16, 21, v16
	s_andn2_saveexec_b32 s7, s7
	s_cbranch_execnz .LBB77_2194
.LBB77_1751:
	s_or_b32 exec_lo, exec_lo, s7
	v_mov_b32_e32 v18, 0
	s_and_saveexec_b32 s7, s6
.LBB77_1752:
	v_lshrrev_b32_e32 v3, 8, v3
	v_and_or_b32 v18, 0x80, v3, v16
.LBB77_1753:
	s_or_b32 exec_lo, exec_lo, s7
.LBB77_1754:
	s_or_b32 exec_lo, exec_lo, s3
	s_mov_b32 s3, 0
	global_store_byte v[5:6], v18, off
.LBB77_1755:
	s_and_b32 vcc_lo, exec_lo, s3
	s_cbranch_vccz .LBB77_1765
; %bb.1756:
	v_lshlrev_b32_e32 v17, 16, v1
	v_and_b32_e32 v3, 0xffff, v1
	s_mov_b32 s3, exec_lo
                                        ; implicit-def: $vgpr16
	v_and_b32_e32 v18, 0x7fffffff, v17
	v_cmpx_gt_u32_e32 0x43f00000, v18
	s_xor_b32 s3, exec_lo, s3
	s_cbranch_execz .LBB77_1762
; %bb.1757:
	s_mov_b32 s6, exec_lo
                                        ; implicit-def: $vgpr16
	v_cmpx_lt_u32_e32 0x3c7fffff, v18
	s_xor_b32 s6, exec_lo, s6
; %bb.1758:
	v_bfe_u32 v16, v3, 4, 1
	v_add3_u32 v16, v17, v16, 0x407ffff
	v_and_b32_e32 v17, 0xff00000, v16
	v_lshrrev_b32_e32 v16, 20, v16
	v_cmp_ne_u32_e32 vcc_lo, 0x7f00000, v17
                                        ; implicit-def: $vgpr17
	v_cndmask_b32_e32 v16, 0x7e, v16, vcc_lo
; %bb.1759:
	s_andn2_saveexec_b32 s6, s6
; %bb.1760:
	v_add_f32_e64 v16, 0x46800000, |v17|
; %bb.1761:
	s_or_b32 exec_lo, exec_lo, s6
                                        ; implicit-def: $vgpr18
.LBB77_1762:
	s_andn2_saveexec_b32 s3, s3
; %bb.1763:
	v_mov_b32_e32 v16, 0x7f
	v_cmp_lt_u32_e32 vcc_lo, 0x7f800000, v18
	v_cndmask_b32_e32 v16, 0x7e, v16, vcc_lo
; %bb.1764:
	s_or_b32 exec_lo, exec_lo, s3
	v_lshrrev_b32_e32 v3, 8, v3
	v_and_or_b32 v3, 0x80, v3, v16
	global_store_byte v[5:6], v3, off
.LBB77_1765:
	s_mov_b32 s3, 0
.LBB77_1766:
	s_andn2_b32 vcc_lo, exec_lo, s3
	s_cbranch_vccnz .LBB77_1776
; %bb.1767:
	v_lshlrev_b32_e32 v17, 16, v1
	v_and_b32_e32 v3, 0xffff, v1
	s_mov_b32 s3, exec_lo
                                        ; implicit-def: $vgpr16
	v_and_b32_e32 v18, 0x7fffffff, v17
	v_cmpx_gt_u32_e32 0x47800000, v18
	s_xor_b32 s3, exec_lo, s3
	s_cbranch_execz .LBB77_1773
; %bb.1768:
	s_mov_b32 s6, exec_lo
                                        ; implicit-def: $vgpr16
	v_cmpx_lt_u32_e32 0x387fffff, v18
	s_xor_b32 s6, exec_lo, s6
; %bb.1769:
	v_bfe_u32 v16, v3, 5, 1
	v_add3_u32 v16, v17, v16, 0x80fffff
                                        ; implicit-def: $vgpr17
	v_lshrrev_b32_e32 v16, 21, v16
; %bb.1770:
	s_andn2_saveexec_b32 s6, s6
; %bb.1771:
	v_add_f32_e64 v16, 0x43000000, |v17|
; %bb.1772:
	s_or_b32 exec_lo, exec_lo, s6
                                        ; implicit-def: $vgpr18
.LBB77_1773:
	s_andn2_saveexec_b32 s3, s3
; %bb.1774:
	v_mov_b32_e32 v16, 0x7f
	v_cmp_lt_u32_e32 vcc_lo, 0x7f800000, v18
	v_cndmask_b32_e32 v16, 0x7c, v16, vcc_lo
; %bb.1775:
	s_or_b32 exec_lo, exec_lo, s3
	v_lshrrev_b32_e32 v3, 8, v3
	v_and_or_b32 v3, 0x80, v3, v16
	global_store_byte v[5:6], v3, off
.LBB77_1776:
	s_mov_b32 s3, 0
	s_mov_b32 s6, -1
.LBB77_1777:
	s_andn2_b32 vcc_lo, exec_lo, s3
	s_mov_b32 s3, 0
	s_cbranch_vccnz .LBB77_1784
; %bb.1778:
	s_cmp_gt_i32 s2, 14
	s_mov_b32 s3, -1
	s_cbranch_scc0 .LBB77_1782
; %bb.1779:
	s_cmp_eq_u32 s2, 15
	s_mov_b32 s0, -1
	s_cbranch_scc0 .LBB77_1781
; %bb.1780:
	s_mov_b32 s0, 0
	s_mov_b32 s6, -1
	global_store_short v[5:6], v1, off
.LBB77_1781:
	s_mov_b32 s3, 0
.LBB77_1782:
	s_and_b32 vcc_lo, exec_lo, s3
	s_mov_b32 s3, 0
	s_cbranch_vccz .LBB77_1784
; %bb.1783:
	s_cmp_lg_u32 s2, 11
	s_mov_b32 s3, -1
	s_cselect_b32 s0, -1, 0
.LBB77_1784:
	s_and_b32 vcc_lo, exec_lo, s0
	s_cbranch_vccnz .LBB77_2192
; %bb.1785:
	s_andn2_b32 vcc_lo, exec_lo, s3
	s_cbranch_vccnz .LBB77_1787
.LBB77_1786:
	v_and_b32_e32 v3, 0x7fff, v1
	s_mov_b32 s6, -1
	v_cmp_ne_u16_e32 vcc_lo, 0, v3
	v_cndmask_b32_e64 v3, 0, 1, vcc_lo
	global_store_byte v[5:6], v3, off
.LBB77_1787:
	s_mov_b32 s0, 0
	s_branch .LBB77_1789
.LBB77_1788:
	s_mov_b32 s0, -1
	s_mov_b32 s6, 0
.LBB77_1789:
	s_and_b32 vcc_lo, exec_lo, s0
	s_cbranch_vccz .LBB77_1828
; %bb.1790:
	s_and_b32 s0, 0xffff, s1
	s_mov_b32 s1, -1
	s_cmp_lt_i32 s0, 5
	s_cbranch_scc1 .LBB77_1811
; %bb.1791:
	s_cmp_lt_i32 s0, 8
	s_cbranch_scc1 .LBB77_1801
; %bb.1792:
	;; [unrolled: 3-line block ×3, first 2 shown]
	s_cmp_gt_i32 s0, 9
	s_cbranch_scc0 .LBB77_1795
; %bb.1794:
	v_lshlrev_b32_e32 v3, 16, v1
	v_mov_b32_e32 v18, 0
	s_mov_b32 s1, 0
	v_cvt_f64_f32_e32 v[16:17], v3
	v_mov_b32_e32 v19, v18
	global_store_dwordx4 v[5:6], v[16:19], off
.LBB77_1795:
	s_andn2_b32 vcc_lo, exec_lo, s1
	s_cbranch_vccnz .LBB77_1797
; %bb.1796:
	v_lshlrev_b32_e32 v16, 16, v1
	v_mov_b32_e32 v17, 0
	global_store_dwordx2 v[5:6], v[16:17], off
.LBB77_1797:
	s_mov_b32 s1, 0
.LBB77_1798:
	s_andn2_b32 vcc_lo, exec_lo, s1
	s_cbranch_vccnz .LBB77_1800
; %bb.1799:
	v_lshlrev_b32_e32 v3, 16, v1
	v_cvt_f16_f32_e32 v3, v3
	v_and_b32_e32 v3, 0xffff, v3
	global_store_dword v[5:6], v3, off
.LBB77_1800:
	s_mov_b32 s1, 0
.LBB77_1801:
	s_andn2_b32 vcc_lo, exec_lo, s1
	s_cbranch_vccnz .LBB77_1810
; %bb.1802:
	s_cmp_lt_i32 s0, 6
	s_mov_b32 s1, -1
	s_cbranch_scc1 .LBB77_1808
; %bb.1803:
	s_cmp_gt_i32 s0, 6
	s_cbranch_scc0 .LBB77_1805
; %bb.1804:
	v_lshlrev_b32_e32 v3, 16, v1
	s_mov_b32 s1, 0
	v_cvt_f64_f32_e32 v[16:17], v3
	global_store_dwordx2 v[5:6], v[16:17], off
.LBB77_1805:
	s_andn2_b32 vcc_lo, exec_lo, s1
	s_cbranch_vccnz .LBB77_1807
; %bb.1806:
	v_lshlrev_b32_e32 v3, 16, v1
	global_store_dword v[5:6], v3, off
.LBB77_1807:
	s_mov_b32 s1, 0
.LBB77_1808:
	s_andn2_b32 vcc_lo, exec_lo, s1
	s_cbranch_vccnz .LBB77_1810
; %bb.1809:
	v_lshlrev_b32_e32 v3, 16, v1
	v_cvt_f16_f32_e32 v3, v3
	global_store_short v[5:6], v3, off
.LBB77_1810:
	s_mov_b32 s1, 0
.LBB77_1811:
	s_andn2_b32 vcc_lo, exec_lo, s1
	s_cbranch_vccnz .LBB77_1827
; %bb.1812:
	s_cmp_lt_i32 s0, 2
	s_mov_b32 s1, -1
	s_cbranch_scc1 .LBB77_1822
; %bb.1813:
	s_cmp_lt_i32 s0, 3
	s_cbranch_scc1 .LBB77_1819
; %bb.1814:
	s_cmp_gt_i32 s0, 3
	s_cbranch_scc0 .LBB77_1816
; %bb.1815:
	v_lshlrev_b32_e32 v3, 16, v1
	s_mov_b32 s1, 0
	v_trunc_f32_e32 v3, v3
	v_mul_f32_e64 v16, 0x2f800000, |v3|
	v_floor_f32_e32 v16, v16
	v_fma_f32 v17, 0xcf800000, v16, |v3|
	v_ashrrev_i32_e32 v3, 31, v3
	v_cvt_u32_f32_e32 v16, v16
	v_cvt_u32_f32_e32 v17, v17
	v_xor_b32_e32 v18, v16, v3
	v_xor_b32_e32 v17, v17, v3
	v_sub_co_u32 v16, vcc_lo, v17, v3
	v_sub_co_ci_u32_e64 v17, null, v18, v3, vcc_lo
	global_store_dwordx2 v[5:6], v[16:17], off
.LBB77_1816:
	s_andn2_b32 vcc_lo, exec_lo, s1
	s_cbranch_vccnz .LBB77_1818
; %bb.1817:
	v_lshlrev_b32_e32 v3, 16, v1
	v_cvt_i32_f32_e32 v3, v3
	global_store_dword v[5:6], v3, off
.LBB77_1818:
	s_mov_b32 s1, 0
.LBB77_1819:
	s_andn2_b32 vcc_lo, exec_lo, s1
	s_cbranch_vccnz .LBB77_1821
; %bb.1820:
	v_lshlrev_b32_e32 v3, 16, v1
	v_cvt_i32_f32_e32 v3, v3
	global_store_short v[5:6], v3, off
.LBB77_1821:
	s_mov_b32 s1, 0
.LBB77_1822:
	s_andn2_b32 vcc_lo, exec_lo, s1
	s_cbranch_vccnz .LBB77_1827
; %bb.1823:
	v_lshlrev_b32_e32 v1, 16, v1
	s_cmp_gt_i32 s0, 0
	s_mov_b32 s0, -1
	s_cbranch_scc0 .LBB77_1825
; %bb.1824:
	v_cvt_i32_f32_e32 v3, v1
	s_mov_b32 s0, 0
	global_store_byte v[5:6], v3, off
.LBB77_1825:
	s_andn2_b32 vcc_lo, exec_lo, s0
	s_cbranch_vccnz .LBB77_1827
; %bb.1826:
	v_trunc_f32_e32 v1, v1
	v_mul_f32_e64 v3, 0x2f800000, |v1|
	v_floor_f32_e32 v3, v3
	v_fma_f32 v3, 0xcf800000, v3, |v1|
	v_ashrrev_i32_e32 v1, 31, v1
	v_cvt_u32_f32_e32 v3, v3
	v_xor_b32_e32 v3, v3, v1
	v_sub_nc_u32_e32 v1, v3, v1
	global_store_byte v[5:6], v1, off
.LBB77_1827:
	s_mov_b32 s6, -1
.LBB77_1828:
	s_andn2_b32 vcc_lo, exec_lo, s6
	s_cbranch_vccnz .LBB77_2143
; %bb.1829:
	v_add_f32_e32 v1, 1.0, v10
	v_mul_f32_e32 v3, v10, v10
	v_mul_f32_e32 v5, v1, v1
	v_add_f32_e32 v1, 1.0, v1
	v_div_scale_f32 v6, null, v3, v3, 1.0
	v_div_scale_f32 v16, vcc_lo, 1.0, v3, 1.0
	v_mul_f32_e32 v17, v1, v1
	v_div_scale_f32 v10, null, v5, v5, 1.0
	v_rcp_f32_e32 v18, v6
	v_div_scale_f32 v21, s0, 1.0, v5, 1.0
	v_div_scale_f32 v20, null, v17, v17, 1.0
	v_rcp_f32_e32 v19, v10
	v_add_f32_e32 v1, 1.0, v1
	v_div_scale_f32 v22, s1, 1.0, v17, 1.0
	v_rcp_f32_e32 v23, v20
	v_fma_f32 v25, -v6, v18, 1.0
	v_mul_f32_e32 v24, v1, v1
	v_add_f32_e32 v1, 1.0, v1
	v_fma_f32 v26, -v10, v19, 1.0
	v_fmac_f32_e32 v18, v25, v18
	v_mul_f32_e32 v28, v1, v1
	v_add_f32_e32 v1, 1.0, v1
	v_fma_f32 v25, -v20, v23, 1.0
	v_fmac_f32_e32 v19, v26, v19
	v_mul_f32_e32 v29, v16, v18
	v_div_scale_f32 v27, null, v24, v24, 1.0
	v_fmac_f32_e32 v23, v25, v23
	v_mul_f32_e32 v30, v21, v19
	v_fma_f32 v31, -v6, v29, v16
	v_add_f32_e32 v34, 1.0, v1
	v_rcp_f32_e32 v26, v27
	v_mul_f32_e32 v33, v22, v23
	v_fma_f32 v32, -v10, v30, v21
	v_fmac_f32_e32 v29, v31, v18
	v_mul_f32_e32 v1, v1, v1
	v_div_scale_f32 v25, null, v28, v28, 1.0
	v_fma_f32 v31, -v20, v33, v22
	v_fmac_f32_e32 v30, v32, v19
	v_fma_f32 v6, -v6, v29, v16
	v_mul_f32_e32 v16, v34, v34
	v_rcp_f32_e32 v32, v25
	v_fmac_f32_e32 v33, v31, v23
	v_fma_f32 v10, -v10, v30, v21
	v_div_fmas_f32 v6, v6, v18, v29
	s_mov_b32 vcc_lo, s0
	v_fma_f32 v35, -v27, v26, 1.0
	v_fma_f32 v18, -v20, v33, v22
	v_div_fmas_f32 v10, v10, v19, v30
	s_mov_b32 vcc_lo, s1
	v_div_scale_f32 v19, null, v1, v1, 1.0
	v_div_fmas_f32 v18, v18, v23, v33
	v_div_scale_f32 v20, null, v16, v16, 1.0
	v_add_f32_e32 v23, v34, v34
	v_rcp_f32_e32 v22, v19
	v_fmac_f32_e32 v26, v35, v26
	v_rcp_f32_e32 v30, v20
	v_div_scale_f32 v21, vcc_lo, 1.0, v24, 1.0
	v_div_scale_f32 v33, null, v23, v23, 1.0
	v_fma_f32 v29, -v25, v32, 1.0
	v_mul_f32_e32 v31, v21, v26
	v_div_fixup_f32 v3, v6, v3, 1.0
	v_rcp_f32_e32 v36, v33
	v_fma_f32 v35, -v19, v22, 1.0
	v_fmac_f32_e32 v32, v29, v32
	v_div_scale_f32 v29, s0, 1.0, v28, 1.0
	v_fma_f32 v38, -v20, v30, 1.0
	v_fma_f32 v37, -v27, v31, v21
	v_fmac_f32_e32 v22, v35, v22
	v_div_scale_f32 v35, s1, 1.0, v1, 1.0
	v_mul_f32_e32 v39, v29, v32
	v_fmac_f32_e32 v30, v38, v30
	v_div_scale_f32 v38, s2, 1.0, v16, 1.0
	v_fma_f32 v40, -v33, v36, 1.0
	v_fmac_f32_e32 v31, v37, v26
	v_mul_f32_e32 v41, v35, v22
	v_fma_f32 v37, -v25, v39, v29
	v_mul_f32_e32 v42, v38, v30
	v_fmac_f32_e32 v36, v40, v36
	v_div_scale_f32 v40, s3, 1.0, v23, 1.0
	v_fma_f32 v21, -v27, v31, v21
	v_fma_f32 v27, -v19, v41, v35
	v_fmac_f32_e32 v39, v37, v32
	v_fma_f32 v37, -v20, v42, v38
	v_mul_f32_e32 v43, v40, v36
	v_div_fmas_f32 v21, v21, v26, v31
	v_fmac_f32_e32 v41, v27, v22
	v_fma_f32 v25, -v25, v39, v29
	v_fmac_f32_e32 v42, v37, v30
	v_fma_f32 v26, -v33, v43, v40
	s_mov_b32 vcc_lo, s0
	v_fma_f32 v19, -v19, v41, v35
	v_div_fmas_f32 v25, v25, v32, v39
	v_fma_f32 v20, -v20, v42, v38
	v_fmac_f32_e32 v43, v26, v36
	s_mov_b32 vcc_lo, s1
	s_mov_b32 s0, 0xbcc30c31
	v_div_fmas_f32 v19, v19, v22, v41
	s_mov_b32 vcc_lo, s2
	v_fma_f32 v22, -v33, v43, v40
	v_div_fmas_f32 v20, v20, v30, v42
	s_mov_b32 vcc_lo, s3
	v_add_f32_e32 v3, v12, v3
	v_div_fixup_f32 v5, v10, v5, 1.0
	v_div_fmas_f32 v22, v22, v36, v43
	v_div_fixup_f32 v16, v20, v16, 1.0
	v_div_fixup_f32 v1, v19, v1, 1.0
	v_add_f32_e32 v3, v3, v5
	v_div_fixup_f32 v20, v22, v23, 1.0
	v_fmaak_f32 v22, s0, v16, 0x3d088889
	v_div_fixup_f32 v5, v18, v17, 1.0
	s_lshr_b32 s0, s5, 8
	v_add_f32_e32 v20, 1.0, v20
	v_fma_f32 v22, -v16, v22, 0x3e2aaaab
	v_add_f32_e32 v3, v3, v5
	v_div_fixup_f32 v5, v21, v24, 1.0
	s_and_b32 s10, s0, 0xff
	v_fmac_f32_e32 v20, v16, v22
	s_cmp_lt_i32 s10, 11
	v_add_f32_e32 v3, v3, v5
	v_div_fixup_f32 v5, v25, v28, 1.0
	v_div_scale_f32 v16, null, v34, v34, v20
	v_add_f32_e32 v3, v3, v5
	v_rcp_f32_e32 v22, v16
	v_add_f32_e32 v1, v3, v1
	v_fma_f32 v6, -v16, v22, 1.0
	v_fmac_f32_e32 v22, v6, v22
	v_div_scale_f32 v6, vcc_lo, v20, v34, v20
	v_mul_f32_e32 v10, v6, v22
	v_fma_f32 v12, -v16, v10, v6
	v_fmac_f32_e32 v10, v12, v22
	v_fma_f32 v6, -v16, v10, v6
	v_div_fmas_f32 v5, v6, v22, v10
	v_div_fixup_f32 v3, v5, v34, v20
	v_mov_b32_e32 v5, 0x7fc0
	v_add_f32_e32 v1, v1, v3
	v_mul_f32_e32 v1, v11, v1
	v_bfe_u32 v3, v1, 16, 1
	v_cmp_o_f32_e32 vcc_lo, v1, v1
	v_add3_u32 v1, v1, v3, 0x7fff
	v_add_co_u32 v3, s0, s8, v4
	v_add_co_ci_u32_e64 v4, null, s9, 0, s0
	v_cndmask_b32_sdwa v1, v5, v1, vcc_lo dst_sel:DWORD dst_unused:UNUSED_PAD src0_sel:DWORD src1_sel:WORD_1
	s_cbranch_scc1 .LBB77_1907
; %bb.1830:
	s_and_b32 s1, 0xffff, s10
	s_mov_b32 s5, -1
	s_mov_b32 s2, 0
	s_cmp_gt_i32 s1, 25
	s_mov_b32 s3, 0
	s_mov_b32 s0, 0
	s_cbranch_scc0 .LBB77_1863
; %bb.1831:
	s_cmp_gt_i32 s1, 28
	s_cbranch_scc0 .LBB77_1846
; %bb.1832:
	s_cmp_gt_i32 s1, 43
	;; [unrolled: 3-line block ×3, first 2 shown]
	s_cbranch_scc0 .LBB77_1836
; %bb.1834:
	s_mov_b32 s0, -1
	s_mov_b32 s5, 0
	s_cmp_eq_u32 s1, 46
	s_cbranch_scc0 .LBB77_1836
; %bb.1835:
	v_and_b32_e32 v5, 0xffff, v1
	s_mov_b32 s0, 0
	s_mov_b32 s3, -1
	global_store_dword v[3:4], v5, off
.LBB77_1836:
	s_and_b32 vcc_lo, exec_lo, s5
	s_cbranch_vccz .LBB77_1841
; %bb.1837:
	s_cmp_eq_u32 s1, 44
	s_mov_b32 s0, -1
	s_cbranch_scc0 .LBB77_1841
; %bb.1838:
	v_and_b32_e32 v5, 0xffff, v1
	v_mov_b32_e32 v6, 0xff
	s_mov_b32 s3, exec_lo
	v_bfe_u32 v10, v5, 7, 8
	v_cmpx_ne_u32_e32 0xff, v10
	s_cbranch_execz .LBB77_1840
; %bb.1839:
	v_lshlrev_b32_e32 v6, 16, v5
	v_and_b32_e32 v11, 64, v5
	v_lshrrev_b32_e32 v5, 7, v5
	v_and_or_b32 v6, 0x3f0000, v6, v10
	v_cmp_ne_u32_e32 vcc_lo, 0, v11
	v_cmp_ne_u32_e64 s0, 0, v6
	s_and_b32 s0, vcc_lo, s0
	v_cndmask_b32_e64 v6, 0, 1, s0
	v_add_nc_u32_e32 v6, v5, v6
.LBB77_1840:
	s_or_b32 exec_lo, exec_lo, s3
	s_mov_b32 s0, 0
	s_mov_b32 s3, -1
	global_store_byte v[3:4], v6, off
.LBB77_1841:
	s_mov_b32 s5, 0
.LBB77_1842:
	s_and_b32 vcc_lo, exec_lo, s5
	s_cbranch_vccz .LBB77_1845
; %bb.1843:
	s_cmp_eq_u32 s1, 29
	s_mov_b32 s0, -1
	s_cbranch_scc0 .LBB77_1845
; %bb.1844:
	v_lshlrev_b32_e32 v5, 16, v1
	s_mov_b32 s0, 0
	s_mov_b32 s3, -1
	v_trunc_f32_e32 v5, v5
	v_mul_f32_e32 v6, 0x2f800000, v5
	v_floor_f32_e32 v6, v6
	v_fmamk_f32 v5, v6, 0xcf800000, v5
	v_cvt_u32_f32_e32 v6, v6
	v_cvt_u32_f32_e32 v5, v5
	global_store_dwordx2 v[3:4], v[5:6], off
.LBB77_1845:
	s_mov_b32 s5, 0
.LBB77_1846:
	s_and_b32 vcc_lo, exec_lo, s5
	s_cbranch_vccz .LBB77_1862
; %bb.1847:
	s_cmp_lt_i32 s1, 27
	s_mov_b32 s3, -1
	s_cbranch_scc1 .LBB77_1853
; %bb.1848:
	s_cmp_gt_i32 s1, 27
	s_cbranch_scc0 .LBB77_1850
; %bb.1849:
	v_lshlrev_b32_e32 v5, 16, v1
	s_mov_b32 s3, 0
	v_cvt_u32_f32_e32 v5, v5
	global_store_dword v[3:4], v5, off
.LBB77_1850:
	s_andn2_b32 vcc_lo, exec_lo, s3
	s_cbranch_vccnz .LBB77_1852
; %bb.1851:
	v_lshlrev_b32_e32 v5, 16, v1
	v_cvt_u32_f32_e32 v5, v5
	global_store_short v[3:4], v5, off
.LBB77_1852:
	s_mov_b32 s3, 0
.LBB77_1853:
	s_andn2_b32 vcc_lo, exec_lo, s3
	s_cbranch_vccnz .LBB77_1861
; %bb.1854:
	v_lshlrev_b32_e32 v10, 16, v1
	v_mov_b32_e32 v11, 0x80
	s_mov_b32 s3, exec_lo
	v_and_b32_e32 v6, 0x7fffffff, v10
	v_cmpx_gt_u32_e32 0x43800000, v6
	s_cbranch_execz .LBB77_1860
; %bb.1855:
	v_and_b32_e32 v5, 0xffff, v1
	v_cmp_lt_u32_e32 vcc_lo, 0x3bffffff, v6
	s_mov_b32 s5, 0
                                        ; implicit-def: $vgpr6
	s_and_saveexec_b32 s6, vcc_lo
	s_xor_b32 s6, exec_lo, s6
	s_cbranch_execz .LBB77_2195
; %bb.1856:
	v_bfe_u32 v6, v5, 4, 1
	s_mov_b32 s5, exec_lo
	v_add3_u32 v6, v10, v6, 0x487ffff
                                        ; implicit-def: $vgpr10
	v_lshrrev_b32_e32 v6, 20, v6
	s_andn2_saveexec_b32 s6, s6
	s_cbranch_execnz .LBB77_2196
.LBB77_1857:
	s_or_b32 exec_lo, exec_lo, s6
	v_mov_b32_e32 v11, 0
	s_and_saveexec_b32 s6, s5
.LBB77_1858:
	v_lshrrev_b32_e32 v5, 8, v5
	v_and_or_b32 v11, 0x80, v5, v6
.LBB77_1859:
	s_or_b32 exec_lo, exec_lo, s6
.LBB77_1860:
	s_or_b32 exec_lo, exec_lo, s3
	global_store_byte v[3:4], v11, off
.LBB77_1861:
	s_mov_b32 s3, -1
.LBB77_1862:
	s_mov_b32 s5, 0
.LBB77_1863:
	s_and_b32 vcc_lo, exec_lo, s5
	s_cbranch_vccz .LBB77_1903
; %bb.1864:
	s_cmp_gt_i32 s1, 22
	s_mov_b32 s2, -1
	s_cbranch_scc0 .LBB77_1896
; %bb.1865:
	s_cmp_lt_i32 s1, 24
	s_cbranch_scc1 .LBB77_1885
; %bb.1866:
	s_cmp_gt_i32 s1, 24
	s_cbranch_scc0 .LBB77_1874
; %bb.1867:
	v_lshlrev_b32_e32 v10, 16, v1
	v_mov_b32_e32 v11, 0x80
	s_mov_b32 s2, exec_lo
	v_and_b32_e32 v6, 0x7fffffff, v10
	v_cmpx_gt_u32_e32 0x47800000, v6
	s_cbranch_execz .LBB77_1873
; %bb.1868:
	v_and_b32_e32 v5, 0xffff, v1
	v_cmp_lt_u32_e32 vcc_lo, 0x37ffffff, v6
	s_mov_b32 s3, 0
                                        ; implicit-def: $vgpr6
	s_and_saveexec_b32 s5, vcc_lo
	s_xor_b32 s5, exec_lo, s5
	s_cbranch_execz .LBB77_2198
; %bb.1869:
	v_bfe_u32 v6, v5, 5, 1
	s_mov_b32 s3, exec_lo
	v_add3_u32 v6, v10, v6, 0x88fffff
                                        ; implicit-def: $vgpr10
	v_lshrrev_b32_e32 v6, 21, v6
	s_andn2_saveexec_b32 s5, s5
	s_cbranch_execnz .LBB77_2199
.LBB77_1870:
	s_or_b32 exec_lo, exec_lo, s5
	v_mov_b32_e32 v11, 0
	s_and_saveexec_b32 s5, s3
.LBB77_1871:
	v_lshrrev_b32_e32 v5, 8, v5
	v_and_or_b32 v11, 0x80, v5, v6
.LBB77_1872:
	s_or_b32 exec_lo, exec_lo, s5
.LBB77_1873:
	s_or_b32 exec_lo, exec_lo, s2
	s_mov_b32 s2, 0
	global_store_byte v[3:4], v11, off
.LBB77_1874:
	s_and_b32 vcc_lo, exec_lo, s2
	s_cbranch_vccz .LBB77_1884
; %bb.1875:
	v_lshlrev_b32_e32 v10, 16, v1
	v_and_b32_e32 v5, 0xffff, v1
	s_mov_b32 s2, exec_lo
                                        ; implicit-def: $vgpr6
	v_and_b32_e32 v11, 0x7fffffff, v10
	v_cmpx_gt_u32_e32 0x43f00000, v11
	s_xor_b32 s2, exec_lo, s2
	s_cbranch_execz .LBB77_1881
; %bb.1876:
	s_mov_b32 s3, exec_lo
                                        ; implicit-def: $vgpr6
	v_cmpx_lt_u32_e32 0x3c7fffff, v11
	s_xor_b32 s3, exec_lo, s3
; %bb.1877:
	v_bfe_u32 v6, v5, 4, 1
	v_add3_u32 v6, v10, v6, 0x407ffff
	v_and_b32_e32 v10, 0xff00000, v6
	v_lshrrev_b32_e32 v6, 20, v6
	v_cmp_ne_u32_e32 vcc_lo, 0x7f00000, v10
                                        ; implicit-def: $vgpr10
	v_cndmask_b32_e32 v6, 0x7e, v6, vcc_lo
; %bb.1878:
	s_andn2_saveexec_b32 s3, s3
; %bb.1879:
	v_add_f32_e64 v6, 0x46800000, |v10|
; %bb.1880:
	s_or_b32 exec_lo, exec_lo, s3
                                        ; implicit-def: $vgpr11
.LBB77_1881:
	s_andn2_saveexec_b32 s2, s2
; %bb.1882:
	v_mov_b32_e32 v6, 0x7f
	v_cmp_lt_u32_e32 vcc_lo, 0x7f800000, v11
	v_cndmask_b32_e32 v6, 0x7e, v6, vcc_lo
; %bb.1883:
	s_or_b32 exec_lo, exec_lo, s2
	v_lshrrev_b32_e32 v5, 8, v5
	v_and_or_b32 v5, 0x80, v5, v6
	global_store_byte v[3:4], v5, off
.LBB77_1884:
	s_mov_b32 s2, 0
.LBB77_1885:
	s_andn2_b32 vcc_lo, exec_lo, s2
	s_cbranch_vccnz .LBB77_1895
; %bb.1886:
	v_lshlrev_b32_e32 v10, 16, v1
	v_and_b32_e32 v5, 0xffff, v1
	s_mov_b32 s2, exec_lo
                                        ; implicit-def: $vgpr6
	v_and_b32_e32 v11, 0x7fffffff, v10
	v_cmpx_gt_u32_e32 0x47800000, v11
	s_xor_b32 s2, exec_lo, s2
	s_cbranch_execz .LBB77_1892
; %bb.1887:
	s_mov_b32 s3, exec_lo
                                        ; implicit-def: $vgpr6
	v_cmpx_lt_u32_e32 0x387fffff, v11
	s_xor_b32 s3, exec_lo, s3
; %bb.1888:
	v_bfe_u32 v6, v5, 5, 1
	v_add3_u32 v6, v10, v6, 0x80fffff
                                        ; implicit-def: $vgpr10
	v_lshrrev_b32_e32 v6, 21, v6
; %bb.1889:
	s_andn2_saveexec_b32 s3, s3
; %bb.1890:
	v_add_f32_e64 v6, 0x43000000, |v10|
; %bb.1891:
	s_or_b32 exec_lo, exec_lo, s3
                                        ; implicit-def: $vgpr11
.LBB77_1892:
	s_andn2_saveexec_b32 s2, s2
; %bb.1893:
	v_mov_b32_e32 v6, 0x7f
	v_cmp_lt_u32_e32 vcc_lo, 0x7f800000, v11
	v_cndmask_b32_e32 v6, 0x7c, v6, vcc_lo
; %bb.1894:
	s_or_b32 exec_lo, exec_lo, s2
	v_lshrrev_b32_e32 v5, 8, v5
	v_and_or_b32 v5, 0x80, v5, v6
	global_store_byte v[3:4], v5, off
.LBB77_1895:
	s_mov_b32 s2, 0
	s_mov_b32 s3, -1
.LBB77_1896:
	s_andn2_b32 vcc_lo, exec_lo, s2
	s_mov_b32 s2, 0
	s_cbranch_vccnz .LBB77_1903
; %bb.1897:
	s_cmp_gt_i32 s1, 14
	s_mov_b32 s2, -1
	s_cbranch_scc0 .LBB77_1901
; %bb.1898:
	s_cmp_eq_u32 s1, 15
	s_mov_b32 s0, -1
	s_cbranch_scc0 .LBB77_1900
; %bb.1899:
	s_mov_b32 s0, 0
	s_mov_b32 s3, -1
	global_store_short v[3:4], v1, off
.LBB77_1900:
	s_mov_b32 s2, 0
.LBB77_1901:
	s_and_b32 vcc_lo, exec_lo, s2
	s_mov_b32 s2, 0
	s_cbranch_vccz .LBB77_1903
; %bb.1902:
	s_cmp_lg_u32 s1, 11
	s_mov_b32 s2, -1
	s_cselect_b32 s0, -1, 0
.LBB77_1903:
	s_and_b32 vcc_lo, exec_lo, s0
	s_cbranch_vccnz .LBB77_2197
; %bb.1904:
	s_andn2_b32 vcc_lo, exec_lo, s2
	s_cbranch_vccnz .LBB77_1906
.LBB77_1905:
	v_and_b32_e32 v5, 0x7fff, v1
	s_mov_b32 s3, -1
	v_cmp_ne_u16_e32 vcc_lo, 0, v5
	v_cndmask_b32_e64 v5, 0, 1, vcc_lo
	global_store_byte v[3:4], v5, off
.LBB77_1906:
	s_mov_b32 s0, 0
	s_branch .LBB77_1908
.LBB77_1907:
	s_mov_b32 s0, -1
	s_mov_b32 s3, 0
.LBB77_1908:
	s_and_b32 vcc_lo, exec_lo, s0
	s_cbranch_vccz .LBB77_1947
; %bb.1909:
	s_and_b32 s0, 0xffff, s10
	s_mov_b32 s1, -1
	s_cmp_lt_i32 s0, 5
	s_cbranch_scc1 .LBB77_1930
; %bb.1910:
	s_cmp_lt_i32 s0, 8
	s_cbranch_scc1 .LBB77_1920
; %bb.1911:
	;; [unrolled: 3-line block ×3, first 2 shown]
	s_cmp_gt_i32 s0, 9
	s_cbranch_scc0 .LBB77_1914
; %bb.1913:
	v_lshlrev_b32_e32 v5, 16, v1
	v_mov_b32_e32 v18, 0
	s_mov_b32 s1, 0
	v_cvt_f64_f32_e32 v[16:17], v5
	v_mov_b32_e32 v19, v18
	global_store_dwordx4 v[3:4], v[16:19], off
.LBB77_1914:
	s_andn2_b32 vcc_lo, exec_lo, s1
	s_cbranch_vccnz .LBB77_1916
; %bb.1915:
	v_lshlrev_b32_e32 v5, 16, v1
	v_mov_b32_e32 v6, 0
	global_store_dwordx2 v[3:4], v[5:6], off
.LBB77_1916:
	s_mov_b32 s1, 0
.LBB77_1917:
	s_andn2_b32 vcc_lo, exec_lo, s1
	s_cbranch_vccnz .LBB77_1919
; %bb.1918:
	v_lshlrev_b32_e32 v5, 16, v1
	v_cvt_f16_f32_e32 v5, v5
	v_and_b32_e32 v5, 0xffff, v5
	global_store_dword v[3:4], v5, off
.LBB77_1919:
	s_mov_b32 s1, 0
.LBB77_1920:
	s_andn2_b32 vcc_lo, exec_lo, s1
	s_cbranch_vccnz .LBB77_1929
; %bb.1921:
	s_cmp_lt_i32 s0, 6
	s_mov_b32 s1, -1
	s_cbranch_scc1 .LBB77_1927
; %bb.1922:
	s_cmp_gt_i32 s0, 6
	s_cbranch_scc0 .LBB77_1924
; %bb.1923:
	v_lshlrev_b32_e32 v5, 16, v1
	s_mov_b32 s1, 0
	v_cvt_f64_f32_e32 v[5:6], v5
	global_store_dwordx2 v[3:4], v[5:6], off
.LBB77_1924:
	s_andn2_b32 vcc_lo, exec_lo, s1
	s_cbranch_vccnz .LBB77_1926
; %bb.1925:
	v_lshlrev_b32_e32 v5, 16, v1
	global_store_dword v[3:4], v5, off
.LBB77_1926:
	s_mov_b32 s1, 0
.LBB77_1927:
	s_andn2_b32 vcc_lo, exec_lo, s1
	s_cbranch_vccnz .LBB77_1929
; %bb.1928:
	v_lshlrev_b32_e32 v5, 16, v1
	v_cvt_f16_f32_e32 v5, v5
	global_store_short v[3:4], v5, off
.LBB77_1929:
	s_mov_b32 s1, 0
.LBB77_1930:
	s_andn2_b32 vcc_lo, exec_lo, s1
	s_cbranch_vccnz .LBB77_1946
; %bb.1931:
	s_cmp_lt_i32 s0, 2
	s_mov_b32 s1, -1
	s_cbranch_scc1 .LBB77_1941
; %bb.1932:
	s_cmp_lt_i32 s0, 3
	s_cbranch_scc1 .LBB77_1938
; %bb.1933:
	s_cmp_gt_i32 s0, 3
	s_cbranch_scc0 .LBB77_1935
; %bb.1934:
	v_lshlrev_b32_e32 v5, 16, v1
	s_mov_b32 s1, 0
	v_trunc_f32_e32 v5, v5
	v_mul_f32_e64 v6, 0x2f800000, |v5|
	v_ashrrev_i32_e32 v11, 31, v5
	v_floor_f32_e32 v6, v6
	v_fma_f32 v10, 0xcf800000, v6, |v5|
	v_cvt_u32_f32_e32 v6, v6
	v_cvt_u32_f32_e32 v5, v10
	v_xor_b32_e32 v6, v6, v11
	v_xor_b32_e32 v5, v5, v11
	v_sub_co_u32 v5, vcc_lo, v5, v11
	v_sub_co_ci_u32_e64 v6, null, v6, v11, vcc_lo
	global_store_dwordx2 v[3:4], v[5:6], off
.LBB77_1935:
	s_andn2_b32 vcc_lo, exec_lo, s1
	s_cbranch_vccnz .LBB77_1937
; %bb.1936:
	v_lshlrev_b32_e32 v5, 16, v1
	v_cvt_i32_f32_e32 v5, v5
	global_store_dword v[3:4], v5, off
.LBB77_1937:
	s_mov_b32 s1, 0
.LBB77_1938:
	s_andn2_b32 vcc_lo, exec_lo, s1
	s_cbranch_vccnz .LBB77_1940
; %bb.1939:
	v_lshlrev_b32_e32 v5, 16, v1
	v_cvt_i32_f32_e32 v5, v5
	global_store_short v[3:4], v5, off
.LBB77_1940:
	s_mov_b32 s1, 0
.LBB77_1941:
	s_andn2_b32 vcc_lo, exec_lo, s1
	s_cbranch_vccnz .LBB77_1946
; %bb.1942:
	v_lshlrev_b32_e32 v1, 16, v1
	s_cmp_gt_i32 s0, 0
	s_mov_b32 s0, -1
	s_cbranch_scc0 .LBB77_1944
; %bb.1943:
	v_cvt_i32_f32_e32 v5, v1
	s_mov_b32 s0, 0
	global_store_byte v[3:4], v5, off
.LBB77_1944:
	s_andn2_b32 vcc_lo, exec_lo, s0
	s_cbranch_vccnz .LBB77_1946
; %bb.1945:
	v_trunc_f32_e32 v1, v1
	v_mul_f32_e64 v5, 0x2f800000, |v1|
	v_floor_f32_e32 v5, v5
	v_fma_f32 v5, 0xcf800000, v5, |v1|
	v_ashrrev_i32_e32 v1, 31, v1
	v_cvt_u32_f32_e32 v5, v5
	v_xor_b32_e32 v5, v5, v1
	v_sub_nc_u32_e32 v1, v5, v1
	global_store_byte v[3:4], v1, off
.LBB77_1946:
	s_mov_b32 s3, -1
.LBB77_1947:
	s_andn2_b32 vcc_lo, exec_lo, s3
	s_cbranch_vccnz .LBB77_2143
; %bb.1948:
	v_add_f32_e32 v1, 1.0, v9
	v_mul_f32_e32 v3, v9, v9
	s_cmp_lt_i32 s10, 11
	v_mul_f32_e32 v4, v1, v1
	v_add_f32_e32 v1, 1.0, v1
	v_div_scale_f32 v5, null, v3, v3, 1.0
	v_div_scale_f32 v9, vcc_lo, 1.0, v3, 1.0
	v_mul_f32_e32 v10, v1, v1
	v_div_scale_f32 v6, null, v4, v4, 1.0
	v_rcp_f32_e32 v11, v5
	v_div_scale_f32 v17, s0, 1.0, v4, 1.0
	v_div_scale_f32 v16, null, v10, v10, 1.0
	v_rcp_f32_e32 v12, v6
	v_add_f32_e32 v1, 1.0, v1
	v_div_scale_f32 v18, s1, 1.0, v10, 1.0
	v_rcp_f32_e32 v19, v16
	v_fma_f32 v21, -v5, v11, 1.0
	v_mul_f32_e32 v20, v1, v1
	v_add_f32_e32 v1, 1.0, v1
	v_fma_f32 v22, -v6, v12, 1.0
	v_fmac_f32_e32 v11, v21, v11
	v_mul_f32_e32 v24, v1, v1
	v_add_f32_e32 v1, 1.0, v1
	v_fma_f32 v21, -v16, v19, 1.0
	v_fmac_f32_e32 v12, v22, v12
	v_mul_f32_e32 v25, v9, v11
	v_div_scale_f32 v23, null, v20, v20, 1.0
	v_fmac_f32_e32 v19, v21, v19
	v_mul_f32_e32 v26, v17, v12
	v_fma_f32 v27, -v5, v25, v9
	v_add_f32_e32 v30, 1.0, v1
	v_rcp_f32_e32 v22, v23
	v_mul_f32_e32 v29, v18, v19
	v_fma_f32 v28, -v6, v26, v17
	v_fmac_f32_e32 v25, v27, v11
	v_mul_f32_e32 v1, v1, v1
	v_div_scale_f32 v21, null, v24, v24, 1.0
	v_fma_f32 v27, -v16, v29, v18
	v_fmac_f32_e32 v26, v28, v12
	v_fma_f32 v5, -v5, v25, v9
	v_mul_f32_e32 v9, v30, v30
	v_rcp_f32_e32 v28, v21
	v_fmac_f32_e32 v29, v27, v19
	v_fma_f32 v6, -v6, v26, v17
	v_div_fmas_f32 v5, v5, v11, v25
	s_mov_b32 vcc_lo, s0
	v_fma_f32 v31, -v23, v22, 1.0
	v_fma_f32 v11, -v16, v29, v18
	v_div_fmas_f32 v6, v6, v12, v26
	s_mov_b32 vcc_lo, s1
	v_div_scale_f32 v12, null, v1, v1, 1.0
	v_div_fmas_f32 v11, v11, v19, v29
	v_div_scale_f32 v16, null, v9, v9, 1.0
	v_add_f32_e32 v19, v30, v30
	v_rcp_f32_e32 v18, v12
	v_fmac_f32_e32 v22, v31, v22
	v_rcp_f32_e32 v26, v16
	v_div_scale_f32 v17, vcc_lo, 1.0, v20, 1.0
	v_div_scale_f32 v29, null, v19, v19, 1.0
	v_fma_f32 v25, -v21, v28, 1.0
	v_mul_f32_e32 v27, v17, v22
	v_div_fixup_f32 v3, v5, v3, 1.0
	v_rcp_f32_e32 v32, v29
	v_fma_f32 v31, -v12, v18, 1.0
	v_fmac_f32_e32 v28, v25, v28
	v_div_scale_f32 v25, s0, 1.0, v24, 1.0
	v_fma_f32 v34, -v16, v26, 1.0
	v_fma_f32 v33, -v23, v27, v17
	v_fmac_f32_e32 v18, v31, v18
	v_div_scale_f32 v31, s1, 1.0, v1, 1.0
	v_mul_f32_e32 v35, v25, v28
	v_fmac_f32_e32 v26, v34, v26
	v_div_scale_f32 v34, s2, 1.0, v9, 1.0
	v_fma_f32 v36, -v29, v32, 1.0
	v_fmac_f32_e32 v27, v33, v22
	v_mul_f32_e32 v37, v31, v18
	v_fma_f32 v33, -v21, v35, v25
	v_mul_f32_e32 v38, v34, v26
	v_fmac_f32_e32 v32, v36, v32
	v_div_scale_f32 v36, s3, 1.0, v19, 1.0
	v_fma_f32 v17, -v23, v27, v17
	v_fma_f32 v23, -v12, v37, v31
	v_fmac_f32_e32 v35, v33, v28
	v_fma_f32 v33, -v16, v38, v34
	v_mul_f32_e32 v39, v36, v32
	v_div_fmas_f32 v17, v17, v22, v27
	v_fmac_f32_e32 v37, v23, v18
	v_fma_f32 v21, -v21, v35, v25
	v_fmac_f32_e32 v38, v33, v26
	v_fma_f32 v22, -v29, v39, v36
	s_mov_b32 vcc_lo, s0
	v_fma_f32 v12, -v12, v37, v31
	v_div_fmas_f32 v21, v21, v28, v35
	v_fma_f32 v16, -v16, v38, v34
	v_fmac_f32_e32 v39, v22, v32
	s_mov_b32 vcc_lo, s1
	s_mov_b32 s0, 0xbcc30c31
	v_div_fmas_f32 v12, v12, v18, v37
	s_mov_b32 vcc_lo, s2
	v_fma_f32 v18, -v29, v39, v36
	v_div_fmas_f32 v16, v16, v26, v38
	s_mov_b32 vcc_lo, s3
	v_add_f32_e32 v3, v14, v3
	v_div_fixup_f32 v4, v6, v4, 1.0
	v_div_fmas_f32 v18, v18, v32, v39
	v_div_fixup_f32 v9, v16, v9, 1.0
	v_div_fixup_f32 v1, v12, v1, 1.0
	v_add_f32_e32 v3, v3, v4
	v_div_fixup_f32 v16, v18, v19, 1.0
	v_fmaak_f32 v18, s0, v9, 0x3d088889
	v_div_fixup_f32 v4, v11, v10, 1.0
	v_add_f32_e32 v16, 1.0, v16
	v_fma_f32 v18, -v9, v18, 0x3e2aaaab
	v_add_f32_e32 v3, v3, v4
	v_div_fixup_f32 v4, v17, v20, 1.0
	v_fmac_f32_e32 v16, v9, v18
	v_add_f32_e32 v3, v3, v4
	v_div_fixup_f32 v4, v21, v24, 1.0
	v_div_scale_f32 v9, null, v30, v30, v16
	v_add_f32_e32 v3, v3, v4
	v_rcp_f32_e32 v18, v9
	v_add_f32_e32 v1, v3, v1
	v_fma_f32 v5, -v9, v18, 1.0
	v_fmac_f32_e32 v18, v5, v18
	v_div_scale_f32 v5, vcc_lo, v16, v30, v16
	v_mul_f32_e32 v6, v5, v18
	v_fma_f32 v10, -v9, v6, v5
	v_fmac_f32_e32 v6, v10, v18
	v_fma_f32 v5, -v9, v6, v5
	v_div_fmas_f32 v4, v5, v18, v6
	v_div_fixup_f32 v3, v4, v30, v16
	v_mov_b32_e32 v4, 0x7fc0
	v_add_f32_e32 v1, v1, v3
	v_mul_f32_e32 v1, v13, v1
	v_bfe_u32 v3, v1, 16, 1
	v_cmp_o_f32_e32 vcc_lo, v1, v1
	v_add3_u32 v1, v1, v3, 0x7fff
	v_cndmask_b32_sdwa v3, v4, v1, vcc_lo dst_sel:DWORD dst_unused:UNUSED_PAD src0_sel:DWORD src1_sel:WORD_1
	v_add_co_u32 v1, s0, s8, v2
	v_add_co_ci_u32_e64 v2, null, s9, 0, s0
	s_cbranch_scc1 .LBB77_2026
; %bb.1949:
	s_and_b32 s1, 0xffff, s10
	s_mov_b32 s5, -1
	s_mov_b32 s2, 0
	s_cmp_gt_i32 s1, 25
	s_mov_b32 s3, 0
	s_mov_b32 s0, 0
	s_cbranch_scc0 .LBB77_1982
; %bb.1950:
	s_cmp_gt_i32 s1, 28
	s_cbranch_scc0 .LBB77_1965
; %bb.1951:
	s_cmp_gt_i32 s1, 43
	;; [unrolled: 3-line block ×3, first 2 shown]
	s_cbranch_scc0 .LBB77_1955
; %bb.1953:
	s_mov_b32 s0, -1
	s_mov_b32 s5, 0
	s_cmp_eq_u32 s1, 46
	s_cbranch_scc0 .LBB77_1955
; %bb.1954:
	v_and_b32_e32 v4, 0xffff, v3
	s_mov_b32 s0, 0
	s_mov_b32 s3, -1
	global_store_dword v[1:2], v4, off
.LBB77_1955:
	s_and_b32 vcc_lo, exec_lo, s5
	s_cbranch_vccz .LBB77_1960
; %bb.1956:
	s_cmp_eq_u32 s1, 44
	s_mov_b32 s0, -1
	s_cbranch_scc0 .LBB77_1960
; %bb.1957:
	v_and_b32_e32 v4, 0xffff, v3
	v_mov_b32_e32 v5, 0xff
	s_mov_b32 s3, exec_lo
	v_bfe_u32 v6, v4, 7, 8
	v_cmpx_ne_u32_e32 0xff, v6
	s_cbranch_execz .LBB77_1959
; %bb.1958:
	v_lshlrev_b32_e32 v5, 16, v4
	v_and_b32_e32 v9, 64, v4
	v_lshrrev_b32_e32 v4, 7, v4
	v_and_or_b32 v5, 0x3f0000, v5, v6
	v_cmp_ne_u32_e32 vcc_lo, 0, v9
	v_cmp_ne_u32_e64 s0, 0, v5
	s_and_b32 s0, vcc_lo, s0
	v_cndmask_b32_e64 v5, 0, 1, s0
	v_add_nc_u32_e32 v5, v4, v5
.LBB77_1959:
	s_or_b32 exec_lo, exec_lo, s3
	s_mov_b32 s0, 0
	s_mov_b32 s3, -1
	global_store_byte v[1:2], v5, off
.LBB77_1960:
	s_mov_b32 s5, 0
.LBB77_1961:
	s_and_b32 vcc_lo, exec_lo, s5
	s_cbranch_vccz .LBB77_1964
; %bb.1962:
	s_cmp_eq_u32 s1, 29
	s_mov_b32 s0, -1
	s_cbranch_scc0 .LBB77_1964
; %bb.1963:
	v_lshlrev_b32_e32 v4, 16, v3
	s_mov_b32 s0, 0
	s_mov_b32 s3, -1
	v_trunc_f32_e32 v4, v4
	v_mul_f32_e32 v5, 0x2f800000, v4
	v_floor_f32_e32 v5, v5
	v_fmamk_f32 v4, v5, 0xcf800000, v4
	v_cvt_u32_f32_e32 v5, v5
	v_cvt_u32_f32_e32 v4, v4
	global_store_dwordx2 v[1:2], v[4:5], off
.LBB77_1964:
	s_mov_b32 s5, 0
.LBB77_1965:
	s_and_b32 vcc_lo, exec_lo, s5
	s_cbranch_vccz .LBB77_1981
; %bb.1966:
	s_cmp_lt_i32 s1, 27
	s_mov_b32 s3, -1
	s_cbranch_scc1 .LBB77_1972
; %bb.1967:
	s_cmp_gt_i32 s1, 27
	s_cbranch_scc0 .LBB77_1969
; %bb.1968:
	v_lshlrev_b32_e32 v4, 16, v3
	s_mov_b32 s3, 0
	v_cvt_u32_f32_e32 v4, v4
	global_store_dword v[1:2], v4, off
.LBB77_1969:
	s_andn2_b32 vcc_lo, exec_lo, s3
	s_cbranch_vccnz .LBB77_1971
; %bb.1970:
	v_lshlrev_b32_e32 v4, 16, v3
	v_cvt_u32_f32_e32 v4, v4
	global_store_short v[1:2], v4, off
.LBB77_1971:
	s_mov_b32 s3, 0
.LBB77_1972:
	s_andn2_b32 vcc_lo, exec_lo, s3
	s_cbranch_vccnz .LBB77_1980
; %bb.1973:
	v_lshlrev_b32_e32 v6, 16, v3
	v_mov_b32_e32 v9, 0x80
	s_mov_b32 s3, exec_lo
	v_and_b32_e32 v5, 0x7fffffff, v6
	v_cmpx_gt_u32_e32 0x43800000, v5
	s_cbranch_execz .LBB77_1979
; %bb.1974:
	v_and_b32_e32 v4, 0xffff, v3
	v_cmp_lt_u32_e32 vcc_lo, 0x3bffffff, v5
	s_mov_b32 s5, 0
                                        ; implicit-def: $vgpr5
	s_and_saveexec_b32 s6, vcc_lo
	s_xor_b32 s6, exec_lo, s6
	s_cbranch_execz .LBB77_2200
; %bb.1975:
	v_bfe_u32 v5, v4, 4, 1
	s_mov_b32 s5, exec_lo
	v_add3_u32 v5, v6, v5, 0x487ffff
                                        ; implicit-def: $vgpr6
	v_lshrrev_b32_e32 v5, 20, v5
	s_andn2_saveexec_b32 s6, s6
	s_cbranch_execnz .LBB77_2201
.LBB77_1976:
	s_or_b32 exec_lo, exec_lo, s6
	v_mov_b32_e32 v9, 0
	s_and_saveexec_b32 s6, s5
.LBB77_1977:
	v_lshrrev_b32_e32 v4, 8, v4
	v_and_or_b32 v9, 0x80, v4, v5
.LBB77_1978:
	s_or_b32 exec_lo, exec_lo, s6
.LBB77_1979:
	s_or_b32 exec_lo, exec_lo, s3
	global_store_byte v[1:2], v9, off
.LBB77_1980:
	s_mov_b32 s3, -1
.LBB77_1981:
	s_mov_b32 s5, 0
.LBB77_1982:
	s_and_b32 vcc_lo, exec_lo, s5
	s_cbranch_vccz .LBB77_2022
; %bb.1983:
	s_cmp_gt_i32 s1, 22
	s_mov_b32 s2, -1
	s_cbranch_scc0 .LBB77_2015
; %bb.1984:
	s_cmp_lt_i32 s1, 24
	s_cbranch_scc1 .LBB77_2004
; %bb.1985:
	s_cmp_gt_i32 s1, 24
	s_cbranch_scc0 .LBB77_1993
; %bb.1986:
	v_lshlrev_b32_e32 v6, 16, v3
	v_mov_b32_e32 v9, 0x80
	s_mov_b32 s2, exec_lo
	v_and_b32_e32 v5, 0x7fffffff, v6
	v_cmpx_gt_u32_e32 0x47800000, v5
	s_cbranch_execz .LBB77_1992
; %bb.1987:
	v_and_b32_e32 v4, 0xffff, v3
	v_cmp_lt_u32_e32 vcc_lo, 0x37ffffff, v5
	s_mov_b32 s3, 0
                                        ; implicit-def: $vgpr5
	s_and_saveexec_b32 s5, vcc_lo
	s_xor_b32 s5, exec_lo, s5
	s_cbranch_execz .LBB77_2203
; %bb.1988:
	v_bfe_u32 v5, v4, 5, 1
	s_mov_b32 s3, exec_lo
	v_add3_u32 v5, v6, v5, 0x88fffff
                                        ; implicit-def: $vgpr6
	v_lshrrev_b32_e32 v5, 21, v5
	s_andn2_saveexec_b32 s5, s5
	s_cbranch_execnz .LBB77_2204
.LBB77_1989:
	s_or_b32 exec_lo, exec_lo, s5
	v_mov_b32_e32 v9, 0
	s_and_saveexec_b32 s5, s3
.LBB77_1990:
	v_lshrrev_b32_e32 v4, 8, v4
	v_and_or_b32 v9, 0x80, v4, v5
.LBB77_1991:
	s_or_b32 exec_lo, exec_lo, s5
.LBB77_1992:
	s_or_b32 exec_lo, exec_lo, s2
	s_mov_b32 s2, 0
	global_store_byte v[1:2], v9, off
.LBB77_1993:
	s_and_b32 vcc_lo, exec_lo, s2
	s_cbranch_vccz .LBB77_2003
; %bb.1994:
	v_lshlrev_b32_e32 v6, 16, v3
	v_and_b32_e32 v4, 0xffff, v3
	s_mov_b32 s2, exec_lo
                                        ; implicit-def: $vgpr5
	v_and_b32_e32 v9, 0x7fffffff, v6
	v_cmpx_gt_u32_e32 0x43f00000, v9
	s_xor_b32 s2, exec_lo, s2
	s_cbranch_execz .LBB77_2000
; %bb.1995:
	s_mov_b32 s3, exec_lo
                                        ; implicit-def: $vgpr5
	v_cmpx_lt_u32_e32 0x3c7fffff, v9
	s_xor_b32 s3, exec_lo, s3
; %bb.1996:
	v_bfe_u32 v5, v4, 4, 1
	v_add3_u32 v5, v6, v5, 0x407ffff
	v_and_b32_e32 v6, 0xff00000, v5
	v_lshrrev_b32_e32 v5, 20, v5
	v_cmp_ne_u32_e32 vcc_lo, 0x7f00000, v6
                                        ; implicit-def: $vgpr6
	v_cndmask_b32_e32 v5, 0x7e, v5, vcc_lo
; %bb.1997:
	s_andn2_saveexec_b32 s3, s3
; %bb.1998:
	v_add_f32_e64 v5, 0x46800000, |v6|
; %bb.1999:
	s_or_b32 exec_lo, exec_lo, s3
                                        ; implicit-def: $vgpr9
.LBB77_2000:
	s_andn2_saveexec_b32 s2, s2
; %bb.2001:
	v_mov_b32_e32 v5, 0x7f
	v_cmp_lt_u32_e32 vcc_lo, 0x7f800000, v9
	v_cndmask_b32_e32 v5, 0x7e, v5, vcc_lo
; %bb.2002:
	s_or_b32 exec_lo, exec_lo, s2
	v_lshrrev_b32_e32 v4, 8, v4
	v_and_or_b32 v4, 0x80, v4, v5
	global_store_byte v[1:2], v4, off
.LBB77_2003:
	s_mov_b32 s2, 0
.LBB77_2004:
	s_andn2_b32 vcc_lo, exec_lo, s2
	s_cbranch_vccnz .LBB77_2014
; %bb.2005:
	v_lshlrev_b32_e32 v6, 16, v3
	v_and_b32_e32 v4, 0xffff, v3
	s_mov_b32 s2, exec_lo
                                        ; implicit-def: $vgpr5
	v_and_b32_e32 v9, 0x7fffffff, v6
	v_cmpx_gt_u32_e32 0x47800000, v9
	s_xor_b32 s2, exec_lo, s2
	s_cbranch_execz .LBB77_2011
; %bb.2006:
	s_mov_b32 s3, exec_lo
                                        ; implicit-def: $vgpr5
	v_cmpx_lt_u32_e32 0x387fffff, v9
	s_xor_b32 s3, exec_lo, s3
; %bb.2007:
	v_bfe_u32 v5, v4, 5, 1
	v_add3_u32 v5, v6, v5, 0x80fffff
                                        ; implicit-def: $vgpr6
	v_lshrrev_b32_e32 v5, 21, v5
; %bb.2008:
	s_andn2_saveexec_b32 s3, s3
; %bb.2009:
	v_add_f32_e64 v5, 0x43000000, |v6|
; %bb.2010:
	s_or_b32 exec_lo, exec_lo, s3
                                        ; implicit-def: $vgpr9
.LBB77_2011:
	s_andn2_saveexec_b32 s2, s2
; %bb.2012:
	v_mov_b32_e32 v5, 0x7f
	v_cmp_lt_u32_e32 vcc_lo, 0x7f800000, v9
	v_cndmask_b32_e32 v5, 0x7c, v5, vcc_lo
; %bb.2013:
	s_or_b32 exec_lo, exec_lo, s2
	v_lshrrev_b32_e32 v4, 8, v4
	v_and_or_b32 v4, 0x80, v4, v5
	global_store_byte v[1:2], v4, off
.LBB77_2014:
	s_mov_b32 s2, 0
	s_mov_b32 s3, -1
.LBB77_2015:
	s_andn2_b32 vcc_lo, exec_lo, s2
	s_mov_b32 s2, 0
	s_cbranch_vccnz .LBB77_2022
; %bb.2016:
	s_cmp_gt_i32 s1, 14
	s_mov_b32 s2, -1
	s_cbranch_scc0 .LBB77_2020
; %bb.2017:
	s_cmp_eq_u32 s1, 15
	s_mov_b32 s0, -1
	s_cbranch_scc0 .LBB77_2019
; %bb.2018:
	s_mov_b32 s0, 0
	s_mov_b32 s3, -1
	global_store_short v[1:2], v3, off
.LBB77_2019:
	s_mov_b32 s2, 0
.LBB77_2020:
	s_and_b32 vcc_lo, exec_lo, s2
	s_mov_b32 s2, 0
	s_cbranch_vccz .LBB77_2022
; %bb.2021:
	s_cmp_lg_u32 s1, 11
	s_mov_b32 s2, -1
	s_cselect_b32 s0, -1, 0
.LBB77_2022:
	s_and_b32 vcc_lo, exec_lo, s0
	s_cbranch_vccnz .LBB77_2202
; %bb.2023:
	s_andn2_b32 vcc_lo, exec_lo, s2
	s_cbranch_vccnz .LBB77_2025
.LBB77_2024:
	v_and_b32_e32 v4, 0x7fff, v3
	s_mov_b32 s3, -1
	v_cmp_ne_u16_e32 vcc_lo, 0, v4
	v_cndmask_b32_e64 v4, 0, 1, vcc_lo
	global_store_byte v[1:2], v4, off
.LBB77_2025:
	s_mov_b32 s0, 0
	s_branch .LBB77_2027
.LBB77_2026:
	s_mov_b32 s0, -1
	s_mov_b32 s3, 0
.LBB77_2027:
	s_and_b32 vcc_lo, exec_lo, s0
	s_cbranch_vccz .LBB77_2066
; %bb.2028:
	s_and_b32 s0, 0xffff, s10
	s_mov_b32 s1, -1
	s_cmp_lt_i32 s0, 5
	s_cbranch_scc1 .LBB77_2049
; %bb.2029:
	s_cmp_lt_i32 s0, 8
	s_cbranch_scc1 .LBB77_2039
; %bb.2030:
	;; [unrolled: 3-line block ×3, first 2 shown]
	s_cmp_gt_i32 s0, 9
	s_cbranch_scc0 .LBB77_2033
; %bb.2032:
	v_lshlrev_b32_e32 v4, 16, v3
	v_mov_b32_e32 v11, 0
	s_mov_b32 s1, 0
	v_cvt_f64_f32_e32 v[9:10], v4
	v_mov_b32_e32 v12, v11
	global_store_dwordx4 v[1:2], v[9:12], off
.LBB77_2033:
	s_andn2_b32 vcc_lo, exec_lo, s1
	s_cbranch_vccnz .LBB77_2035
; %bb.2034:
	v_lshlrev_b32_e32 v4, 16, v3
	v_mov_b32_e32 v5, 0
	global_store_dwordx2 v[1:2], v[4:5], off
.LBB77_2035:
	s_mov_b32 s1, 0
.LBB77_2036:
	s_andn2_b32 vcc_lo, exec_lo, s1
	s_cbranch_vccnz .LBB77_2038
; %bb.2037:
	v_lshlrev_b32_e32 v4, 16, v3
	v_cvt_f16_f32_e32 v4, v4
	v_and_b32_e32 v4, 0xffff, v4
	global_store_dword v[1:2], v4, off
.LBB77_2038:
	s_mov_b32 s1, 0
.LBB77_2039:
	s_andn2_b32 vcc_lo, exec_lo, s1
	s_cbranch_vccnz .LBB77_2048
; %bb.2040:
	s_cmp_lt_i32 s0, 6
	s_mov_b32 s1, -1
	s_cbranch_scc1 .LBB77_2046
; %bb.2041:
	s_cmp_gt_i32 s0, 6
	s_cbranch_scc0 .LBB77_2043
; %bb.2042:
	v_lshlrev_b32_e32 v4, 16, v3
	s_mov_b32 s1, 0
	v_cvt_f64_f32_e32 v[4:5], v4
	global_store_dwordx2 v[1:2], v[4:5], off
.LBB77_2043:
	s_andn2_b32 vcc_lo, exec_lo, s1
	s_cbranch_vccnz .LBB77_2045
; %bb.2044:
	v_lshlrev_b32_e32 v4, 16, v3
	global_store_dword v[1:2], v4, off
.LBB77_2045:
	s_mov_b32 s1, 0
.LBB77_2046:
	s_andn2_b32 vcc_lo, exec_lo, s1
	s_cbranch_vccnz .LBB77_2048
; %bb.2047:
	v_lshlrev_b32_e32 v4, 16, v3
	v_cvt_f16_f32_e32 v4, v4
	global_store_short v[1:2], v4, off
.LBB77_2048:
	s_mov_b32 s1, 0
.LBB77_2049:
	s_andn2_b32 vcc_lo, exec_lo, s1
	s_cbranch_vccnz .LBB77_2065
; %bb.2050:
	s_cmp_lt_i32 s0, 2
	s_mov_b32 s1, -1
	s_cbranch_scc1 .LBB77_2060
; %bb.2051:
	s_cmp_lt_i32 s0, 3
	s_cbranch_scc1 .LBB77_2057
; %bb.2052:
	s_cmp_gt_i32 s0, 3
	s_cbranch_scc0 .LBB77_2054
; %bb.2053:
	v_lshlrev_b32_e32 v4, 16, v3
	s_mov_b32 s1, 0
	v_trunc_f32_e32 v4, v4
	v_mul_f32_e64 v5, 0x2f800000, |v4|
	v_ashrrev_i32_e32 v9, 31, v4
	v_floor_f32_e32 v5, v5
	v_fma_f32 v6, 0xcf800000, v5, |v4|
	v_cvt_u32_f32_e32 v5, v5
	v_cvt_u32_f32_e32 v4, v6
	v_xor_b32_e32 v5, v5, v9
	v_xor_b32_e32 v4, v4, v9
	v_sub_co_u32 v4, vcc_lo, v4, v9
	v_sub_co_ci_u32_e64 v5, null, v5, v9, vcc_lo
	global_store_dwordx2 v[1:2], v[4:5], off
.LBB77_2054:
	s_andn2_b32 vcc_lo, exec_lo, s1
	s_cbranch_vccnz .LBB77_2056
; %bb.2055:
	v_lshlrev_b32_e32 v4, 16, v3
	v_cvt_i32_f32_e32 v4, v4
	global_store_dword v[1:2], v4, off
.LBB77_2056:
	s_mov_b32 s1, 0
.LBB77_2057:
	s_andn2_b32 vcc_lo, exec_lo, s1
	s_cbranch_vccnz .LBB77_2059
; %bb.2058:
	v_lshlrev_b32_e32 v4, 16, v3
	v_cvt_i32_f32_e32 v4, v4
	global_store_short v[1:2], v4, off
.LBB77_2059:
	s_mov_b32 s1, 0
.LBB77_2060:
	s_andn2_b32 vcc_lo, exec_lo, s1
	s_cbranch_vccnz .LBB77_2065
; %bb.2061:
	s_cmp_gt_i32 s0, 0
	s_mov_b32 s0, -1
	s_cbranch_scc0 .LBB77_2063
; %bb.2062:
	v_lshlrev_b32_e32 v4, 16, v3
	s_mov_b32 s0, 0
	v_cvt_i32_f32_e32 v4, v4
	global_store_byte v[1:2], v4, off
.LBB77_2063:
	s_andn2_b32 vcc_lo, exec_lo, s0
	s_cbranch_vccnz .LBB77_2065
; %bb.2064:
	v_lshlrev_b32_e32 v3, 16, v3
	v_trunc_f32_e32 v3, v3
	v_mul_f32_e64 v4, 0x2f800000, |v3|
	v_floor_f32_e32 v4, v4
	v_fma_f32 v4, 0xcf800000, v4, |v3|
	v_ashrrev_i32_e32 v3, 31, v3
	v_cvt_u32_f32_e32 v4, v4
	v_xor_b32_e32 v4, v4, v3
	v_sub_nc_u32_e32 v3, v4, v3
	global_store_byte v[1:2], v3, off
.LBB77_2065:
	s_mov_b32 s3, -1
.LBB77_2066:
	s_andn2_b32 vcc_lo, exec_lo, s3
	s_cbranch_vccnz .LBB77_2143
; %bb.2067:
	v_add_f32_e32 v1, 1.0, v7
	v_mul_f32_e32 v2, v7, v7
	s_cmp_lt_i32 s10, 11
	v_mul_f32_e32 v3, v1, v1
	v_add_f32_e32 v1, 1.0, v1
	v_div_scale_f32 v4, null, v2, v2, 1.0
	v_div_scale_f32 v6, vcc_lo, 1.0, v2, 1.0
	v_mul_f32_e32 v7, v1, v1
	v_div_scale_f32 v5, null, v3, v3, 1.0
	v_rcp_f32_e32 v9, v4
	v_div_scale_f32 v12, s0, 1.0, v3, 1.0
	v_div_scale_f32 v11, null, v7, v7, 1.0
	v_rcp_f32_e32 v10, v5
	v_add_f32_e32 v1, 1.0, v1
	v_div_scale_f32 v13, s1, 1.0, v7, 1.0
	v_rcp_f32_e32 v14, v11
	v_fma_f32 v17, -v4, v9, 1.0
	v_mul_f32_e32 v16, v1, v1
	v_add_f32_e32 v1, 1.0, v1
	v_fma_f32 v18, -v5, v10, 1.0
	v_fmac_f32_e32 v9, v17, v9
	v_mul_f32_e32 v20, v1, v1
	v_add_f32_e32 v1, 1.0, v1
	v_fma_f32 v17, -v11, v14, 1.0
	v_fmac_f32_e32 v10, v18, v10
	v_mul_f32_e32 v21, v6, v9
	v_div_scale_f32 v19, null, v16, v16, 1.0
	v_fmac_f32_e32 v14, v17, v14
	v_mul_f32_e32 v22, v12, v10
	v_fma_f32 v23, -v4, v21, v6
	v_add_f32_e32 v26, 1.0, v1
	v_rcp_f32_e32 v18, v19
	v_mul_f32_e32 v25, v13, v14
	v_fma_f32 v24, -v5, v22, v12
	v_fmac_f32_e32 v21, v23, v9
	v_mul_f32_e32 v1, v1, v1
	v_div_scale_f32 v17, null, v20, v20, 1.0
	v_fma_f32 v23, -v11, v25, v13
	v_fmac_f32_e32 v22, v24, v10
	v_fma_f32 v4, -v4, v21, v6
	v_mul_f32_e32 v6, v26, v26
	v_rcp_f32_e32 v24, v17
	v_fmac_f32_e32 v25, v23, v14
	v_fma_f32 v5, -v5, v22, v12
	v_div_fmas_f32 v4, v4, v9, v21
	s_mov_b32 vcc_lo, s0
	v_fma_f32 v27, -v19, v18, 1.0
	v_fma_f32 v9, -v11, v25, v13
	v_div_fmas_f32 v5, v5, v10, v22
	s_mov_b32 vcc_lo, s1
	v_div_scale_f32 v10, null, v1, v1, 1.0
	v_div_fmas_f32 v9, v9, v14, v25
	v_div_scale_f32 v11, null, v6, v6, 1.0
	v_add_f32_e32 v14, v26, v26
	v_rcp_f32_e32 v13, v10
	v_fmac_f32_e32 v18, v27, v18
	v_rcp_f32_e32 v22, v11
	v_div_scale_f32 v12, vcc_lo, 1.0, v16, 1.0
	v_div_scale_f32 v25, null, v14, v14, 1.0
	v_fma_f32 v21, -v17, v24, 1.0
	v_mul_f32_e32 v23, v12, v18
	v_div_fixup_f32 v2, v4, v2, 1.0
	v_rcp_f32_e32 v28, v25
	v_fma_f32 v27, -v10, v13, 1.0
	v_fmac_f32_e32 v24, v21, v24
	v_div_scale_f32 v21, s0, 1.0, v20, 1.0
	v_fma_f32 v30, -v11, v22, 1.0
	v_fma_f32 v29, -v19, v23, v12
	v_fmac_f32_e32 v13, v27, v13
	v_div_scale_f32 v27, s1, 1.0, v1, 1.0
	v_mul_f32_e32 v31, v21, v24
	v_fmac_f32_e32 v22, v30, v22
	v_div_scale_f32 v30, s2, 1.0, v6, 1.0
	v_fma_f32 v32, -v25, v28, 1.0
	v_fmac_f32_e32 v23, v29, v18
	v_mul_f32_e32 v33, v27, v13
	v_fma_f32 v29, -v17, v31, v21
	v_mul_f32_e32 v34, v30, v22
	v_fmac_f32_e32 v28, v32, v28
	v_div_scale_f32 v32, s3, 1.0, v14, 1.0
	v_fma_f32 v12, -v19, v23, v12
	v_fma_f32 v19, -v10, v33, v27
	v_fmac_f32_e32 v31, v29, v24
	v_fma_f32 v29, -v11, v34, v30
	v_mul_f32_e32 v35, v32, v28
	v_div_fmas_f32 v12, v12, v18, v23
	v_fmac_f32_e32 v33, v19, v13
	v_fma_f32 v17, -v17, v31, v21
	v_fmac_f32_e32 v34, v29, v22
	v_fma_f32 v18, -v25, v35, v32
	s_mov_b32 vcc_lo, s0
	v_fma_f32 v10, -v10, v33, v27
	v_div_fmas_f32 v17, v17, v24, v31
	v_fma_f32 v11, -v11, v34, v30
	v_fmac_f32_e32 v35, v18, v28
	s_mov_b32 vcc_lo, s1
	s_mov_b32 s0, 0xbcc30c31
	v_div_fmas_f32 v10, v10, v13, v33
	s_mov_b32 vcc_lo, s2
	v_fma_f32 v13, -v25, v35, v32
	v_div_fmas_f32 v11, v11, v22, v34
	s_mov_b32 vcc_lo, s3
	v_add_f32_e32 v2, v15, v2
	v_div_fixup_f32 v3, v5, v3, 1.0
	v_div_fmas_f32 v13, v13, v28, v35
	v_div_fixup_f32 v6, v11, v6, 1.0
	v_div_fixup_f32 v1, v10, v1, 1.0
	v_add_f32_e32 v2, v2, v3
	v_div_fixup_f32 v11, v13, v14, 1.0
	v_fmaak_f32 v13, s0, v6, 0x3d088889
	v_div_fixup_f32 v3, v9, v7, 1.0
	v_add_co_u32 v0, s0, s8, v0
	v_add_f32_e32 v11, 1.0, v11
	v_fma_f32 v13, -v6, v13, 0x3e2aaaab
	v_add_f32_e32 v2, v2, v3
	v_div_fixup_f32 v3, v12, v16, 1.0
	v_fmac_f32_e32 v11, v6, v13
	v_add_f32_e32 v2, v2, v3
	v_div_fixup_f32 v3, v17, v20, 1.0
	v_div_scale_f32 v6, null, v26, v26, v11
	v_add_f32_e32 v2, v2, v3
	v_rcp_f32_e32 v13, v6
	v_add_f32_e32 v1, v2, v1
	v_fma_f32 v4, -v6, v13, 1.0
	v_fmac_f32_e32 v13, v4, v13
	v_div_scale_f32 v4, vcc_lo, v11, v26, v11
	v_mul_f32_e32 v5, v4, v13
	v_fma_f32 v7, -v6, v5, v4
	v_fmac_f32_e32 v5, v7, v13
	v_fma_f32 v4, -v6, v5, v4
	v_div_fmas_f32 v3, v4, v13, v5
	v_div_fixup_f32 v2, v3, v26, v11
	v_mov_b32_e32 v3, 0x7fc0
	v_add_f32_e32 v1, v1, v2
	v_mul_f32_e32 v1, v8, v1
	v_bfe_u32 v2, v1, 16, 1
	v_cmp_o_f32_e32 vcc_lo, v1, v1
	v_add3_u32 v1, v1, v2, 0x7fff
	v_cndmask_b32_sdwa v2, v3, v1, vcc_lo dst_sel:DWORD dst_unused:UNUSED_PAD src0_sel:DWORD src1_sel:WORD_1
	v_add_co_ci_u32_e64 v1, null, s9, 0, s0
	s_cbranch_scc1 .LBB77_2188
; %bb.2068:
	s_and_b32 s1, 0xffff, s10
	s_mov_b32 s3, -1
	s_mov_b32 s2, 0
	s_cmp_gt_i32 s1, 25
	s_mov_b32 s0, 0
	s_cbranch_scc0 .LBB77_2101
; %bb.2069:
	s_cmp_gt_i32 s1, 28
	s_cbranch_scc0 .LBB77_2085
; %bb.2070:
	s_cmp_gt_i32 s1, 43
	;; [unrolled: 3-line block ×3, first 2 shown]
	s_cbranch_scc0 .LBB77_2075
; %bb.2072:
	s_cmp_eq_u32 s1, 46
	s_mov_b32 s0, -1
	s_cbranch_scc0 .LBB77_2074
; %bb.2073:
	v_and_b32_e32 v3, 0xffff, v2
	s_mov_b32 s0, 0
	global_store_dword v[0:1], v3, off
.LBB77_2074:
	s_mov_b32 s3, 0
.LBB77_2075:
	s_and_b32 vcc_lo, exec_lo, s3
	s_cbranch_vccz .LBB77_2080
; %bb.2076:
	s_cmp_eq_u32 s1, 44
	s_mov_b32 s0, -1
	s_cbranch_scc0 .LBB77_2080
; %bb.2077:
	v_and_b32_e32 v3, 0xffff, v2
	v_mov_b32_e32 v4, 0xff
	s_mov_b32 s3, exec_lo
	v_bfe_u32 v5, v3, 7, 8
	v_cmpx_ne_u32_e32 0xff, v5
	s_cbranch_execz .LBB77_2079
; %bb.2078:
	v_lshlrev_b32_e32 v4, 16, v3
	v_and_b32_e32 v6, 64, v3
	v_lshrrev_b32_e32 v3, 7, v3
	v_and_or_b32 v4, 0x3f0000, v4, v5
	v_cmp_ne_u32_e32 vcc_lo, 0, v6
	v_cmp_ne_u32_e64 s0, 0, v4
	s_and_b32 s0, vcc_lo, s0
	v_cndmask_b32_e64 v4, 0, 1, s0
	v_add_nc_u32_e32 v4, v3, v4
.LBB77_2079:
	s_or_b32 exec_lo, exec_lo, s3
	s_mov_b32 s0, 0
	global_store_byte v[0:1], v4, off
.LBB77_2080:
	s_mov_b32 s3, 0
.LBB77_2081:
	s_and_b32 vcc_lo, exec_lo, s3
	s_cbranch_vccz .LBB77_2084
; %bb.2082:
	s_cmp_eq_u32 s1, 29
	s_mov_b32 s0, -1
	s_cbranch_scc0 .LBB77_2084
; %bb.2083:
	v_lshlrev_b32_e32 v3, 16, v2
	s_mov_b32 s0, 0
	v_trunc_f32_e32 v3, v3
	v_mul_f32_e32 v4, 0x2f800000, v3
	v_floor_f32_e32 v4, v4
	v_fmamk_f32 v3, v4, 0xcf800000, v3
	v_cvt_u32_f32_e32 v4, v4
	v_cvt_u32_f32_e32 v3, v3
	global_store_dwordx2 v[0:1], v[3:4], off
.LBB77_2084:
	s_mov_b32 s3, 0
.LBB77_2085:
	s_and_b32 vcc_lo, exec_lo, s3
	s_cbranch_vccz .LBB77_2100
; %bb.2086:
	s_cmp_lt_i32 s1, 27
	s_mov_b32 s3, -1
	s_cbranch_scc1 .LBB77_2092
; %bb.2087:
	s_cmp_gt_i32 s1, 27
	s_cbranch_scc0 .LBB77_2089
; %bb.2088:
	v_lshlrev_b32_e32 v3, 16, v2
	s_mov_b32 s3, 0
	v_cvt_u32_f32_e32 v3, v3
	global_store_dword v[0:1], v3, off
.LBB77_2089:
	s_andn2_b32 vcc_lo, exec_lo, s3
	s_cbranch_vccnz .LBB77_2091
; %bb.2090:
	v_lshlrev_b32_e32 v3, 16, v2
	v_cvt_u32_f32_e32 v3, v3
	global_store_short v[0:1], v3, off
.LBB77_2091:
	s_mov_b32 s3, 0
.LBB77_2092:
	s_andn2_b32 vcc_lo, exec_lo, s3
	s_cbranch_vccnz .LBB77_2100
; %bb.2093:
	v_lshlrev_b32_e32 v5, 16, v2
	v_mov_b32_e32 v6, 0x80
	s_mov_b32 s3, exec_lo
	v_and_b32_e32 v4, 0x7fffffff, v5
	v_cmpx_gt_u32_e32 0x43800000, v4
	s_cbranch_execz .LBB77_2099
; %bb.2094:
	v_and_b32_e32 v3, 0xffff, v2
	v_cmp_lt_u32_e32 vcc_lo, 0x3bffffff, v4
	s_mov_b32 s5, 0
                                        ; implicit-def: $vgpr4
	s_and_saveexec_b32 s6, vcc_lo
	s_xor_b32 s6, exec_lo, s6
	s_cbranch_execz .LBB77_2205
; %bb.2095:
	v_bfe_u32 v4, v3, 4, 1
	s_mov_b32 s5, exec_lo
	v_add3_u32 v4, v5, v4, 0x487ffff
                                        ; implicit-def: $vgpr5
	v_lshrrev_b32_e32 v4, 20, v4
	s_andn2_saveexec_b32 s6, s6
	s_cbranch_execnz .LBB77_2206
.LBB77_2096:
	s_or_b32 exec_lo, exec_lo, s6
	v_mov_b32_e32 v6, 0
	s_and_saveexec_b32 s6, s5
.LBB77_2097:
	v_lshrrev_b32_e32 v3, 8, v3
	v_and_or_b32 v6, 0x80, v3, v4
.LBB77_2098:
	s_or_b32 exec_lo, exec_lo, s6
.LBB77_2099:
	s_or_b32 exec_lo, exec_lo, s3
	global_store_byte v[0:1], v6, off
.LBB77_2100:
	s_mov_b32 s3, 0
.LBB77_2101:
	s_and_b32 vcc_lo, exec_lo, s3
	s_cbranch_vccz .LBB77_2141
; %bb.2102:
	s_cmp_gt_i32 s1, 22
	s_mov_b32 s2, -1
	s_cbranch_scc0 .LBB77_2134
; %bb.2103:
	s_cmp_lt_i32 s1, 24
	s_cbranch_scc1 .LBB77_2123
; %bb.2104:
	s_cmp_gt_i32 s1, 24
	s_cbranch_scc0 .LBB77_2112
; %bb.2105:
	v_lshlrev_b32_e32 v5, 16, v2
	v_mov_b32_e32 v6, 0x80
	s_mov_b32 s2, exec_lo
	v_and_b32_e32 v4, 0x7fffffff, v5
	v_cmpx_gt_u32_e32 0x47800000, v4
	s_cbranch_execz .LBB77_2111
; %bb.2106:
	v_and_b32_e32 v3, 0xffff, v2
	v_cmp_lt_u32_e32 vcc_lo, 0x37ffffff, v4
	s_mov_b32 s3, 0
                                        ; implicit-def: $vgpr4
	s_and_saveexec_b32 s5, vcc_lo
	s_xor_b32 s5, exec_lo, s5
	s_cbranch_execz .LBB77_2208
; %bb.2107:
	v_bfe_u32 v4, v3, 5, 1
	s_mov_b32 s3, exec_lo
	v_add3_u32 v4, v5, v4, 0x88fffff
                                        ; implicit-def: $vgpr5
	v_lshrrev_b32_e32 v4, 21, v4
	s_andn2_saveexec_b32 s5, s5
	s_cbranch_execnz .LBB77_2209
.LBB77_2108:
	s_or_b32 exec_lo, exec_lo, s5
	v_mov_b32_e32 v6, 0
	s_and_saveexec_b32 s5, s3
.LBB77_2109:
	v_lshrrev_b32_e32 v3, 8, v3
	v_and_or_b32 v6, 0x80, v3, v4
.LBB77_2110:
	s_or_b32 exec_lo, exec_lo, s5
.LBB77_2111:
	s_or_b32 exec_lo, exec_lo, s2
	s_mov_b32 s2, 0
	global_store_byte v[0:1], v6, off
.LBB77_2112:
	s_and_b32 vcc_lo, exec_lo, s2
	s_cbranch_vccz .LBB77_2122
; %bb.2113:
	v_lshlrev_b32_e32 v5, 16, v2
	v_and_b32_e32 v3, 0xffff, v2
	s_mov_b32 s2, exec_lo
                                        ; implicit-def: $vgpr4
	v_and_b32_e32 v6, 0x7fffffff, v5
	v_cmpx_gt_u32_e32 0x43f00000, v6
	s_xor_b32 s2, exec_lo, s2
	s_cbranch_execz .LBB77_2119
; %bb.2114:
	s_mov_b32 s3, exec_lo
                                        ; implicit-def: $vgpr4
	v_cmpx_lt_u32_e32 0x3c7fffff, v6
	s_xor_b32 s3, exec_lo, s3
; %bb.2115:
	v_bfe_u32 v4, v3, 4, 1
	v_add3_u32 v4, v5, v4, 0x407ffff
	v_and_b32_e32 v5, 0xff00000, v4
	v_lshrrev_b32_e32 v4, 20, v4
	v_cmp_ne_u32_e32 vcc_lo, 0x7f00000, v5
                                        ; implicit-def: $vgpr5
	v_cndmask_b32_e32 v4, 0x7e, v4, vcc_lo
; %bb.2116:
	s_andn2_saveexec_b32 s3, s3
; %bb.2117:
	v_add_f32_e64 v4, 0x46800000, |v5|
; %bb.2118:
	s_or_b32 exec_lo, exec_lo, s3
                                        ; implicit-def: $vgpr6
.LBB77_2119:
	s_andn2_saveexec_b32 s2, s2
; %bb.2120:
	v_mov_b32_e32 v4, 0x7f
	v_cmp_lt_u32_e32 vcc_lo, 0x7f800000, v6
	v_cndmask_b32_e32 v4, 0x7e, v4, vcc_lo
; %bb.2121:
	s_or_b32 exec_lo, exec_lo, s2
	v_lshrrev_b32_e32 v3, 8, v3
	v_and_or_b32 v3, 0x80, v3, v4
	global_store_byte v[0:1], v3, off
.LBB77_2122:
	s_mov_b32 s2, 0
.LBB77_2123:
	s_andn2_b32 vcc_lo, exec_lo, s2
	s_cbranch_vccnz .LBB77_2133
; %bb.2124:
	v_lshlrev_b32_e32 v5, 16, v2
	v_and_b32_e32 v3, 0xffff, v2
	s_mov_b32 s2, exec_lo
                                        ; implicit-def: $vgpr4
	v_and_b32_e32 v6, 0x7fffffff, v5
	v_cmpx_gt_u32_e32 0x47800000, v6
	s_xor_b32 s2, exec_lo, s2
	s_cbranch_execz .LBB77_2130
; %bb.2125:
	s_mov_b32 s3, exec_lo
                                        ; implicit-def: $vgpr4
	v_cmpx_lt_u32_e32 0x387fffff, v6
	s_xor_b32 s3, exec_lo, s3
; %bb.2126:
	v_bfe_u32 v4, v3, 5, 1
	v_add3_u32 v4, v5, v4, 0x80fffff
                                        ; implicit-def: $vgpr5
	v_lshrrev_b32_e32 v4, 21, v4
; %bb.2127:
	s_andn2_saveexec_b32 s3, s3
; %bb.2128:
	v_add_f32_e64 v4, 0x43000000, |v5|
; %bb.2129:
	s_or_b32 exec_lo, exec_lo, s3
                                        ; implicit-def: $vgpr6
.LBB77_2130:
	s_andn2_saveexec_b32 s2, s2
; %bb.2131:
	v_mov_b32_e32 v4, 0x7f
	v_cmp_lt_u32_e32 vcc_lo, 0x7f800000, v6
	v_cndmask_b32_e32 v4, 0x7c, v4, vcc_lo
; %bb.2132:
	s_or_b32 exec_lo, exec_lo, s2
	v_lshrrev_b32_e32 v3, 8, v3
	v_and_or_b32 v3, 0x80, v3, v4
	global_store_byte v[0:1], v3, off
.LBB77_2133:
	s_mov_b32 s2, 0
.LBB77_2134:
	s_andn2_b32 vcc_lo, exec_lo, s2
	s_mov_b32 s2, 0
	s_cbranch_vccnz .LBB77_2141
; %bb.2135:
	s_cmp_gt_i32 s1, 14
	s_mov_b32 s2, -1
	s_cbranch_scc0 .LBB77_2139
; %bb.2136:
	s_cmp_eq_u32 s1, 15
	s_mov_b32 s0, -1
	s_cbranch_scc0 .LBB77_2138
; %bb.2137:
	s_mov_b32 s0, 0
	global_store_short v[0:1], v2, off
.LBB77_2138:
	s_mov_b32 s2, 0
.LBB77_2139:
	s_and_b32 vcc_lo, exec_lo, s2
	s_mov_b32 s2, 0
	s_cbranch_vccz .LBB77_2141
; %bb.2140:
	s_cmp_lg_u32 s1, 11
	s_mov_b32 s2, -1
	s_cselect_b32 s0, -1, 0
.LBB77_2141:
	s_and_b32 vcc_lo, exec_lo, s0
	s_cbranch_vccnz .LBB77_2207
.LBB77_2142:
	s_mov_b32 s0, 0
	s_branch .LBB77_2144
.LBB77_2143:
	s_mov_b32 s0, 0
	s_mov_b32 s2, 0
                                        ; implicit-def: $vgpr0_vgpr1
                                        ; implicit-def: $sgpr10
                                        ; implicit-def: $vgpr2
.LBB77_2144:
	s_andn2_b32 s1, s12, exec_lo
	s_and_b32 s3, s4, exec_lo
	s_and_b32 s0, s0, exec_lo
	;; [unrolled: 1-line block ×3, first 2 shown]
	s_or_b32 s12, s1, s3
.LBB77_2145:
	s_or_b32 exec_lo, exec_lo, s13
	s_and_saveexec_b32 s1, s12
	s_cbranch_execz .LBB77_2148
; %bb.2146:
	; divergent unreachable
	s_or_b32 exec_lo, exec_lo, s1
	s_and_saveexec_b32 s1, s26
	s_xor_b32 s1, exec_lo, s1
	s_cbranch_execnz .LBB77_2149
.LBB77_2147:
	s_or_b32 exec_lo, exec_lo, s1
	s_and_saveexec_b32 s1, s0
	s_cbranch_execnz .LBB77_2150
	s_branch .LBB77_2187
.LBB77_2148:
	s_or_b32 exec_lo, exec_lo, s1
	s_and_saveexec_b32 s1, s26
	s_xor_b32 s1, exec_lo, s1
	s_cbranch_execz .LBB77_2147
.LBB77_2149:
	s_waitcnt vmcnt(0)
	v_and_b32_e32 v3, 0x7fff, v2
	v_cmp_ne_u16_e32 vcc_lo, 0, v3
	v_cndmask_b32_e64 v3, 0, 1, vcc_lo
	global_store_byte v[0:1], v3, off
	s_or_b32 exec_lo, exec_lo, s1
	s_and_saveexec_b32 s1, s0
	s_cbranch_execz .LBB77_2187
.LBB77_2150:
	s_sext_i32_i16 s1, s10
	s_mov_b32 s0, -1
	s_cmp_lt_i32 s1, 5
	s_cbranch_scc1 .LBB77_2171
; %bb.2151:
	s_cmp_lt_i32 s1, 8
	s_cbranch_scc1 .LBB77_2161
; %bb.2152:
	;; [unrolled: 3-line block ×3, first 2 shown]
	s_cmp_gt_i32 s1, 9
	s_cbranch_scc0 .LBB77_2155
; %bb.2154:
	s_waitcnt vmcnt(0)
	v_lshlrev_b32_e32 v3, 16, v2
	v_mov_b32_e32 v5, 0
	s_mov_b32 s0, 0
	v_cvt_f64_f32_e32 v[3:4], v3
	v_mov_b32_e32 v6, v5
	global_store_dwordx4 v[0:1], v[3:6], off
.LBB77_2155:
	s_andn2_b32 vcc_lo, exec_lo, s0
	s_cbranch_vccnz .LBB77_2157
; %bb.2156:
	s_waitcnt vmcnt(0)
	v_lshlrev_b32_e32 v3, 16, v2
	v_mov_b32_e32 v4, 0
	global_store_dwordx2 v[0:1], v[3:4], off
.LBB77_2157:
	s_mov_b32 s0, 0
.LBB77_2158:
	s_andn2_b32 vcc_lo, exec_lo, s0
	s_cbranch_vccnz .LBB77_2160
; %bb.2159:
	s_waitcnt vmcnt(0)
	v_lshlrev_b32_e32 v3, 16, v2
	v_cvt_f16_f32_e32 v3, v3
	v_and_b32_e32 v3, 0xffff, v3
	global_store_dword v[0:1], v3, off
.LBB77_2160:
	s_mov_b32 s0, 0
.LBB77_2161:
	s_andn2_b32 vcc_lo, exec_lo, s0
	s_cbranch_vccnz .LBB77_2170
; %bb.2162:
	s_sext_i32_i16 s1, s10
	s_mov_b32 s0, -1
	s_cmp_lt_i32 s1, 6
	s_cbranch_scc1 .LBB77_2168
; %bb.2163:
	s_cmp_gt_i32 s1, 6
	s_cbranch_scc0 .LBB77_2165
; %bb.2164:
	s_waitcnt vmcnt(0)
	v_lshlrev_b32_e32 v3, 16, v2
	s_mov_b32 s0, 0
	v_cvt_f64_f32_e32 v[3:4], v3
	global_store_dwordx2 v[0:1], v[3:4], off
.LBB77_2165:
	s_andn2_b32 vcc_lo, exec_lo, s0
	s_cbranch_vccnz .LBB77_2167
; %bb.2166:
	s_waitcnt vmcnt(0)
	v_lshlrev_b32_e32 v3, 16, v2
	global_store_dword v[0:1], v3, off
.LBB77_2167:
	s_mov_b32 s0, 0
.LBB77_2168:
	s_andn2_b32 vcc_lo, exec_lo, s0
	s_cbranch_vccnz .LBB77_2170
; %bb.2169:
	s_waitcnt vmcnt(0)
	v_lshlrev_b32_e32 v3, 16, v2
	v_cvt_f16_f32_e32 v3, v3
	global_store_short v[0:1], v3, off
.LBB77_2170:
	s_mov_b32 s0, 0
.LBB77_2171:
	s_andn2_b32 vcc_lo, exec_lo, s0
	s_cbranch_vccnz .LBB77_2187
; %bb.2172:
	s_sext_i32_i16 s1, s10
	s_mov_b32 s0, -1
	s_cmp_lt_i32 s1, 2
	s_cbranch_scc1 .LBB77_2182
; %bb.2173:
	s_cmp_lt_i32 s1, 3
	s_cbranch_scc1 .LBB77_2179
; %bb.2174:
	s_cmp_gt_i32 s1, 3
	s_cbranch_scc0 .LBB77_2176
; %bb.2175:
	s_waitcnt vmcnt(0)
	v_lshlrev_b32_e32 v3, 16, v2
	s_mov_b32 s0, 0
	v_trunc_f32_e32 v3, v3
	v_mul_f32_e64 v4, 0x2f800000, |v3|
	v_ashrrev_i32_e32 v6, 31, v3
	v_floor_f32_e32 v4, v4
	v_fma_f32 v5, 0xcf800000, v4, |v3|
	v_cvt_u32_f32_e32 v4, v4
	v_cvt_u32_f32_e32 v3, v5
	v_xor_b32_e32 v4, v4, v6
	v_xor_b32_e32 v3, v3, v6
	v_sub_co_u32 v3, vcc_lo, v3, v6
	v_sub_co_ci_u32_e64 v4, null, v4, v6, vcc_lo
	global_store_dwordx2 v[0:1], v[3:4], off
.LBB77_2176:
	s_andn2_b32 vcc_lo, exec_lo, s0
	s_cbranch_vccnz .LBB77_2178
; %bb.2177:
	s_waitcnt vmcnt(0)
	v_lshlrev_b32_e32 v3, 16, v2
	v_cvt_i32_f32_e32 v3, v3
	global_store_dword v[0:1], v3, off
.LBB77_2178:
	s_mov_b32 s0, 0
.LBB77_2179:
	s_andn2_b32 vcc_lo, exec_lo, s0
	s_cbranch_vccnz .LBB77_2181
; %bb.2180:
	s_waitcnt vmcnt(0)
	v_lshlrev_b32_e32 v3, 16, v2
	v_cvt_i32_f32_e32 v3, v3
	global_store_short v[0:1], v3, off
.LBB77_2181:
	s_mov_b32 s0, 0
.LBB77_2182:
	s_andn2_b32 vcc_lo, exec_lo, s0
	s_cbranch_vccnz .LBB77_2187
; %bb.2183:
	s_sext_i32_i16 s0, s10
	s_cmp_gt_i32 s0, 0
	s_mov_b32 s0, -1
	s_cbranch_scc0 .LBB77_2185
; %bb.2184:
	s_waitcnt vmcnt(0)
	v_lshlrev_b32_e32 v3, 16, v2
	s_mov_b32 s0, 0
	v_cvt_i32_f32_e32 v3, v3
	global_store_byte v[0:1], v3, off
.LBB77_2185:
	s_andn2_b32 vcc_lo, exec_lo, s0
	s_cbranch_vccnz .LBB77_2187
; %bb.2186:
	v_lshlrev_b32_e32 v2, 16, v2
	v_trunc_f32_e32 v2, v2
	s_waitcnt vmcnt(0)
	v_mul_f32_e64 v3, 0x2f800000, |v2|
	v_floor_f32_e32 v3, v3
	v_fma_f32 v3, 0xcf800000, v3, |v2|
	v_ashrrev_i32_e32 v2, 31, v2
	v_cvt_u32_f32_e32 v3, v3
	v_xor_b32_e32 v3, v3, v2
	v_sub_nc_u32_e32 v2, v3, v2
	global_store_byte v[0:1], v2, off
	s_endpgm
.LBB77_2187:
	s_endpgm
.LBB77_2188:
	s_mov_b32 s2, 0
	s_mov_b32 s0, -1
	s_branch .LBB77_2144
.LBB77_2189:
	s_or_b32 s4, s4, exec_lo
	s_trap 2
	s_cbranch_execz .LBB77_1652
	s_branch .LBB77_1653
.LBB77_2190:
	s_andn2_saveexec_b32 s10, s10
	s_cbranch_execz .LBB77_1738
.LBB77_2191:
	v_add_f32_e64 v16, 0x46000000, |v17|
	s_andn2_b32 s7, s7, exec_lo
	v_and_b32_e32 v16, 0xff, v16
	v_cmp_ne_u32_e32 vcc_lo, 0, v16
	s_and_b32 s11, vcc_lo, exec_lo
	s_or_b32 s7, s7, s11
	s_or_b32 exec_lo, exec_lo, s10
	v_mov_b32_e32 v18, 0
	s_and_saveexec_b32 s10, s7
	s_cbranch_execnz .LBB77_1739
	s_branch .LBB77_1740
.LBB77_2192:
	s_or_b32 s4, s4, exec_lo
	s_trap 2
	s_cbranch_execz .LBB77_1786
	s_branch .LBB77_1787
.LBB77_2193:
	s_andn2_saveexec_b32 s7, s7
	s_cbranch_execz .LBB77_1751
.LBB77_2194:
	v_add_f32_e64 v16, 0x42800000, |v17|
	s_andn2_b32 s6, s6, exec_lo
	v_and_b32_e32 v16, 0xff, v16
	v_cmp_ne_u32_e32 vcc_lo, 0, v16
	s_and_b32 s10, vcc_lo, exec_lo
	s_or_b32 s6, s6, s10
	s_or_b32 exec_lo, exec_lo, s7
	v_mov_b32_e32 v18, 0
	s_and_saveexec_b32 s7, s6
	s_cbranch_execnz .LBB77_1752
	s_branch .LBB77_1753
.LBB77_2195:
	s_andn2_saveexec_b32 s6, s6
	s_cbranch_execz .LBB77_1857
.LBB77_2196:
	v_add_f32_e64 v6, 0x46000000, |v10|
	s_andn2_b32 s5, s5, exec_lo
	v_and_b32_e32 v6, 0xff, v6
	v_cmp_ne_u32_e32 vcc_lo, 0, v6
	s_and_b32 s7, vcc_lo, exec_lo
	s_or_b32 s5, s5, s7
	s_or_b32 exec_lo, exec_lo, s6
	v_mov_b32_e32 v11, 0
	s_and_saveexec_b32 s6, s5
	s_cbranch_execnz .LBB77_1858
	s_branch .LBB77_1859
.LBB77_2197:
	s_or_b32 s4, s4, exec_lo
	s_trap 2
	s_cbranch_execz .LBB77_1905
	s_branch .LBB77_1906
.LBB77_2198:
	s_andn2_saveexec_b32 s5, s5
	s_cbranch_execz .LBB77_1870
.LBB77_2199:
	v_add_f32_e64 v6, 0x42800000, |v10|
	s_andn2_b32 s3, s3, exec_lo
	v_and_b32_e32 v6, 0xff, v6
	v_cmp_ne_u32_e32 vcc_lo, 0, v6
	s_and_b32 s6, vcc_lo, exec_lo
	s_or_b32 s3, s3, s6
	s_or_b32 exec_lo, exec_lo, s5
	v_mov_b32_e32 v11, 0
	s_and_saveexec_b32 s5, s3
	s_cbranch_execnz .LBB77_1871
	s_branch .LBB77_1872
.LBB77_2200:
	s_andn2_saveexec_b32 s6, s6
	s_cbranch_execz .LBB77_1976
.LBB77_2201:
	v_add_f32_e64 v5, 0x46000000, |v6|
	s_andn2_b32 s5, s5, exec_lo
	v_and_b32_e32 v5, 0xff, v5
	v_cmp_ne_u32_e32 vcc_lo, 0, v5
	s_and_b32 s7, vcc_lo, exec_lo
	s_or_b32 s5, s5, s7
	s_or_b32 exec_lo, exec_lo, s6
	v_mov_b32_e32 v9, 0
	s_and_saveexec_b32 s6, s5
	s_cbranch_execnz .LBB77_1977
	s_branch .LBB77_1978
.LBB77_2202:
	s_or_b32 s4, s4, exec_lo
	s_trap 2
	s_cbranch_execz .LBB77_2024
	s_branch .LBB77_2025
.LBB77_2203:
	s_andn2_saveexec_b32 s5, s5
	s_cbranch_execz .LBB77_1989
.LBB77_2204:
	v_add_f32_e64 v5, 0x42800000, |v6|
	s_andn2_b32 s3, s3, exec_lo
	v_and_b32_e32 v5, 0xff, v5
	v_cmp_ne_u32_e32 vcc_lo, 0, v5
	s_and_b32 s6, vcc_lo, exec_lo
	s_or_b32 s3, s3, s6
	s_or_b32 exec_lo, exec_lo, s5
	v_mov_b32_e32 v9, 0
	s_and_saveexec_b32 s5, s3
	s_cbranch_execnz .LBB77_1990
	s_branch .LBB77_1991
.LBB77_2205:
	s_andn2_saveexec_b32 s6, s6
	s_cbranch_execz .LBB77_2096
.LBB77_2206:
	v_add_f32_e64 v4, 0x46000000, |v5|
	s_andn2_b32 s5, s5, exec_lo
	v_and_b32_e32 v4, 0xff, v4
	v_cmp_ne_u32_e32 vcc_lo, 0, v4
	s_and_b32 s7, vcc_lo, exec_lo
	s_or_b32 s5, s5, s7
	s_or_b32 exec_lo, exec_lo, s6
	v_mov_b32_e32 v6, 0
	s_and_saveexec_b32 s6, s5
	s_cbranch_execnz .LBB77_2097
	s_branch .LBB77_2098
.LBB77_2207:
	s_mov_b32 s2, 0
	s_or_b32 s4, s4, exec_lo
	s_trap 2
	s_branch .LBB77_2142
.LBB77_2208:
	s_andn2_saveexec_b32 s5, s5
	s_cbranch_execz .LBB77_2108
.LBB77_2209:
	v_add_f32_e64 v4, 0x42800000, |v5|
	s_andn2_b32 s3, s3, exec_lo
	v_and_b32_e32 v4, 0xff, v4
	v_cmp_ne_u32_e32 vcc_lo, 0, v4
	s_and_b32 s6, vcc_lo, exec_lo
	s_or_b32 s3, s3, s6
	s_or_b32 exec_lo, exec_lo, s5
	v_mov_b32_e32 v6, 0
	s_and_saveexec_b32 s5, s3
	s_cbranch_execnz .LBB77_2109
	s_branch .LBB77_2110
	.section	.rodata,"a",@progbits
	.p2align	6, 0x0
	.amdhsa_kernel _ZN2at6native32elementwise_kernel_manual_unrollILi128ELi4EZNS0_15gpu_kernel_implIZZZNS0_20trigamma_kernel_cudaERNS_18TensorIteratorBaseEENKUlvE_clEvENKUlvE2_clEvEUlN3c108BFloat16EE_EEvS4_RKT_EUlibE0_EEviT1_
		.amdhsa_group_segment_fixed_size 0
		.amdhsa_private_segment_fixed_size 0
		.amdhsa_kernarg_size 360
		.amdhsa_user_sgpr_count 6
		.amdhsa_user_sgpr_private_segment_buffer 1
		.amdhsa_user_sgpr_dispatch_ptr 0
		.amdhsa_user_sgpr_queue_ptr 0
		.amdhsa_user_sgpr_kernarg_segment_ptr 1
		.amdhsa_user_sgpr_dispatch_id 0
		.amdhsa_user_sgpr_flat_scratch_init 0
		.amdhsa_user_sgpr_private_segment_size 0
		.amdhsa_wavefront_size32 1
		.amdhsa_uses_dynamic_stack 0
		.amdhsa_system_sgpr_private_segment_wavefront_offset 0
		.amdhsa_system_sgpr_workgroup_id_x 1
		.amdhsa_system_sgpr_workgroup_id_y 0
		.amdhsa_system_sgpr_workgroup_id_z 0
		.amdhsa_system_sgpr_workgroup_info 0
		.amdhsa_system_vgpr_workitem_id 0
		.amdhsa_next_free_vgpr 48
		.amdhsa_next_free_sgpr 68
		.amdhsa_reserve_vcc 1
		.amdhsa_reserve_flat_scratch 0
		.amdhsa_float_round_mode_32 0
		.amdhsa_float_round_mode_16_64 0
		.amdhsa_float_denorm_mode_32 3
		.amdhsa_float_denorm_mode_16_64 3
		.amdhsa_dx10_clamp 1
		.amdhsa_ieee_mode 1
		.amdhsa_fp16_overflow 0
		.amdhsa_workgroup_processor_mode 1
		.amdhsa_memory_ordered 1
		.amdhsa_forward_progress 1
		.amdhsa_shared_vgpr_count 0
		.amdhsa_exception_fp_ieee_invalid_op 0
		.amdhsa_exception_fp_denorm_src 0
		.amdhsa_exception_fp_ieee_div_zero 0
		.amdhsa_exception_fp_ieee_overflow 0
		.amdhsa_exception_fp_ieee_underflow 0
		.amdhsa_exception_fp_ieee_inexact 0
		.amdhsa_exception_int_div_zero 0
	.end_amdhsa_kernel
	.section	.text._ZN2at6native32elementwise_kernel_manual_unrollILi128ELi4EZNS0_15gpu_kernel_implIZZZNS0_20trigamma_kernel_cudaERNS_18TensorIteratorBaseEENKUlvE_clEvENKUlvE2_clEvEUlN3c108BFloat16EE_EEvS4_RKT_EUlibE0_EEviT1_,"axG",@progbits,_ZN2at6native32elementwise_kernel_manual_unrollILi128ELi4EZNS0_15gpu_kernel_implIZZZNS0_20trigamma_kernel_cudaERNS_18TensorIteratorBaseEENKUlvE_clEvENKUlvE2_clEvEUlN3c108BFloat16EE_EEvS4_RKT_EUlibE0_EEviT1_,comdat
.Lfunc_end77:
	.size	_ZN2at6native32elementwise_kernel_manual_unrollILi128ELi4EZNS0_15gpu_kernel_implIZZZNS0_20trigamma_kernel_cudaERNS_18TensorIteratorBaseEENKUlvE_clEvENKUlvE2_clEvEUlN3c108BFloat16EE_EEvS4_RKT_EUlibE0_EEviT1_, .Lfunc_end77-_ZN2at6native32elementwise_kernel_manual_unrollILi128ELi4EZNS0_15gpu_kernel_implIZZZNS0_20trigamma_kernel_cudaERNS_18TensorIteratorBaseEENKUlvE_clEvENKUlvE2_clEvEUlN3c108BFloat16EE_EEvS4_RKT_EUlibE0_EEviT1_
                                        ; -- End function
	.set _ZN2at6native32elementwise_kernel_manual_unrollILi128ELi4EZNS0_15gpu_kernel_implIZZZNS0_20trigamma_kernel_cudaERNS_18TensorIteratorBaseEENKUlvE_clEvENKUlvE2_clEvEUlN3c108BFloat16EE_EEvS4_RKT_EUlibE0_EEviT1_.num_vgpr, 48
	.set _ZN2at6native32elementwise_kernel_manual_unrollILi128ELi4EZNS0_15gpu_kernel_implIZZZNS0_20trigamma_kernel_cudaERNS_18TensorIteratorBaseEENKUlvE_clEvENKUlvE2_clEvEUlN3c108BFloat16EE_EEvS4_RKT_EUlibE0_EEviT1_.num_agpr, 0
	.set _ZN2at6native32elementwise_kernel_manual_unrollILi128ELi4EZNS0_15gpu_kernel_implIZZZNS0_20trigamma_kernel_cudaERNS_18TensorIteratorBaseEENKUlvE_clEvENKUlvE2_clEvEUlN3c108BFloat16EE_EEvS4_RKT_EUlibE0_EEviT1_.numbered_sgpr, 68
	.set _ZN2at6native32elementwise_kernel_manual_unrollILi128ELi4EZNS0_15gpu_kernel_implIZZZNS0_20trigamma_kernel_cudaERNS_18TensorIteratorBaseEENKUlvE_clEvENKUlvE2_clEvEUlN3c108BFloat16EE_EEvS4_RKT_EUlibE0_EEviT1_.num_named_barrier, 0
	.set _ZN2at6native32elementwise_kernel_manual_unrollILi128ELi4EZNS0_15gpu_kernel_implIZZZNS0_20trigamma_kernel_cudaERNS_18TensorIteratorBaseEENKUlvE_clEvENKUlvE2_clEvEUlN3c108BFloat16EE_EEvS4_RKT_EUlibE0_EEviT1_.private_seg_size, 0
	.set _ZN2at6native32elementwise_kernel_manual_unrollILi128ELi4EZNS0_15gpu_kernel_implIZZZNS0_20trigamma_kernel_cudaERNS_18TensorIteratorBaseEENKUlvE_clEvENKUlvE2_clEvEUlN3c108BFloat16EE_EEvS4_RKT_EUlibE0_EEviT1_.uses_vcc, 1
	.set _ZN2at6native32elementwise_kernel_manual_unrollILi128ELi4EZNS0_15gpu_kernel_implIZZZNS0_20trigamma_kernel_cudaERNS_18TensorIteratorBaseEENKUlvE_clEvENKUlvE2_clEvEUlN3c108BFloat16EE_EEvS4_RKT_EUlibE0_EEviT1_.uses_flat_scratch, 0
	.set _ZN2at6native32elementwise_kernel_manual_unrollILi128ELi4EZNS0_15gpu_kernel_implIZZZNS0_20trigamma_kernel_cudaERNS_18TensorIteratorBaseEENKUlvE_clEvENKUlvE2_clEvEUlN3c108BFloat16EE_EEvS4_RKT_EUlibE0_EEviT1_.has_dyn_sized_stack, 0
	.set _ZN2at6native32elementwise_kernel_manual_unrollILi128ELi4EZNS0_15gpu_kernel_implIZZZNS0_20trigamma_kernel_cudaERNS_18TensorIteratorBaseEENKUlvE_clEvENKUlvE2_clEvEUlN3c108BFloat16EE_EEvS4_RKT_EUlibE0_EEviT1_.has_recursion, 0
	.set _ZN2at6native32elementwise_kernel_manual_unrollILi128ELi4EZNS0_15gpu_kernel_implIZZZNS0_20trigamma_kernel_cudaERNS_18TensorIteratorBaseEENKUlvE_clEvENKUlvE2_clEvEUlN3c108BFloat16EE_EEvS4_RKT_EUlibE0_EEviT1_.has_indirect_call, 0
	.section	.AMDGPU.csdata,"",@progbits
; Kernel info:
; codeLenInByte = 56528
; TotalNumSgprs: 70
; NumVgprs: 48
; ScratchSize: 0
; MemoryBound: 0
; FloatMode: 240
; IeeeMode: 1
; LDSByteSize: 0 bytes/workgroup (compile time only)
; SGPRBlocks: 0
; VGPRBlocks: 5
; NumSGPRsForWavesPerEU: 70
; NumVGPRsForWavesPerEU: 48
; Occupancy: 16
; WaveLimiterHint : 1
; COMPUTE_PGM_RSRC2:SCRATCH_EN: 0
; COMPUTE_PGM_RSRC2:USER_SGPR: 6
; COMPUTE_PGM_RSRC2:TRAP_HANDLER: 0
; COMPUTE_PGM_RSRC2:TGID_X_EN: 1
; COMPUTE_PGM_RSRC2:TGID_Y_EN: 0
; COMPUTE_PGM_RSRC2:TGID_Z_EN: 0
; COMPUTE_PGM_RSRC2:TIDIG_COMP_CNT: 0
	.text
	.p2align	2                               ; -- Begin function _ZZZZN2at6native21polygamma_kernel_cudaERNS_18TensorIteratorBaseElENKUlvE_clEvENKUlvE_clEvENKUldE_clEd
	.type	_ZZZZN2at6native21polygamma_kernel_cudaERNS_18TensorIteratorBaseElENKUlvE_clEvENKUlvE_clEvENKUldE_clEd,@function
_ZZZZN2at6native21polygamma_kernel_cudaERNS_18TensorIteratorBaseElENKUlvE_clEvENKUlvE_clEvENKUldE_clEd: ; @_ZZZZN2at6native21polygamma_kernel_cudaERNS_18TensorIteratorBaseElENKUlvE_clEvENKUlvE_clEvENKUldE_clEd
; %bb.0:
	s_waitcnt vmcnt(0) expcnt(0) lgkmcnt(0)
	s_or_saveexec_b32 s4, -1
	buffer_store_dword v40, off, s[0:3], s32 ; 4-byte Folded Spill
	s_mov_b32 exec_lo, s4
	v_writelane_b32 v40, s34, 0
	v_writelane_b32 v40, s35, 1
	;; [unrolled: 1-line block ×7, first 2 shown]
	v_cvt_f64_i32_e32 v[8:9], v0
                                        ; implicit-def: $vgpr10_vgpr11
	s_mov_b32 s4, exec_lo
	v_add_f64 v[4:5], v[8:9], 1.0
	v_and_b32_e32 v7, 0x7fffffff, v5
	v_mov_b32_e32 v6, v4
	v_cmpx_lt_u32_e32 0x3f6fffff, v7
	s_xor_b32 s7, exec_lo, s4
	s_cbranch_execz .LBB78_26
; %bb.1:
                                        ; implicit-def: $vgpr10_vgpr11
	s_mov_b32 s4, exec_lo
	v_cmpx_lt_u32_e32 0x3fffffff, v7
	s_xor_b32 s5, exec_lo, s4
	s_cbranch_execz .LBB78_11
; %bb.2:
                                        ; implicit-def: $vgpr10_vgpr11
	s_mov_b32 s4, exec_lo
	;; [unrolled: 6-line block ×3, first 2 shown]
	v_cmpx_lt_u32_e32 0x438fffff, v7
	s_xor_b32 s8, exec_lo, s4
	s_cbranch_execz .LBB78_5
; %bb.4:
	v_frexp_mant_f64_e64 v[10:11], |v[4:5]|
	s_mov_b32 s11, 0x3fe55555
	s_mov_b32 s10, 0x55555555
	;; [unrolled: 1-line block ×6, first 2 shown]
	v_cmp_neq_f64_e64 s4, 0, v[4:5]
	v_cmp_gt_f64_e32 vcc_lo, s[10:11], v[10:11]
	s_mov_b32 s10, 0x55555780
	v_cndmask_b32_e64 v1, 0, 1, vcc_lo
	v_ldexp_f64 v[10:11], v[10:11], v1
	v_frexp_exp_i32_f64_e32 v1, v[4:5]
	v_add_f64 v[12:13], v[10:11], 1.0
	v_add_f64 v[18:19], v[10:11], -1.0
	v_subrev_co_ci_u32_e64 v1, null, 0, v1, vcc_lo
	v_cmp_neq_f64_e64 vcc_lo, 0x7ff00000, |v[4:5]|
	v_rcp_f64_e32 v[14:15], v[12:13]
	v_add_f64 v[20:21], v[12:13], -1.0
	v_add_f64 v[10:11], v[10:11], -v[20:21]
	v_fma_f64 v[16:17], -v[12:13], v[14:15], 1.0
	v_fma_f64 v[14:15], v[16:17], v[14:15], v[14:15]
	v_fma_f64 v[16:17], -v[12:13], v[14:15], 1.0
	v_fma_f64 v[14:15], v[16:17], v[14:15], v[14:15]
	v_mul_f64 v[16:17], v[18:19], v[14:15]
	v_mul_f64 v[22:23], v[12:13], v[16:17]
	v_fma_f64 v[12:13], v[16:17], v[12:13], -v[22:23]
	v_fma_f64 v[10:11], v[16:17], v[10:11], v[12:13]
	v_add_f64 v[12:13], v[22:23], v[10:11]
	v_add_f64 v[20:21], v[18:19], -v[12:13]
	v_add_f64 v[22:23], v[12:13], -v[22:23]
	;; [unrolled: 1-line block ×5, first 2 shown]
	v_add_f64 v[10:11], v[10:11], v[12:13]
	v_add_f64 v[10:11], v[20:21], v[10:11]
	v_mul_f64 v[10:11], v[14:15], v[10:11]
	v_add_f64 v[12:13], v[16:17], v[10:11]
	v_mul_f64 v[14:15], v[12:13], v[12:13]
	v_fma_f64 v[18:19], v[14:15], s[14:15], s[12:13]
	s_mov_b32 s12, 0xd7f4df2e
	s_mov_b32 s13, 0x3fc7474d
	v_mul_f64 v[20:21], v[12:13], v[14:15]
	v_fma_f64 v[18:19], v[14:15], v[18:19], s[12:13]
	s_mov_b32 s12, 0x16291751
	s_mov_b32 s13, 0x3fcc71c0
	v_fma_f64 v[18:19], v[14:15], v[18:19], s[12:13]
	s_mov_b32 s12, 0x9b27acf1
	s_mov_b32 s13, 0x3fd24924
	;; [unrolled: 3-line block ×3, first 2 shown]
	v_fma_f64 v[18:19], v[14:15], v[18:19], s[12:13]
	v_fma_f64 v[14:15], v[14:15], v[18:19], s[10:11]
	v_ldexp_f64 v[18:19], v[12:13], 1
	v_add_f64 v[12:13], v[12:13], -v[16:17]
	s_mov_b32 s10, 0xfefa39ef
	s_mov_b32 s11, 0x3fe62e42
	v_mul_f64 v[14:15], v[20:21], v[14:15]
	v_cvt_f64_i32_e32 v[20:21], v1
	v_add_f64 v[10:11], v[10:11], -v[12:13]
	v_add_f64 v[16:17], v[18:19], v[14:15]
	v_mul_f64 v[22:23], v[20:21], s[10:11]
	v_ldexp_f64 v[10:11], v[10:11], 1
	v_add_f64 v[12:13], v[16:17], -v[18:19]
	v_fma_f64 v[18:19], v[20:21], s[10:11], -v[22:23]
	s_mov_b32 s10, 0x3b39803f
	s_mov_b32 s11, 0x3c7abc9e
	v_add_f64 v[12:13], v[14:15], -v[12:13]
	v_fma_f64 v[14:15], v[20:21], s[10:11], v[18:19]
	v_add_f64 v[10:11], v[10:11], v[12:13]
	v_add_f64 v[12:13], v[22:23], v[14:15]
	;; [unrolled: 1-line block ×3, first 2 shown]
	v_add_f64 v[22:23], v[12:13], -v[22:23]
	v_add_f64 v[20:21], v[12:13], v[18:19]
	v_add_f64 v[16:17], v[18:19], -v[16:17]
	v_add_f64 v[14:15], v[14:15], -v[22:23]
	;; [unrolled: 1-line block ×6, first 2 shown]
	v_add_f64 v[18:19], v[14:15], v[10:11]
	v_add_f64 v[12:13], v[12:13], -v[26:27]
	v_add_f64 v[12:13], v[16:17], v[12:13]
	v_add_f64 v[16:17], v[18:19], -v[14:15]
	;; [unrolled: 2-line block ×3, first 2 shown]
	v_add_f64 v[10:11], v[10:11], -v[16:17]
	v_add_f64 v[22:23], v[20:21], v[12:13]
	v_add_f64 v[14:15], v[14:15], -v[18:19]
	v_add_f64 v[16:17], v[22:23], -v[20:21]
	v_add_f64 v[10:11], v[10:11], v[14:15]
	v_add_f64 v[12:13], v[12:13], -v[16:17]
	v_add_f64 v[10:11], v[10:11], v[12:13]
	v_add_f64 v[10:11], v[22:23], v[10:11]
	v_cndmask_b32_e32 v1, 0x7ff00000, v11, vcc_lo
	s_and_b32 vcc_lo, s4, vcc_lo
	v_cndmask_b32_e32 v10, 0, v10, vcc_lo
	v_cndmask_b32_e64 v11, 0xfff00000, v1, s4
	v_fma_f64 v[10:11], |v[4:5]|, v[10:11], -|v[4:5]|
.LBB78_5:
	s_andn2_saveexec_b32 s8, s8
	s_cbranch_execz .LBB78_7
; %bb.6:
	v_frexp_mant_f64_e64 v[10:11], |v[4:5]|
	s_mov_b32 s11, 0x3fe55555
	s_mov_b32 s10, 0x55555555
	;; [unrolled: 1-line block ×6, first 2 shown]
	v_mov_b32_e32 v6, v4
	v_cmp_neq_f64_e64 s4, 0, v[4:5]
	v_cmp_gt_f64_e32 vcc_lo, s[10:11], v[10:11]
	s_mov_b32 s10, 0x55555780
	v_cndmask_b32_e64 v1, 0, 1, vcc_lo
	v_ldexp_f64 v[10:11], v[10:11], v1
	v_frexp_exp_i32_f64_e32 v1, v[4:5]
	v_add_f64 v[12:13], v[10:11], 1.0
	v_add_f64 v[18:19], v[10:11], -1.0
	v_subrev_co_ci_u32_e64 v1, null, 0, v1, vcc_lo
	v_div_scale_f64 v[32:33], vcc_lo, 1.0, v[6:7], 1.0
	v_rcp_f64_e32 v[14:15], v[12:13]
	v_add_f64 v[20:21], v[12:13], -1.0
	v_add_f64 v[10:11], v[10:11], -v[20:21]
	v_fma_f64 v[16:17], -v[12:13], v[14:15], 1.0
	v_fma_f64 v[14:15], v[16:17], v[14:15], v[14:15]
	v_fma_f64 v[16:17], -v[12:13], v[14:15], 1.0
	v_fma_f64 v[14:15], v[16:17], v[14:15], v[14:15]
	v_mul_f64 v[16:17], v[18:19], v[14:15]
	v_mul_f64 v[22:23], v[12:13], v[16:17]
	v_fma_f64 v[12:13], v[16:17], v[12:13], -v[22:23]
	v_fma_f64 v[10:11], v[16:17], v[10:11], v[12:13]
	v_add_f64 v[12:13], v[22:23], v[10:11]
	v_add_f64 v[20:21], v[18:19], -v[12:13]
	v_add_f64 v[22:23], v[12:13], -v[22:23]
	;; [unrolled: 1-line block ×5, first 2 shown]
	v_add_f64 v[10:11], v[10:11], v[12:13]
	v_add_f64 v[10:11], v[20:21], v[10:11]
	v_mul_f64 v[10:11], v[14:15], v[10:11]
	v_add_f64 v[12:13], v[16:17], v[10:11]
	v_mul_f64 v[14:15], v[12:13], v[12:13]
	v_fma_f64 v[18:19], v[14:15], s[14:15], s[12:13]
	s_mov_b32 s12, 0xd7f4df2e
	s_mov_b32 s13, 0x3fc7474d
	v_mul_f64 v[20:21], v[12:13], v[14:15]
	v_fma_f64 v[18:19], v[14:15], v[18:19], s[12:13]
	s_mov_b32 s12, 0x16291751
	s_mov_b32 s13, 0x3fcc71c0
	v_fma_f64 v[18:19], v[14:15], v[18:19], s[12:13]
	s_mov_b32 s12, 0x9b27acf1
	s_mov_b32 s13, 0x3fd24924
	;; [unrolled: 3-line block ×4, first 2 shown]
	v_fma_f64 v[14:15], v[14:15], v[18:19], s[10:11]
	v_ldexp_f64 v[18:19], v[12:13], 1
	v_add_f64 v[12:13], v[12:13], -v[16:17]
	s_mov_b32 s10, 0xfefa39ef
	s_mov_b32 s11, 0x3fe62e42
	v_mul_f64 v[14:15], v[20:21], v[14:15]
	v_cvt_f64_i32_e32 v[20:21], v1
	v_add_f64 v[10:11], v[10:11], -v[12:13]
	v_add_f64 v[16:17], v[18:19], v[14:15]
	v_mul_f64 v[22:23], v[20:21], s[10:11]
	v_ldexp_f64 v[10:11], v[10:11], 1
	v_add_f64 v[12:13], v[16:17], -v[18:19]
	v_div_scale_f64 v[18:19], null, v[6:7], v[6:7], 1.0
	v_fma_f64 v[24:25], v[20:21], s[10:11], -v[22:23]
	s_mov_b32 s10, 0x3b39803f
	s_mov_b32 s11, 0x3c7abc9e
	v_add_f64 v[12:13], v[14:15], -v[12:13]
	v_rcp_f64_e32 v[14:15], v[18:19]
	v_fma_f64 v[20:21], v[20:21], s[10:11], v[24:25]
	s_mov_b32 s10, 0x4cdad5d1
	s_mov_b32 s11, 0x3f4b67ba
	v_add_f64 v[10:11], v[10:11], v[12:13]
	v_add_f64 v[24:25], v[22:23], v[20:21]
	v_fma_f64 v[12:13], -v[18:19], v[14:15], 1.0
	v_add_f64 v[26:27], v[16:17], v[10:11]
	v_add_f64 v[22:23], v[24:25], -v[22:23]
	v_fma_f64 v[12:13], v[14:15], v[12:13], v[14:15]
	v_add_f64 v[14:15], v[24:25], v[26:27]
	v_add_f64 v[16:17], v[26:27], -v[16:17]
	v_add_f64 v[20:21], v[20:21], -v[22:23]
	v_fma_f64 v[28:29], -v[18:19], v[12:13], 1.0
	v_add_f64 v[30:31], v[14:15], -v[24:25]
	v_add_f64 v[10:11], v[10:11], -v[16:17]
	v_fma_f64 v[12:13], v[12:13], v[28:29], v[12:13]
	v_add_f64 v[28:29], v[14:15], -v[30:31]
	v_add_f64 v[16:17], v[26:27], -v[30:31]
	v_mul_f64 v[34:35], v[32:33], v[12:13]
	v_add_f64 v[22:23], v[24:25], -v[28:29]
	v_add_f64 v[24:25], v[20:21], v[10:11]
	v_fma_f64 v[18:19], -v[18:19], v[34:35], v[32:33]
	v_add_f64 v[16:17], v[16:17], v[22:23]
	v_div_fmas_f64 v[12:13], v[18:19], v[12:13], v[34:35]
	v_add_f64 v[18:19], v[24:25], -v[20:21]
	v_cmp_neq_f64_e64 vcc_lo, 0x7ff00000, |v[4:5]|
	v_add_f64 v[16:17], v[24:25], v[16:17]
	v_div_fixup_f64 v[12:13], v[12:13], |v[4:5]|, 1.0
	v_add_f64 v[22:23], v[24:25], -v[18:19]
	v_add_f64 v[10:11], v[10:11], -v[18:19]
	v_add_f64 v[24:25], v[14:15], v[16:17]
	v_mul_f64 v[26:27], v[12:13], v[12:13]
	v_add_f64 v[18:19], v[20:21], -v[22:23]
	v_add_f64 v[14:15], v[24:25], -v[14:15]
	v_fma_f64 v[20:21], v[26:27], s[12:13], s[10:11]
	s_mov_b32 s10, 0x8c0fe741
	s_mov_b32 s11, 0xbf4380cb
	v_add_f64 v[10:11], v[10:11], v[18:19]
	v_add_f64 v[14:15], v[16:17], -v[14:15]
	v_fma_f64 v[16:17], v[26:27], v[20:21], s[10:11]
	s_mov_b32 s10, 0x98cf38b6
	s_mov_b32 s11, 0x3f4a019f
	v_add_f64 v[10:11], v[10:11], v[14:15]
	v_fma_f64 v[14:15], v[26:27], v[16:17], s[10:11]
	s_mov_b32 s10, 0x16b02e5c
	s_mov_b32 s11, 0xbf66c16c
	v_add_f64 v[16:17], |v[4:5]|, -0.5
	v_add_f64 v[10:11], v[24:25], v[10:11]
	v_fma_f64 v[14:15], v[26:27], v[14:15], s[10:11]
	s_mov_b32 s10, 0x5555553b
	s_mov_b32 s11, 0x3fb55555
	v_add_f64 v[10:11], v[10:11], -1.0
	v_fma_f64 v[14:15], v[26:27], v[14:15], s[10:11]
	s_mov_b32 s10, 0x90c97d69
	s_mov_b32 s11, 0x3fdacfe3
	v_cndmask_b32_e32 v1, 0x7ff00000, v11, vcc_lo
	s_and_b32 vcc_lo, s4, vcc_lo
	v_fma_f64 v[11:12], v[12:13], v[14:15], s[10:11]
	v_cndmask_b32_e64 v14, 0xfff00000, v1, s4
	v_cndmask_b32_e32 v13, 0, v10, vcc_lo
	v_fma_f64 v[10:11], v[16:17], v[13:14], v[11:12]
.LBB78_7:
	s_or_b32 exec_lo, exec_lo, s8
.LBB78_8:
	s_andn2_saveexec_b32 s6, s6
	s_cbranch_execz .LBB78_10
; %bb.9:
	v_cvt_i32_f64_e32 v1, v[6:7]
	s_mov_b32 s9, 0x3fe55555
	s_mov_b32 s8, 0x55555555
	;; [unrolled: 1-line block ×6, first 2 shown]
	v_cvt_f64_i32_e32 v[10:11], v1
	v_cmp_lt_i32_e32 vcc_lo, 2, v1
	v_cmp_lt_i32_e64 s4, 3, v1
	v_add_f64 v[10:11], |v[4:5]|, -v[10:11]
	v_add_f64 v[12:13], v[10:11], 2.0
	v_add_f64 v[14:15], 0x40080000, v[10:11]
	v_add_f64 v[16:17], v[10:11], 4.0
	v_cndmask_b32_e32 v13, 0x3ff00000, v13, vcc_lo
	v_cndmask_b32_e32 v12, 0, v12, vcc_lo
	v_cndmask_b32_e64 v15, 0x3ff00000, v15, s4
	v_cndmask_b32_e64 v14, 0, v14, s4
	v_cmp_lt_i32_e32 vcc_lo, 4, v1
	v_mul_f64 v[12:13], v[12:13], v[14:15]
	v_add_f64 v[14:15], 0x40140000, v[10:11]
	v_cndmask_b32_e32 v17, 0x3ff00000, v17, vcc_lo
	v_cndmask_b32_e32 v16, 0, v16, vcc_lo
	v_cmp_lt_i32_e32 vcc_lo, 5, v1
	v_mul_f64 v[12:13], v[16:17], v[12:13]
	v_add_f64 v[16:17], 0x40180000, v[10:11]
	v_cndmask_b32_e32 v15, 0x3ff00000, v15, vcc_lo
	v_cndmask_b32_e32 v14, 0, v14, vcc_lo
	v_cmp_lt_i32_e32 vcc_lo, 6, v1
	v_mul_f64 v[12:13], v[14:15], v[12:13]
	v_cndmask_b32_e32 v15, 0x3ff00000, v17, vcc_lo
	v_cndmask_b32_e32 v14, 0, v16, vcc_lo
	v_mul_f64 v[12:13], v[14:15], v[12:13]
	v_frexp_mant_f64_e32 v[14:15], v[12:13]
	v_cmp_gt_f64_e32 vcc_lo, s[8:9], v[14:15]
	s_mov_b32 s8, 0x55555780
	v_cndmask_b32_e64 v1, 0, 1, vcc_lo
	v_ldexp_f64 v[14:15], v[14:15], v1
	v_frexp_exp_i32_f64_e32 v1, v[12:13]
	v_add_f64 v[16:17], v[14:15], 1.0
	v_add_f64 v[22:23], v[14:15], -1.0
	v_subrev_co_ci_u32_e64 v1, null, 0, v1, vcc_lo
	v_cvt_f64_i32_e32 v[28:29], v1
	v_rcp_f64_e32 v[18:19], v[16:17]
	v_add_f64 v[24:25], v[16:17], -1.0
	v_add_f64 v[14:15], v[14:15], -v[24:25]
	v_fma_f64 v[20:21], -v[16:17], v[18:19], 1.0
	v_fma_f64 v[18:19], v[20:21], v[18:19], v[18:19]
	v_fma_f64 v[20:21], -v[16:17], v[18:19], 1.0
	v_fma_f64 v[18:19], v[20:21], v[18:19], v[18:19]
	v_mul_f64 v[20:21], v[22:23], v[18:19]
	v_mul_f64 v[26:27], v[16:17], v[20:21]
	v_fma_f64 v[16:17], v[20:21], v[16:17], -v[26:27]
	v_fma_f64 v[14:15], v[20:21], v[14:15], v[16:17]
	v_add_f64 v[16:17], v[26:27], v[14:15]
	v_add_f64 v[24:25], v[22:23], -v[16:17]
	v_add_f64 v[26:27], v[16:17], -v[26:27]
	;; [unrolled: 1-line block ×5, first 2 shown]
	v_add_f64 v[14:15], v[14:15], v[16:17]
	v_add_f64 v[14:15], v[24:25], v[14:15]
	v_mul_f64 v[14:15], v[18:19], v[14:15]
	v_add_f64 v[16:17], v[20:21], v[14:15]
	v_mul_f64 v[18:19], v[16:17], v[16:17]
	v_ldexp_f64 v[26:27], v[16:17], 1
	v_fma_f64 v[22:23], v[18:19], s[12:13], s[10:11]
	s_mov_b32 s10, 0xd7f4df2e
	s_mov_b32 s11, 0x3fc7474d
	v_mul_f64 v[24:25], v[16:17], v[18:19]
	s_mov_b32 s12, 0xa5b38140
	s_mov_b32 s13, 0x3edebaf7
	v_add_f64 v[16:17], v[16:17], -v[20:21]
	v_fma_f64 v[22:23], v[18:19], v[22:23], s[10:11]
	s_mov_b32 s10, 0x16291751
	s_mov_b32 s11, 0x3fcc71c0
	v_add_f64 v[14:15], v[14:15], -v[16:17]
	v_fma_f64 v[22:23], v[18:19], v[22:23], s[10:11]
	s_mov_b32 s10, 0x9b27acf1
	s_mov_b32 s11, 0x3fd24924
	v_ldexp_f64 v[14:15], v[14:15], 1
	v_fma_f64 v[22:23], v[18:19], v[22:23], s[10:11]
	s_mov_b32 s10, 0x998ef7b6
	s_mov_b32 s11, 0x3fd99999
	v_fma_f64 v[22:23], v[18:19], v[22:23], s[10:11]
	s_mov_b32 s10, 0xdd17e945
	s_mov_b32 s11, 0x3f00bfec
	;; [unrolled: 3-line block ×4, first 2 shown]
	s_mov_b32 s10, 0xca41a95b
	s_mov_b32 s11, 0x3f497dda
	v_mul_f64 v[18:19], v[24:25], v[18:19]
	v_fma_f64 v[24:25], v[10:11], s[12:13], s[10:11]
	s_mov_b32 s10, 0x742ed475
	s_mov_b32 s11, 0x3f9317ea
	v_fma_f64 v[22:23], v[10:11], v[22:23], s[8:9]
	s_mov_b32 s8, 0xbee5f2f7
	s_mov_b32 s9, 0x3fc2bb9c
	;; [unrolled: 1-line block ×4, first 2 shown]
	v_add_f64 v[20:21], v[26:27], v[18:19]
	v_fma_f64 v[24:25], v[10:11], v[24:25], s[10:11]
	s_mov_b32 s10, 0x4f139f59
	s_mov_b32 s11, 0x3fd4d98f
	v_fma_f64 v[22:23], v[10:11], v[22:23], s[8:9]
	s_mov_b32 s8, 0xfefa39ef
	s_mov_b32 s9, 0x3fe62e42
	v_mul_f64 v[30:31], v[28:29], s[8:9]
	v_add_f64 v[16:17], v[20:21], -v[26:27]
	v_fma_f64 v[24:25], v[10:11], v[24:25], s[12:13]
	v_fma_f64 v[22:23], v[10:11], v[22:23], s[10:11]
	s_mov_b32 s10, 0x93d3dcdc
	s_mov_b32 s11, 0x3fe71a18
	v_fma_f64 v[26:27], v[28:29], s[8:9], -v[30:31]
	s_mov_b32 s8, 0x36e20878
	s_mov_b32 s9, 0x3fcb848b
	v_add_f64 v[16:17], v[18:19], -v[16:17]
	v_fma_f64 v[18:19], v[10:11], v[24:25], s[10:11]
	s_mov_b32 s10, 0x62c4ab74
	s_mov_b32 s11, 0x3ff645a7
	v_fma_f64 v[22:23], v[10:11], v[22:23], s[8:9]
	s_mov_b32 s8, 0x3b39803f
	s_mov_b32 s9, 0x3c7abc9e
	;; [unrolled: 3-line block ×3, first 2 shown]
	v_add_f64 v[14:15], v[14:15], v[16:17]
	v_fma_f64 v[16:17], v[10:11], v[18:19], s[10:11]
	v_fma_f64 v[18:19], v[10:11], v[22:23], s[8:9]
	v_add_f64 v[22:23], v[30:31], v[24:25]
	v_add_f64 v[26:27], v[20:21], v[14:15]
	v_fma_f64 v[16:17], v[10:11], v[16:17], 1.0
	v_mul_f64 v[18:19], v[10:11], v[18:19]
	v_add_f64 v[30:31], v[22:23], -v[30:31]
	v_add_f64 v[28:29], v[22:23], v[26:27]
	v_add_f64 v[20:21], v[26:27], -v[20:21]
	v_div_scale_f64 v[32:33], null, v[16:17], v[16:17], v[18:19]
	v_add_f64 v[24:25], v[24:25], -v[30:31]
	v_add_f64 v[34:35], v[28:29], -v[22:23]
	;; [unrolled: 1-line block ×3, first 2 shown]
	v_rcp_f64_e32 v[36:37], v[32:33]
	v_add_f64 v[38:39], v[28:29], -v[34:35]
	v_add_f64 v[20:21], v[26:27], -v[34:35]
	v_add_f64 v[30:31], v[24:25], v[14:15]
	v_fma_f64 v[48:49], -v[32:33], v[36:37], 1.0
	v_add_f64 v[22:23], v[22:23], -v[38:39]
	v_add_f64 v[34:35], v[30:31], -v[24:25]
	v_fma_f64 v[26:27], v[36:37], v[48:49], v[36:37]
	v_div_scale_f64 v[36:37], vcc_lo, v[18:19], v[16:17], v[18:19]
	v_add_f64 v[20:21], v[20:21], v[22:23]
	v_add_f64 v[14:15], v[14:15], -v[34:35]
	v_fma_f64 v[22:23], -v[32:33], v[26:27], 1.0
	v_add_f64 v[20:21], v[30:31], v[20:21]
	v_fma_f64 v[22:23], v[26:27], v[22:23], v[26:27]
	v_add_f64 v[26:27], v[30:31], -v[34:35]
	v_add_f64 v[30:31], v[28:29], v[20:21]
	v_mul_f64 v[38:39], v[36:37], v[22:23]
	v_add_f64 v[24:25], v[24:25], -v[26:27]
	v_add_f64 v[26:27], v[30:31], -v[28:29]
	v_fma_f64 v[28:29], -v[32:33], v[38:39], v[36:37]
	v_add_f64 v[14:15], v[14:15], v[24:25]
	v_add_f64 v[20:21], v[20:21], -v[26:27]
	v_div_fmas_f64 v[22:23], v[28:29], v[22:23], v[38:39]
	v_cmp_class_f64_e64 vcc_lo, v[12:13], 0x204
	v_add_f64 v[14:15], v[14:15], v[20:21]
	v_div_fixup_f64 v[16:17], v[22:23], v[16:17], v[18:19]
	v_add_f64 v[14:15], v[30:31], v[14:15]
	v_fma_f64 v[10:11], v[10:11], 0.5, v[16:17]
	v_cndmask_b32_e32 v1, v14, v12, vcc_lo
	v_cndmask_b32_e32 v6, v15, v13, vcc_lo
	v_cmp_ngt_f64_e32 vcc_lo, 0, v[12:13]
	v_cndmask_b32_e32 v6, 0x7ff80000, v6, vcc_lo
	v_cmp_nge_f64_e32 vcc_lo, 0, v[12:13]
	v_cndmask_b32_e32 v14, 0, v1, vcc_lo
	v_cmp_neq_f64_e32 vcc_lo, 0, v[12:13]
	v_cndmask_b32_e32 v15, 0xfff00000, v6, vcc_lo
	v_add_f64 v[10:11], v[10:11], v[14:15]
.LBB78_10:
	s_or_b32 exec_lo, exec_lo, s6
.LBB78_11:
	s_andn2_saveexec_b32 s8, s5
	s_cbranch_execz .LBB78_25
; %bb.12:
                                        ; implicit-def: $vgpr1
                                        ; implicit-def: $vgpr12_vgpr13
	s_mov_b32 s4, exec_lo
	v_cmpx_lt_u32_e32 0x3feccccc, v7
	s_xor_b32 s5, exec_lo, s4
	s_cbranch_execz .LBB78_14
; %bb.13:
	s_mov_b32 s10, 0x6356be3f
	s_mov_b32 s11, 0xbff762d8
	v_add_f64 v[10:11], -|v[4:5]|, 2.0
	v_add_f64 v[12:13], |v[4:5]|, s[10:11]
	v_add_f64 v[14:15], |v[4:5]|, -1.0
	v_cmp_gt_u32_e32 vcc_lo, 0x3ffbb4c3, v7
	v_cmp_gt_u32_e64 s4, 0x3ff3b4c4, v7
	v_cndmask_b32_e32 v1, v10, v12, vcc_lo
	v_cndmask_b32_e32 v6, v11, v13, vcc_lo
	v_cndmask_b32_e64 v10, 0, 1, vcc_lo
	v_cndmask_b32_e64 v12, v1, v14, s4
	v_cndmask_b32_e64 v13, v6, v15, s4
	;; [unrolled: 1-line block ×3, first 2 shown]
.LBB78_14:
	s_or_saveexec_b32 s9, s5
	v_mov_b32_e32 v10, 0
	v_mov_b32_e32 v11, 0
	s_xor_b32 exec_lo, exec_lo, s9
	s_cbranch_execz .LBB78_16
; %bb.15:
	v_frexp_mant_f64_e64 v[10:11], |v[4:5]|
	s_mov_b32 s5, 0x3fe55555
	s_mov_b32 s4, 0x55555555
	;; [unrolled: 1-line block ×6, first 2 shown]
	v_cmp_gt_u32_e64 s6, 0x3fcda661, v7
	v_cmp_gt_f64_e32 vcc_lo, s[4:5], v[10:11]
	s_mov_b32 s4, 0x55555780
	v_cndmask_b32_e64 v1, 0, 1, vcc_lo
	v_ldexp_f64 v[10:11], v[10:11], v1
	v_frexp_exp_i32_f64_e32 v1, v[4:5]
	v_add_f64 v[12:13], v[10:11], 1.0
	v_add_f64 v[18:19], v[10:11], -1.0
	v_subrev_co_ci_u32_e64 v1, null, 0, v1, vcc_lo
	v_cmp_neq_f64_e64 vcc_lo, 0x7ff00000, |v[4:5]|
	v_rcp_f64_e32 v[14:15], v[12:13]
	v_add_f64 v[20:21], v[12:13], -1.0
	v_add_f64 v[10:11], v[10:11], -v[20:21]
	v_fma_f64 v[16:17], -v[12:13], v[14:15], 1.0
	v_fma_f64 v[14:15], v[16:17], v[14:15], v[14:15]
	v_fma_f64 v[16:17], -v[12:13], v[14:15], 1.0
	v_fma_f64 v[14:15], v[16:17], v[14:15], v[14:15]
	v_mul_f64 v[16:17], v[18:19], v[14:15]
	v_mul_f64 v[22:23], v[12:13], v[16:17]
	v_fma_f64 v[12:13], v[16:17], v[12:13], -v[22:23]
	v_fma_f64 v[10:11], v[16:17], v[10:11], v[12:13]
	v_add_f64 v[12:13], v[22:23], v[10:11]
	v_add_f64 v[20:21], v[18:19], -v[12:13]
	v_add_f64 v[22:23], v[12:13], -v[22:23]
	;; [unrolled: 1-line block ×5, first 2 shown]
	v_add_f64 v[10:11], v[10:11], v[12:13]
	v_add_f64 v[10:11], v[20:21], v[10:11]
	v_mul_f64 v[10:11], v[14:15], v[10:11]
	v_add_f64 v[12:13], v[16:17], v[10:11]
	v_mul_f64 v[14:15], v[12:13], v[12:13]
	v_fma_f64 v[18:19], v[14:15], s[12:13], s[10:11]
	s_mov_b32 s10, 0xd7f4df2e
	s_mov_b32 s11, 0x3fc7474d
	v_mul_f64 v[20:21], v[12:13], v[14:15]
	v_fma_f64 v[18:19], v[14:15], v[18:19], s[10:11]
	s_mov_b32 s10, 0x16291751
	s_mov_b32 s11, 0x3fcc71c0
	v_fma_f64 v[18:19], v[14:15], v[18:19], s[10:11]
	s_mov_b32 s10, 0x9b27acf1
	s_mov_b32 s11, 0x3fd24924
	;; [unrolled: 3-line block ×3, first 2 shown]
	v_fma_f64 v[18:19], v[14:15], v[18:19], s[10:11]
	v_fma_f64 v[14:15], v[14:15], v[18:19], s[4:5]
	v_ldexp_f64 v[18:19], v[12:13], 1
	v_add_f64 v[12:13], v[12:13], -v[16:17]
	s_mov_b32 s4, 0xfefa39ef
	s_mov_b32 s5, 0x3fe62e42
	v_mul_f64 v[14:15], v[20:21], v[14:15]
	v_cvt_f64_i32_e32 v[20:21], v1
	v_add_f64 v[10:11], v[10:11], -v[12:13]
	v_add_f64 v[16:17], v[18:19], v[14:15]
	v_mul_f64 v[22:23], v[20:21], s[4:5]
	v_ldexp_f64 v[10:11], v[10:11], 1
	v_add_f64 v[12:13], v[16:17], -v[18:19]
	v_fma_f64 v[18:19], v[20:21], s[4:5], -v[22:23]
	s_mov_b32 s4, 0x3b39803f
	s_mov_b32 s5, 0x3c7abc9e
	v_add_f64 v[12:13], v[14:15], -v[12:13]
	v_fma_f64 v[14:15], v[20:21], s[4:5], v[18:19]
	s_mov_b32 s4, 0x8d5af8fc
	s_mov_b32 s5, 0xbfdd8b61
	v_add_f64 v[10:11], v[10:11], v[12:13]
	v_add_f64 v[12:13], v[22:23], v[14:15]
	;; [unrolled: 1-line block ×3, first 2 shown]
	v_add_f64 v[22:23], v[12:13], -v[22:23]
	v_add_f64 v[20:21], v[12:13], v[18:19]
	v_add_f64 v[16:17], v[18:19], -v[16:17]
	v_add_f64 v[14:15], v[14:15], -v[22:23]
	;; [unrolled: 1-line block ×6, first 2 shown]
	v_add_f64 v[18:19], v[14:15], v[10:11]
	v_add_f64 v[12:13], v[12:13], -v[26:27]
	v_add_f64 v[12:13], v[16:17], v[12:13]
	v_add_f64 v[16:17], v[18:19], -v[14:15]
	;; [unrolled: 2-line block ×3, first 2 shown]
	v_add_f64 v[10:11], v[10:11], -v[16:17]
	v_add_f64 v[22:23], v[20:21], v[12:13]
	v_add_f64 v[14:15], v[14:15], -v[18:19]
	v_add_f64 v[16:17], v[22:23], -v[20:21]
	v_add_f64 v[10:11], v[10:11], v[14:15]
	v_add_f64 v[14:15], |v[4:5]|, s[4:5]
	v_cmp_neq_f64_e64 s4, 0, v[4:5]
	v_cmp_gt_u32_e64 s5, 0x3fe76944, v7
	v_add_f64 v[12:13], v[12:13], -v[16:17]
	v_add_f64 v[10:11], v[10:11], v[12:13]
	v_add_f64 v[12:13], -|v[4:5]|, 1.0
	v_add_f64 v[10:11], v[22:23], v[10:11]
	v_cndmask_b32_e64 v6, v12, v14, s5
	v_cndmask_b32_e64 v14, 0, 1, s5
	;; [unrolled: 1-line block ×3, first 2 shown]
	v_xor_b32_e32 v1, 0x80000000, v11
	v_cndmask_b32_e64 v11, v13, v15, s5
	v_cndmask_b32_e32 v1, 0xfff00000, v1, vcc_lo
	s_and_b32 vcc_lo, s4, vcc_lo
	v_cndmask_b32_e64 v13, v11, v7, s6
	v_cndmask_b32_e32 v10, 0, v10, vcc_lo
	v_cndmask_b32_e64 v11, 0x7ff00000, v1, s4
	v_cndmask_b32_e64 v1, v14, 2, s6
.LBB78_16:
	s_or_b32 exec_lo, exec_lo, s9
	s_mov_b32 s4, exec_lo
                                        ; implicit-def: $vgpr16_vgpr17
	v_cmpx_lt_i32_e32 1, v1
	s_xor_b32 s4, exec_lo, s4
	s_cbranch_execz .LBB78_18
; %bb.17:
	s_mov_b32 s10, 0xf6010924
	s_mov_b32 s12, 0xbf2bab09
	;; [unrolled: 1-line block ×5, first 2 shown]
	v_fma_f64 v[14:15], v[12:13], s[12:13], s[10:11]
	s_mov_b32 s10, 0x44ea8450
	s_mov_b32 s12, 0xd6537c88
	;; [unrolled: 1-line block ×5, first 2 shown]
                                        ; implicit-def: $vgpr1
	v_fma_f64 v[16:17], v[12:13], s[14:15], s[12:13]
	s_mov_b32 s12, 0xe45050af
	s_mov_b32 s13, 0x3fe89dfb
	v_fma_f64 v[14:15], v[12:13], v[14:15], s[10:11]
	s_mov_b32 s10, 0xd119bd6f
	s_mov_b32 s11, 0x3ff7475c
	;; [unrolled: 3-line block ×6, first 2 shown]
	v_fma_f64 v[16:17], v[12:13], v[16:17], s[12:13]
	v_fma_f64 v[14:15], v[12:13], v[14:15], s[10:11]
	v_fma_f64 v[16:17], v[12:13], v[16:17], 1.0
	v_mul_f64 v[14:15], v[12:13], v[14:15]
	v_div_scale_f64 v[18:19], null, v[16:17], v[16:17], v[14:15]
	v_rcp_f64_e32 v[20:21], v[18:19]
	v_fma_f64 v[22:23], -v[18:19], v[20:21], 1.0
	v_fma_f64 v[20:21], v[20:21], v[22:23], v[20:21]
	v_fma_f64 v[22:23], -v[18:19], v[20:21], 1.0
	v_fma_f64 v[20:21], v[20:21], v[22:23], v[20:21]
	v_div_scale_f64 v[22:23], vcc_lo, v[14:15], v[16:17], v[14:15]
	v_mul_f64 v[24:25], v[22:23], v[20:21]
	v_fma_f64 v[18:19], -v[18:19], v[24:25], v[22:23]
	v_div_fmas_f64 v[18:19], v[18:19], v[20:21], v[24:25]
	v_div_fixup_f64 v[14:15], v[18:19], v[16:17], v[14:15]
	v_fma_f64 v[16:17], v[12:13], -0.5, v[14:15]
                                        ; implicit-def: $vgpr12_vgpr13
.LBB78_18:
	s_andn2_saveexec_b32 s4, s4
	s_cbranch_execz .LBB78_24
; %bb.19:
	v_mul_f64 v[14:15], v[12:13], v[12:13]
	s_mov_b32 s5, exec_lo
                                        ; implicit-def: $vgpr16_vgpr17
	v_cmpx_ne_u32_e32 1, v1
	s_xor_b32 s5, exec_lo, s5
	s_cbranch_execz .LBB78_21
; %bb.20:
	s_mov_b32 s10, 0x987dfb07
	s_mov_b32 s12, 0x90a45837
	s_mov_b32 s11, 0x3f1c5088
	s_mov_b32 s13, 0x3f07858e
	s_mov_b32 s14, 0x89b99c00
	v_fma_f64 v[16:17], v[14:15], s[12:13], s[10:11]
	s_mov_b32 s10, 0xed10e54d
	s_mov_b32 s12, 0x428cfa52
	;; [unrolled: 1-line block ×5, first 2 shown]
	v_fma_f64 v[18:19], v[14:15], s[12:13], s[10:11]
	s_mov_b32 s10, 0x116f3f5d
	s_mov_b32 s12, 0xccb7926b
	;; [unrolled: 1-line block ×4, first 2 shown]
	v_fma_f64 v[16:17], v[14:15], v[16:17], s[14:15]
	v_fma_f64 v[18:19], v[14:15], v[18:19], s[10:11]
	s_mov_b32 s10, 0xb68fefe8
	s_mov_b32 s11, 0x3f7e404f
	v_fma_f64 v[16:17], v[14:15], v[16:17], s[12:13]
	s_mov_b32 s12, 0xac92547b
	s_mov_b32 s13, 0x3f951322
	;; [unrolled: 3-line block ×5, first 2 shown]
	v_fma_f64 v[16:17], v[14:15], v[16:17], s[12:13]
	v_fma_f64 v[18:19], v[14:15], v[18:19], s[10:11]
	v_mul_f64 v[14:15], v[14:15], v[16:17]
	v_fma_f64 v[14:15], v[12:13], v[18:19], v[14:15]
	v_fma_f64 v[16:17], v[12:13], -0.5, v[14:15]
                                        ; implicit-def: $vgpr12_vgpr13
                                        ; implicit-def: $vgpr14_vgpr15
.LBB78_21:
	s_andn2_saveexec_b32 s5, s5
	s_cbranch_execz .LBB78_23
; %bb.22:
	v_mul_f64 v[16:17], v[12:13], v[14:15]
	s_mov_b32 s10, 0xef61a8e9
	s_mov_b32 s12, 0xecc38c38
	;; [unrolled: 1-line block ×8, first 2 shown]
	v_fma_f64 v[18:19], v[16:17], s[12:13], s[10:11]
	v_fma_f64 v[20:21], v[16:17], s[16:17], s[14:15]
	s_mov_b32 s10, 0xb3e914d7
	s_mov_b32 s12, 0x2e15c915
	;; [unrolled: 1-line block ×8, first 2 shown]
	v_fma_f64 v[18:19], v[16:17], v[18:19], s[10:11]
	v_fma_f64 v[20:21], v[16:17], v[20:21], s[12:13]
	s_mov_b32 s10, 0xbf2d1af1
	s_mov_b32 s12, 0x6c0ebbf7
	;; [unrolled: 1-line block ×4, first 2 shown]
	v_fma_f64 v[22:23], v[16:17], s[12:13], s[10:11]
	s_mov_b32 s10, 0xe370e344
	s_mov_b32 s12, 0x8dc6c509
	;; [unrolled: 1-line block ×4, first 2 shown]
	v_fma_f64 v[18:19], v[16:17], v[18:19], s[14:15]
	v_fma_f64 v[20:21], v[16:17], v[20:21], s[16:17]
	s_mov_b32 s14, 0x94d5419b
	s_mov_b32 s15, 0x3fb08b42
	v_fma_f64 v[22:23], v[16:17], v[22:23], s[10:11]
	s_mov_b32 s10, 0xdf35b713
	s_mov_b32 s11, 0xbfa0c9a8
	v_fma_f64 v[18:19], v[16:17], v[18:19], s[12:13]
	v_fma_f64 v[20:21], v[16:17], v[20:21], s[14:15]
	s_mov_b32 s12, 0xa48a971f
	s_mov_b32 s13, 0xbc50c7ca
	v_fma_f64 v[22:23], v[16:17], v[22:23], s[10:11]
	s_mov_b32 s10, 0xc8ee38a2
	s_mov_b32 s11, 0x3fdef72b
	v_fma_f64 v[12:13], v[12:13], v[20:21], v[18:19]
	v_fma_f64 v[18:19], v[16:17], v[22:23], s[10:11]
	s_mov_b32 s10, 0xbcc38a42
	s_mov_b32 s11, 0xbfbf19b9
	v_fma_f64 v[12:13], v[16:17], -v[12:13], s[12:13]
	v_fma_f64 v[12:13], v[14:15], v[18:19], -v[12:13]
	v_add_f64 v[16:17], v[12:13], s[10:11]
.LBB78_23:
	s_or_b32 exec_lo, exec_lo, s5
.LBB78_24:
	s_or_b32 exec_lo, exec_lo, s4
	v_add_f64 v[10:11], v[10:11], v[16:17]
.LBB78_25:
	s_or_b32 exec_lo, exec_lo, s8
.LBB78_26:
	s_andn2_saveexec_b32 s5, s7
	s_cbranch_execz .LBB78_28
; %bb.27:
	v_frexp_mant_f64_e64 v[10:11], |v[4:5]|
	s_mov_b32 s7, 0x3fe55555
	s_mov_b32 s6, 0x55555555
	;; [unrolled: 1-line block ×6, first 2 shown]
	v_cmp_neq_f64_e64 s4, 0, v[4:5]
	v_cmp_gt_f64_e32 vcc_lo, s[6:7], v[10:11]
	s_mov_b32 s6, 0x55555780
	v_cndmask_b32_e64 v1, 0, 1, vcc_lo
	v_ldexp_f64 v[10:11], v[10:11], v1
	v_frexp_exp_i32_f64_e32 v1, v[4:5]
	v_add_f64 v[12:13], v[10:11], 1.0
	v_add_f64 v[18:19], v[10:11], -1.0
	v_subrev_co_ci_u32_e64 v1, null, 0, v1, vcc_lo
	v_cmp_neq_f64_e64 vcc_lo, 0x7ff00000, |v[4:5]|
	v_rcp_f64_e32 v[14:15], v[12:13]
	v_add_f64 v[20:21], v[12:13], -1.0
	v_add_f64 v[10:11], v[10:11], -v[20:21]
	v_fma_f64 v[16:17], -v[12:13], v[14:15], 1.0
	v_fma_f64 v[14:15], v[16:17], v[14:15], v[14:15]
	v_fma_f64 v[16:17], -v[12:13], v[14:15], 1.0
	v_fma_f64 v[14:15], v[16:17], v[14:15], v[14:15]
	v_mul_f64 v[16:17], v[18:19], v[14:15]
	v_mul_f64 v[22:23], v[12:13], v[16:17]
	v_fma_f64 v[12:13], v[16:17], v[12:13], -v[22:23]
	v_fma_f64 v[10:11], v[16:17], v[10:11], v[12:13]
	v_add_f64 v[12:13], v[22:23], v[10:11]
	v_add_f64 v[20:21], v[18:19], -v[12:13]
	v_add_f64 v[22:23], v[12:13], -v[22:23]
	;; [unrolled: 1-line block ×5, first 2 shown]
	v_add_f64 v[10:11], v[10:11], v[12:13]
	v_add_f64 v[10:11], v[20:21], v[10:11]
	v_mul_f64 v[10:11], v[14:15], v[10:11]
	v_add_f64 v[12:13], v[16:17], v[10:11]
	v_mul_f64 v[14:15], v[12:13], v[12:13]
	v_fma_f64 v[18:19], v[14:15], s[10:11], s[8:9]
	s_mov_b32 s8, 0xd7f4df2e
	s_mov_b32 s9, 0x3fc7474d
	v_mul_f64 v[20:21], v[12:13], v[14:15]
	v_fma_f64 v[18:19], v[14:15], v[18:19], s[8:9]
	s_mov_b32 s8, 0x16291751
	s_mov_b32 s9, 0x3fcc71c0
	v_fma_f64 v[18:19], v[14:15], v[18:19], s[8:9]
	s_mov_b32 s8, 0x9b27acf1
	s_mov_b32 s9, 0x3fd24924
	;; [unrolled: 3-line block ×4, first 2 shown]
	v_fma_f64 v[14:15], v[14:15], v[18:19], s[6:7]
	v_ldexp_f64 v[18:19], v[12:13], 1
	v_add_f64 v[12:13], v[12:13], -v[16:17]
	s_mov_b32 s6, 0xfefa39ef
	s_mov_b32 s7, 0x3fe62e42
	v_mul_f64 v[14:15], v[20:21], v[14:15]
	v_cvt_f64_i32_e32 v[20:21], v1
	v_add_f64 v[10:11], v[10:11], -v[12:13]
	v_add_f64 v[16:17], v[18:19], v[14:15]
	v_mul_f64 v[22:23], v[20:21], s[6:7]
	v_ldexp_f64 v[10:11], v[10:11], 1
	v_add_f64 v[12:13], v[16:17], -v[18:19]
	v_fma_f64 v[18:19], v[20:21], s[6:7], -v[22:23]
	s_mov_b32 s6, 0x3b39803f
	s_mov_b32 s7, 0x3c7abc9e
	v_add_f64 v[12:13], v[14:15], -v[12:13]
	v_fma_f64 v[14:15], v[20:21], s[6:7], v[18:19]
	s_mov_b32 s6, 0x2ac7d848
	s_mov_b32 s7, 0x3fd15132
	v_add_f64 v[10:11], v[10:11], v[12:13]
	v_add_f64 v[12:13], v[22:23], v[14:15]
	;; [unrolled: 1-line block ×3, first 2 shown]
	v_add_f64 v[22:23], v[12:13], -v[22:23]
	v_add_f64 v[20:21], v[12:13], v[18:19]
	v_add_f64 v[16:17], v[18:19], -v[16:17]
	v_add_f64 v[14:15], v[14:15], -v[22:23]
	;; [unrolled: 1-line block ×6, first 2 shown]
	v_add_f64 v[18:19], v[14:15], v[10:11]
	v_add_f64 v[12:13], v[12:13], -v[26:27]
	v_add_f64 v[12:13], v[16:17], v[12:13]
	v_add_f64 v[16:17], v[18:19], -v[14:15]
	;; [unrolled: 2-line block ×3, first 2 shown]
	v_add_f64 v[10:11], v[10:11], -v[16:17]
	v_add_f64 v[22:23], v[20:21], v[12:13]
	v_add_f64 v[14:15], v[14:15], -v[18:19]
	v_add_f64 v[16:17], v[22:23], -v[20:21]
	v_add_f64 v[10:11], v[10:11], v[14:15]
	v_fma_f64 v[14:15], |v[4:5]|, s[8:9], s[6:7]
	s_mov_b32 s6, 0x5beab2d7
	s_mov_b32 s7, 0xbfd9a4d5
	v_add_f64 v[12:13], v[12:13], -v[16:17]
	v_add_f64 v[10:11], v[10:11], v[12:13]
	v_fma_f64 v[12:13], |v[4:5]|, v[14:15], s[6:7]
	s_mov_b32 s6, 0x625307d3
	s_mov_b32 s7, 0x3fea51a6
	v_add_f64 v[10:11], v[22:23], v[10:11]
	v_fma_f64 v[12:13], |v[4:5]|, v[12:13], s[6:7]
	s_mov_b32 s6, 0xfc6fb619
	s_mov_b32 s7, 0xbfe2788c
	v_xor_b32_e32 v1, 0x80000000, v11
	v_fma_f64 v[11:12], |v[4:5]|, v[12:13], s[6:7]
	v_cndmask_b32_e32 v1, 0xfff00000, v1, vcc_lo
	s_and_b32 vcc_lo, s4, vcc_lo
	v_cndmask_b32_e32 v13, 0, v10, vcc_lo
	v_cndmask_b32_e64 v14, 0x7ff00000, v1, s4
	v_fma_f64 v[10:11], |v[4:5]|, v[11:12], v[13:14]
.LBB78_28:
	s_or_b32 exec_lo, exec_lo, s5
	s_mov_b32 s4, exec_lo
	v_cmpx_le_f64_e32 0, v[4:5]
	s_xor_b32 s5, exec_lo, s4
	s_cbranch_execz .LBB78_30
; %bb.29:
	v_cmp_eq_f64_e32 vcc_lo, 1.0, v[4:5]
	v_cmp_eq_f64_e64 s4, 2.0, v[4:5]
	s_or_b32 s4, vcc_lo, s4
	v_cndmask_b32_e64 v11, v11, 0, s4
	v_cndmask_b32_e64 v10, v10, 0, s4
.LBB78_30:
	s_andn2_saveexec_b32 s5, s5
	s_cbranch_execz .LBB78_34
; %bb.31:
	v_add_nc_u32_e32 v1, 0xc32fffff, v7
	s_mov_b32 s6, exec_lo
	v_cmpx_gt_u32_e32 0x65fffff, v1
	s_cbranch_execz .LBB78_33
; %bb.32:
	v_mul_f64 v[12:13], |v[4:5]|, 0.5
	s_mov_b32 s8, 0x6fdffd2b
	s_mov_b32 s10, 0xf99eb0bb
	;; [unrolled: 1-line block ×8, first 2 shown]
	v_cmp_class_f64_e64 s4, v[4:5], 0x1f8
	v_fract_f64_e32 v[14:15], v[12:13]
	v_cmp_neq_f64_e32 vcc_lo, 0x7ff00000, v[12:13]
	v_add_f64 v[14:15], v[14:15], v[14:15]
	v_cndmask_b32_e32 v1, 0, v14, vcc_lo
	v_cndmask_b32_e32 v6, 0, v15, vcc_lo
	v_cmp_gt_f64_e64 vcc_lo, |v[4:5]|, 1.0
	v_cndmask_b32_e32 v13, v7, v6, vcc_lo
	v_cndmask_b32_e32 v12, v4, v1, vcc_lo
	v_add_f64 v[14:15], v[12:13], v[12:13]
	v_rndne_f64_e32 v[14:15], v[14:15]
	v_fma_f64 v[12:13], v[14:15], -0.5, v[12:13]
	v_cvt_i32_f64_e32 v1, v[14:15]
	v_mul_f64 v[16:17], v[12:13], v[12:13]
	v_and_b32_e32 v6, 1, v1
	v_lshlrev_b32_e32 v1, 30, v1
	v_cmp_eq_u32_e32 vcc_lo, 0, v6
	v_xor_b32_e32 v1, v1, v5
	v_and_b32_e32 v1, 0x80000000, v1
	v_fma_f64 v[18:19], v[16:17], s[10:11], s[8:9]
	v_fma_f64 v[20:21], v[16:17], s[14:15], s[12:13]
	s_mov_b32 s8, 0xd5f14825
	s_mov_b32 s10, 0x7294bff9
	;; [unrolled: 1-line block ×4, first 2 shown]
	v_mul_f64 v[22:23], v[12:13], v[16:17]
	s_mov_b32 s12, 0xbf559e2b
	s_mov_b32 s13, 0x3fc3ab76
	v_fma_f64 v[18:19], v[16:17], v[18:19], s[8:9]
	v_fma_f64 v[20:21], v[16:17], v[20:21], s[10:11]
	s_mov_b32 s8, 0xcdfe9424
	s_mov_b32 s10, 0x67b90b37
	s_mov_b32 s9, 0xbfe32d2c
	s_mov_b32 s11, 0x3fce1f50
	v_fma_f64 v[18:19], v[16:17], v[18:19], s[8:9]
	v_fma_f64 v[20:21], v[16:17], v[20:21], s[10:11]
	s_mov_b32 s8, 0x67754fff
	s_mov_b32 s10, 0x7e3c325b
	;; [unrolled: 6-line block ×4, first 2 shown]
	s_mov_b32 s10, 0x6b47b09a
	s_mov_b32 s11, 0x3fc38538
	v_mul_f64 v[18:19], v[22:23], v[18:19]
	v_fma_f64 v[20:21], v[16:17], v[20:21], s[8:9]
	s_mov_b32 s8, 0x54442d18
	s_mov_b32 s9, 0x400921fb
	v_fma_f64 v[12:13], v[12:13], s[8:9], v[18:19]
	v_fma_f64 v[14:15], v[16:17], v[20:21], 1.0
	v_cndmask_b32_e32 v6, v14, v12, vcc_lo
	v_cndmask_b32_e32 v12, v15, v13, vcc_lo
	v_xor_b32_e32 v1, v12, v1
	v_cndmask_b32_e64 v12, 0, v6, s4
	v_cndmask_b32_e64 v13, 0x7ff80000, v1, s4
	v_cmp_class_f64_e64 s4, v[4:5], 0x204
	v_mul_f64 v[12:13], v[4:5], v[12:13]
	v_and_b32_e32 v15, 0x7fffffff, v13
	v_mov_b32_e32 v14, v12
	v_div_scale_f64 v[16:17], null, v[14:15], v[14:15], s[8:9]
	v_div_scale_f64 v[14:15], vcc_lo, s[8:9], v[14:15], s[8:9]
	v_rcp_f64_e32 v[18:19], v[16:17]
	v_fma_f64 v[20:21], -v[16:17], v[18:19], 1.0
	v_fma_f64 v[18:19], v[18:19], v[20:21], v[18:19]
	v_fma_f64 v[20:21], -v[16:17], v[18:19], 1.0
	v_fma_f64 v[18:19], v[18:19], v[20:21], v[18:19]
	v_mul_f64 v[20:21], v[14:15], v[18:19]
	v_fma_f64 v[14:15], -v[16:17], v[20:21], v[14:15]
	v_div_fmas_f64 v[14:15], v[14:15], v[18:19], v[20:21]
	v_div_fixup_f64 v[12:13], v[14:15], |v[12:13]|, s[8:9]
	s_mov_b32 s9, 0x3fe55555
	s_mov_b32 s8, 0x55555555
	v_frexp_mant_f64_e32 v[14:15], v[12:13]
	v_cmp_gt_f64_e32 vcc_lo, s[8:9], v[14:15]
	s_mov_b32 s8, 0x55555780
	v_cndmask_b32_e64 v1, 0, 1, vcc_lo
	v_ldexp_f64 v[14:15], v[14:15], v1
	v_frexp_exp_i32_f64_e32 v1, v[12:13]
	v_add_f64 v[16:17], v[14:15], 1.0
	v_add_f64 v[22:23], v[14:15], -1.0
	v_subrev_co_ci_u32_e64 v1, null, 0, v1, vcc_lo
	v_cmp_class_f64_e64 vcc_lo, v[12:13], 0x204
	v_rcp_f64_e32 v[18:19], v[16:17]
	v_add_f64 v[24:25], v[16:17], -1.0
	v_add_f64 v[14:15], v[14:15], -v[24:25]
	v_fma_f64 v[20:21], -v[16:17], v[18:19], 1.0
	v_fma_f64 v[18:19], v[20:21], v[18:19], v[18:19]
	v_fma_f64 v[20:21], -v[16:17], v[18:19], 1.0
	v_fma_f64 v[18:19], v[20:21], v[18:19], v[18:19]
	v_mul_f64 v[20:21], v[22:23], v[18:19]
	v_mul_f64 v[26:27], v[16:17], v[20:21]
	v_fma_f64 v[16:17], v[20:21], v[16:17], -v[26:27]
	v_fma_f64 v[14:15], v[20:21], v[14:15], v[16:17]
	v_add_f64 v[16:17], v[26:27], v[14:15]
	v_add_f64 v[24:25], v[22:23], -v[16:17]
	v_add_f64 v[26:27], v[16:17], -v[26:27]
	;; [unrolled: 1-line block ×5, first 2 shown]
	v_add_f64 v[14:15], v[14:15], v[16:17]
	v_add_f64 v[14:15], v[24:25], v[14:15]
	v_mul_f64 v[14:15], v[18:19], v[14:15]
	v_add_f64 v[16:17], v[20:21], v[14:15]
	v_mul_f64 v[18:19], v[16:17], v[16:17]
	v_fma_f64 v[22:23], v[18:19], s[12:13], s[10:11]
	s_mov_b32 s10, 0xd7f4df2e
	s_mov_b32 s11, 0x3fc7474d
	v_mul_f64 v[24:25], v[16:17], v[18:19]
	v_fma_f64 v[22:23], v[18:19], v[22:23], s[10:11]
	s_mov_b32 s10, 0x16291751
	s_mov_b32 s11, 0x3fcc71c0
	v_fma_f64 v[22:23], v[18:19], v[22:23], s[10:11]
	s_mov_b32 s10, 0x9b27acf1
	s_mov_b32 s11, 0x3fd24924
	;; [unrolled: 3-line block ×3, first 2 shown]
	v_fma_f64 v[22:23], v[18:19], v[22:23], s[10:11]
	v_fma_f64 v[18:19], v[18:19], v[22:23], s[8:9]
	v_ldexp_f64 v[22:23], v[16:17], 1
	v_add_f64 v[16:17], v[16:17], -v[20:21]
	s_mov_b32 s8, 0xfefa39ef
	s_mov_b32 s9, 0x3fe62e42
	v_mul_f64 v[18:19], v[24:25], v[18:19]
	v_cvt_f64_i32_e32 v[24:25], v1
	v_add_f64 v[14:15], v[14:15], -v[16:17]
	v_add_f64 v[20:21], v[22:23], v[18:19]
	v_mul_f64 v[26:27], v[24:25], s[8:9]
	v_ldexp_f64 v[14:15], v[14:15], 1
	v_add_f64 v[16:17], v[20:21], -v[22:23]
	v_fma_f64 v[22:23], v[24:25], s[8:9], -v[26:27]
	s_mov_b32 s8, 0x3b39803f
	s_mov_b32 s9, 0x3c7abc9e
	v_add_f64 v[16:17], v[18:19], -v[16:17]
	v_fma_f64 v[18:19], v[24:25], s[8:9], v[22:23]
	v_add_f64 v[14:15], v[14:15], v[16:17]
	v_add_f64 v[16:17], v[26:27], v[18:19]
	;; [unrolled: 1-line block ×3, first 2 shown]
	v_add_f64 v[26:27], v[16:17], -v[26:27]
	v_add_f64 v[24:25], v[16:17], v[22:23]
	v_add_f64 v[20:21], v[22:23], -v[20:21]
	v_add_f64 v[18:19], v[18:19], -v[26:27]
	;; [unrolled: 1-line block ×6, first 2 shown]
	v_add_f64 v[22:23], v[18:19], v[14:15]
	v_add_f64 v[16:17], v[16:17], -v[30:31]
	v_add_f64 v[16:17], v[20:21], v[16:17]
	v_add_f64 v[20:21], v[22:23], -v[18:19]
	;; [unrolled: 2-line block ×3, first 2 shown]
	v_add_f64 v[14:15], v[14:15], -v[20:21]
	v_add_f64 v[26:27], v[24:25], v[16:17]
	v_add_f64 v[18:19], v[18:19], -v[22:23]
	v_add_f64 v[20:21], v[26:27], -v[24:25]
	v_add_f64 v[14:15], v[14:15], v[18:19]
	v_add_f64 v[16:17], v[16:17], -v[20:21]
	v_add_f64 v[14:15], v[14:15], v[16:17]
	v_add_f64 v[14:15], v[26:27], v[14:15]
	v_cndmask_b32_e32 v1, v14, v12, vcc_lo
	v_cndmask_b32_e32 v6, v15, v13, vcc_lo
	v_cmp_neq_f64_e32 vcc_lo, 0, v[12:13]
	v_fract_f64_e32 v[12:13], v[4:5]
	v_cndmask_b32_e32 v15, 0xfff00000, v6, vcc_lo
	v_cndmask_b32_e32 v14, 0, v1, vcc_lo
	v_cmp_eq_f64_e32 vcc_lo, 0, v[12:13]
	v_add_f64 v[10:11], v[14:15], -v[10:11]
	s_or_b32 s4, s4, vcc_lo
	v_cndmask_b32_e64 v11, v11, 0x7ff00000, s4
	v_cndmask_b32_e64 v10, v10, 0, s4
.LBB78_33:
	s_or_b32 exec_lo, exec_lo, s6
.LBB78_34:
	s_or_b32 exec_lo, exec_lo, s5
	v_mov_b32_e32 v14, 0
	v_mov_b32_e32 v15, 0x7ff00000
	s_mov_b32 s7, exec_lo
	v_cmpx_ne_u32_e32 0, v0
	s_cbranch_execz .LBB78_50
; %bb.35:
	v_mov_b32_e32 v14, 0
	v_mov_b32_e32 v15, 0x7ff80000
	s_mov_b32 vcc_hi, exec_lo
	v_cmpx_lt_i32_e32 -1, v0
	s_cbranch_execz .LBB78_49
; %bb.36:
	v_floor_f64_e32 v[12:13], v[2:3]
	v_cmp_nge_f64_e32 vcc_lo, 0, v[2:3]
	v_mov_b32_e32 v14, 0
	v_mov_b32_e32 v15, 0x7ff00000
	v_cmp_neq_f64_e64 s4, v[2:3], v[12:13]
	s_or_b32 s4, vcc_lo, s4
	s_and_saveexec_b32 s30, s4
	s_cbranch_execz .LBB78_48
; %bb.37:
	v_frexp_mant_f64_e64 v[12:13], |v[2:3]|
	s_mov_b32 s8, 0x55555555
	s_mov_b32 s9, 0x3fe55555
	;; [unrolled: 1-line block ×21, first 2 shown]
	v_cmp_gt_f64_e32 vcc_lo, s[8:9], v[12:13]
	s_mov_b32 s28, s8
	s_mov_b32 s40, 0xd5df274d
	;; [unrolled: 1-line block ×21, first 2 shown]
	v_cndmask_b32_e64 v1, 0, 1, vcc_lo
	s_mov_b32 s76, 0x14761f6e
	s_mov_b32 s77, 0x3f2a01a0
	;; [unrolled: 1-line block ×4, first 2 shown]
	v_ldexp_f64 v[12:13], v[12:13], v1
	v_frexp_exp_i32_f64_e32 v1, v[2:3]
	s_mov_b32 s88, 0x11122322
	s_mov_b32 s89, 0x3f811111
	;; [unrolled: 1-line block ×8, first 2 shown]
	v_cmp_class_f64_e64 s31, v[2:3], 0x204
	s_mov_b32 s37, 0
                                        ; implicit-def: $sgpr34
                                        ; implicit-def: $sgpr36
                                        ; implicit-def: $sgpr35
	v_add_f64 v[14:15], v[12:13], 1.0
	v_add_f64 v[20:21], v[12:13], -1.0
	v_subrev_co_ci_u32_e64 v1, null, 0, v1, vcc_lo
	v_cmp_neq_f64_e32 vcc_lo, 1.0, v[2:3]
	v_rcp_f64_e32 v[16:17], v[14:15]
	v_add_f64 v[22:23], v[14:15], -1.0
	v_add_f64 v[12:13], v[12:13], -v[22:23]
	v_fma_f64 v[18:19], -v[14:15], v[16:17], 1.0
	v_fma_f64 v[16:17], v[18:19], v[16:17], v[16:17]
	v_fma_f64 v[18:19], -v[14:15], v[16:17], 1.0
	v_fma_f64 v[16:17], v[18:19], v[16:17], v[16:17]
	v_mul_f64 v[18:19], v[20:21], v[16:17]
	v_mul_f64 v[24:25], v[14:15], v[18:19]
	v_fma_f64 v[14:15], v[18:19], v[14:15], -v[24:25]
	v_fma_f64 v[12:13], v[18:19], v[12:13], v[14:15]
	v_add_f64 v[14:15], v[24:25], v[12:13]
	v_add_f64 v[22:23], v[20:21], -v[14:15]
	v_add_f64 v[24:25], v[14:15], -v[24:25]
	;; [unrolled: 1-line block ×5, first 2 shown]
	v_add_f64 v[12:13], v[12:13], v[14:15]
	v_add_f64 v[12:13], v[22:23], v[12:13]
	v_mul_f64 v[12:13], v[16:17], v[12:13]
	v_add_f64 v[14:15], v[18:19], v[12:13]
	v_add_f64 v[16:17], v[14:15], -v[18:19]
	v_mul_f64 v[18:19], v[14:15], v[14:15]
	v_add_f64 v[12:13], v[12:13], -v[16:17]
	v_fma_f64 v[16:17], v[14:15], v[14:15], -v[18:19]
	v_add_f64 v[20:21], v[12:13], v[12:13]
	v_fma_f64 v[16:17], v[14:15], v[20:21], v[16:17]
	v_add_f64 v[20:21], v[18:19], v[16:17]
	v_fma_f64 v[22:23], v[20:21], s[12:13], s[10:11]
	v_add_f64 v[18:19], v[20:21], -v[18:19]
	v_mul_f64 v[28:29], v[14:15], v[20:21]
	v_fma_f64 v[22:23], v[20:21], v[22:23], s[14:15]
	v_add_f64 v[16:17], v[16:17], -v[18:19]
	v_fma_f64 v[22:23], v[20:21], v[22:23], s[16:17]
	v_fma_f64 v[22:23], v[20:21], v[22:23], s[18:19]
	;; [unrolled: 1-line block ×6, first 2 shown]
	v_mul_f64 v[24:25], v[20:21], v[22:23]
	v_fma_f64 v[18:19], v[20:21], v[22:23], -v[24:25]
	v_fma_f64 v[18:19], v[16:17], v[22:23], v[18:19]
	v_add_f64 v[22:23], v[24:25], v[18:19]
	v_add_f64 v[26:27], v[22:23], s[8:9]
	v_add_f64 v[24:25], v[22:23], -v[24:25]
	v_add_f64 v[30:31], v[26:27], s[28:29]
	v_add_f64 v[18:19], v[18:19], -v[24:25]
	v_fma_f64 v[24:25], v[20:21], v[14:15], -v[28:29]
	v_add_f64 v[22:23], v[22:23], -v[30:31]
	v_add_f64 v[18:19], v[18:19], s[40:41]
	v_fma_f64 v[20:21], v[20:21], v[12:13], v[24:25]
	v_ldexp_f64 v[12:13], v[12:13], 1
	v_add_f64 v[18:19], v[18:19], v[22:23]
	v_fma_f64 v[16:17], v[16:17], v[14:15], v[20:21]
	v_ldexp_f64 v[14:15], v[14:15], 1
	v_add_f64 v[20:21], v[26:27], v[18:19]
	v_add_f64 v[22:23], v[28:29], v[16:17]
	v_add_f64 v[24:25], v[26:27], -v[20:21]
	v_mul_f64 v[26:27], v[22:23], v[20:21]
	v_add_f64 v[28:29], v[22:23], -v[28:29]
	v_add_f64 v[18:19], v[18:19], v[24:25]
	v_fma_f64 v[24:25], v[22:23], v[20:21], -v[26:27]
	v_add_f64 v[16:17], v[16:17], -v[28:29]
	v_fma_f64 v[18:19], v[22:23], v[18:19], v[24:25]
	v_fma_f64 v[16:17], v[16:17], v[20:21], v[18:19]
	v_cvt_f64_i32_e32 v[20:21], v1
	v_add_nc_u32_e32 v1, 1, v0
	v_add_f64 v[18:19], v[26:27], v[16:17]
	v_add_f64 v[22:23], v[14:15], v[18:19]
	v_add_f64 v[24:25], v[18:19], -v[26:27]
	v_mul_f64 v[26:27], v[20:21], s[42:43]
	v_add_f64 v[14:15], v[22:23], -v[14:15]
	v_add_f64 v[16:17], v[16:17], -v[24:25]
	v_fma_f64 v[24:25], v[20:21], s[42:43], -v[26:27]
	v_add_f64 v[14:15], v[18:19], -v[14:15]
	v_add_f64 v[12:13], v[12:13], v[16:17]
	v_fma_f64 v[16:17], v[20:21], s[44:45], v[24:25]
	v_add_f64 v[12:13], v[12:13], v[14:15]
	v_add_f64 v[14:15], v[26:27], v[16:17]
	;; [unrolled: 1-line block ×3, first 2 shown]
	v_add_f64 v[26:27], v[14:15], -v[26:27]
	v_add_f64 v[20:21], v[14:15], v[18:19]
	v_add_f64 v[22:23], v[18:19], -v[22:23]
	v_add_f64 v[16:17], v[16:17], -v[26:27]
	v_add_f64 v[24:25], v[20:21], -v[14:15]
	v_add_f64 v[12:13], v[12:13], -v[22:23]
	v_add_f64 v[28:29], v[20:21], -v[24:25]
	v_add_f64 v[18:19], v[18:19], -v[24:25]
	v_add_f64 v[22:23], v[16:17], v[12:13]
	v_add_f64 v[14:15], v[14:15], -v[28:29]
	v_add_f64 v[14:15], v[18:19], v[14:15]
	v_add_f64 v[18:19], v[22:23], -v[16:17]
	;; [unrolled: 2-line block ×3, first 2 shown]
	v_add_f64 v[12:13], v[12:13], -v[18:19]
	v_add_f64 v[24:25], v[20:21], v[14:15]
	v_add_f64 v[16:17], v[16:17], -v[22:23]
	v_add_f64 v[18:19], v[24:25], -v[20:21]
	v_add_f64 v[12:13], v[12:13], v[16:17]
	v_add_f64 v[14:15], v[14:15], -v[18:19]
	v_add_f64 v[14:15], v[12:13], v[14:15]
	v_cvt_f64_i32_e32 v[12:13], v1
	v_add_f64 v[16:17], v[24:25], v[14:15]
	v_cndmask_b32_e32 v19, 0xbff00000, v13, vcc_lo
	v_cndmask_b32_e32 v18, 0, v12, vcc_lo
	v_cmp_lt_f64_e64 s6, 0x80000000, v[18:19]
	v_add_f64 v[20:21], v[16:17], -v[24:25]
	v_mul_f64 v[22:23], -v[18:19], v[16:17]
	v_add_f64 v[14:15], v[14:15], -v[20:21]
	v_fma_f64 v[16:17], -v[18:19], v[16:17], -v[22:23]
	v_cmp_class_f64_e64 vcc_lo, v[22:23], 0x204
	v_fma_f64 v[14:15], -v[18:19], v[14:15], v[16:17]
	v_add_f64 v[16:17], v[22:23], v[14:15]
	v_cndmask_b32_e32 v21, v17, v23, vcc_lo
	v_cndmask_b32_e32 v20, v16, v22, vcc_lo
	v_add_f64 v[16:17], v[16:17], -v[22:23]
	v_mul_f64 v[24:25], v[20:21], s[46:47]
	v_cmp_nlt_f64_e64 s4, 0x40900000, v[20:21]
	v_cmp_neq_f64_e64 vcc_lo, 0x7ff00000, |v[20:21]|
	v_cmp_ngt_f64_e64 s5, 0xc090cc00, v[20:21]
	v_add_f64 v[14:15], v[14:15], -v[16:17]
	v_trunc_f64_e64 v[16:17], -v[18:19]
	v_rndne_f64_e32 v[24:25], v[24:25]
	v_cndmask_b32_e32 v15, 0, v15, vcc_lo
	v_cndmask_b32_e32 v14, 0, v14, vcc_lo
	s_and_b32 vcc_lo, s5, s4
	v_fma_f64 v[26:27], v[24:25], s[56:57], v[20:21]
	v_cvt_i32_f64_e32 v1, v[24:25]
	v_fma_f64 v[26:27], v[24:25], s[58:59], v[26:27]
	v_fma_f64 v[28:29], v[26:27], s[62:63], s[60:61]
	;; [unrolled: 1-line block ×10, first 2 shown]
	v_fma_f64 v[28:29], v[26:27], v[28:29], 1.0
	v_fma_f64 v[24:25], v[26:27], v[28:29], 1.0
	v_ldexp_f64 v[22:23], v[24:25], v1
	v_mul_f64 v[24:25], v[18:19], -0.5
	v_cndmask_b32_e64 v1, 0x7ff00000, v23, s4
	v_trunc_f64_e32 v[20:21], v[24:25]
	v_cndmask_b32_e32 v22, 0, v22, vcc_lo
	v_cmp_eq_f64_e64 vcc_lo, v[16:17], -v[18:19]
	v_cndmask_b32_e64 v23, 0, v1, s5
	v_fma_f64 v[14:15], v[22:23], v[14:15], v[22:23]
	v_cmp_class_f64_e64 s5, v[22:23], 0x204
	v_cmp_neq_f64_e64 s4, v[20:21], v[24:25]
	v_cndmask_b32_e64 v6, v14, v22, s5
	v_cndmask_b32_e64 v14, v15, v23, s5
	v_cmp_eq_f64_e64 s5, 0, v[2:3]
	v_cndmask_b32_e32 v15, 0, v6, vcc_lo
	s_and_b32 s4, vcc_lo, s4
	v_cndmask_b32_e64 v1, 0x3ff00000, v3, s4
	v_cndmask_b32_e64 v17, 0, v3, s4
	v_bfi_b32 v1, 0x7fffffff, v14, v1
	v_cndmask_b32_e32 v14, 0x7ff80000, v1, vcc_lo
	v_cmp_gt_f64_e32 vcc_lo, 0, v[2:3]
	s_xor_b32 s6, s5, s6
	v_cndmask_b32_e64 v16, 0x7ff00000, 0, s6
	v_bfi_b32 v16, 0x7fffffff, v16, v17
	v_cndmask_b32_e32 v6, v6, v15, vcc_lo
	v_cndmask_b32_e32 v1, v1, v14, vcc_lo
	s_or_b32 vcc_lo, s5, s31
	s_mov_b32 s31, 0
	v_cndmask_b32_e64 v6, v6, 0, vcc_lo
	v_cndmask_b32_e32 v1, v1, v16, vcc_lo
	v_cmp_o_f64_e32 vcc_lo, v[2:3], v[2:3]
	v_cndmask_b32_e32 v14, 0, v6, vcc_lo
	v_cndmask_b32_e32 v15, 0x7ff80000, v1, vcc_lo
	s_branch .LBB78_39
.LBB78_38:                              ;   in Loop: Header=BB78_39 Depth=1
	s_or_b32 exec_lo, exec_lo, s4
	s_and_b32 s4, exec_lo, s36
	s_or_b32 s31, s4, s31
	s_andn2_b32 s4, s34, exec_lo
	s_and_b32 s5, s35, exec_lo
	s_or_b32 s34, s4, s5
	s_andn2_b32 exec_lo, exec_lo, s31
	s_cbranch_execz .LBB78_41
.LBB78_39:                              ; =>This Inner Loop Header: Depth=1
	v_add_f64 v[2:3], v[2:3], 1.0
	s_or_b32 s35, s35, exec_lo
	s_or_b32 s36, s36, exec_lo
	v_frexp_mant_f64_e64 v[16:17], |v[2:3]|
	v_cmp_class_f64_e64 s38, v[2:3], 0x204
	v_cmp_gt_f64_e32 vcc_lo, s[8:9], v[16:17]
	v_cndmask_b32_e64 v1, 0, 1, vcc_lo
	v_ldexp_f64 v[16:17], v[16:17], v1
	v_frexp_exp_i32_f64_e32 v1, v[2:3]
	v_add_f64 v[18:19], v[16:17], 1.0
	v_add_f64 v[24:25], v[16:17], -1.0
	v_subrev_co_ci_u32_e64 v1, null, 0, v1, vcc_lo
	v_cmp_neq_f64_e32 vcc_lo, 1.0, v[2:3]
	v_rcp_f64_e32 v[20:21], v[18:19]
	v_add_f64 v[26:27], v[18:19], -1.0
	v_add_f64 v[16:17], v[16:17], -v[26:27]
	v_fma_f64 v[22:23], -v[18:19], v[20:21], 1.0
	v_fma_f64 v[20:21], v[22:23], v[20:21], v[20:21]
	v_fma_f64 v[22:23], -v[18:19], v[20:21], 1.0
	v_fma_f64 v[20:21], v[22:23], v[20:21], v[20:21]
	v_mul_f64 v[22:23], v[24:25], v[20:21]
	v_mul_f64 v[28:29], v[18:19], v[22:23]
	v_fma_f64 v[18:19], v[22:23], v[18:19], -v[28:29]
	v_fma_f64 v[16:17], v[22:23], v[16:17], v[18:19]
	v_add_f64 v[18:19], v[28:29], v[16:17]
	v_add_f64 v[26:27], v[24:25], -v[18:19]
	v_add_f64 v[28:29], v[18:19], -v[28:29]
	v_add_f64 v[24:25], v[24:25], -v[26:27]
	v_add_f64 v[16:17], v[28:29], -v[16:17]
	v_add_f64 v[18:19], v[24:25], -v[18:19]
	v_add_f64 v[16:17], v[16:17], v[18:19]
	v_add_f64 v[16:17], v[26:27], v[16:17]
	v_mul_f64 v[16:17], v[20:21], v[16:17]
	v_add_f64 v[18:19], v[22:23], v[16:17]
	v_add_f64 v[20:21], v[18:19], -v[22:23]
	v_mul_f64 v[22:23], v[18:19], v[18:19]
	v_add_f64 v[16:17], v[16:17], -v[20:21]
	v_fma_f64 v[20:21], v[18:19], v[18:19], -v[22:23]
	v_add_f64 v[24:25], v[16:17], v[16:17]
	v_fma_f64 v[20:21], v[18:19], v[24:25], v[20:21]
	v_add_f64 v[24:25], v[22:23], v[20:21]
	v_fma_f64 v[26:27], v[24:25], s[12:13], s[10:11]
	v_add_f64 v[22:23], v[24:25], -v[22:23]
	v_mul_f64 v[32:33], v[18:19], v[24:25]
	v_fma_f64 v[26:27], v[24:25], v[26:27], s[14:15]
	v_add_f64 v[20:21], v[20:21], -v[22:23]
	v_fma_f64 v[26:27], v[24:25], v[26:27], s[16:17]
	v_fma_f64 v[26:27], v[24:25], v[26:27], s[18:19]
	;; [unrolled: 1-line block ×6, first 2 shown]
	v_mul_f64 v[28:29], v[24:25], v[26:27]
	v_fma_f64 v[22:23], v[24:25], v[26:27], -v[28:29]
	v_fma_f64 v[22:23], v[20:21], v[26:27], v[22:23]
	v_add_f64 v[26:27], v[28:29], v[22:23]
	v_add_f64 v[30:31], v[26:27], s[8:9]
	v_add_f64 v[28:29], v[26:27], -v[28:29]
	v_add_f64 v[34:35], v[30:31], s[28:29]
	v_add_f64 v[22:23], v[22:23], -v[28:29]
	v_fma_f64 v[28:29], v[24:25], v[18:19], -v[32:33]
	v_add_f64 v[26:27], v[26:27], -v[34:35]
	v_add_f64 v[22:23], v[22:23], s[40:41]
	v_fma_f64 v[24:25], v[24:25], v[16:17], v[28:29]
	v_ldexp_f64 v[16:17], v[16:17], 1
	v_add_f64 v[22:23], v[22:23], v[26:27]
	v_fma_f64 v[20:21], v[20:21], v[18:19], v[24:25]
	v_ldexp_f64 v[18:19], v[18:19], 1
	v_add_f64 v[24:25], v[30:31], v[22:23]
	v_add_f64 v[26:27], v[32:33], v[20:21]
	v_add_f64 v[28:29], v[30:31], -v[24:25]
	v_mul_f64 v[30:31], v[26:27], v[24:25]
	v_add_f64 v[32:33], v[26:27], -v[32:33]
	v_add_f64 v[22:23], v[22:23], v[28:29]
	v_fma_f64 v[28:29], v[26:27], v[24:25], -v[30:31]
	v_add_f64 v[20:21], v[20:21], -v[32:33]
	v_fma_f64 v[22:23], v[26:27], v[22:23], v[28:29]
	v_fma_f64 v[20:21], v[20:21], v[24:25], v[22:23]
	v_cvt_f64_i32_e32 v[24:25], v1
	v_add_f64 v[22:23], v[30:31], v[20:21]
	v_add_f64 v[26:27], v[18:19], v[22:23]
	v_add_f64 v[28:29], v[22:23], -v[30:31]
	v_mul_f64 v[30:31], v[24:25], s[42:43]
	v_add_f64 v[18:19], v[26:27], -v[18:19]
	v_add_f64 v[20:21], v[20:21], -v[28:29]
	v_fma_f64 v[28:29], v[24:25], s[42:43], -v[30:31]
	v_add_f64 v[18:19], v[22:23], -v[18:19]
	v_add_f64 v[16:17], v[16:17], v[20:21]
	v_fma_f64 v[20:21], v[24:25], s[44:45], v[28:29]
	v_add_f64 v[16:17], v[16:17], v[18:19]
	v_add_f64 v[18:19], v[30:31], v[20:21]
	v_add_f64 v[22:23], v[26:27], v[16:17]
	v_add_f64 v[30:31], v[18:19], -v[30:31]
	v_add_f64 v[24:25], v[18:19], v[22:23]
	v_add_f64 v[26:27], v[22:23], -v[26:27]
	v_add_f64 v[20:21], v[20:21], -v[30:31]
	;; [unrolled: 1-line block ×6, first 2 shown]
	v_add_f64 v[26:27], v[20:21], v[16:17]
	v_add_f64 v[18:19], v[18:19], -v[32:33]
	v_add_f64 v[18:19], v[22:23], v[18:19]
	v_add_f64 v[22:23], v[26:27], -v[20:21]
	;; [unrolled: 2-line block ×3, first 2 shown]
	v_add_f64 v[16:17], v[16:17], -v[22:23]
	v_add_f64 v[28:29], v[24:25], v[18:19]
	v_add_f64 v[20:21], v[20:21], -v[26:27]
	v_add_f64 v[22:23], v[28:29], -v[24:25]
	v_add_f64 v[16:17], v[16:17], v[20:21]
	v_cndmask_b32_e32 v21, 0xbff00000, v13, vcc_lo
	v_cndmask_b32_e32 v20, 0, v12, vcc_lo
	v_cmp_lt_f64_e64 s6, 0x80000000, v[20:21]
	v_add_f64 v[18:19], v[18:19], -v[22:23]
	v_add_f64 v[16:17], v[16:17], v[18:19]
	v_add_f64 v[18:19], v[28:29], v[16:17]
	v_add_f64 v[22:23], v[18:19], -v[28:29]
	v_mul_f64 v[24:25], -v[20:21], v[18:19]
	v_add_f64 v[16:17], v[16:17], -v[22:23]
	v_fma_f64 v[18:19], -v[20:21], v[18:19], -v[24:25]
	v_cmp_class_f64_e64 vcc_lo, v[24:25], 0x204
	v_fma_f64 v[16:17], -v[20:21], v[16:17], v[18:19]
	v_add_f64 v[18:19], v[24:25], v[16:17]
	v_cndmask_b32_e32 v23, v19, v25, vcc_lo
	v_cndmask_b32_e32 v22, v18, v24, vcc_lo
	v_add_f64 v[18:19], v[18:19], -v[24:25]
	v_mul_f64 v[26:27], v[22:23], s[46:47]
	v_cmp_nlt_f64_e64 s4, 0x40900000, v[22:23]
	v_cmp_neq_f64_e64 vcc_lo, 0x7ff00000, |v[22:23]|
	v_cmp_ngt_f64_e64 s5, 0xc090cc00, v[22:23]
	v_add_f64 v[16:17], v[16:17], -v[18:19]
	v_trunc_f64_e64 v[18:19], -v[20:21]
	v_rndne_f64_e32 v[26:27], v[26:27]
	v_cndmask_b32_e32 v17, 0, v17, vcc_lo
	v_cndmask_b32_e32 v16, 0, v16, vcc_lo
	s_and_b32 vcc_lo, s5, s4
	v_fma_f64 v[28:29], v[26:27], s[56:57], v[22:23]
	v_cvt_i32_f64_e32 v1, v[26:27]
	v_fma_f64 v[28:29], v[26:27], s[58:59], v[28:29]
	v_fma_f64 v[30:31], v[28:29], s[62:63], s[60:61]
	v_fma_f64 v[30:31], v[28:29], v[30:31], s[72:73]
	v_fma_f64 v[30:31], v[28:29], v[30:31], s[74:75]
	v_fma_f64 v[30:31], v[28:29], v[30:31], s[76:77]
	v_fma_f64 v[30:31], v[28:29], v[30:31], s[78:79]
	v_fma_f64 v[30:31], v[28:29], v[30:31], s[88:89]
	v_fma_f64 v[30:31], v[28:29], v[30:31], s[90:91]
	v_fma_f64 v[30:31], v[28:29], v[30:31], s[92:93]
	v_fma_f64 v[30:31], v[28:29], v[30:31], s[94:95]
	v_fma_f64 v[30:31], v[28:29], v[30:31], 1.0
	v_fma_f64 v[26:27], v[28:29], v[30:31], 1.0
	v_ldexp_f64 v[24:25], v[26:27], v1
	v_mul_f64 v[26:27], v[20:21], -0.5
	v_cndmask_b32_e64 v1, 0x7ff00000, v25, s4
	v_trunc_f64_e32 v[22:23], v[26:27]
	v_cndmask_b32_e32 v24, 0, v24, vcc_lo
	v_cmp_eq_f64_e64 vcc_lo, v[18:19], -v[20:21]
	v_cndmask_b32_e64 v25, 0, v1, s5
	v_fma_f64 v[16:17], v[24:25], v[16:17], v[24:25]
	v_cmp_class_f64_e64 s5, v[24:25], 0x204
	v_cmp_neq_f64_e64 s4, v[22:23], v[26:27]
	v_cndmask_b32_e64 v6, v16, v24, s5
	v_cndmask_b32_e64 v16, v17, v25, s5
	v_cmp_eq_f64_e64 s5, 0, v[2:3]
	v_cndmask_b32_e32 v17, 0, v6, vcc_lo
	s_and_b32 s4, vcc_lo, s4
	v_cndmask_b32_e64 v1, 0x3ff00000, v3, s4
	v_cndmask_b32_e64 v19, 0, v3, s4
	v_bfi_b32 v1, 0x7fffffff, v16, v1
	v_cndmask_b32_e32 v16, 0x7ff80000, v1, vcc_lo
	v_cmp_gt_f64_e32 vcc_lo, 0, v[2:3]
	s_xor_b32 s6, s5, s6
	v_cndmask_b32_e64 v18, 0x7ff00000, 0, s6
	v_bfi_b32 v18, 0x7fffffff, v18, v19
	v_cndmask_b32_e32 v6, v6, v17, vcc_lo
	v_cndmask_b32_e32 v1, v1, v16, vcc_lo
	s_or_b32 vcc_lo, s5, s38
	v_cndmask_b32_e64 v6, v6, 0, vcc_lo
	v_cndmask_b32_e32 v1, v1, v18, vcc_lo
	v_cmp_o_f64_e32 vcc_lo, v[2:3], v[2:3]
	v_cndmask_b32_e32 v16, 0, v6, vcc_lo
	v_cndmask_b32_e32 v17, 0x7ff80000, v1, vcc_lo
	v_add_f64 v[14:15], v[14:15], v[16:17]
	v_ldexp_f64 v[18:19], -v[14:15], 0xffffffcb
	v_ldexp_f64 v[20:21], v[14:15], 0xffffffcb
	v_cmp_nlt_f64_e32 vcc_lo, v[18:19], v[16:17]
	v_cmp_nlt_f64_e64 s4, v[16:17], v[20:21]
	s_or_b32 s5, vcc_lo, s4
	s_and_saveexec_b32 s4, s5
	s_cbranch_execz .LBB78_38
; %bb.40:                               ;   in Loop: Header=BB78_39 Depth=1
	v_cmp_nge_f64_e32 vcc_lo, 0x40220000, v[2:3]
	s_add_i32 s5, s37, 1
	s_cmp_gt_u32 s37, 7
	s_mov_b32 s37, s5
	s_cselect_b32 s6, -1, 0
	s_andn2_b32 s35, s35, exec_lo
	s_and_b32 s6, s6, vcc_lo
	s_andn2_b32 vcc_lo, s36, exec_lo
	s_and_b32 s6, s6, exec_lo
	s_or_b32 s36, vcc_lo, s6
	s_branch .LBB78_38
.LBB78_41:
	s_or_b32 exec_lo, exec_lo, s31
	s_xor_b32 s4, s34, -1
	s_and_saveexec_b32 s5, s4
	s_xor_b32 s6, exec_lo, s5
	s_cbranch_execz .LBB78_47
; %bb.42:
	v_mul_f64 v[18:19], v[2:3], v[16:17]
	s_mov_b64 s[4:5], 0
	s_mov_b32 s8, 0
                                        ; implicit-def: $sgpr9
	v_div_scale_f64 v[20:21], null, v[8:9], v[8:9], v[18:19]
	v_rcp_f64_e32 v[22:23], v[20:21]
	v_fma_f64 v[24:25], -v[20:21], v[22:23], 1.0
	v_fma_f64 v[22:23], v[22:23], v[24:25], v[22:23]
	v_fma_f64 v[24:25], -v[20:21], v[22:23], 1.0
	v_fma_f64 v[22:23], v[22:23], v[24:25], v[22:23]
	v_div_scale_f64 v[24:25], vcc_lo, v[18:19], v[8:9], v[18:19]
	v_mul_f64 v[26:27], v[24:25], v[22:23]
	v_fma_f64 v[20:21], -v[20:21], v[26:27], v[24:25]
	v_div_fmas_f64 v[20:21], v[20:21], v[22:23], v[26:27]
	v_div_fixup_f64 v[8:9], v[20:21], v[8:9], v[18:19]
	v_mov_b32_e32 v18, 0
	v_mov_b32_e32 v19, 0x3ff00000
	v_add_f64 v[8:9], v[14:15], v[8:9]
	v_fma_f64 v[14:15], v[16:17], -0.5, v[8:9]
	v_mov_b32_e32 v8, 0
	v_mov_b32_e32 v9, 0
	s_branch .LBB78_44
.LBB78_43:                              ;   in Loop: Header=BB78_44 Depth=1
	s_or_b32 exec_lo, exec_lo, s10
	s_and_b32 s10, exec_lo, s9
	s_or_b32 s8, s10, s8
	s_andn2_b32 exec_lo, exec_lo, s8
	s_cbranch_execz .LBB78_46
.LBB78_44:                              ; =>This Inner Loop Header: Depth=1
	v_div_scale_f64 v[20:21], null, v[2:3], v[2:3], v[16:17]
	v_div_scale_f64 v[26:27], vcc_lo, v[16:17], v[2:3], v[16:17]
	s_getpc_b64 s[10:11]
	s_add_u32 s10, s10, _ZZ4zetaIdLb1EET_S0_S0_E1A@rel32@lo+4
	s_addc_u32 s11, s11, _ZZ4zetaIdLb1EET_S0_S0_E1A@rel32@hi+12
	s_add_u32 s10, s10, s4
	s_addc_u32 s11, s11, s5
	s_or_b32 s9, s9, exec_lo
	s_load_dwordx2 s[10:11], s[10:11], 0x0
	v_rcp_f64_e32 v[22:23], v[20:21]
	v_fma_f64 v[24:25], -v[20:21], v[22:23], 1.0
	v_fma_f64 v[22:23], v[22:23], v[24:25], v[22:23]
	v_fma_f64 v[24:25], -v[20:21], v[22:23], 1.0
	v_fma_f64 v[22:23], v[22:23], v[24:25], v[22:23]
	v_mul_f64 v[24:25], v[26:27], v[22:23]
	v_fma_f64 v[20:21], -v[20:21], v[24:25], v[26:27]
	v_add_f64 v[26:27], v[8:9], v[12:13]
	v_div_fmas_f64 v[22:23], v[20:21], v[22:23], v[24:25]
	v_mul_f64 v[20:21], v[18:19], v[26:27]
	v_div_fixup_f64 v[22:23], v[22:23], v[2:3], v[16:17]
	v_mul_f64 v[16:17], v[22:23], v[20:21]
	s_waitcnt lgkmcnt(0)
	v_div_scale_f64 v[18:19], null, s[10:11], s[10:11], v[16:17]
	v_div_scale_f64 v[28:29], vcc_lo, v[16:17], s[10:11], v[16:17]
	v_rcp_f64_e32 v[24:25], v[18:19]
	v_fma_f64 v[26:27], -v[18:19], v[24:25], 1.0
	v_fma_f64 v[24:25], v[24:25], v[26:27], v[24:25]
	v_fma_f64 v[26:27], -v[18:19], v[24:25], 1.0
	v_fma_f64 v[24:25], v[24:25], v[26:27], v[24:25]
	v_mul_f64 v[26:27], v[28:29], v[24:25]
	v_fma_f64 v[18:19], -v[18:19], v[26:27], v[28:29]
	v_div_fmas_f64 v[18:19], v[18:19], v[24:25], v[26:27]
	v_div_fixup_f64 v[16:17], v[18:19], s[10:11], v[16:17]
	v_add_f64 v[14:15], v[14:15], v[16:17]
	v_div_scale_f64 v[18:19], null, v[14:15], v[14:15], v[16:17]
	v_rcp_f64_e32 v[24:25], v[18:19]
	v_fma_f64 v[26:27], -v[18:19], v[24:25], 1.0
	v_fma_f64 v[24:25], v[24:25], v[26:27], v[24:25]
	v_fma_f64 v[26:27], -v[18:19], v[24:25], 1.0
	v_fma_f64 v[24:25], v[24:25], v[26:27], v[24:25]
	v_div_scale_f64 v[26:27], vcc_lo, v[16:17], v[14:15], v[16:17]
	v_mul_f64 v[28:29], v[26:27], v[24:25]
	v_fma_f64 v[18:19], -v[18:19], v[28:29], v[26:27]
	v_div_fmas_f64 v[18:19], v[18:19], v[24:25], v[28:29]
	v_div_fixup_f64 v[16:17], v[18:19], v[14:15], v[16:17]
                                        ; implicit-def: $vgpr18_vgpr19
	v_cmp_ngt_f64_e64 s11, 0x3ca00000, |v[16:17]|
                                        ; implicit-def: $vgpr16_vgpr17
	s_and_saveexec_b32 s10, s11
	s_cbranch_execz .LBB78_43
; %bb.45:                               ;   in Loop: Header=BB78_44 Depth=1
	v_div_scale_f64 v[16:17], null, v[2:3], v[2:3], v[22:23]
	v_div_scale_f64 v[26:27], vcc_lo, v[22:23], v[2:3], v[22:23]
	v_add_f64 v[8:9], v[8:9], 1.0
	s_add_u32 s4, s4, 8
	s_addc_u32 s5, s5, 0
	s_cmpk_eq_i32 s4, 0x60
	s_cselect_b32 s11, -1, 0
	s_andn2_b32 s9, s9, exec_lo
	s_and_b32 s11, s11, exec_lo
	s_or_b32 s9, s9, s11
	v_rcp_f64_e32 v[18:19], v[16:17]
	v_fma_f64 v[24:25], -v[16:17], v[18:19], 1.0
	v_fma_f64 v[18:19], v[18:19], v[24:25], v[18:19]
	v_fma_f64 v[24:25], -v[16:17], v[18:19], 1.0
	v_fma_f64 v[18:19], v[18:19], v[24:25], v[18:19]
	v_mul_f64 v[24:25], v[26:27], v[18:19]
	v_fma_f64 v[16:17], -v[16:17], v[24:25], v[26:27]
	v_add_f64 v[26:27], v[8:9], v[12:13]
	v_add_f64 v[8:9], v[8:9], 1.0
	v_div_fmas_f64 v[16:17], v[16:17], v[18:19], v[24:25]
	v_mul_f64 v[18:19], v[26:27], v[20:21]
	v_div_fixup_f64 v[16:17], v[16:17], v[2:3], v[22:23]
	s_branch .LBB78_43
.LBB78_46:
	s_or_b32 exec_lo, exec_lo, s8
.LBB78_47:
	s_or_b32 exec_lo, exec_lo, s6
.LBB78_48:
	s_or_b32 exec_lo, exec_lo, s30
.LBB78_49:
	s_or_b32 exec_lo, exec_lo, vcc_hi
.LBB78_50:
	s_or_b32 exec_lo, exec_lo, s7
	v_cmp_gt_f64_e32 vcc_lo, 0, v[4:5]
	v_cmp_class_f64_e64 s5, v[4:5], 0x244
	v_cmp_lt_u32_e64 s4, 0x432fffff, v7
	s_mov_b32 s6, 0x6a5dcb37
	s_mov_b32 s7, 0x3e5ade15
	v_and_b32_e32 v0, 1, v0
	v_readlane_b32 s30, v40, 5
	v_readlane_b32 s31, v40, 6
	;; [unrolled: 1-line block ×7, first 2 shown]
	s_and_b32 s4, vcc_lo, s4
	s_or_b32 s4, s5, s4
	v_cndmask_b32_e64 v2, v11, 0x7ff00000, s4
	v_cndmask_b32_e64 v1, v10, 0, s4
	s_mov_b32 s4, 0x652b82fe
	s_mov_b32 s5, 0x3ff71547
	v_mul_f64 v[3:4], v[1:2], s[4:5]
	s_mov_b32 s4, 0xfefa39ef
	s_mov_b32 s5, 0xbfe62e42
	v_cmp_nlt_f64_e32 vcc_lo, 0x40900000, v[1:2]
	v_rndne_f64_e32 v[3:4], v[3:4]
	v_fma_f64 v[5:6], v[3:4], s[4:5], v[1:2]
	s_mov_b32 s4, 0x3b39803f
	s_mov_b32 s5, 0xbc7abc9e
	v_cvt_i32_f64_e32 v9, v[3:4]
	v_fma_f64 v[5:6], v[3:4], s[4:5], v[5:6]
	s_mov_b32 s4, 0xfca7ab0c
	s_mov_b32 s5, 0x3e928af3
	v_fma_f64 v[7:8], v[5:6], s[6:7], s[4:5]
	s_mov_b32 s4, 0x623fde64
	s_mov_b32 s5, 0x3ec71dee
	;; [unrolled: 3-line block ×9, first 2 shown]
	v_fma_f64 v[7:8], v[5:6], v[7:8], s[4:5]
	v_cmp_ngt_f64_e64 s4, 0xc090cc00, v[1:2]
	v_cmp_eq_u32_e64 s5, 0, v0
	v_fma_f64 v[7:8], v[5:6], v[7:8], 1.0
	v_fma_f64 v[3:4], v[5:6], v[7:8], 1.0
	v_ldexp_f64 v[3:4], v[3:4], v9
	v_cndmask_b32_e32 v4, 0x7ff00000, v4, vcc_lo
	s_and_b32 vcc_lo, s4, vcc_lo
	v_cndmask_b32_e32 v0, 0, v3, vcc_lo
	v_cndmask_b32_e64 v1, 0, v4, s4
	v_xor_b32_e32 v2, 0x80000000, v1
	v_cndmask_b32_e64 v1, v1, v2, s5
	v_mul_f64 v[0:1], v[0:1], v[14:15]
	s_or_saveexec_b32 s4, -1
	buffer_load_dword v40, off, s[0:3], s32 ; 4-byte Folded Reload
	s_mov_b32 exec_lo, s4
	s_waitcnt vmcnt(0)
	s_setpc_b64 s[30:31]
.Lfunc_end78:
	.size	_ZZZZN2at6native21polygamma_kernel_cudaERNS_18TensorIteratorBaseElENKUlvE_clEvENKUlvE_clEvENKUldE_clEd, .Lfunc_end78-_ZZZZN2at6native21polygamma_kernel_cudaERNS_18TensorIteratorBaseElENKUlvE_clEvENKUlvE_clEvENKUldE_clEd
                                        ; -- End function
	.set .L_ZZZZN2at6native21polygamma_kernel_cudaERNS_18TensorIteratorBaseElENKUlvE_clEvENKUlvE_clEvENKUldE_clEd.num_vgpr, 50
	.set .L_ZZZZN2at6native21polygamma_kernel_cudaERNS_18TensorIteratorBaseElENKUlvE_clEvENKUlvE_clEvENKUldE_clEd.num_agpr, 0
	.set .L_ZZZZN2at6native21polygamma_kernel_cudaERNS_18TensorIteratorBaseElENKUlvE_clEvENKUlvE_clEvENKUldE_clEd.numbered_sgpr, 96
	.set .L_ZZZZN2at6native21polygamma_kernel_cudaERNS_18TensorIteratorBaseElENKUlvE_clEvENKUlvE_clEvENKUldE_clEd.num_named_barrier, 0
	.set .L_ZZZZN2at6native21polygamma_kernel_cudaERNS_18TensorIteratorBaseElENKUlvE_clEvENKUlvE_clEvENKUldE_clEd.private_seg_size, 8
	.set .L_ZZZZN2at6native21polygamma_kernel_cudaERNS_18TensorIteratorBaseElENKUlvE_clEvENKUlvE_clEvENKUldE_clEd.uses_vcc, 1
	.set .L_ZZZZN2at6native21polygamma_kernel_cudaERNS_18TensorIteratorBaseElENKUlvE_clEvENKUlvE_clEvENKUldE_clEd.uses_flat_scratch, 0
	.set .L_ZZZZN2at6native21polygamma_kernel_cudaERNS_18TensorIteratorBaseElENKUlvE_clEvENKUlvE_clEvENKUldE_clEd.has_dyn_sized_stack, 0
	.set .L_ZZZZN2at6native21polygamma_kernel_cudaERNS_18TensorIteratorBaseElENKUlvE_clEvENKUlvE_clEvENKUldE_clEd.has_recursion, 0
	.set .L_ZZZZN2at6native21polygamma_kernel_cudaERNS_18TensorIteratorBaseElENKUlvE_clEvENKUlvE_clEvENKUldE_clEd.has_indirect_call, 0
	.section	.AMDGPU.csdata,"",@progbits
; Function info:
; codeLenInByte = 12696
; TotalNumSgprs: 98
; NumVgprs: 50
; ScratchSize: 8
; MemoryBound: 0
	.section	.text._ZN2at6native29vectorized_elementwise_kernelILi16EZZZNS0_21polygamma_kernel_cudaERNS_18TensorIteratorBaseElENKUlvE_clEvENKUlvE_clEvEUldE_St5arrayIPcLm2EEEEviT0_T1_,"axG",@progbits,_ZN2at6native29vectorized_elementwise_kernelILi16EZZZNS0_21polygamma_kernel_cudaERNS_18TensorIteratorBaseElENKUlvE_clEvENKUlvE_clEvEUldE_St5arrayIPcLm2EEEEviT0_T1_,comdat
	.globl	_ZN2at6native29vectorized_elementwise_kernelILi16EZZZNS0_21polygamma_kernel_cudaERNS_18TensorIteratorBaseElENKUlvE_clEvENKUlvE_clEvEUldE_St5arrayIPcLm2EEEEviT0_T1_ ; -- Begin function _ZN2at6native29vectorized_elementwise_kernelILi16EZZZNS0_21polygamma_kernel_cudaERNS_18TensorIteratorBaseElENKUlvE_clEvENKUlvE_clEvEUldE_St5arrayIPcLm2EEEEviT0_T1_
	.p2align	8
	.type	_ZN2at6native29vectorized_elementwise_kernelILi16EZZZNS0_21polygamma_kernel_cudaERNS_18TensorIteratorBaseElENKUlvE_clEvENKUlvE_clEvEUldE_St5arrayIPcLm2EEEEviT0_T1_,@function
_ZN2at6native29vectorized_elementwise_kernelILi16EZZZNS0_21polygamma_kernel_cudaERNS_18TensorIteratorBaseElENKUlvE_clEvENKUlvE_clEvEUldE_St5arrayIPcLm2EEEEviT0_T1_: ; @_ZN2at6native29vectorized_elementwise_kernelILi16EZZZNS0_21polygamma_kernel_cudaERNS_18TensorIteratorBaseElENKUlvE_clEvENKUlvE_clEvEUldE_St5arrayIPcLm2EEEEviT0_T1_
; %bb.0:
	s_add_u32 s0, s0, s7
	s_clause 0x2
	s_load_dword s7, s[4:5], 0x0
	s_load_dwordx4 s[48:51], s[4:5], 0x8
	s_load_dwordx2 s[54:55], s[4:5], 0x18
	s_addc_u32 s1, s1, 0
	s_lshl_b32 s52, s6, 10
	v_mov_b32_e32 v47, v0
	s_mov_b32 s4, -1
	s_mov_b32 s32, 0
	s_waitcnt lgkmcnt(0)
	s_sub_i32 s39, s7, s52
	s_cmpk_gt_i32 s39, 0x3ff
	s_cbranch_scc0 .LBB79_2
; %bb.1:
	s_ashr_i32 s53, s52, 31
	v_lshlrev_b32_e32 v45, 5, v47
	s_lshl_b64 s[64:65], s[52:53], 3
	v_mov_b32_e32 v0, s48
	s_add_u32 s4, s54, s64
	s_addc_u32 s5, s55, s65
	v_mov_b32_e32 v1, s49
	s_clause 0x1
	global_load_dwordx4 v[41:44], v45, s[4:5]
	global_load_dwordx4 v[50:53], v45, s[4:5] offset:16
	s_getpc_b64 s[66:67]
	s_add_u32 s66, s66, _ZZZZN2at6native21polygamma_kernel_cudaERNS_18TensorIteratorBaseElENKUlvE_clEvENKUlvE_clEvENKUldE_clEd@rel32@lo+4
	s_addc_u32 s67, s67, _ZZZZN2at6native21polygamma_kernel_cudaERNS_18TensorIteratorBaseElENKUlvE_clEvENKUlvE_clEvENKUldE_clEd@rel32@hi+12
	s_waitcnt vmcnt(1)
	v_mov_b32_e32 v2, v41
	v_mov_b32_e32 v3, v42
	s_swappc_b64 s[30:31], s[66:67]
	v_mov_b32_e32 v41, v0
	v_mov_b32_e32 v42, v1
	v_mov_b32_e32 v0, s48
	v_mov_b32_e32 v1, s49
	v_mov_b32_e32 v2, v43
	v_mov_b32_e32 v3, v44
	s_swappc_b64 s[30:31], s[66:67]
	v_mov_b32_e32 v43, v0
	v_mov_b32_e32 v44, v1
	v_mov_b32_e32 v0, s48
	v_mov_b32_e32 v1, s49
	;; [unrolled: 7-line block ×3, first 2 shown]
	v_mov_b32_e32 v2, v52
	v_mov_b32_e32 v3, v53
	s_swappc_b64 s[30:31], s[66:67]
	v_mov_b32_e32 v52, v0
	v_mov_b32_e32 v53, v1
	s_add_u32 s6, s50, s64
	s_addc_u32 s7, s51, s65
	s_mov_b32 s4, 0
	global_store_dwordx4 v45, v[41:44], s[6:7]
	global_store_dwordx4 v45, v[50:53], s[6:7] offset:16
.LBB79_2:
	s_andn2_b32 vcc_lo, exec_lo, s4
	s_cbranch_vccnz .LBB79_23
; %bb.3:
	v_mov_b32_e32 v43, 0
	v_mov_b32_e32 v2, 0
	v_cmp_gt_i32_e64 s33, s39, v47
	v_mov_b32_e32 v44, 0
	v_or_b32_e32 v58, s52, v47
	v_or_b32_e32 v60, 0x100, v47
	v_mov_b32_e32 v3, 0
	v_mov_b32_e32 v0, v47
	s_and_saveexec_b32 s4, s33
	s_cbranch_execz .LBB79_5
; %bb.4:
	v_mov_b32_e32 v59, 0
	v_lshlrev_b64 v[0:1], 3, v[58:59]
	v_add_co_u32 v0, vcc_lo, s54, v0
	v_add_co_ci_u32_e64 v1, null, s55, v1, vcc_lo
	global_load_dwordx2 v[2:3], v[0:1], off
	v_or_b32_e32 v0, 0x100, v47
.LBB79_5:
	s_or_b32 exec_lo, exec_lo, s4
	s_mov_b32 s4, exec_lo
	v_cmpx_gt_i32_e64 s39, v0
	s_cbranch_execz .LBB79_7
; %bb.6:
	v_add_nc_u32_e32 v4, s52, v0
	v_mov_b32_e32 v5, 0
	v_add_nc_u32_e32 v0, 0x100, v0
	v_lshlrev_b64 v[4:5], 3, v[4:5]
	v_add_co_u32 v4, vcc_lo, s54, v4
	v_add_co_ci_u32_e64 v5, null, s55, v5, vcc_lo
	global_load_dwordx2 v[43:44], v[4:5], off
.LBB79_7:
	s_or_b32 exec_lo, exec_lo, s4
	v_mov_b32_e32 v41, 0
	v_mov_b32_e32 v45, 0
	;; [unrolled: 1-line block ×4, first 2 shown]
	s_mov_b32 s4, exec_lo
	v_cmpx_gt_i32_e64 s39, v0
	s_cbranch_execz .LBB79_9
; %bb.8:
	v_add_nc_u32_e32 v4, s52, v0
	v_mov_b32_e32 v5, 0
	v_add_nc_u32_e32 v0, 0x100, v0
	v_lshlrev_b64 v[4:5], 3, v[4:5]
	v_add_co_u32 v4, vcc_lo, s54, v4
	v_add_co_ci_u32_e64 v5, null, s55, v5, vcc_lo
	global_load_dwordx2 v[45:46], v[4:5], off
.LBB79_9:
	s_or_b32 exec_lo, exec_lo, s4
	s_mov_b32 s4, exec_lo
	v_cmpx_gt_i32_e64 s39, v0
	s_cbranch_execz .LBB79_11
; %bb.10:
	v_add_nc_u32_e32 v0, s52, v0
	v_mov_b32_e32 v1, 0
	v_lshlrev_b64 v[0:1], 3, v[0:1]
	v_add_co_u32 v0, vcc_lo, s54, v0
	v_add_co_ci_u32_e64 v1, null, s55, v1, vcc_lo
	global_load_dwordx2 v[41:42], v[0:1], off
.LBB79_11:
	s_or_b32 exec_lo, exec_lo, s4
	v_mov_b32_e32 v50, 0
	v_mov_b32_e32 v51, v50
	;; [unrolled: 1-line block ×8, first 2 shown]
	s_and_saveexec_b32 s53, s33
	s_cbranch_execz .LBB79_13
; %bb.12:
	v_mov_b32_e32 v0, s48
	v_mov_b32_e32 v1, s49
	s_getpc_b64 s[4:5]
	s_add_u32 s4, s4, _ZZZZN2at6native21polygamma_kernel_cudaERNS_18TensorIteratorBaseElENKUlvE_clEvENKUlvE_clEvENKUldE_clEd@rel32@lo+4
	s_addc_u32 s5, s5, _ZZZZN2at6native21polygamma_kernel_cudaERNS_18TensorIteratorBaseElENKUlvE_clEvENKUlvE_clEvENKUldE_clEd@rel32@hi+12
	s_swappc_b64 s[30:31], s[4:5]
	v_mov_b32_e32 v7, v50
	v_mov_b32_e32 v2, v50
	;; [unrolled: 1-line block ×14, first 2 shown]
.LBB79_13:
	s_or_b32 exec_lo, exec_lo, s53
	s_mov_b32 s53, exec_lo
	v_cmpx_gt_i32_e64 s39, v60
	s_cbranch_execz .LBB79_15
; %bb.14:
	v_mov_b32_e32 v0, s48
	v_mov_b32_e32 v1, s49
	s_waitcnt vmcnt(0)
	v_mov_b32_e32 v2, v43
	v_mov_b32_e32 v3, v44
	s_getpc_b64 s[4:5]
	s_add_u32 s4, s4, _ZZZZN2at6native21polygamma_kernel_cudaERNS_18TensorIteratorBaseElENKUlvE_clEvENKUlvE_clEvENKUldE_clEd@rel32@lo+4
	s_addc_u32 s5, s5, _ZZZZN2at6native21polygamma_kernel_cudaERNS_18TensorIteratorBaseElENKUlvE_clEvENKUlvE_clEvENKUldE_clEd@rel32@hi+12
	s_swappc_b64 s[30:31], s[4:5]
	v_mov_b32_e32 v52, v0
	v_mov_b32_e32 v53, v1
.LBB79_15:
	s_or_b32 exec_lo, exec_lo, s53
	v_or_b32_e32 v0, 0x200, v47
	s_mov_b32 s53, exec_lo
	v_cmpx_gt_i32_e64 s39, v0
	s_cbranch_execz .LBB79_17
; %bb.16:
	v_mov_b32_e32 v0, s48
	v_mov_b32_e32 v1, s49
	s_waitcnt vmcnt(0)
	v_mov_b32_e32 v2, v45
	v_mov_b32_e32 v3, v46
	s_getpc_b64 s[4:5]
	s_add_u32 s4, s4, _ZZZZN2at6native21polygamma_kernel_cudaERNS_18TensorIteratorBaseElENKUlvE_clEvENKUlvE_clEvENKUldE_clEd@rel32@lo+4
	s_addc_u32 s5, s5, _ZZZZN2at6native21polygamma_kernel_cudaERNS_18TensorIteratorBaseElENKUlvE_clEvENKUlvE_clEvENKUldE_clEd@rel32@hi+12
	s_swappc_b64 s[30:31], s[4:5]
	v_mov_b32_e32 v54, v0
	v_mov_b32_e32 v55, v1
.LBB79_17:
	s_or_b32 exec_lo, exec_lo, s53
	v_or_b32_e32 v0, 0x300, v47
	s_mov_b32 s53, exec_lo
	v_cmpx_gt_i32_e64 s39, v0
	s_cbranch_execnz .LBB79_24
; %bb.18:
	s_or_b32 exec_lo, exec_lo, s53
	s_and_saveexec_b32 s4, s33
	s_xor_b32 s4, exec_lo, s4
	s_cbranch_execnz .LBB79_25
.LBB79_19:
	s_or_b32 exec_lo, exec_lo, s4
	s_mov_b32 s4, exec_lo
	v_cmpx_gt_i32_e64 s39, v47
	s_cbranch_execnz .LBB79_26
.LBB79_20:
	s_or_b32 exec_lo, exec_lo, s4
	s_mov_b32 s4, exec_lo
	v_cmpx_gt_i32_e64 s39, v47
	s_cbranch_execnz .LBB79_27
.LBB79_21:
	s_or_b32 exec_lo, exec_lo, s4
	s_mov_b32 s4, exec_lo
	v_cmpx_gt_i32_e64 s39, v47
	s_cbranch_execz .LBB79_23
.LBB79_22:
	v_add_nc_u32_e32 v0, s52, v47
	v_mov_b32_e32 v1, 0
	v_lshlrev_b64 v[0:1], 3, v[0:1]
	v_add_co_u32 v0, vcc_lo, s50, v0
	v_add_co_ci_u32_e64 v1, null, s51, v1, vcc_lo
	global_store_dwordx2 v[0:1], v[56:57], off
.LBB79_23:
	s_endpgm
.LBB79_24:
	v_mov_b32_e32 v0, s48
	v_mov_b32_e32 v1, s49
	s_waitcnt vmcnt(0)
	v_mov_b32_e32 v2, v41
	v_mov_b32_e32 v3, v42
	s_getpc_b64 s[4:5]
	s_add_u32 s4, s4, _ZZZZN2at6native21polygamma_kernel_cudaERNS_18TensorIteratorBaseElENKUlvE_clEvENKUlvE_clEvENKUldE_clEd@rel32@lo+4
	s_addc_u32 s5, s5, _ZZZZN2at6native21polygamma_kernel_cudaERNS_18TensorIteratorBaseElENKUlvE_clEvENKUlvE_clEvENKUldE_clEd@rel32@hi+12
	s_swappc_b64 s[30:31], s[4:5]
	v_mov_b32_e32 v56, v0
	v_mov_b32_e32 v57, v1
	s_or_b32 exec_lo, exec_lo, s53
	s_and_saveexec_b32 s4, s33
	s_xor_b32 s4, exec_lo, s4
	s_cbranch_execz .LBB79_19
.LBB79_25:
	v_mov_b32_e32 v59, 0
	v_mov_b32_e32 v47, v60
	v_lshlrev_b64 v[0:1], 3, v[58:59]
	v_add_co_u32 v0, vcc_lo, s50, v0
	v_add_co_ci_u32_e64 v1, null, s51, v1, vcc_lo
	global_store_dwordx2 v[0:1], v[50:51], off
	s_or_b32 exec_lo, exec_lo, s4
	s_mov_b32 s4, exec_lo
	v_cmpx_gt_i32_e64 s39, v47
	s_cbranch_execz .LBB79_20
.LBB79_26:
	v_add_nc_u32_e32 v0, s52, v47
	v_mov_b32_e32 v1, 0
	v_add_nc_u32_e32 v47, 0x100, v47
	v_lshlrev_b64 v[0:1], 3, v[0:1]
	v_add_co_u32 v0, vcc_lo, s50, v0
	v_add_co_ci_u32_e64 v1, null, s51, v1, vcc_lo
	global_store_dwordx2 v[0:1], v[52:53], off
	s_or_b32 exec_lo, exec_lo, s4
	s_mov_b32 s4, exec_lo
	v_cmpx_gt_i32_e64 s39, v47
	s_cbranch_execz .LBB79_21
.LBB79_27:
	v_add_nc_u32_e32 v0, s52, v47
	v_mov_b32_e32 v1, 0
	v_add_nc_u32_e32 v47, 0x100, v47
	v_lshlrev_b64 v[0:1], 3, v[0:1]
	v_add_co_u32 v0, vcc_lo, s50, v0
	v_add_co_ci_u32_e64 v1, null, s51, v1, vcc_lo
	global_store_dwordx2 v[0:1], v[54:55], off
	s_or_b32 exec_lo, exec_lo, s4
	s_mov_b32 s4, exec_lo
	v_cmpx_gt_i32_e64 s39, v47
	s_cbranch_execnz .LBB79_22
	s_branch .LBB79_23
	.section	.rodata,"a",@progbits
	.p2align	6, 0x0
	.amdhsa_kernel _ZN2at6native29vectorized_elementwise_kernelILi16EZZZNS0_21polygamma_kernel_cudaERNS_18TensorIteratorBaseElENKUlvE_clEvENKUlvE_clEvEUldE_St5arrayIPcLm2EEEEviT0_T1_
		.amdhsa_group_segment_fixed_size 0
		.amdhsa_private_segment_fixed_size 8
		.amdhsa_kernarg_size 32
		.amdhsa_user_sgpr_count 6
		.amdhsa_user_sgpr_private_segment_buffer 1
		.amdhsa_user_sgpr_dispatch_ptr 0
		.amdhsa_user_sgpr_queue_ptr 0
		.amdhsa_user_sgpr_kernarg_segment_ptr 1
		.amdhsa_user_sgpr_dispatch_id 0
		.amdhsa_user_sgpr_flat_scratch_init 0
		.amdhsa_user_sgpr_private_segment_size 0
		.amdhsa_wavefront_size32 1
		.amdhsa_uses_dynamic_stack 0
		.amdhsa_system_sgpr_private_segment_wavefront_offset 1
		.amdhsa_system_sgpr_workgroup_id_x 1
		.amdhsa_system_sgpr_workgroup_id_y 0
		.amdhsa_system_sgpr_workgroup_id_z 0
		.amdhsa_system_sgpr_workgroup_info 0
		.amdhsa_system_vgpr_workitem_id 0
		.amdhsa_next_free_vgpr 61
		.amdhsa_next_free_sgpr 96
		.amdhsa_reserve_vcc 1
		.amdhsa_reserve_flat_scratch 0
		.amdhsa_float_round_mode_32 0
		.amdhsa_float_round_mode_16_64 0
		.amdhsa_float_denorm_mode_32 3
		.amdhsa_float_denorm_mode_16_64 3
		.amdhsa_dx10_clamp 1
		.amdhsa_ieee_mode 1
		.amdhsa_fp16_overflow 0
		.amdhsa_workgroup_processor_mode 1
		.amdhsa_memory_ordered 1
		.amdhsa_forward_progress 1
		.amdhsa_shared_vgpr_count 0
		.amdhsa_exception_fp_ieee_invalid_op 0
		.amdhsa_exception_fp_denorm_src 0
		.amdhsa_exception_fp_ieee_div_zero 0
		.amdhsa_exception_fp_ieee_overflow 0
		.amdhsa_exception_fp_ieee_underflow 0
		.amdhsa_exception_fp_ieee_inexact 0
		.amdhsa_exception_int_div_zero 0
	.end_amdhsa_kernel
	.section	.text._ZN2at6native29vectorized_elementwise_kernelILi16EZZZNS0_21polygamma_kernel_cudaERNS_18TensorIteratorBaseElENKUlvE_clEvENKUlvE_clEvEUldE_St5arrayIPcLm2EEEEviT0_T1_,"axG",@progbits,_ZN2at6native29vectorized_elementwise_kernelILi16EZZZNS0_21polygamma_kernel_cudaERNS_18TensorIteratorBaseElENKUlvE_clEvENKUlvE_clEvEUldE_St5arrayIPcLm2EEEEviT0_T1_,comdat
.Lfunc_end79:
	.size	_ZN2at6native29vectorized_elementwise_kernelILi16EZZZNS0_21polygamma_kernel_cudaERNS_18TensorIteratorBaseElENKUlvE_clEvENKUlvE_clEvEUldE_St5arrayIPcLm2EEEEviT0_T1_, .Lfunc_end79-_ZN2at6native29vectorized_elementwise_kernelILi16EZZZNS0_21polygamma_kernel_cudaERNS_18TensorIteratorBaseElENKUlvE_clEvENKUlvE_clEvEUldE_St5arrayIPcLm2EEEEviT0_T1_
                                        ; -- End function
	.set _ZN2at6native29vectorized_elementwise_kernelILi16EZZZNS0_21polygamma_kernel_cudaERNS_18TensorIteratorBaseElENKUlvE_clEvENKUlvE_clEvEUldE_St5arrayIPcLm2EEEEviT0_T1_.num_vgpr, max(61, .L_ZZZZN2at6native21polygamma_kernel_cudaERNS_18TensorIteratorBaseElENKUlvE_clEvENKUlvE_clEvENKUldE_clEd.num_vgpr)
	.set _ZN2at6native29vectorized_elementwise_kernelILi16EZZZNS0_21polygamma_kernel_cudaERNS_18TensorIteratorBaseElENKUlvE_clEvENKUlvE_clEvEUldE_St5arrayIPcLm2EEEEviT0_T1_.num_agpr, max(0, .L_ZZZZN2at6native21polygamma_kernel_cudaERNS_18TensorIteratorBaseElENKUlvE_clEvENKUlvE_clEvENKUldE_clEd.num_agpr)
	.set _ZN2at6native29vectorized_elementwise_kernelILi16EZZZNS0_21polygamma_kernel_cudaERNS_18TensorIteratorBaseElENKUlvE_clEvENKUlvE_clEvEUldE_St5arrayIPcLm2EEEEviT0_T1_.numbered_sgpr, max(68, .L_ZZZZN2at6native21polygamma_kernel_cudaERNS_18TensorIteratorBaseElENKUlvE_clEvENKUlvE_clEvENKUldE_clEd.numbered_sgpr)
	.set _ZN2at6native29vectorized_elementwise_kernelILi16EZZZNS0_21polygamma_kernel_cudaERNS_18TensorIteratorBaseElENKUlvE_clEvENKUlvE_clEvEUldE_St5arrayIPcLm2EEEEviT0_T1_.num_named_barrier, max(0, .L_ZZZZN2at6native21polygamma_kernel_cudaERNS_18TensorIteratorBaseElENKUlvE_clEvENKUlvE_clEvENKUldE_clEd.num_named_barrier)
	.set _ZN2at6native29vectorized_elementwise_kernelILi16EZZZNS0_21polygamma_kernel_cudaERNS_18TensorIteratorBaseElENKUlvE_clEvENKUlvE_clEvEUldE_St5arrayIPcLm2EEEEviT0_T1_.private_seg_size, 0+max(.L_ZZZZN2at6native21polygamma_kernel_cudaERNS_18TensorIteratorBaseElENKUlvE_clEvENKUlvE_clEvENKUldE_clEd.private_seg_size)
	.set _ZN2at6native29vectorized_elementwise_kernelILi16EZZZNS0_21polygamma_kernel_cudaERNS_18TensorIteratorBaseElENKUlvE_clEvENKUlvE_clEvEUldE_St5arrayIPcLm2EEEEviT0_T1_.uses_vcc, or(1, .L_ZZZZN2at6native21polygamma_kernel_cudaERNS_18TensorIteratorBaseElENKUlvE_clEvENKUlvE_clEvENKUldE_clEd.uses_vcc)
	.set _ZN2at6native29vectorized_elementwise_kernelILi16EZZZNS0_21polygamma_kernel_cudaERNS_18TensorIteratorBaseElENKUlvE_clEvENKUlvE_clEvEUldE_St5arrayIPcLm2EEEEviT0_T1_.uses_flat_scratch, or(0, .L_ZZZZN2at6native21polygamma_kernel_cudaERNS_18TensorIteratorBaseElENKUlvE_clEvENKUlvE_clEvENKUldE_clEd.uses_flat_scratch)
	.set _ZN2at6native29vectorized_elementwise_kernelILi16EZZZNS0_21polygamma_kernel_cudaERNS_18TensorIteratorBaseElENKUlvE_clEvENKUlvE_clEvEUldE_St5arrayIPcLm2EEEEviT0_T1_.has_dyn_sized_stack, or(0, .L_ZZZZN2at6native21polygamma_kernel_cudaERNS_18TensorIteratorBaseElENKUlvE_clEvENKUlvE_clEvENKUldE_clEd.has_dyn_sized_stack)
	.set _ZN2at6native29vectorized_elementwise_kernelILi16EZZZNS0_21polygamma_kernel_cudaERNS_18TensorIteratorBaseElENKUlvE_clEvENKUlvE_clEvEUldE_St5arrayIPcLm2EEEEviT0_T1_.has_recursion, or(0, .L_ZZZZN2at6native21polygamma_kernel_cudaERNS_18TensorIteratorBaseElENKUlvE_clEvENKUlvE_clEvENKUldE_clEd.has_recursion)
	.set _ZN2at6native29vectorized_elementwise_kernelILi16EZZZNS0_21polygamma_kernel_cudaERNS_18TensorIteratorBaseElENKUlvE_clEvENKUlvE_clEvEUldE_St5arrayIPcLm2EEEEviT0_T1_.has_indirect_call, or(0, .L_ZZZZN2at6native21polygamma_kernel_cudaERNS_18TensorIteratorBaseElENKUlvE_clEvENKUlvE_clEvENKUldE_clEd.has_indirect_call)
	.section	.AMDGPU.csdata,"",@progbits
; Kernel info:
; codeLenInByte = 1284
; TotalNumSgprs: 98
; NumVgprs: 61
; ScratchSize: 8
; MemoryBound: 0
; FloatMode: 240
; IeeeMode: 1
; LDSByteSize: 0 bytes/workgroup (compile time only)
; SGPRBlocks: 0
; VGPRBlocks: 7
; NumSGPRsForWavesPerEU: 98
; NumVGPRsForWavesPerEU: 61
; Occupancy: 16
; WaveLimiterHint : 0
; COMPUTE_PGM_RSRC2:SCRATCH_EN: 1
; COMPUTE_PGM_RSRC2:USER_SGPR: 6
; COMPUTE_PGM_RSRC2:TRAP_HANDLER: 0
; COMPUTE_PGM_RSRC2:TGID_X_EN: 1
; COMPUTE_PGM_RSRC2:TGID_Y_EN: 0
; COMPUTE_PGM_RSRC2:TGID_Z_EN: 0
; COMPUTE_PGM_RSRC2:TIDIG_COMP_CNT: 0
	.section	.text._ZN2at6native29vectorized_elementwise_kernelILi8EZZZNS0_21polygamma_kernel_cudaERNS_18TensorIteratorBaseElENKUlvE_clEvENKUlvE_clEvEUldE_St5arrayIPcLm2EEEEviT0_T1_,"axG",@progbits,_ZN2at6native29vectorized_elementwise_kernelILi8EZZZNS0_21polygamma_kernel_cudaERNS_18TensorIteratorBaseElENKUlvE_clEvENKUlvE_clEvEUldE_St5arrayIPcLm2EEEEviT0_T1_,comdat
	.globl	_ZN2at6native29vectorized_elementwise_kernelILi8EZZZNS0_21polygamma_kernel_cudaERNS_18TensorIteratorBaseElENKUlvE_clEvENKUlvE_clEvEUldE_St5arrayIPcLm2EEEEviT0_T1_ ; -- Begin function _ZN2at6native29vectorized_elementwise_kernelILi8EZZZNS0_21polygamma_kernel_cudaERNS_18TensorIteratorBaseElENKUlvE_clEvENKUlvE_clEvEUldE_St5arrayIPcLm2EEEEviT0_T1_
	.p2align	8
	.type	_ZN2at6native29vectorized_elementwise_kernelILi8EZZZNS0_21polygamma_kernel_cudaERNS_18TensorIteratorBaseElENKUlvE_clEvENKUlvE_clEvEUldE_St5arrayIPcLm2EEEEviT0_T1_,@function
_ZN2at6native29vectorized_elementwise_kernelILi8EZZZNS0_21polygamma_kernel_cudaERNS_18TensorIteratorBaseElENKUlvE_clEvENKUlvE_clEvEUldE_St5arrayIPcLm2EEEEviT0_T1_: ; @_ZN2at6native29vectorized_elementwise_kernelILi8EZZZNS0_21polygamma_kernel_cudaERNS_18TensorIteratorBaseElENKUlvE_clEvENKUlvE_clEvEUldE_St5arrayIPcLm2EEEEviT0_T1_
; %bb.0:
	s_add_u32 s0, s0, s7
	s_clause 0x2
	s_load_dword s7, s[4:5], 0x0
	s_load_dwordx4 s[48:51], s[4:5], 0x8
	s_load_dwordx2 s[54:55], s[4:5], 0x18
	s_addc_u32 s1, s1, 0
	s_lshl_b32 s52, s6, 10
	v_mov_b32_e32 v47, v0
	s_mov_b32 s4, -1
	s_mov_b32 s32, 0
	s_waitcnt lgkmcnt(0)
	s_sub_i32 s39, s7, s52
	s_cmpk_gt_i32 s39, 0x3ff
	s_cbranch_scc0 .LBB80_2
; %bb.1:
	s_ashr_i32 s53, s52, 31
	v_lshlrev_b32_e32 v45, 5, v47
	s_lshl_b64 s[64:65], s[52:53], 3
	v_mov_b32_e32 v0, s48
	s_add_u32 s4, s54, s64
	s_addc_u32 s5, s55, s65
	v_mov_b32_e32 v1, s49
	s_clause 0x1
	global_load_dwordx4 v[41:44], v45, s[4:5]
	global_load_dwordx4 v[50:53], v45, s[4:5] offset:16
	s_getpc_b64 s[66:67]
	s_add_u32 s66, s66, _ZZZZN2at6native21polygamma_kernel_cudaERNS_18TensorIteratorBaseElENKUlvE_clEvENKUlvE_clEvENKUldE_clEd@rel32@lo+4
	s_addc_u32 s67, s67, _ZZZZN2at6native21polygamma_kernel_cudaERNS_18TensorIteratorBaseElENKUlvE_clEvENKUlvE_clEvENKUldE_clEd@rel32@hi+12
	s_waitcnt vmcnt(1)
	v_mov_b32_e32 v2, v41
	v_mov_b32_e32 v3, v42
	s_swappc_b64 s[30:31], s[66:67]
	v_mov_b32_e32 v41, v0
	v_mov_b32_e32 v42, v1
	v_mov_b32_e32 v0, s48
	v_mov_b32_e32 v1, s49
	v_mov_b32_e32 v2, v43
	v_mov_b32_e32 v3, v44
	s_swappc_b64 s[30:31], s[66:67]
	v_mov_b32_e32 v43, v0
	v_mov_b32_e32 v44, v1
	v_mov_b32_e32 v0, s48
	v_mov_b32_e32 v1, s49
	;; [unrolled: 7-line block ×3, first 2 shown]
	v_mov_b32_e32 v2, v52
	v_mov_b32_e32 v3, v53
	s_swappc_b64 s[30:31], s[66:67]
	v_mov_b32_e32 v52, v0
	v_mov_b32_e32 v53, v1
	s_add_u32 s6, s50, s64
	s_addc_u32 s7, s51, s65
	s_mov_b32 s4, 0
	global_store_dwordx4 v45, v[41:44], s[6:7]
	global_store_dwordx4 v45, v[50:53], s[6:7] offset:16
.LBB80_2:
	s_andn2_b32 vcc_lo, exec_lo, s4
	s_cbranch_vccnz .LBB80_23
; %bb.3:
	v_mov_b32_e32 v43, 0
	v_mov_b32_e32 v2, 0
	v_cmp_gt_i32_e64 s33, s39, v47
	v_mov_b32_e32 v44, 0
	v_or_b32_e32 v58, s52, v47
	v_or_b32_e32 v60, 0x100, v47
	v_mov_b32_e32 v3, 0
	v_mov_b32_e32 v0, v47
	s_and_saveexec_b32 s4, s33
	s_cbranch_execz .LBB80_5
; %bb.4:
	v_mov_b32_e32 v59, 0
	v_lshlrev_b64 v[0:1], 3, v[58:59]
	v_add_co_u32 v0, vcc_lo, s54, v0
	v_add_co_ci_u32_e64 v1, null, s55, v1, vcc_lo
	global_load_dwordx2 v[2:3], v[0:1], off
	v_or_b32_e32 v0, 0x100, v47
.LBB80_5:
	s_or_b32 exec_lo, exec_lo, s4
	s_mov_b32 s4, exec_lo
	v_cmpx_gt_i32_e64 s39, v0
	s_cbranch_execz .LBB80_7
; %bb.6:
	v_add_nc_u32_e32 v4, s52, v0
	v_mov_b32_e32 v5, 0
	v_add_nc_u32_e32 v0, 0x100, v0
	v_lshlrev_b64 v[4:5], 3, v[4:5]
	v_add_co_u32 v4, vcc_lo, s54, v4
	v_add_co_ci_u32_e64 v5, null, s55, v5, vcc_lo
	global_load_dwordx2 v[43:44], v[4:5], off
.LBB80_7:
	s_or_b32 exec_lo, exec_lo, s4
	v_mov_b32_e32 v41, 0
	v_mov_b32_e32 v45, 0
	;; [unrolled: 1-line block ×4, first 2 shown]
	s_mov_b32 s4, exec_lo
	v_cmpx_gt_i32_e64 s39, v0
	s_cbranch_execz .LBB80_9
; %bb.8:
	v_add_nc_u32_e32 v4, s52, v0
	v_mov_b32_e32 v5, 0
	v_add_nc_u32_e32 v0, 0x100, v0
	v_lshlrev_b64 v[4:5], 3, v[4:5]
	v_add_co_u32 v4, vcc_lo, s54, v4
	v_add_co_ci_u32_e64 v5, null, s55, v5, vcc_lo
	global_load_dwordx2 v[45:46], v[4:5], off
.LBB80_9:
	s_or_b32 exec_lo, exec_lo, s4
	s_mov_b32 s4, exec_lo
	v_cmpx_gt_i32_e64 s39, v0
	s_cbranch_execz .LBB80_11
; %bb.10:
	v_add_nc_u32_e32 v0, s52, v0
	v_mov_b32_e32 v1, 0
	v_lshlrev_b64 v[0:1], 3, v[0:1]
	v_add_co_u32 v0, vcc_lo, s54, v0
	v_add_co_ci_u32_e64 v1, null, s55, v1, vcc_lo
	global_load_dwordx2 v[41:42], v[0:1], off
.LBB80_11:
	s_or_b32 exec_lo, exec_lo, s4
	v_mov_b32_e32 v50, 0
	v_mov_b32_e32 v51, v50
	;; [unrolled: 1-line block ×8, first 2 shown]
	s_and_saveexec_b32 s53, s33
	s_cbranch_execz .LBB80_13
; %bb.12:
	v_mov_b32_e32 v0, s48
	v_mov_b32_e32 v1, s49
	s_getpc_b64 s[4:5]
	s_add_u32 s4, s4, _ZZZZN2at6native21polygamma_kernel_cudaERNS_18TensorIteratorBaseElENKUlvE_clEvENKUlvE_clEvENKUldE_clEd@rel32@lo+4
	s_addc_u32 s5, s5, _ZZZZN2at6native21polygamma_kernel_cudaERNS_18TensorIteratorBaseElENKUlvE_clEvENKUlvE_clEvENKUldE_clEd@rel32@hi+12
	s_swappc_b64 s[30:31], s[4:5]
	v_mov_b32_e32 v7, v50
	v_mov_b32_e32 v2, v50
	v_mov_b32_e32 v3, v50
	v_mov_b32_e32 v4, v50
	v_mov_b32_e32 v5, v50
	v_mov_b32_e32 v6, v50
	v_mov_b32_e32 v57, v7
	v_mov_b32_e32 v53, v3
	v_mov_b32_e32 v54, v4
	v_mov_b32_e32 v55, v5
	v_mov_b32_e32 v56, v6
	v_mov_b32_e32 v52, v2
	v_mov_b32_e32 v51, v1
	v_mov_b32_e32 v50, v0
.LBB80_13:
	s_or_b32 exec_lo, exec_lo, s53
	s_mov_b32 s53, exec_lo
	v_cmpx_gt_i32_e64 s39, v60
	s_cbranch_execz .LBB80_15
; %bb.14:
	v_mov_b32_e32 v0, s48
	v_mov_b32_e32 v1, s49
	s_waitcnt vmcnt(0)
	v_mov_b32_e32 v2, v43
	v_mov_b32_e32 v3, v44
	s_getpc_b64 s[4:5]
	s_add_u32 s4, s4, _ZZZZN2at6native21polygamma_kernel_cudaERNS_18TensorIteratorBaseElENKUlvE_clEvENKUlvE_clEvENKUldE_clEd@rel32@lo+4
	s_addc_u32 s5, s5, _ZZZZN2at6native21polygamma_kernel_cudaERNS_18TensorIteratorBaseElENKUlvE_clEvENKUlvE_clEvENKUldE_clEd@rel32@hi+12
	s_swappc_b64 s[30:31], s[4:5]
	v_mov_b32_e32 v52, v0
	v_mov_b32_e32 v53, v1
.LBB80_15:
	s_or_b32 exec_lo, exec_lo, s53
	v_or_b32_e32 v0, 0x200, v47
	s_mov_b32 s53, exec_lo
	v_cmpx_gt_i32_e64 s39, v0
	s_cbranch_execz .LBB80_17
; %bb.16:
	v_mov_b32_e32 v0, s48
	v_mov_b32_e32 v1, s49
	s_waitcnt vmcnt(0)
	v_mov_b32_e32 v2, v45
	v_mov_b32_e32 v3, v46
	s_getpc_b64 s[4:5]
	s_add_u32 s4, s4, _ZZZZN2at6native21polygamma_kernel_cudaERNS_18TensorIteratorBaseElENKUlvE_clEvENKUlvE_clEvENKUldE_clEd@rel32@lo+4
	s_addc_u32 s5, s5, _ZZZZN2at6native21polygamma_kernel_cudaERNS_18TensorIteratorBaseElENKUlvE_clEvENKUlvE_clEvENKUldE_clEd@rel32@hi+12
	s_swappc_b64 s[30:31], s[4:5]
	v_mov_b32_e32 v54, v0
	v_mov_b32_e32 v55, v1
.LBB80_17:
	s_or_b32 exec_lo, exec_lo, s53
	v_or_b32_e32 v0, 0x300, v47
	s_mov_b32 s53, exec_lo
	v_cmpx_gt_i32_e64 s39, v0
	s_cbranch_execnz .LBB80_24
; %bb.18:
	s_or_b32 exec_lo, exec_lo, s53
	s_and_saveexec_b32 s4, s33
	s_xor_b32 s4, exec_lo, s4
	s_cbranch_execnz .LBB80_25
.LBB80_19:
	s_or_b32 exec_lo, exec_lo, s4
	s_mov_b32 s4, exec_lo
	v_cmpx_gt_i32_e64 s39, v47
	s_cbranch_execnz .LBB80_26
.LBB80_20:
	s_or_b32 exec_lo, exec_lo, s4
	s_mov_b32 s4, exec_lo
	v_cmpx_gt_i32_e64 s39, v47
	s_cbranch_execnz .LBB80_27
.LBB80_21:
	s_or_b32 exec_lo, exec_lo, s4
	s_mov_b32 s4, exec_lo
	v_cmpx_gt_i32_e64 s39, v47
	s_cbranch_execz .LBB80_23
.LBB80_22:
	v_add_nc_u32_e32 v0, s52, v47
	v_mov_b32_e32 v1, 0
	v_lshlrev_b64 v[0:1], 3, v[0:1]
	v_add_co_u32 v0, vcc_lo, s50, v0
	v_add_co_ci_u32_e64 v1, null, s51, v1, vcc_lo
	global_store_dwordx2 v[0:1], v[56:57], off
.LBB80_23:
	s_endpgm
.LBB80_24:
	v_mov_b32_e32 v0, s48
	v_mov_b32_e32 v1, s49
	s_waitcnt vmcnt(0)
	v_mov_b32_e32 v2, v41
	v_mov_b32_e32 v3, v42
	s_getpc_b64 s[4:5]
	s_add_u32 s4, s4, _ZZZZN2at6native21polygamma_kernel_cudaERNS_18TensorIteratorBaseElENKUlvE_clEvENKUlvE_clEvENKUldE_clEd@rel32@lo+4
	s_addc_u32 s5, s5, _ZZZZN2at6native21polygamma_kernel_cudaERNS_18TensorIteratorBaseElENKUlvE_clEvENKUlvE_clEvENKUldE_clEd@rel32@hi+12
	s_swappc_b64 s[30:31], s[4:5]
	v_mov_b32_e32 v56, v0
	v_mov_b32_e32 v57, v1
	s_or_b32 exec_lo, exec_lo, s53
	s_and_saveexec_b32 s4, s33
	s_xor_b32 s4, exec_lo, s4
	s_cbranch_execz .LBB80_19
.LBB80_25:
	v_mov_b32_e32 v59, 0
	v_mov_b32_e32 v47, v60
	v_lshlrev_b64 v[0:1], 3, v[58:59]
	v_add_co_u32 v0, vcc_lo, s50, v0
	v_add_co_ci_u32_e64 v1, null, s51, v1, vcc_lo
	global_store_dwordx2 v[0:1], v[50:51], off
	s_or_b32 exec_lo, exec_lo, s4
	s_mov_b32 s4, exec_lo
	v_cmpx_gt_i32_e64 s39, v47
	s_cbranch_execz .LBB80_20
.LBB80_26:
	v_add_nc_u32_e32 v0, s52, v47
	v_mov_b32_e32 v1, 0
	v_add_nc_u32_e32 v47, 0x100, v47
	v_lshlrev_b64 v[0:1], 3, v[0:1]
	v_add_co_u32 v0, vcc_lo, s50, v0
	v_add_co_ci_u32_e64 v1, null, s51, v1, vcc_lo
	global_store_dwordx2 v[0:1], v[52:53], off
	s_or_b32 exec_lo, exec_lo, s4
	s_mov_b32 s4, exec_lo
	v_cmpx_gt_i32_e64 s39, v47
	s_cbranch_execz .LBB80_21
.LBB80_27:
	v_add_nc_u32_e32 v0, s52, v47
	v_mov_b32_e32 v1, 0
	v_add_nc_u32_e32 v47, 0x100, v47
	v_lshlrev_b64 v[0:1], 3, v[0:1]
	v_add_co_u32 v0, vcc_lo, s50, v0
	v_add_co_ci_u32_e64 v1, null, s51, v1, vcc_lo
	global_store_dwordx2 v[0:1], v[54:55], off
	s_or_b32 exec_lo, exec_lo, s4
	s_mov_b32 s4, exec_lo
	v_cmpx_gt_i32_e64 s39, v47
	s_cbranch_execnz .LBB80_22
	s_branch .LBB80_23
	.section	.rodata,"a",@progbits
	.p2align	6, 0x0
	.amdhsa_kernel _ZN2at6native29vectorized_elementwise_kernelILi8EZZZNS0_21polygamma_kernel_cudaERNS_18TensorIteratorBaseElENKUlvE_clEvENKUlvE_clEvEUldE_St5arrayIPcLm2EEEEviT0_T1_
		.amdhsa_group_segment_fixed_size 0
		.amdhsa_private_segment_fixed_size 8
		.amdhsa_kernarg_size 32
		.amdhsa_user_sgpr_count 6
		.amdhsa_user_sgpr_private_segment_buffer 1
		.amdhsa_user_sgpr_dispatch_ptr 0
		.amdhsa_user_sgpr_queue_ptr 0
		.amdhsa_user_sgpr_kernarg_segment_ptr 1
		.amdhsa_user_sgpr_dispatch_id 0
		.amdhsa_user_sgpr_flat_scratch_init 0
		.amdhsa_user_sgpr_private_segment_size 0
		.amdhsa_wavefront_size32 1
		.amdhsa_uses_dynamic_stack 0
		.amdhsa_system_sgpr_private_segment_wavefront_offset 1
		.amdhsa_system_sgpr_workgroup_id_x 1
		.amdhsa_system_sgpr_workgroup_id_y 0
		.amdhsa_system_sgpr_workgroup_id_z 0
		.amdhsa_system_sgpr_workgroup_info 0
		.amdhsa_system_vgpr_workitem_id 0
		.amdhsa_next_free_vgpr 61
		.amdhsa_next_free_sgpr 96
		.amdhsa_reserve_vcc 1
		.amdhsa_reserve_flat_scratch 0
		.amdhsa_float_round_mode_32 0
		.amdhsa_float_round_mode_16_64 0
		.amdhsa_float_denorm_mode_32 3
		.amdhsa_float_denorm_mode_16_64 3
		.amdhsa_dx10_clamp 1
		.amdhsa_ieee_mode 1
		.amdhsa_fp16_overflow 0
		.amdhsa_workgroup_processor_mode 1
		.amdhsa_memory_ordered 1
		.amdhsa_forward_progress 1
		.amdhsa_shared_vgpr_count 0
		.amdhsa_exception_fp_ieee_invalid_op 0
		.amdhsa_exception_fp_denorm_src 0
		.amdhsa_exception_fp_ieee_div_zero 0
		.amdhsa_exception_fp_ieee_overflow 0
		.amdhsa_exception_fp_ieee_underflow 0
		.amdhsa_exception_fp_ieee_inexact 0
		.amdhsa_exception_int_div_zero 0
	.end_amdhsa_kernel
	.section	.text._ZN2at6native29vectorized_elementwise_kernelILi8EZZZNS0_21polygamma_kernel_cudaERNS_18TensorIteratorBaseElENKUlvE_clEvENKUlvE_clEvEUldE_St5arrayIPcLm2EEEEviT0_T1_,"axG",@progbits,_ZN2at6native29vectorized_elementwise_kernelILi8EZZZNS0_21polygamma_kernel_cudaERNS_18TensorIteratorBaseElENKUlvE_clEvENKUlvE_clEvEUldE_St5arrayIPcLm2EEEEviT0_T1_,comdat
.Lfunc_end80:
	.size	_ZN2at6native29vectorized_elementwise_kernelILi8EZZZNS0_21polygamma_kernel_cudaERNS_18TensorIteratorBaseElENKUlvE_clEvENKUlvE_clEvEUldE_St5arrayIPcLm2EEEEviT0_T1_, .Lfunc_end80-_ZN2at6native29vectorized_elementwise_kernelILi8EZZZNS0_21polygamma_kernel_cudaERNS_18TensorIteratorBaseElENKUlvE_clEvENKUlvE_clEvEUldE_St5arrayIPcLm2EEEEviT0_T1_
                                        ; -- End function
	.set _ZN2at6native29vectorized_elementwise_kernelILi8EZZZNS0_21polygamma_kernel_cudaERNS_18TensorIteratorBaseElENKUlvE_clEvENKUlvE_clEvEUldE_St5arrayIPcLm2EEEEviT0_T1_.num_vgpr, max(61, .L_ZZZZN2at6native21polygamma_kernel_cudaERNS_18TensorIteratorBaseElENKUlvE_clEvENKUlvE_clEvENKUldE_clEd.num_vgpr)
	.set _ZN2at6native29vectorized_elementwise_kernelILi8EZZZNS0_21polygamma_kernel_cudaERNS_18TensorIteratorBaseElENKUlvE_clEvENKUlvE_clEvEUldE_St5arrayIPcLm2EEEEviT0_T1_.num_agpr, max(0, .L_ZZZZN2at6native21polygamma_kernel_cudaERNS_18TensorIteratorBaseElENKUlvE_clEvENKUlvE_clEvENKUldE_clEd.num_agpr)
	.set _ZN2at6native29vectorized_elementwise_kernelILi8EZZZNS0_21polygamma_kernel_cudaERNS_18TensorIteratorBaseElENKUlvE_clEvENKUlvE_clEvEUldE_St5arrayIPcLm2EEEEviT0_T1_.numbered_sgpr, max(68, .L_ZZZZN2at6native21polygamma_kernel_cudaERNS_18TensorIteratorBaseElENKUlvE_clEvENKUlvE_clEvENKUldE_clEd.numbered_sgpr)
	.set _ZN2at6native29vectorized_elementwise_kernelILi8EZZZNS0_21polygamma_kernel_cudaERNS_18TensorIteratorBaseElENKUlvE_clEvENKUlvE_clEvEUldE_St5arrayIPcLm2EEEEviT0_T1_.num_named_barrier, max(0, .L_ZZZZN2at6native21polygamma_kernel_cudaERNS_18TensorIteratorBaseElENKUlvE_clEvENKUlvE_clEvENKUldE_clEd.num_named_barrier)
	.set _ZN2at6native29vectorized_elementwise_kernelILi8EZZZNS0_21polygamma_kernel_cudaERNS_18TensorIteratorBaseElENKUlvE_clEvENKUlvE_clEvEUldE_St5arrayIPcLm2EEEEviT0_T1_.private_seg_size, 0+max(.L_ZZZZN2at6native21polygamma_kernel_cudaERNS_18TensorIteratorBaseElENKUlvE_clEvENKUlvE_clEvENKUldE_clEd.private_seg_size)
	.set _ZN2at6native29vectorized_elementwise_kernelILi8EZZZNS0_21polygamma_kernel_cudaERNS_18TensorIteratorBaseElENKUlvE_clEvENKUlvE_clEvEUldE_St5arrayIPcLm2EEEEviT0_T1_.uses_vcc, or(1, .L_ZZZZN2at6native21polygamma_kernel_cudaERNS_18TensorIteratorBaseElENKUlvE_clEvENKUlvE_clEvENKUldE_clEd.uses_vcc)
	.set _ZN2at6native29vectorized_elementwise_kernelILi8EZZZNS0_21polygamma_kernel_cudaERNS_18TensorIteratorBaseElENKUlvE_clEvENKUlvE_clEvEUldE_St5arrayIPcLm2EEEEviT0_T1_.uses_flat_scratch, or(0, .L_ZZZZN2at6native21polygamma_kernel_cudaERNS_18TensorIteratorBaseElENKUlvE_clEvENKUlvE_clEvENKUldE_clEd.uses_flat_scratch)
	.set _ZN2at6native29vectorized_elementwise_kernelILi8EZZZNS0_21polygamma_kernel_cudaERNS_18TensorIteratorBaseElENKUlvE_clEvENKUlvE_clEvEUldE_St5arrayIPcLm2EEEEviT0_T1_.has_dyn_sized_stack, or(0, .L_ZZZZN2at6native21polygamma_kernel_cudaERNS_18TensorIteratorBaseElENKUlvE_clEvENKUlvE_clEvENKUldE_clEd.has_dyn_sized_stack)
	.set _ZN2at6native29vectorized_elementwise_kernelILi8EZZZNS0_21polygamma_kernel_cudaERNS_18TensorIteratorBaseElENKUlvE_clEvENKUlvE_clEvEUldE_St5arrayIPcLm2EEEEviT0_T1_.has_recursion, or(0, .L_ZZZZN2at6native21polygamma_kernel_cudaERNS_18TensorIteratorBaseElENKUlvE_clEvENKUlvE_clEvENKUldE_clEd.has_recursion)
	.set _ZN2at6native29vectorized_elementwise_kernelILi8EZZZNS0_21polygamma_kernel_cudaERNS_18TensorIteratorBaseElENKUlvE_clEvENKUlvE_clEvEUldE_St5arrayIPcLm2EEEEviT0_T1_.has_indirect_call, or(0, .L_ZZZZN2at6native21polygamma_kernel_cudaERNS_18TensorIteratorBaseElENKUlvE_clEvENKUlvE_clEvENKUldE_clEd.has_indirect_call)
	.section	.AMDGPU.csdata,"",@progbits
; Kernel info:
; codeLenInByte = 1284
; TotalNumSgprs: 98
; NumVgprs: 61
; ScratchSize: 8
; MemoryBound: 0
; FloatMode: 240
; IeeeMode: 1
; LDSByteSize: 0 bytes/workgroup (compile time only)
; SGPRBlocks: 0
; VGPRBlocks: 7
; NumSGPRsForWavesPerEU: 98
; NumVGPRsForWavesPerEU: 61
; Occupancy: 16
; WaveLimiterHint : 0
; COMPUTE_PGM_RSRC2:SCRATCH_EN: 1
; COMPUTE_PGM_RSRC2:USER_SGPR: 6
; COMPUTE_PGM_RSRC2:TRAP_HANDLER: 0
; COMPUTE_PGM_RSRC2:TGID_X_EN: 1
; COMPUTE_PGM_RSRC2:TGID_Y_EN: 0
; COMPUTE_PGM_RSRC2:TGID_Z_EN: 0
; COMPUTE_PGM_RSRC2:TIDIG_COMP_CNT: 0
	.section	.text._ZN2at6native29vectorized_elementwise_kernelILi4EZZZNS0_21polygamma_kernel_cudaERNS_18TensorIteratorBaseElENKUlvE_clEvENKUlvE_clEvEUldE_St5arrayIPcLm2EEEEviT0_T1_,"axG",@progbits,_ZN2at6native29vectorized_elementwise_kernelILi4EZZZNS0_21polygamma_kernel_cudaERNS_18TensorIteratorBaseElENKUlvE_clEvENKUlvE_clEvEUldE_St5arrayIPcLm2EEEEviT0_T1_,comdat
	.globl	_ZN2at6native29vectorized_elementwise_kernelILi4EZZZNS0_21polygamma_kernel_cudaERNS_18TensorIteratorBaseElENKUlvE_clEvENKUlvE_clEvEUldE_St5arrayIPcLm2EEEEviT0_T1_ ; -- Begin function _ZN2at6native29vectorized_elementwise_kernelILi4EZZZNS0_21polygamma_kernel_cudaERNS_18TensorIteratorBaseElENKUlvE_clEvENKUlvE_clEvEUldE_St5arrayIPcLm2EEEEviT0_T1_
	.p2align	8
	.type	_ZN2at6native29vectorized_elementwise_kernelILi4EZZZNS0_21polygamma_kernel_cudaERNS_18TensorIteratorBaseElENKUlvE_clEvENKUlvE_clEvEUldE_St5arrayIPcLm2EEEEviT0_T1_,@function
_ZN2at6native29vectorized_elementwise_kernelILi4EZZZNS0_21polygamma_kernel_cudaERNS_18TensorIteratorBaseElENKUlvE_clEvENKUlvE_clEvEUldE_St5arrayIPcLm2EEEEviT0_T1_: ; @_ZN2at6native29vectorized_elementwise_kernelILi4EZZZNS0_21polygamma_kernel_cudaERNS_18TensorIteratorBaseElENKUlvE_clEvENKUlvE_clEvEUldE_St5arrayIPcLm2EEEEviT0_T1_
; %bb.0:
	s_add_u32 s0, s0, s7
	s_clause 0x2
	s_load_dword s7, s[4:5], 0x0
	s_load_dwordx4 s[48:51], s[4:5], 0x8
	s_load_dwordx2 s[54:55], s[4:5], 0x18
	s_addc_u32 s1, s1, 0
	s_lshl_b32 s52, s6, 10
	v_mov_b32_e32 v47, v0
	s_mov_b32 s4, -1
	s_mov_b32 s32, 0
	s_waitcnt lgkmcnt(0)
	s_sub_i32 s39, s7, s52
	s_cmpk_gt_i32 s39, 0x3ff
	s_cbranch_scc0 .LBB81_2
; %bb.1:
	s_ashr_i32 s53, s52, 31
	v_lshlrev_b32_e32 v45, 5, v47
	s_lshl_b64 s[64:65], s[52:53], 3
	v_mov_b32_e32 v0, s48
	s_add_u32 s4, s54, s64
	s_addc_u32 s5, s55, s65
	v_mov_b32_e32 v1, s49
	s_clause 0x1
	global_load_dwordx4 v[41:44], v45, s[4:5]
	global_load_dwordx4 v[50:53], v45, s[4:5] offset:16
	s_getpc_b64 s[66:67]
	s_add_u32 s66, s66, _ZZZZN2at6native21polygamma_kernel_cudaERNS_18TensorIteratorBaseElENKUlvE_clEvENKUlvE_clEvENKUldE_clEd@rel32@lo+4
	s_addc_u32 s67, s67, _ZZZZN2at6native21polygamma_kernel_cudaERNS_18TensorIteratorBaseElENKUlvE_clEvENKUlvE_clEvENKUldE_clEd@rel32@hi+12
	s_waitcnt vmcnt(1)
	v_mov_b32_e32 v2, v41
	v_mov_b32_e32 v3, v42
	s_swappc_b64 s[30:31], s[66:67]
	v_mov_b32_e32 v41, v0
	v_mov_b32_e32 v42, v1
	v_mov_b32_e32 v0, s48
	v_mov_b32_e32 v1, s49
	v_mov_b32_e32 v2, v43
	v_mov_b32_e32 v3, v44
	s_swappc_b64 s[30:31], s[66:67]
	v_mov_b32_e32 v43, v0
	v_mov_b32_e32 v44, v1
	v_mov_b32_e32 v0, s48
	v_mov_b32_e32 v1, s49
	;; [unrolled: 7-line block ×3, first 2 shown]
	v_mov_b32_e32 v2, v52
	v_mov_b32_e32 v3, v53
	s_swappc_b64 s[30:31], s[66:67]
	v_mov_b32_e32 v52, v0
	v_mov_b32_e32 v53, v1
	s_add_u32 s6, s50, s64
	s_addc_u32 s7, s51, s65
	s_mov_b32 s4, 0
	global_store_dwordx4 v45, v[41:44], s[6:7]
	global_store_dwordx4 v45, v[50:53], s[6:7] offset:16
.LBB81_2:
	s_andn2_b32 vcc_lo, exec_lo, s4
	s_cbranch_vccnz .LBB81_23
; %bb.3:
	v_mov_b32_e32 v43, 0
	v_mov_b32_e32 v2, 0
	v_cmp_gt_i32_e64 s33, s39, v47
	v_mov_b32_e32 v44, 0
	v_or_b32_e32 v58, s52, v47
	v_or_b32_e32 v60, 0x100, v47
	v_mov_b32_e32 v3, 0
	v_mov_b32_e32 v0, v47
	s_and_saveexec_b32 s4, s33
	s_cbranch_execz .LBB81_5
; %bb.4:
	v_mov_b32_e32 v59, 0
	v_lshlrev_b64 v[0:1], 3, v[58:59]
	v_add_co_u32 v0, vcc_lo, s54, v0
	v_add_co_ci_u32_e64 v1, null, s55, v1, vcc_lo
	global_load_dwordx2 v[2:3], v[0:1], off
	v_or_b32_e32 v0, 0x100, v47
.LBB81_5:
	s_or_b32 exec_lo, exec_lo, s4
	s_mov_b32 s4, exec_lo
	v_cmpx_gt_i32_e64 s39, v0
	s_cbranch_execz .LBB81_7
; %bb.6:
	v_add_nc_u32_e32 v4, s52, v0
	v_mov_b32_e32 v5, 0
	v_add_nc_u32_e32 v0, 0x100, v0
	v_lshlrev_b64 v[4:5], 3, v[4:5]
	v_add_co_u32 v4, vcc_lo, s54, v4
	v_add_co_ci_u32_e64 v5, null, s55, v5, vcc_lo
	global_load_dwordx2 v[43:44], v[4:5], off
.LBB81_7:
	s_or_b32 exec_lo, exec_lo, s4
	v_mov_b32_e32 v41, 0
	v_mov_b32_e32 v45, 0
	;; [unrolled: 1-line block ×4, first 2 shown]
	s_mov_b32 s4, exec_lo
	v_cmpx_gt_i32_e64 s39, v0
	s_cbranch_execz .LBB81_9
; %bb.8:
	v_add_nc_u32_e32 v4, s52, v0
	v_mov_b32_e32 v5, 0
	v_add_nc_u32_e32 v0, 0x100, v0
	v_lshlrev_b64 v[4:5], 3, v[4:5]
	v_add_co_u32 v4, vcc_lo, s54, v4
	v_add_co_ci_u32_e64 v5, null, s55, v5, vcc_lo
	global_load_dwordx2 v[45:46], v[4:5], off
.LBB81_9:
	s_or_b32 exec_lo, exec_lo, s4
	s_mov_b32 s4, exec_lo
	v_cmpx_gt_i32_e64 s39, v0
	s_cbranch_execz .LBB81_11
; %bb.10:
	v_add_nc_u32_e32 v0, s52, v0
	v_mov_b32_e32 v1, 0
	v_lshlrev_b64 v[0:1], 3, v[0:1]
	v_add_co_u32 v0, vcc_lo, s54, v0
	v_add_co_ci_u32_e64 v1, null, s55, v1, vcc_lo
	global_load_dwordx2 v[41:42], v[0:1], off
.LBB81_11:
	s_or_b32 exec_lo, exec_lo, s4
	v_mov_b32_e32 v50, 0
	v_mov_b32_e32 v51, v50
	;; [unrolled: 1-line block ×8, first 2 shown]
	s_and_saveexec_b32 s53, s33
	s_cbranch_execz .LBB81_13
; %bb.12:
	v_mov_b32_e32 v0, s48
	v_mov_b32_e32 v1, s49
	s_getpc_b64 s[4:5]
	s_add_u32 s4, s4, _ZZZZN2at6native21polygamma_kernel_cudaERNS_18TensorIteratorBaseElENKUlvE_clEvENKUlvE_clEvENKUldE_clEd@rel32@lo+4
	s_addc_u32 s5, s5, _ZZZZN2at6native21polygamma_kernel_cudaERNS_18TensorIteratorBaseElENKUlvE_clEvENKUlvE_clEvENKUldE_clEd@rel32@hi+12
	s_swappc_b64 s[30:31], s[4:5]
	v_mov_b32_e32 v7, v50
	v_mov_b32_e32 v2, v50
	;; [unrolled: 1-line block ×14, first 2 shown]
.LBB81_13:
	s_or_b32 exec_lo, exec_lo, s53
	s_mov_b32 s53, exec_lo
	v_cmpx_gt_i32_e64 s39, v60
	s_cbranch_execz .LBB81_15
; %bb.14:
	v_mov_b32_e32 v0, s48
	v_mov_b32_e32 v1, s49
	s_waitcnt vmcnt(0)
	v_mov_b32_e32 v2, v43
	v_mov_b32_e32 v3, v44
	s_getpc_b64 s[4:5]
	s_add_u32 s4, s4, _ZZZZN2at6native21polygamma_kernel_cudaERNS_18TensorIteratorBaseElENKUlvE_clEvENKUlvE_clEvENKUldE_clEd@rel32@lo+4
	s_addc_u32 s5, s5, _ZZZZN2at6native21polygamma_kernel_cudaERNS_18TensorIteratorBaseElENKUlvE_clEvENKUlvE_clEvENKUldE_clEd@rel32@hi+12
	s_swappc_b64 s[30:31], s[4:5]
	v_mov_b32_e32 v52, v0
	v_mov_b32_e32 v53, v1
.LBB81_15:
	s_or_b32 exec_lo, exec_lo, s53
	v_or_b32_e32 v0, 0x200, v47
	s_mov_b32 s53, exec_lo
	v_cmpx_gt_i32_e64 s39, v0
	s_cbranch_execz .LBB81_17
; %bb.16:
	v_mov_b32_e32 v0, s48
	v_mov_b32_e32 v1, s49
	s_waitcnt vmcnt(0)
	v_mov_b32_e32 v2, v45
	v_mov_b32_e32 v3, v46
	s_getpc_b64 s[4:5]
	s_add_u32 s4, s4, _ZZZZN2at6native21polygamma_kernel_cudaERNS_18TensorIteratorBaseElENKUlvE_clEvENKUlvE_clEvENKUldE_clEd@rel32@lo+4
	s_addc_u32 s5, s5, _ZZZZN2at6native21polygamma_kernel_cudaERNS_18TensorIteratorBaseElENKUlvE_clEvENKUlvE_clEvENKUldE_clEd@rel32@hi+12
	s_swappc_b64 s[30:31], s[4:5]
	v_mov_b32_e32 v54, v0
	v_mov_b32_e32 v55, v1
.LBB81_17:
	s_or_b32 exec_lo, exec_lo, s53
	v_or_b32_e32 v0, 0x300, v47
	s_mov_b32 s53, exec_lo
	v_cmpx_gt_i32_e64 s39, v0
	s_cbranch_execnz .LBB81_24
; %bb.18:
	s_or_b32 exec_lo, exec_lo, s53
	s_and_saveexec_b32 s4, s33
	s_xor_b32 s4, exec_lo, s4
	s_cbranch_execnz .LBB81_25
.LBB81_19:
	s_or_b32 exec_lo, exec_lo, s4
	s_mov_b32 s4, exec_lo
	v_cmpx_gt_i32_e64 s39, v47
	s_cbranch_execnz .LBB81_26
.LBB81_20:
	s_or_b32 exec_lo, exec_lo, s4
	s_mov_b32 s4, exec_lo
	v_cmpx_gt_i32_e64 s39, v47
	s_cbranch_execnz .LBB81_27
.LBB81_21:
	s_or_b32 exec_lo, exec_lo, s4
	s_mov_b32 s4, exec_lo
	v_cmpx_gt_i32_e64 s39, v47
	s_cbranch_execz .LBB81_23
.LBB81_22:
	v_add_nc_u32_e32 v0, s52, v47
	v_mov_b32_e32 v1, 0
	v_lshlrev_b64 v[0:1], 3, v[0:1]
	v_add_co_u32 v0, vcc_lo, s50, v0
	v_add_co_ci_u32_e64 v1, null, s51, v1, vcc_lo
	global_store_dwordx2 v[0:1], v[56:57], off
.LBB81_23:
	s_endpgm
.LBB81_24:
	v_mov_b32_e32 v0, s48
	v_mov_b32_e32 v1, s49
	s_waitcnt vmcnt(0)
	v_mov_b32_e32 v2, v41
	v_mov_b32_e32 v3, v42
	s_getpc_b64 s[4:5]
	s_add_u32 s4, s4, _ZZZZN2at6native21polygamma_kernel_cudaERNS_18TensorIteratorBaseElENKUlvE_clEvENKUlvE_clEvENKUldE_clEd@rel32@lo+4
	s_addc_u32 s5, s5, _ZZZZN2at6native21polygamma_kernel_cudaERNS_18TensorIteratorBaseElENKUlvE_clEvENKUlvE_clEvENKUldE_clEd@rel32@hi+12
	s_swappc_b64 s[30:31], s[4:5]
	v_mov_b32_e32 v56, v0
	v_mov_b32_e32 v57, v1
	s_or_b32 exec_lo, exec_lo, s53
	s_and_saveexec_b32 s4, s33
	s_xor_b32 s4, exec_lo, s4
	s_cbranch_execz .LBB81_19
.LBB81_25:
	v_mov_b32_e32 v59, 0
	v_mov_b32_e32 v47, v60
	v_lshlrev_b64 v[0:1], 3, v[58:59]
	v_add_co_u32 v0, vcc_lo, s50, v0
	v_add_co_ci_u32_e64 v1, null, s51, v1, vcc_lo
	global_store_dwordx2 v[0:1], v[50:51], off
	s_or_b32 exec_lo, exec_lo, s4
	s_mov_b32 s4, exec_lo
	v_cmpx_gt_i32_e64 s39, v47
	s_cbranch_execz .LBB81_20
.LBB81_26:
	v_add_nc_u32_e32 v0, s52, v47
	v_mov_b32_e32 v1, 0
	v_add_nc_u32_e32 v47, 0x100, v47
	v_lshlrev_b64 v[0:1], 3, v[0:1]
	v_add_co_u32 v0, vcc_lo, s50, v0
	v_add_co_ci_u32_e64 v1, null, s51, v1, vcc_lo
	global_store_dwordx2 v[0:1], v[52:53], off
	s_or_b32 exec_lo, exec_lo, s4
	s_mov_b32 s4, exec_lo
	v_cmpx_gt_i32_e64 s39, v47
	s_cbranch_execz .LBB81_21
.LBB81_27:
	v_add_nc_u32_e32 v0, s52, v47
	v_mov_b32_e32 v1, 0
	v_add_nc_u32_e32 v47, 0x100, v47
	v_lshlrev_b64 v[0:1], 3, v[0:1]
	v_add_co_u32 v0, vcc_lo, s50, v0
	v_add_co_ci_u32_e64 v1, null, s51, v1, vcc_lo
	global_store_dwordx2 v[0:1], v[54:55], off
	s_or_b32 exec_lo, exec_lo, s4
	s_mov_b32 s4, exec_lo
	v_cmpx_gt_i32_e64 s39, v47
	s_cbranch_execnz .LBB81_22
	s_branch .LBB81_23
	.section	.rodata,"a",@progbits
	.p2align	6, 0x0
	.amdhsa_kernel _ZN2at6native29vectorized_elementwise_kernelILi4EZZZNS0_21polygamma_kernel_cudaERNS_18TensorIteratorBaseElENKUlvE_clEvENKUlvE_clEvEUldE_St5arrayIPcLm2EEEEviT0_T1_
		.amdhsa_group_segment_fixed_size 0
		.amdhsa_private_segment_fixed_size 8
		.amdhsa_kernarg_size 32
		.amdhsa_user_sgpr_count 6
		.amdhsa_user_sgpr_private_segment_buffer 1
		.amdhsa_user_sgpr_dispatch_ptr 0
		.amdhsa_user_sgpr_queue_ptr 0
		.amdhsa_user_sgpr_kernarg_segment_ptr 1
		.amdhsa_user_sgpr_dispatch_id 0
		.amdhsa_user_sgpr_flat_scratch_init 0
		.amdhsa_user_sgpr_private_segment_size 0
		.amdhsa_wavefront_size32 1
		.amdhsa_uses_dynamic_stack 0
		.amdhsa_system_sgpr_private_segment_wavefront_offset 1
		.amdhsa_system_sgpr_workgroup_id_x 1
		.amdhsa_system_sgpr_workgroup_id_y 0
		.amdhsa_system_sgpr_workgroup_id_z 0
		.amdhsa_system_sgpr_workgroup_info 0
		.amdhsa_system_vgpr_workitem_id 0
		.amdhsa_next_free_vgpr 61
		.amdhsa_next_free_sgpr 96
		.amdhsa_reserve_vcc 1
		.amdhsa_reserve_flat_scratch 0
		.amdhsa_float_round_mode_32 0
		.amdhsa_float_round_mode_16_64 0
		.amdhsa_float_denorm_mode_32 3
		.amdhsa_float_denorm_mode_16_64 3
		.amdhsa_dx10_clamp 1
		.amdhsa_ieee_mode 1
		.amdhsa_fp16_overflow 0
		.amdhsa_workgroup_processor_mode 1
		.amdhsa_memory_ordered 1
		.amdhsa_forward_progress 1
		.amdhsa_shared_vgpr_count 0
		.amdhsa_exception_fp_ieee_invalid_op 0
		.amdhsa_exception_fp_denorm_src 0
		.amdhsa_exception_fp_ieee_div_zero 0
		.amdhsa_exception_fp_ieee_overflow 0
		.amdhsa_exception_fp_ieee_underflow 0
		.amdhsa_exception_fp_ieee_inexact 0
		.amdhsa_exception_int_div_zero 0
	.end_amdhsa_kernel
	.section	.text._ZN2at6native29vectorized_elementwise_kernelILi4EZZZNS0_21polygamma_kernel_cudaERNS_18TensorIteratorBaseElENKUlvE_clEvENKUlvE_clEvEUldE_St5arrayIPcLm2EEEEviT0_T1_,"axG",@progbits,_ZN2at6native29vectorized_elementwise_kernelILi4EZZZNS0_21polygamma_kernel_cudaERNS_18TensorIteratorBaseElENKUlvE_clEvENKUlvE_clEvEUldE_St5arrayIPcLm2EEEEviT0_T1_,comdat
.Lfunc_end81:
	.size	_ZN2at6native29vectorized_elementwise_kernelILi4EZZZNS0_21polygamma_kernel_cudaERNS_18TensorIteratorBaseElENKUlvE_clEvENKUlvE_clEvEUldE_St5arrayIPcLm2EEEEviT0_T1_, .Lfunc_end81-_ZN2at6native29vectorized_elementwise_kernelILi4EZZZNS0_21polygamma_kernel_cudaERNS_18TensorIteratorBaseElENKUlvE_clEvENKUlvE_clEvEUldE_St5arrayIPcLm2EEEEviT0_T1_
                                        ; -- End function
	.set _ZN2at6native29vectorized_elementwise_kernelILi4EZZZNS0_21polygamma_kernel_cudaERNS_18TensorIteratorBaseElENKUlvE_clEvENKUlvE_clEvEUldE_St5arrayIPcLm2EEEEviT0_T1_.num_vgpr, max(61, .L_ZZZZN2at6native21polygamma_kernel_cudaERNS_18TensorIteratorBaseElENKUlvE_clEvENKUlvE_clEvENKUldE_clEd.num_vgpr)
	.set _ZN2at6native29vectorized_elementwise_kernelILi4EZZZNS0_21polygamma_kernel_cudaERNS_18TensorIteratorBaseElENKUlvE_clEvENKUlvE_clEvEUldE_St5arrayIPcLm2EEEEviT0_T1_.num_agpr, max(0, .L_ZZZZN2at6native21polygamma_kernel_cudaERNS_18TensorIteratorBaseElENKUlvE_clEvENKUlvE_clEvENKUldE_clEd.num_agpr)
	.set _ZN2at6native29vectorized_elementwise_kernelILi4EZZZNS0_21polygamma_kernel_cudaERNS_18TensorIteratorBaseElENKUlvE_clEvENKUlvE_clEvEUldE_St5arrayIPcLm2EEEEviT0_T1_.numbered_sgpr, max(68, .L_ZZZZN2at6native21polygamma_kernel_cudaERNS_18TensorIteratorBaseElENKUlvE_clEvENKUlvE_clEvENKUldE_clEd.numbered_sgpr)
	.set _ZN2at6native29vectorized_elementwise_kernelILi4EZZZNS0_21polygamma_kernel_cudaERNS_18TensorIteratorBaseElENKUlvE_clEvENKUlvE_clEvEUldE_St5arrayIPcLm2EEEEviT0_T1_.num_named_barrier, max(0, .L_ZZZZN2at6native21polygamma_kernel_cudaERNS_18TensorIteratorBaseElENKUlvE_clEvENKUlvE_clEvENKUldE_clEd.num_named_barrier)
	.set _ZN2at6native29vectorized_elementwise_kernelILi4EZZZNS0_21polygamma_kernel_cudaERNS_18TensorIteratorBaseElENKUlvE_clEvENKUlvE_clEvEUldE_St5arrayIPcLm2EEEEviT0_T1_.private_seg_size, 0+max(.L_ZZZZN2at6native21polygamma_kernel_cudaERNS_18TensorIteratorBaseElENKUlvE_clEvENKUlvE_clEvENKUldE_clEd.private_seg_size)
	.set _ZN2at6native29vectorized_elementwise_kernelILi4EZZZNS0_21polygamma_kernel_cudaERNS_18TensorIteratorBaseElENKUlvE_clEvENKUlvE_clEvEUldE_St5arrayIPcLm2EEEEviT0_T1_.uses_vcc, or(1, .L_ZZZZN2at6native21polygamma_kernel_cudaERNS_18TensorIteratorBaseElENKUlvE_clEvENKUlvE_clEvENKUldE_clEd.uses_vcc)
	.set _ZN2at6native29vectorized_elementwise_kernelILi4EZZZNS0_21polygamma_kernel_cudaERNS_18TensorIteratorBaseElENKUlvE_clEvENKUlvE_clEvEUldE_St5arrayIPcLm2EEEEviT0_T1_.uses_flat_scratch, or(0, .L_ZZZZN2at6native21polygamma_kernel_cudaERNS_18TensorIteratorBaseElENKUlvE_clEvENKUlvE_clEvENKUldE_clEd.uses_flat_scratch)
	.set _ZN2at6native29vectorized_elementwise_kernelILi4EZZZNS0_21polygamma_kernel_cudaERNS_18TensorIteratorBaseElENKUlvE_clEvENKUlvE_clEvEUldE_St5arrayIPcLm2EEEEviT0_T1_.has_dyn_sized_stack, or(0, .L_ZZZZN2at6native21polygamma_kernel_cudaERNS_18TensorIteratorBaseElENKUlvE_clEvENKUlvE_clEvENKUldE_clEd.has_dyn_sized_stack)
	.set _ZN2at6native29vectorized_elementwise_kernelILi4EZZZNS0_21polygamma_kernel_cudaERNS_18TensorIteratorBaseElENKUlvE_clEvENKUlvE_clEvEUldE_St5arrayIPcLm2EEEEviT0_T1_.has_recursion, or(0, .L_ZZZZN2at6native21polygamma_kernel_cudaERNS_18TensorIteratorBaseElENKUlvE_clEvENKUlvE_clEvENKUldE_clEd.has_recursion)
	.set _ZN2at6native29vectorized_elementwise_kernelILi4EZZZNS0_21polygamma_kernel_cudaERNS_18TensorIteratorBaseElENKUlvE_clEvENKUlvE_clEvEUldE_St5arrayIPcLm2EEEEviT0_T1_.has_indirect_call, or(0, .L_ZZZZN2at6native21polygamma_kernel_cudaERNS_18TensorIteratorBaseElENKUlvE_clEvENKUlvE_clEvENKUldE_clEd.has_indirect_call)
	.section	.AMDGPU.csdata,"",@progbits
; Kernel info:
; codeLenInByte = 1284
; TotalNumSgprs: 98
; NumVgprs: 61
; ScratchSize: 8
; MemoryBound: 0
; FloatMode: 240
; IeeeMode: 1
; LDSByteSize: 0 bytes/workgroup (compile time only)
; SGPRBlocks: 0
; VGPRBlocks: 7
; NumSGPRsForWavesPerEU: 98
; NumVGPRsForWavesPerEU: 61
; Occupancy: 16
; WaveLimiterHint : 0
; COMPUTE_PGM_RSRC2:SCRATCH_EN: 1
; COMPUTE_PGM_RSRC2:USER_SGPR: 6
; COMPUTE_PGM_RSRC2:TRAP_HANDLER: 0
; COMPUTE_PGM_RSRC2:TGID_X_EN: 1
; COMPUTE_PGM_RSRC2:TGID_Y_EN: 0
; COMPUTE_PGM_RSRC2:TGID_Z_EN: 0
; COMPUTE_PGM_RSRC2:TIDIG_COMP_CNT: 0
	.section	.text._ZN2at6native29vectorized_elementwise_kernelILi2EZZZNS0_21polygamma_kernel_cudaERNS_18TensorIteratorBaseElENKUlvE_clEvENKUlvE_clEvEUldE_St5arrayIPcLm2EEEEviT0_T1_,"axG",@progbits,_ZN2at6native29vectorized_elementwise_kernelILi2EZZZNS0_21polygamma_kernel_cudaERNS_18TensorIteratorBaseElENKUlvE_clEvENKUlvE_clEvEUldE_St5arrayIPcLm2EEEEviT0_T1_,comdat
	.globl	_ZN2at6native29vectorized_elementwise_kernelILi2EZZZNS0_21polygamma_kernel_cudaERNS_18TensorIteratorBaseElENKUlvE_clEvENKUlvE_clEvEUldE_St5arrayIPcLm2EEEEviT0_T1_ ; -- Begin function _ZN2at6native29vectorized_elementwise_kernelILi2EZZZNS0_21polygamma_kernel_cudaERNS_18TensorIteratorBaseElENKUlvE_clEvENKUlvE_clEvEUldE_St5arrayIPcLm2EEEEviT0_T1_
	.p2align	8
	.type	_ZN2at6native29vectorized_elementwise_kernelILi2EZZZNS0_21polygamma_kernel_cudaERNS_18TensorIteratorBaseElENKUlvE_clEvENKUlvE_clEvEUldE_St5arrayIPcLm2EEEEviT0_T1_,@function
_ZN2at6native29vectorized_elementwise_kernelILi2EZZZNS0_21polygamma_kernel_cudaERNS_18TensorIteratorBaseElENKUlvE_clEvENKUlvE_clEvEUldE_St5arrayIPcLm2EEEEviT0_T1_: ; @_ZN2at6native29vectorized_elementwise_kernelILi2EZZZNS0_21polygamma_kernel_cudaERNS_18TensorIteratorBaseElENKUlvE_clEvENKUlvE_clEvEUldE_St5arrayIPcLm2EEEEviT0_T1_
; %bb.0:
	s_add_u32 s0, s0, s7
	s_clause 0x2
	s_load_dword s7, s[4:5], 0x0
	s_load_dwordx4 s[48:51], s[4:5], 0x8
	s_load_dwordx2 s[54:55], s[4:5], 0x18
	s_addc_u32 s1, s1, 0
	s_lshl_b32 s52, s6, 10
	v_mov_b32_e32 v47, v0
	s_mov_b32 s33, -1
	s_mov_b32 s32, 0
	s_waitcnt lgkmcnt(0)
	s_sub_i32 s39, s7, s52
	s_cmpk_gt_i32 s39, 0x3ff
	s_cbranch_scc0 .LBB82_2
; %bb.1:
	s_ashr_i32 s53, s52, 31
	v_lshlrev_b32_e32 v45, 4, v47
	s_lshl_b64 s[64:65], s[52:53], 3
	s_mov_b32 s33, 0
	s_add_u32 s4, s54, s64
	s_addc_u32 s5, s55, s65
	v_add_co_u32 v0, s6, s4, v45
	v_add_co_ci_u32_e64 v1, null, s5, 0, s6
	global_load_dwordx4 v[41:44], v45, s[4:5]
	v_add_co_u32 v0, vcc_lo, 0x1000, v0
	v_add_co_ci_u32_e64 v1, null, 0, v1, vcc_lo
	s_getpc_b64 s[66:67]
	s_add_u32 s66, s66, _ZZZZN2at6native21polygamma_kernel_cudaERNS_18TensorIteratorBaseElENKUlvE_clEvENKUlvE_clEvENKUldE_clEd@rel32@lo+4
	s_addc_u32 s67, s67, _ZZZZN2at6native21polygamma_kernel_cudaERNS_18TensorIteratorBaseElENKUlvE_clEvENKUlvE_clEvENKUldE_clEd@rel32@hi+12
	global_load_dwordx4 v[50:53], v[0:1], off
	v_mov_b32_e32 v0, s48
	v_mov_b32_e32 v1, s49
	s_waitcnt vmcnt(1)
	v_mov_b32_e32 v2, v41
	v_mov_b32_e32 v3, v42
	s_swappc_b64 s[30:31], s[66:67]
	v_mov_b32_e32 v41, v0
	v_mov_b32_e32 v42, v1
	v_mov_b32_e32 v0, s48
	v_mov_b32_e32 v1, s49
	v_mov_b32_e32 v2, v43
	v_mov_b32_e32 v3, v44
	s_swappc_b64 s[30:31], s[66:67]
	v_mov_b32_e32 v43, v0
	v_mov_b32_e32 v44, v1
	v_mov_b32_e32 v0, s48
	v_mov_b32_e32 v1, s49
	;; [unrolled: 7-line block ×3, first 2 shown]
	v_mov_b32_e32 v2, v52
	v_mov_b32_e32 v3, v53
	s_swappc_b64 s[30:31], s[66:67]
	s_add_u32 s4, s50, s64
	v_mov_b32_e32 v52, v0
	s_addc_u32 s5, s51, s65
	v_add_co_u32 v0, s6, s4, v45
	v_mov_b32_e32 v53, v1
	v_add_co_ci_u32_e64 v1, null, s5, 0, s6
	v_add_co_u32 v0, vcc_lo, 0x1000, v0
	v_add_co_ci_u32_e64 v1, null, 0, v1, vcc_lo
	global_store_dwordx4 v45, v[41:44], s[4:5]
	global_store_dwordx4 v[0:1], v[50:53], off
.LBB82_2:
	s_andn2_b32 vcc_lo, exec_lo, s33
	s_cbranch_vccnz .LBB82_23
; %bb.3:
	v_mov_b32_e32 v43, 0
	v_mov_b32_e32 v2, 0
	v_cmp_gt_i32_e64 s33, s39, v47
	v_mov_b32_e32 v44, 0
	v_or_b32_e32 v58, s52, v47
	v_or_b32_e32 v60, 0x100, v47
	v_mov_b32_e32 v3, 0
	v_mov_b32_e32 v0, v47
	s_and_saveexec_b32 s4, s33
	s_cbranch_execz .LBB82_5
; %bb.4:
	v_mov_b32_e32 v59, 0
	v_lshlrev_b64 v[0:1], 3, v[58:59]
	v_add_co_u32 v0, vcc_lo, s54, v0
	v_add_co_ci_u32_e64 v1, null, s55, v1, vcc_lo
	global_load_dwordx2 v[2:3], v[0:1], off
	v_or_b32_e32 v0, 0x100, v47
.LBB82_5:
	s_or_b32 exec_lo, exec_lo, s4
	s_mov_b32 s4, exec_lo
	v_cmpx_gt_i32_e64 s39, v0
	s_cbranch_execz .LBB82_7
; %bb.6:
	v_add_nc_u32_e32 v4, s52, v0
	v_mov_b32_e32 v5, 0
	v_add_nc_u32_e32 v0, 0x100, v0
	v_lshlrev_b64 v[4:5], 3, v[4:5]
	v_add_co_u32 v4, vcc_lo, s54, v4
	v_add_co_ci_u32_e64 v5, null, s55, v5, vcc_lo
	global_load_dwordx2 v[43:44], v[4:5], off
.LBB82_7:
	s_or_b32 exec_lo, exec_lo, s4
	v_mov_b32_e32 v41, 0
	v_mov_b32_e32 v45, 0
	;; [unrolled: 1-line block ×4, first 2 shown]
	s_mov_b32 s4, exec_lo
	v_cmpx_gt_i32_e64 s39, v0
	s_cbranch_execz .LBB82_9
; %bb.8:
	v_add_nc_u32_e32 v4, s52, v0
	v_mov_b32_e32 v5, 0
	v_add_nc_u32_e32 v0, 0x100, v0
	v_lshlrev_b64 v[4:5], 3, v[4:5]
	v_add_co_u32 v4, vcc_lo, s54, v4
	v_add_co_ci_u32_e64 v5, null, s55, v5, vcc_lo
	global_load_dwordx2 v[45:46], v[4:5], off
.LBB82_9:
	s_or_b32 exec_lo, exec_lo, s4
	s_mov_b32 s4, exec_lo
	v_cmpx_gt_i32_e64 s39, v0
	s_cbranch_execz .LBB82_11
; %bb.10:
	v_add_nc_u32_e32 v0, s52, v0
	v_mov_b32_e32 v1, 0
	v_lshlrev_b64 v[0:1], 3, v[0:1]
	v_add_co_u32 v0, vcc_lo, s54, v0
	v_add_co_ci_u32_e64 v1, null, s55, v1, vcc_lo
	global_load_dwordx2 v[41:42], v[0:1], off
.LBB82_11:
	s_or_b32 exec_lo, exec_lo, s4
	v_mov_b32_e32 v50, 0
	v_mov_b32_e32 v51, v50
	;; [unrolled: 1-line block ×8, first 2 shown]
	s_and_saveexec_b32 s53, s33
	s_cbranch_execz .LBB82_13
; %bb.12:
	v_mov_b32_e32 v0, s48
	v_mov_b32_e32 v1, s49
	s_getpc_b64 s[4:5]
	s_add_u32 s4, s4, _ZZZZN2at6native21polygamma_kernel_cudaERNS_18TensorIteratorBaseElENKUlvE_clEvENKUlvE_clEvENKUldE_clEd@rel32@lo+4
	s_addc_u32 s5, s5, _ZZZZN2at6native21polygamma_kernel_cudaERNS_18TensorIteratorBaseElENKUlvE_clEvENKUlvE_clEvENKUldE_clEd@rel32@hi+12
	s_swappc_b64 s[30:31], s[4:5]
	v_mov_b32_e32 v7, v50
	v_mov_b32_e32 v2, v50
	;; [unrolled: 1-line block ×14, first 2 shown]
.LBB82_13:
	s_or_b32 exec_lo, exec_lo, s53
	s_mov_b32 s53, exec_lo
	v_cmpx_gt_i32_e64 s39, v60
	s_cbranch_execz .LBB82_15
; %bb.14:
	v_mov_b32_e32 v0, s48
	v_mov_b32_e32 v1, s49
	s_waitcnt vmcnt(0)
	v_mov_b32_e32 v2, v43
	v_mov_b32_e32 v3, v44
	s_getpc_b64 s[4:5]
	s_add_u32 s4, s4, _ZZZZN2at6native21polygamma_kernel_cudaERNS_18TensorIteratorBaseElENKUlvE_clEvENKUlvE_clEvENKUldE_clEd@rel32@lo+4
	s_addc_u32 s5, s5, _ZZZZN2at6native21polygamma_kernel_cudaERNS_18TensorIteratorBaseElENKUlvE_clEvENKUlvE_clEvENKUldE_clEd@rel32@hi+12
	s_swappc_b64 s[30:31], s[4:5]
	v_mov_b32_e32 v52, v0
	v_mov_b32_e32 v53, v1
.LBB82_15:
	s_or_b32 exec_lo, exec_lo, s53
	v_or_b32_e32 v0, 0x200, v47
	s_mov_b32 s53, exec_lo
	v_cmpx_gt_i32_e64 s39, v0
	s_cbranch_execz .LBB82_17
; %bb.16:
	v_mov_b32_e32 v0, s48
	v_mov_b32_e32 v1, s49
	s_waitcnt vmcnt(0)
	v_mov_b32_e32 v2, v45
	v_mov_b32_e32 v3, v46
	s_getpc_b64 s[4:5]
	s_add_u32 s4, s4, _ZZZZN2at6native21polygamma_kernel_cudaERNS_18TensorIteratorBaseElENKUlvE_clEvENKUlvE_clEvENKUldE_clEd@rel32@lo+4
	s_addc_u32 s5, s5, _ZZZZN2at6native21polygamma_kernel_cudaERNS_18TensorIteratorBaseElENKUlvE_clEvENKUlvE_clEvENKUldE_clEd@rel32@hi+12
	s_swappc_b64 s[30:31], s[4:5]
	v_mov_b32_e32 v54, v0
	v_mov_b32_e32 v55, v1
.LBB82_17:
	s_or_b32 exec_lo, exec_lo, s53
	v_or_b32_e32 v0, 0x300, v47
	s_mov_b32 s53, exec_lo
	v_cmpx_gt_i32_e64 s39, v0
	s_cbranch_execnz .LBB82_24
; %bb.18:
	s_or_b32 exec_lo, exec_lo, s53
	s_and_saveexec_b32 s4, s33
	s_xor_b32 s4, exec_lo, s4
	s_cbranch_execnz .LBB82_25
.LBB82_19:
	s_or_b32 exec_lo, exec_lo, s4
	s_mov_b32 s4, exec_lo
	v_cmpx_gt_i32_e64 s39, v47
	s_cbranch_execnz .LBB82_26
.LBB82_20:
	s_or_b32 exec_lo, exec_lo, s4
	s_mov_b32 s4, exec_lo
	v_cmpx_gt_i32_e64 s39, v47
	s_cbranch_execnz .LBB82_27
.LBB82_21:
	s_or_b32 exec_lo, exec_lo, s4
	s_mov_b32 s4, exec_lo
	v_cmpx_gt_i32_e64 s39, v47
	s_cbranch_execz .LBB82_23
.LBB82_22:
	v_add_nc_u32_e32 v0, s52, v47
	v_mov_b32_e32 v1, 0
	v_lshlrev_b64 v[0:1], 3, v[0:1]
	v_add_co_u32 v0, vcc_lo, s50, v0
	v_add_co_ci_u32_e64 v1, null, s51, v1, vcc_lo
	global_store_dwordx2 v[0:1], v[56:57], off
.LBB82_23:
	s_endpgm
.LBB82_24:
	v_mov_b32_e32 v0, s48
	v_mov_b32_e32 v1, s49
	s_waitcnt vmcnt(0)
	v_mov_b32_e32 v2, v41
	v_mov_b32_e32 v3, v42
	s_getpc_b64 s[4:5]
	s_add_u32 s4, s4, _ZZZZN2at6native21polygamma_kernel_cudaERNS_18TensorIteratorBaseElENKUlvE_clEvENKUlvE_clEvENKUldE_clEd@rel32@lo+4
	s_addc_u32 s5, s5, _ZZZZN2at6native21polygamma_kernel_cudaERNS_18TensorIteratorBaseElENKUlvE_clEvENKUlvE_clEvENKUldE_clEd@rel32@hi+12
	s_swappc_b64 s[30:31], s[4:5]
	v_mov_b32_e32 v56, v0
	v_mov_b32_e32 v57, v1
	s_or_b32 exec_lo, exec_lo, s53
	s_and_saveexec_b32 s4, s33
	s_xor_b32 s4, exec_lo, s4
	s_cbranch_execz .LBB82_19
.LBB82_25:
	v_mov_b32_e32 v59, 0
	v_mov_b32_e32 v47, v60
	v_lshlrev_b64 v[0:1], 3, v[58:59]
	v_add_co_u32 v0, vcc_lo, s50, v0
	v_add_co_ci_u32_e64 v1, null, s51, v1, vcc_lo
	global_store_dwordx2 v[0:1], v[50:51], off
	s_or_b32 exec_lo, exec_lo, s4
	s_mov_b32 s4, exec_lo
	v_cmpx_gt_i32_e64 s39, v47
	s_cbranch_execz .LBB82_20
.LBB82_26:
	v_add_nc_u32_e32 v0, s52, v47
	v_mov_b32_e32 v1, 0
	v_add_nc_u32_e32 v47, 0x100, v47
	v_lshlrev_b64 v[0:1], 3, v[0:1]
	v_add_co_u32 v0, vcc_lo, s50, v0
	v_add_co_ci_u32_e64 v1, null, s51, v1, vcc_lo
	global_store_dwordx2 v[0:1], v[52:53], off
	s_or_b32 exec_lo, exec_lo, s4
	s_mov_b32 s4, exec_lo
	v_cmpx_gt_i32_e64 s39, v47
	s_cbranch_execz .LBB82_21
.LBB82_27:
	v_add_nc_u32_e32 v0, s52, v47
	v_mov_b32_e32 v1, 0
	v_add_nc_u32_e32 v47, 0x100, v47
	v_lshlrev_b64 v[0:1], 3, v[0:1]
	v_add_co_u32 v0, vcc_lo, s50, v0
	v_add_co_ci_u32_e64 v1, null, s51, v1, vcc_lo
	global_store_dwordx2 v[0:1], v[54:55], off
	s_or_b32 exec_lo, exec_lo, s4
	s_mov_b32 s4, exec_lo
	v_cmpx_gt_i32_e64 s39, v47
	s_cbranch_execnz .LBB82_22
	s_branch .LBB82_23
	.section	.rodata,"a",@progbits
	.p2align	6, 0x0
	.amdhsa_kernel _ZN2at6native29vectorized_elementwise_kernelILi2EZZZNS0_21polygamma_kernel_cudaERNS_18TensorIteratorBaseElENKUlvE_clEvENKUlvE_clEvEUldE_St5arrayIPcLm2EEEEviT0_T1_
		.amdhsa_group_segment_fixed_size 0
		.amdhsa_private_segment_fixed_size 8
		.amdhsa_kernarg_size 32
		.amdhsa_user_sgpr_count 6
		.amdhsa_user_sgpr_private_segment_buffer 1
		.amdhsa_user_sgpr_dispatch_ptr 0
		.amdhsa_user_sgpr_queue_ptr 0
		.amdhsa_user_sgpr_kernarg_segment_ptr 1
		.amdhsa_user_sgpr_dispatch_id 0
		.amdhsa_user_sgpr_flat_scratch_init 0
		.amdhsa_user_sgpr_private_segment_size 0
		.amdhsa_wavefront_size32 1
		.amdhsa_uses_dynamic_stack 0
		.amdhsa_system_sgpr_private_segment_wavefront_offset 1
		.amdhsa_system_sgpr_workgroup_id_x 1
		.amdhsa_system_sgpr_workgroup_id_y 0
		.amdhsa_system_sgpr_workgroup_id_z 0
		.amdhsa_system_sgpr_workgroup_info 0
		.amdhsa_system_vgpr_workitem_id 0
		.amdhsa_next_free_vgpr 61
		.amdhsa_next_free_sgpr 96
		.amdhsa_reserve_vcc 1
		.amdhsa_reserve_flat_scratch 0
		.amdhsa_float_round_mode_32 0
		.amdhsa_float_round_mode_16_64 0
		.amdhsa_float_denorm_mode_32 3
		.amdhsa_float_denorm_mode_16_64 3
		.amdhsa_dx10_clamp 1
		.amdhsa_ieee_mode 1
		.amdhsa_fp16_overflow 0
		.amdhsa_workgroup_processor_mode 1
		.amdhsa_memory_ordered 1
		.amdhsa_forward_progress 1
		.amdhsa_shared_vgpr_count 0
		.amdhsa_exception_fp_ieee_invalid_op 0
		.amdhsa_exception_fp_denorm_src 0
		.amdhsa_exception_fp_ieee_div_zero 0
		.amdhsa_exception_fp_ieee_overflow 0
		.amdhsa_exception_fp_ieee_underflow 0
		.amdhsa_exception_fp_ieee_inexact 0
		.amdhsa_exception_int_div_zero 0
	.end_amdhsa_kernel
	.section	.text._ZN2at6native29vectorized_elementwise_kernelILi2EZZZNS0_21polygamma_kernel_cudaERNS_18TensorIteratorBaseElENKUlvE_clEvENKUlvE_clEvEUldE_St5arrayIPcLm2EEEEviT0_T1_,"axG",@progbits,_ZN2at6native29vectorized_elementwise_kernelILi2EZZZNS0_21polygamma_kernel_cudaERNS_18TensorIteratorBaseElENKUlvE_clEvENKUlvE_clEvEUldE_St5arrayIPcLm2EEEEviT0_T1_,comdat
.Lfunc_end82:
	.size	_ZN2at6native29vectorized_elementwise_kernelILi2EZZZNS0_21polygamma_kernel_cudaERNS_18TensorIteratorBaseElENKUlvE_clEvENKUlvE_clEvEUldE_St5arrayIPcLm2EEEEviT0_T1_, .Lfunc_end82-_ZN2at6native29vectorized_elementwise_kernelILi2EZZZNS0_21polygamma_kernel_cudaERNS_18TensorIteratorBaseElENKUlvE_clEvENKUlvE_clEvEUldE_St5arrayIPcLm2EEEEviT0_T1_
                                        ; -- End function
	.set _ZN2at6native29vectorized_elementwise_kernelILi2EZZZNS0_21polygamma_kernel_cudaERNS_18TensorIteratorBaseElENKUlvE_clEvENKUlvE_clEvEUldE_St5arrayIPcLm2EEEEviT0_T1_.num_vgpr, max(61, .L_ZZZZN2at6native21polygamma_kernel_cudaERNS_18TensorIteratorBaseElENKUlvE_clEvENKUlvE_clEvENKUldE_clEd.num_vgpr)
	.set _ZN2at6native29vectorized_elementwise_kernelILi2EZZZNS0_21polygamma_kernel_cudaERNS_18TensorIteratorBaseElENKUlvE_clEvENKUlvE_clEvEUldE_St5arrayIPcLm2EEEEviT0_T1_.num_agpr, max(0, .L_ZZZZN2at6native21polygamma_kernel_cudaERNS_18TensorIteratorBaseElENKUlvE_clEvENKUlvE_clEvENKUldE_clEd.num_agpr)
	.set _ZN2at6native29vectorized_elementwise_kernelILi2EZZZNS0_21polygamma_kernel_cudaERNS_18TensorIteratorBaseElENKUlvE_clEvENKUlvE_clEvEUldE_St5arrayIPcLm2EEEEviT0_T1_.numbered_sgpr, max(68, .L_ZZZZN2at6native21polygamma_kernel_cudaERNS_18TensorIteratorBaseElENKUlvE_clEvENKUlvE_clEvENKUldE_clEd.numbered_sgpr)
	.set _ZN2at6native29vectorized_elementwise_kernelILi2EZZZNS0_21polygamma_kernel_cudaERNS_18TensorIteratorBaseElENKUlvE_clEvENKUlvE_clEvEUldE_St5arrayIPcLm2EEEEviT0_T1_.num_named_barrier, max(0, .L_ZZZZN2at6native21polygamma_kernel_cudaERNS_18TensorIteratorBaseElENKUlvE_clEvENKUlvE_clEvENKUldE_clEd.num_named_barrier)
	.set _ZN2at6native29vectorized_elementwise_kernelILi2EZZZNS0_21polygamma_kernel_cudaERNS_18TensorIteratorBaseElENKUlvE_clEvENKUlvE_clEvEUldE_St5arrayIPcLm2EEEEviT0_T1_.private_seg_size, 0+max(.L_ZZZZN2at6native21polygamma_kernel_cudaERNS_18TensorIteratorBaseElENKUlvE_clEvENKUlvE_clEvENKUldE_clEd.private_seg_size)
	.set _ZN2at6native29vectorized_elementwise_kernelILi2EZZZNS0_21polygamma_kernel_cudaERNS_18TensorIteratorBaseElENKUlvE_clEvENKUlvE_clEvEUldE_St5arrayIPcLm2EEEEviT0_T1_.uses_vcc, or(1, .L_ZZZZN2at6native21polygamma_kernel_cudaERNS_18TensorIteratorBaseElENKUlvE_clEvENKUlvE_clEvENKUldE_clEd.uses_vcc)
	.set _ZN2at6native29vectorized_elementwise_kernelILi2EZZZNS0_21polygamma_kernel_cudaERNS_18TensorIteratorBaseElENKUlvE_clEvENKUlvE_clEvEUldE_St5arrayIPcLm2EEEEviT0_T1_.uses_flat_scratch, or(0, .L_ZZZZN2at6native21polygamma_kernel_cudaERNS_18TensorIteratorBaseElENKUlvE_clEvENKUlvE_clEvENKUldE_clEd.uses_flat_scratch)
	.set _ZN2at6native29vectorized_elementwise_kernelILi2EZZZNS0_21polygamma_kernel_cudaERNS_18TensorIteratorBaseElENKUlvE_clEvENKUlvE_clEvEUldE_St5arrayIPcLm2EEEEviT0_T1_.has_dyn_sized_stack, or(0, .L_ZZZZN2at6native21polygamma_kernel_cudaERNS_18TensorIteratorBaseElENKUlvE_clEvENKUlvE_clEvENKUldE_clEd.has_dyn_sized_stack)
	.set _ZN2at6native29vectorized_elementwise_kernelILi2EZZZNS0_21polygamma_kernel_cudaERNS_18TensorIteratorBaseElENKUlvE_clEvENKUlvE_clEvEUldE_St5arrayIPcLm2EEEEviT0_T1_.has_recursion, or(0, .L_ZZZZN2at6native21polygamma_kernel_cudaERNS_18TensorIteratorBaseElENKUlvE_clEvENKUlvE_clEvENKUldE_clEd.has_recursion)
	.set _ZN2at6native29vectorized_elementwise_kernelILi2EZZZNS0_21polygamma_kernel_cudaERNS_18TensorIteratorBaseElENKUlvE_clEvENKUlvE_clEvEUldE_St5arrayIPcLm2EEEEviT0_T1_.has_indirect_call, or(0, .L_ZZZZN2at6native21polygamma_kernel_cudaERNS_18TensorIteratorBaseElENKUlvE_clEvENKUlvE_clEvENKUldE_clEd.has_indirect_call)
	.section	.AMDGPU.csdata,"",@progbits
; Kernel info:
; codeLenInByte = 1352
; TotalNumSgprs: 98
; NumVgprs: 61
; ScratchSize: 8
; MemoryBound: 0
; FloatMode: 240
; IeeeMode: 1
; LDSByteSize: 0 bytes/workgroup (compile time only)
; SGPRBlocks: 0
; VGPRBlocks: 7
; NumSGPRsForWavesPerEU: 98
; NumVGPRsForWavesPerEU: 61
; Occupancy: 16
; WaveLimiterHint : 1
; COMPUTE_PGM_RSRC2:SCRATCH_EN: 1
; COMPUTE_PGM_RSRC2:USER_SGPR: 6
; COMPUTE_PGM_RSRC2:TRAP_HANDLER: 0
; COMPUTE_PGM_RSRC2:TGID_X_EN: 1
; COMPUTE_PGM_RSRC2:TGID_Y_EN: 0
; COMPUTE_PGM_RSRC2:TGID_Z_EN: 0
; COMPUTE_PGM_RSRC2:TIDIG_COMP_CNT: 0
	.section	.text._ZN2at6native27unrolled_elementwise_kernelIZZZNS0_21polygamma_kernel_cudaERNS_18TensorIteratorBaseElENKUlvE_clEvENKUlvE_clEvEUldE_St5arrayIPcLm2EELi4E23TrivialOffsetCalculatorILi1EjESB_NS0_6memory15LoadWithoutCastENSC_16StoreWithoutCastEEEviT_T0_T2_T3_T4_T5_,"axG",@progbits,_ZN2at6native27unrolled_elementwise_kernelIZZZNS0_21polygamma_kernel_cudaERNS_18TensorIteratorBaseElENKUlvE_clEvENKUlvE_clEvEUldE_St5arrayIPcLm2EELi4E23TrivialOffsetCalculatorILi1EjESB_NS0_6memory15LoadWithoutCastENSC_16StoreWithoutCastEEEviT_T0_T2_T3_T4_T5_,comdat
	.globl	_ZN2at6native27unrolled_elementwise_kernelIZZZNS0_21polygamma_kernel_cudaERNS_18TensorIteratorBaseElENKUlvE_clEvENKUlvE_clEvEUldE_St5arrayIPcLm2EELi4E23TrivialOffsetCalculatorILi1EjESB_NS0_6memory15LoadWithoutCastENSC_16StoreWithoutCastEEEviT_T0_T2_T3_T4_T5_ ; -- Begin function _ZN2at6native27unrolled_elementwise_kernelIZZZNS0_21polygamma_kernel_cudaERNS_18TensorIteratorBaseElENKUlvE_clEvENKUlvE_clEvEUldE_St5arrayIPcLm2EELi4E23TrivialOffsetCalculatorILi1EjESB_NS0_6memory15LoadWithoutCastENSC_16StoreWithoutCastEEEviT_T0_T2_T3_T4_T5_
	.p2align	8
	.type	_ZN2at6native27unrolled_elementwise_kernelIZZZNS0_21polygamma_kernel_cudaERNS_18TensorIteratorBaseElENKUlvE_clEvENKUlvE_clEvEUldE_St5arrayIPcLm2EELi4E23TrivialOffsetCalculatorILi1EjESB_NS0_6memory15LoadWithoutCastENSC_16StoreWithoutCastEEEviT_T0_T2_T3_T4_T5_,@function
_ZN2at6native27unrolled_elementwise_kernelIZZZNS0_21polygamma_kernel_cudaERNS_18TensorIteratorBaseElENKUlvE_clEvENKUlvE_clEvEUldE_St5arrayIPcLm2EELi4E23TrivialOffsetCalculatorILi1EjESB_NS0_6memory15LoadWithoutCastENSC_16StoreWithoutCastEEEviT_T0_T2_T3_T4_T5_: ; @_ZN2at6native27unrolled_elementwise_kernelIZZZNS0_21polygamma_kernel_cudaERNS_18TensorIteratorBaseElENKUlvE_clEvENKUlvE_clEvEUldE_St5arrayIPcLm2EELi4E23TrivialOffsetCalculatorILi1EjESB_NS0_6memory15LoadWithoutCastENSC_16StoreWithoutCastEEEviT_T0_T2_T3_T4_T5_
; %bb.0:
	s_add_u32 s0, s0, s7
	s_clause 0x1
	s_load_dword s7, s[4:5], 0x0
	s_load_dwordx2 s[8:9], s[4:5], 0x18
	v_mov_b32_e32 v47, v0
	s_addc_u32 s1, s1, 0
	s_lshl_b32 s39, s6, 10
	v_mov_b32_e32 v43, 0
	v_mov_b32_e32 v2, 0
	v_mov_b32_e32 v44, 0
	v_mov_b32_e32 v3, 0
	v_or_b32_e32 v58, s39, v47
	v_or_b32_e32 v60, 0x100, v47
	s_mov_b32 s32, 0
	s_waitcnt lgkmcnt(0)
	s_sub_i32 s52, s7, s39
	v_cmp_gt_i32_e64 s33, s52, v47
	s_and_saveexec_b32 s6, s33
	s_cbranch_execz .LBB83_2
; %bb.1:
	v_mov_b32_e32 v59, 0
	v_lshlrev_b64 v[0:1], 3, v[58:59]
	v_add_co_u32 v0, vcc_lo, s8, v0
	v_add_co_ci_u32_e64 v1, null, s9, v1, vcc_lo
	global_load_dwordx2 v[2:3], v[0:1], off
	v_or_b32_e32 v0, 0x100, v47
.LBB83_2:
	s_or_b32 exec_lo, exec_lo, s6
	s_load_dwordx4 s[48:51], s[4:5], 0x8
	s_mov_b32 s4, exec_lo
	v_cmpx_gt_i32_e64 s52, v0
	s_cbranch_execz .LBB83_4
; %bb.3:
	v_add_nc_u32_e32 v4, s39, v0
	v_mov_b32_e32 v5, 0
	v_add_nc_u32_e32 v0, 0x100, v0
	v_lshlrev_b64 v[4:5], 3, v[4:5]
	v_add_co_u32 v4, vcc_lo, s8, v4
	v_add_co_ci_u32_e64 v5, null, s9, v5, vcc_lo
	global_load_dwordx2 v[43:44], v[4:5], off
.LBB83_4:
	s_or_b32 exec_lo, exec_lo, s4
	v_mov_b32_e32 v41, 0
	v_mov_b32_e32 v45, 0
	;; [unrolled: 1-line block ×4, first 2 shown]
	s_mov_b32 s4, exec_lo
	v_cmpx_gt_i32_e64 s52, v0
	s_cbranch_execz .LBB83_6
; %bb.5:
	v_add_nc_u32_e32 v4, s39, v0
	v_mov_b32_e32 v5, 0
	v_add_nc_u32_e32 v0, 0x100, v0
	v_lshlrev_b64 v[4:5], 3, v[4:5]
	v_add_co_u32 v4, vcc_lo, s8, v4
	v_add_co_ci_u32_e64 v5, null, s9, v5, vcc_lo
	global_load_dwordx2 v[45:46], v[4:5], off
.LBB83_6:
	s_or_b32 exec_lo, exec_lo, s4
	s_mov_b32 s4, exec_lo
	v_cmpx_gt_i32_e64 s52, v0
	s_cbranch_execz .LBB83_8
; %bb.7:
	v_add_nc_u32_e32 v0, s39, v0
	v_mov_b32_e32 v1, 0
	v_lshlrev_b64 v[0:1], 3, v[0:1]
	v_add_co_u32 v0, vcc_lo, s8, v0
	v_add_co_ci_u32_e64 v1, null, s9, v1, vcc_lo
	global_load_dwordx2 v[41:42], v[0:1], off
.LBB83_8:
	s_or_b32 exec_lo, exec_lo, s4
	v_mov_b32_e32 v50, 0
	v_mov_b32_e32 v51, v50
	v_mov_b32_e32 v52, v50
	v_mov_b32_e32 v53, v50
	v_mov_b32_e32 v54, v50
	v_mov_b32_e32 v55, v50
	v_mov_b32_e32 v56, v50
	v_mov_b32_e32 v57, v50
	s_and_saveexec_b32 s53, s33
	s_cbranch_execz .LBB83_10
; %bb.9:
	s_waitcnt lgkmcnt(0)
	v_mov_b32_e32 v0, s48
	v_mov_b32_e32 v1, s49
	s_getpc_b64 s[4:5]
	s_add_u32 s4, s4, _ZZZZN2at6native21polygamma_kernel_cudaERNS_18TensorIteratorBaseElENKUlvE_clEvENKUlvE_clEvENKUldE_clEd@rel32@lo+4
	s_addc_u32 s5, s5, _ZZZZN2at6native21polygamma_kernel_cudaERNS_18TensorIteratorBaseElENKUlvE_clEvENKUlvE_clEvENKUldE_clEd@rel32@hi+12
	s_swappc_b64 s[30:31], s[4:5]
	v_mov_b32_e32 v7, v50
	v_mov_b32_e32 v2, v50
	;; [unrolled: 1-line block ×14, first 2 shown]
.LBB83_10:
	s_or_b32 exec_lo, exec_lo, s53
	s_mov_b32 s53, exec_lo
	v_cmpx_gt_i32_e64 s52, v60
	s_cbranch_execz .LBB83_12
; %bb.11:
	s_waitcnt lgkmcnt(0)
	v_mov_b32_e32 v0, s48
	v_mov_b32_e32 v1, s49
	s_waitcnt vmcnt(0)
	v_mov_b32_e32 v2, v43
	v_mov_b32_e32 v3, v44
	s_getpc_b64 s[4:5]
	s_add_u32 s4, s4, _ZZZZN2at6native21polygamma_kernel_cudaERNS_18TensorIteratorBaseElENKUlvE_clEvENKUlvE_clEvENKUldE_clEd@rel32@lo+4
	s_addc_u32 s5, s5, _ZZZZN2at6native21polygamma_kernel_cudaERNS_18TensorIteratorBaseElENKUlvE_clEvENKUlvE_clEvENKUldE_clEd@rel32@hi+12
	s_swappc_b64 s[30:31], s[4:5]
	v_mov_b32_e32 v52, v0
	v_mov_b32_e32 v53, v1
.LBB83_12:
	s_or_b32 exec_lo, exec_lo, s53
	v_or_b32_e32 v0, 0x200, v47
	s_mov_b32 s53, exec_lo
	v_cmpx_gt_i32_e64 s52, v0
	s_cbranch_execz .LBB83_14
; %bb.13:
	s_waitcnt lgkmcnt(0)
	v_mov_b32_e32 v0, s48
	v_mov_b32_e32 v1, s49
	s_waitcnt vmcnt(0)
	v_mov_b32_e32 v2, v45
	v_mov_b32_e32 v3, v46
	s_getpc_b64 s[4:5]
	s_add_u32 s4, s4, _ZZZZN2at6native21polygamma_kernel_cudaERNS_18TensorIteratorBaseElENKUlvE_clEvENKUlvE_clEvENKUldE_clEd@rel32@lo+4
	s_addc_u32 s5, s5, _ZZZZN2at6native21polygamma_kernel_cudaERNS_18TensorIteratorBaseElENKUlvE_clEvENKUlvE_clEvENKUldE_clEd@rel32@hi+12
	s_swappc_b64 s[30:31], s[4:5]
	v_mov_b32_e32 v54, v0
	v_mov_b32_e32 v55, v1
.LBB83_14:
	s_or_b32 exec_lo, exec_lo, s53
	v_or_b32_e32 v0, 0x300, v47
	s_mov_b32 s53, exec_lo
	v_cmpx_gt_i32_e64 s52, v0
	s_cbranch_execnz .LBB83_20
; %bb.15:
	s_or_b32 exec_lo, exec_lo, s53
	s_and_saveexec_b32 s4, s33
	s_xor_b32 s4, exec_lo, s4
	s_cbranch_execnz .LBB83_21
.LBB83_16:
	s_or_b32 exec_lo, exec_lo, s4
	s_mov_b32 s4, exec_lo
	v_cmpx_gt_i32_e64 s52, v47
	s_cbranch_execnz .LBB83_22
.LBB83_17:
	s_or_b32 exec_lo, exec_lo, s4
	s_mov_b32 s4, exec_lo
	v_cmpx_gt_i32_e64 s52, v47
	s_cbranch_execnz .LBB83_23
.LBB83_18:
	s_or_b32 exec_lo, exec_lo, s4
	s_mov_b32 s4, exec_lo
	v_cmpx_gt_i32_e64 s52, v47
	s_cbranch_execnz .LBB83_24
.LBB83_19:
	s_endpgm
.LBB83_20:
	s_waitcnt lgkmcnt(0)
	v_mov_b32_e32 v0, s48
	v_mov_b32_e32 v1, s49
	s_waitcnt vmcnt(0)
	v_mov_b32_e32 v2, v41
	v_mov_b32_e32 v3, v42
	s_getpc_b64 s[4:5]
	s_add_u32 s4, s4, _ZZZZN2at6native21polygamma_kernel_cudaERNS_18TensorIteratorBaseElENKUlvE_clEvENKUlvE_clEvENKUldE_clEd@rel32@lo+4
	s_addc_u32 s5, s5, _ZZZZN2at6native21polygamma_kernel_cudaERNS_18TensorIteratorBaseElENKUlvE_clEvENKUlvE_clEvENKUldE_clEd@rel32@hi+12
	s_swappc_b64 s[30:31], s[4:5]
	v_mov_b32_e32 v56, v0
	v_mov_b32_e32 v57, v1
	s_or_b32 exec_lo, exec_lo, s53
	s_and_saveexec_b32 s4, s33
	s_xor_b32 s4, exec_lo, s4
	s_cbranch_execz .LBB83_16
.LBB83_21:
	v_mov_b32_e32 v59, 0
	v_mov_b32_e32 v47, v60
	v_lshlrev_b64 v[0:1], 3, v[58:59]
	s_waitcnt lgkmcnt(0)
	v_add_co_u32 v0, vcc_lo, s50, v0
	v_add_co_ci_u32_e64 v1, null, s51, v1, vcc_lo
	global_store_dwordx2 v[0:1], v[50:51], off
	s_or_b32 exec_lo, exec_lo, s4
	s_mov_b32 s4, exec_lo
	v_cmpx_gt_i32_e64 s52, v47
	s_cbranch_execz .LBB83_17
.LBB83_22:
	v_add_nc_u32_e32 v0, s39, v47
	v_mov_b32_e32 v1, 0
	v_add_nc_u32_e32 v47, 0x100, v47
	v_lshlrev_b64 v[0:1], 3, v[0:1]
	s_waitcnt lgkmcnt(0)
	v_add_co_u32 v0, vcc_lo, s50, v0
	v_add_co_ci_u32_e64 v1, null, s51, v1, vcc_lo
	global_store_dwordx2 v[0:1], v[52:53], off
	s_or_b32 exec_lo, exec_lo, s4
	s_mov_b32 s4, exec_lo
	v_cmpx_gt_i32_e64 s52, v47
	s_cbranch_execz .LBB83_18
.LBB83_23:
	v_add_nc_u32_e32 v0, s39, v47
	v_mov_b32_e32 v1, 0
	v_add_nc_u32_e32 v47, 0x100, v47
	v_lshlrev_b64 v[0:1], 3, v[0:1]
	s_waitcnt lgkmcnt(0)
	v_add_co_u32 v0, vcc_lo, s50, v0
	v_add_co_ci_u32_e64 v1, null, s51, v1, vcc_lo
	global_store_dwordx2 v[0:1], v[54:55], off
	s_or_b32 exec_lo, exec_lo, s4
	s_mov_b32 s4, exec_lo
	v_cmpx_gt_i32_e64 s52, v47
	s_cbranch_execz .LBB83_19
.LBB83_24:
	v_add_nc_u32_e32 v0, s39, v47
	v_mov_b32_e32 v1, 0
	v_lshlrev_b64 v[0:1], 3, v[0:1]
	s_waitcnt lgkmcnt(0)
	v_add_co_u32 v0, vcc_lo, s50, v0
	v_add_co_ci_u32_e64 v1, null, s51, v1, vcc_lo
	global_store_dwordx2 v[0:1], v[56:57], off
	s_endpgm
	.section	.rodata,"a",@progbits
	.p2align	6, 0x0
	.amdhsa_kernel _ZN2at6native27unrolled_elementwise_kernelIZZZNS0_21polygamma_kernel_cudaERNS_18TensorIteratorBaseElENKUlvE_clEvENKUlvE_clEvEUldE_St5arrayIPcLm2EELi4E23TrivialOffsetCalculatorILi1EjESB_NS0_6memory15LoadWithoutCastENSC_16StoreWithoutCastEEEviT_T0_T2_T3_T4_T5_
		.amdhsa_group_segment_fixed_size 0
		.amdhsa_private_segment_fixed_size 8
		.amdhsa_kernarg_size 36
		.amdhsa_user_sgpr_count 6
		.amdhsa_user_sgpr_private_segment_buffer 1
		.amdhsa_user_sgpr_dispatch_ptr 0
		.amdhsa_user_sgpr_queue_ptr 0
		.amdhsa_user_sgpr_kernarg_segment_ptr 1
		.amdhsa_user_sgpr_dispatch_id 0
		.amdhsa_user_sgpr_flat_scratch_init 0
		.amdhsa_user_sgpr_private_segment_size 0
		.amdhsa_wavefront_size32 1
		.amdhsa_uses_dynamic_stack 0
		.amdhsa_system_sgpr_private_segment_wavefront_offset 1
		.amdhsa_system_sgpr_workgroup_id_x 1
		.amdhsa_system_sgpr_workgroup_id_y 0
		.amdhsa_system_sgpr_workgroup_id_z 0
		.amdhsa_system_sgpr_workgroup_info 0
		.amdhsa_system_vgpr_workitem_id 0
		.amdhsa_next_free_vgpr 61
		.amdhsa_next_free_sgpr 96
		.amdhsa_reserve_vcc 1
		.amdhsa_reserve_flat_scratch 0
		.amdhsa_float_round_mode_32 0
		.amdhsa_float_round_mode_16_64 0
		.amdhsa_float_denorm_mode_32 3
		.amdhsa_float_denorm_mode_16_64 3
		.amdhsa_dx10_clamp 1
		.amdhsa_ieee_mode 1
		.amdhsa_fp16_overflow 0
		.amdhsa_workgroup_processor_mode 1
		.amdhsa_memory_ordered 1
		.amdhsa_forward_progress 1
		.amdhsa_shared_vgpr_count 0
		.amdhsa_exception_fp_ieee_invalid_op 0
		.amdhsa_exception_fp_denorm_src 0
		.amdhsa_exception_fp_ieee_div_zero 0
		.amdhsa_exception_fp_ieee_overflow 0
		.amdhsa_exception_fp_ieee_underflow 0
		.amdhsa_exception_fp_ieee_inexact 0
		.amdhsa_exception_int_div_zero 0
	.end_amdhsa_kernel
	.section	.text._ZN2at6native27unrolled_elementwise_kernelIZZZNS0_21polygamma_kernel_cudaERNS_18TensorIteratorBaseElENKUlvE_clEvENKUlvE_clEvEUldE_St5arrayIPcLm2EELi4E23TrivialOffsetCalculatorILi1EjESB_NS0_6memory15LoadWithoutCastENSC_16StoreWithoutCastEEEviT_T0_T2_T3_T4_T5_,"axG",@progbits,_ZN2at6native27unrolled_elementwise_kernelIZZZNS0_21polygamma_kernel_cudaERNS_18TensorIteratorBaseElENKUlvE_clEvENKUlvE_clEvEUldE_St5arrayIPcLm2EELi4E23TrivialOffsetCalculatorILi1EjESB_NS0_6memory15LoadWithoutCastENSC_16StoreWithoutCastEEEviT_T0_T2_T3_T4_T5_,comdat
.Lfunc_end83:
	.size	_ZN2at6native27unrolled_elementwise_kernelIZZZNS0_21polygamma_kernel_cudaERNS_18TensorIteratorBaseElENKUlvE_clEvENKUlvE_clEvEUldE_St5arrayIPcLm2EELi4E23TrivialOffsetCalculatorILi1EjESB_NS0_6memory15LoadWithoutCastENSC_16StoreWithoutCastEEEviT_T0_T2_T3_T4_T5_, .Lfunc_end83-_ZN2at6native27unrolled_elementwise_kernelIZZZNS0_21polygamma_kernel_cudaERNS_18TensorIteratorBaseElENKUlvE_clEvENKUlvE_clEvEUldE_St5arrayIPcLm2EELi4E23TrivialOffsetCalculatorILi1EjESB_NS0_6memory15LoadWithoutCastENSC_16StoreWithoutCastEEEviT_T0_T2_T3_T4_T5_
                                        ; -- End function
	.set _ZN2at6native27unrolled_elementwise_kernelIZZZNS0_21polygamma_kernel_cudaERNS_18TensorIteratorBaseElENKUlvE_clEvENKUlvE_clEvEUldE_St5arrayIPcLm2EELi4E23TrivialOffsetCalculatorILi1EjESB_NS0_6memory15LoadWithoutCastENSC_16StoreWithoutCastEEEviT_T0_T2_T3_T4_T5_.num_vgpr, max(61, .L_ZZZZN2at6native21polygamma_kernel_cudaERNS_18TensorIteratorBaseElENKUlvE_clEvENKUlvE_clEvENKUldE_clEd.num_vgpr)
	.set _ZN2at6native27unrolled_elementwise_kernelIZZZNS0_21polygamma_kernel_cudaERNS_18TensorIteratorBaseElENKUlvE_clEvENKUlvE_clEvEUldE_St5arrayIPcLm2EELi4E23TrivialOffsetCalculatorILi1EjESB_NS0_6memory15LoadWithoutCastENSC_16StoreWithoutCastEEEviT_T0_T2_T3_T4_T5_.num_agpr, max(0, .L_ZZZZN2at6native21polygamma_kernel_cudaERNS_18TensorIteratorBaseElENKUlvE_clEvENKUlvE_clEvENKUldE_clEd.num_agpr)
	.set _ZN2at6native27unrolled_elementwise_kernelIZZZNS0_21polygamma_kernel_cudaERNS_18TensorIteratorBaseElENKUlvE_clEvENKUlvE_clEvEUldE_St5arrayIPcLm2EELi4E23TrivialOffsetCalculatorILi1EjESB_NS0_6memory15LoadWithoutCastENSC_16StoreWithoutCastEEEviT_T0_T2_T3_T4_T5_.numbered_sgpr, max(54, .L_ZZZZN2at6native21polygamma_kernel_cudaERNS_18TensorIteratorBaseElENKUlvE_clEvENKUlvE_clEvENKUldE_clEd.numbered_sgpr)
	.set _ZN2at6native27unrolled_elementwise_kernelIZZZNS0_21polygamma_kernel_cudaERNS_18TensorIteratorBaseElENKUlvE_clEvENKUlvE_clEvEUldE_St5arrayIPcLm2EELi4E23TrivialOffsetCalculatorILi1EjESB_NS0_6memory15LoadWithoutCastENSC_16StoreWithoutCastEEEviT_T0_T2_T3_T4_T5_.num_named_barrier, max(0, .L_ZZZZN2at6native21polygamma_kernel_cudaERNS_18TensorIteratorBaseElENKUlvE_clEvENKUlvE_clEvENKUldE_clEd.num_named_barrier)
	.set _ZN2at6native27unrolled_elementwise_kernelIZZZNS0_21polygamma_kernel_cudaERNS_18TensorIteratorBaseElENKUlvE_clEvENKUlvE_clEvEUldE_St5arrayIPcLm2EELi4E23TrivialOffsetCalculatorILi1EjESB_NS0_6memory15LoadWithoutCastENSC_16StoreWithoutCastEEEviT_T0_T2_T3_T4_T5_.private_seg_size, 0+max(.L_ZZZZN2at6native21polygamma_kernel_cudaERNS_18TensorIteratorBaseElENKUlvE_clEvENKUlvE_clEvENKUldE_clEd.private_seg_size)
	.set _ZN2at6native27unrolled_elementwise_kernelIZZZNS0_21polygamma_kernel_cudaERNS_18TensorIteratorBaseElENKUlvE_clEvENKUlvE_clEvEUldE_St5arrayIPcLm2EELi4E23TrivialOffsetCalculatorILi1EjESB_NS0_6memory15LoadWithoutCastENSC_16StoreWithoutCastEEEviT_T0_T2_T3_T4_T5_.uses_vcc, or(1, .L_ZZZZN2at6native21polygamma_kernel_cudaERNS_18TensorIteratorBaseElENKUlvE_clEvENKUlvE_clEvENKUldE_clEd.uses_vcc)
	.set _ZN2at6native27unrolled_elementwise_kernelIZZZNS0_21polygamma_kernel_cudaERNS_18TensorIteratorBaseElENKUlvE_clEvENKUlvE_clEvEUldE_St5arrayIPcLm2EELi4E23TrivialOffsetCalculatorILi1EjESB_NS0_6memory15LoadWithoutCastENSC_16StoreWithoutCastEEEviT_T0_T2_T3_T4_T5_.uses_flat_scratch, or(0, .L_ZZZZN2at6native21polygamma_kernel_cudaERNS_18TensorIteratorBaseElENKUlvE_clEvENKUlvE_clEvENKUldE_clEd.uses_flat_scratch)
	.set _ZN2at6native27unrolled_elementwise_kernelIZZZNS0_21polygamma_kernel_cudaERNS_18TensorIteratorBaseElENKUlvE_clEvENKUlvE_clEvEUldE_St5arrayIPcLm2EELi4E23TrivialOffsetCalculatorILi1EjESB_NS0_6memory15LoadWithoutCastENSC_16StoreWithoutCastEEEviT_T0_T2_T3_T4_T5_.has_dyn_sized_stack, or(0, .L_ZZZZN2at6native21polygamma_kernel_cudaERNS_18TensorIteratorBaseElENKUlvE_clEvENKUlvE_clEvENKUldE_clEd.has_dyn_sized_stack)
	.set _ZN2at6native27unrolled_elementwise_kernelIZZZNS0_21polygamma_kernel_cudaERNS_18TensorIteratorBaseElENKUlvE_clEvENKUlvE_clEvEUldE_St5arrayIPcLm2EELi4E23TrivialOffsetCalculatorILi1EjESB_NS0_6memory15LoadWithoutCastENSC_16StoreWithoutCastEEEviT_T0_T2_T3_T4_T5_.has_recursion, or(0, .L_ZZZZN2at6native21polygamma_kernel_cudaERNS_18TensorIteratorBaseElENKUlvE_clEvENKUlvE_clEvENKUldE_clEd.has_recursion)
	.set _ZN2at6native27unrolled_elementwise_kernelIZZZNS0_21polygamma_kernel_cudaERNS_18TensorIteratorBaseElENKUlvE_clEvENKUlvE_clEvEUldE_St5arrayIPcLm2EELi4E23TrivialOffsetCalculatorILi1EjESB_NS0_6memory15LoadWithoutCastENSC_16StoreWithoutCastEEEviT_T0_T2_T3_T4_T5_.has_indirect_call, or(0, .L_ZZZZN2at6native21polygamma_kernel_cudaERNS_18TensorIteratorBaseElENKUlvE_clEvENKUlvE_clEvENKUldE_clEd.has_indirect_call)
	.section	.AMDGPU.csdata,"",@progbits
; Kernel info:
; codeLenInByte = 1088
; TotalNumSgprs: 98
; NumVgprs: 61
; ScratchSize: 8
; MemoryBound: 0
; FloatMode: 240
; IeeeMode: 1
; LDSByteSize: 0 bytes/workgroup (compile time only)
; SGPRBlocks: 0
; VGPRBlocks: 7
; NumSGPRsForWavesPerEU: 98
; NumVGPRsForWavesPerEU: 61
; Occupancy: 16
; WaveLimiterHint : 0
; COMPUTE_PGM_RSRC2:SCRATCH_EN: 1
; COMPUTE_PGM_RSRC2:USER_SGPR: 6
; COMPUTE_PGM_RSRC2:TRAP_HANDLER: 0
; COMPUTE_PGM_RSRC2:TGID_X_EN: 1
; COMPUTE_PGM_RSRC2:TGID_Y_EN: 0
; COMPUTE_PGM_RSRC2:TGID_Z_EN: 0
; COMPUTE_PGM_RSRC2:TIDIG_COMP_CNT: 0
	.section	.text._ZN2at6native32elementwise_kernel_manual_unrollILi128ELi4EZNS0_22gpu_kernel_impl_nocastIZZZNS0_21polygamma_kernel_cudaERNS_18TensorIteratorBaseElENKUlvE_clEvENKUlvE_clEvEUldE_EEvS4_RKT_EUlibE_EEviT1_,"axG",@progbits,_ZN2at6native32elementwise_kernel_manual_unrollILi128ELi4EZNS0_22gpu_kernel_impl_nocastIZZZNS0_21polygamma_kernel_cudaERNS_18TensorIteratorBaseElENKUlvE_clEvENKUlvE_clEvEUldE_EEvS4_RKT_EUlibE_EEviT1_,comdat
	.globl	_ZN2at6native32elementwise_kernel_manual_unrollILi128ELi4EZNS0_22gpu_kernel_impl_nocastIZZZNS0_21polygamma_kernel_cudaERNS_18TensorIteratorBaseElENKUlvE_clEvENKUlvE_clEvEUldE_EEvS4_RKT_EUlibE_EEviT1_ ; -- Begin function _ZN2at6native32elementwise_kernel_manual_unrollILi128ELi4EZNS0_22gpu_kernel_impl_nocastIZZZNS0_21polygamma_kernel_cudaERNS_18TensorIteratorBaseElENKUlvE_clEvENKUlvE_clEvEUldE_EEvS4_RKT_EUlibE_EEviT1_
	.p2align	8
	.type	_ZN2at6native32elementwise_kernel_manual_unrollILi128ELi4EZNS0_22gpu_kernel_impl_nocastIZZZNS0_21polygamma_kernel_cudaERNS_18TensorIteratorBaseElENKUlvE_clEvENKUlvE_clEvEUldE_EEvS4_RKT_EUlibE_EEviT1_,@function
_ZN2at6native32elementwise_kernel_manual_unrollILi128ELi4EZNS0_22gpu_kernel_impl_nocastIZZZNS0_21polygamma_kernel_cudaERNS_18TensorIteratorBaseElENKUlvE_clEvENKUlvE_clEvEUldE_EEvS4_RKT_EUlibE_EEviT1_: ; @_ZN2at6native32elementwise_kernel_manual_unrollILi128ELi4EZNS0_22gpu_kernel_impl_nocastIZZZNS0_21polygamma_kernel_cudaERNS_18TensorIteratorBaseElENKUlvE_clEvENKUlvE_clEvEUldE_EEvS4_RKT_EUlibE_EEviT1_
; %bb.0:
	s_clause 0x1
	s_load_dword s33, s[4:5], 0x8
	s_load_dword s87, s[4:5], 0x0
	v_lshl_or_b32 v45, s6, 9, v0
	s_add_u32 s0, s0, s7
	s_addc_u32 s1, s1, 0
	s_add_u32 s68, s4, 8
	s_addc_u32 s69, s5, 0
	v_or_b32_e32 v2, 0x180, v45
	s_mov_b32 s32, 0
	s_mov_b32 s4, exec_lo
	s_waitcnt lgkmcnt(0)
	s_add_i32 s39, s33, -1
	s_cmp_gt_u32 s39, 1
	s_cselect_b32 s84, -1, 0
	v_cmpx_le_i32_e64 s87, v2
	s_xor_b32 s85, exec_lo, s4
	s_cbranch_execz .LBB84_7
; %bb.1:
	s_clause 0x4
	s_load_dwordx4 s[52:55], s[68:69], 0x4
	s_load_dwordx2 s[80:81], s[68:69], 0x14
	s_load_dwordx2 s[70:71], s[68:69], 0x158
	s_load_dwordx4 s[64:67], s[68:69], 0xc4
	s_load_dwordx4 s[48:51], s[68:69], 0x148
	s_cmp_lg_u32 s33, 0
	s_mov_b32 s98, exec_lo
	s_cselect_b32 s97, -1, 0
	s_add_u32 s82, s68, 0xc4
	s_addc_u32 s83, s69, 0
	s_min_u32 s96, s39, 15
	s_cmp_gt_u32 s33, 1
	s_cselect_b32 s86, -1, 0
	v_cmpx_gt_i32_e64 s87, v45
	s_cbranch_execz .LBB84_14
; %bb.2:
	s_andn2_b32 vcc_lo, exec_lo, s84
	s_cbranch_vccnz .LBB84_21
; %bb.3:
	s_andn2_b32 vcc_lo, exec_lo, s97
	s_cbranch_vccnz .LBB84_73
; %bb.4:
	s_add_i32 s9, s96, 1
	s_cmp_eq_u32 s39, 2
	s_cbranch_scc1 .LBB84_75
; %bb.5:
	v_mov_b32_e32 v0, 0
	v_mov_b32_e32 v41, 0
	v_mov_b32_e32 v1, v45
	s_and_b32 s8, s9, 28
	s_mov_b32 s10, 0
	s_mov_b64 s[4:5], s[68:69]
	s_mov_b64 s[6:7], s[82:83]
.LBB84_6:                               ; =>This Inner Loop Header: Depth=1
	s_clause 0x1
	s_load_dwordx8 s[12:19], s[4:5], 0x4
	s_load_dwordx4 s[28:31], s[4:5], 0x24
	s_load_dwordx8 s[20:27], s[6:7], 0x0
	s_add_u32 s4, s4, 48
	s_addc_u32 s5, s5, 0
	s_add_i32 s10, s10, 4
	s_add_u32 s6, s6, 32
	s_addc_u32 s7, s7, 0
	s_cmp_lg_u32 s8, s10
	s_waitcnt lgkmcnt(0)
	v_mul_hi_u32 v2, s13, v1
	v_add_nc_u32_e32 v2, v1, v2
	v_lshrrev_b32_e32 v2, s14, v2
	v_mul_hi_u32 v3, s16, v2
	v_mul_lo_u32 v5, v2, s12
	v_add_nc_u32_e32 v3, v2, v3
	v_sub_nc_u32_e32 v1, v1, v5
	v_lshrrev_b32_e32 v3, s17, v3
	v_mul_lo_u32 v5, v1, s20
	v_mul_lo_u32 v7, v1, s21
	v_mul_hi_u32 v4, s19, v3
	v_add_nc_u32_e32 v4, v3, v4
	v_lshrrev_b32_e32 v4, s28, v4
	v_mul_hi_u32 v6, s30, v4
	v_mul_lo_u32 v8, v4, s18
	v_add_nc_u32_e32 v1, v4, v6
	v_mul_lo_u32 v6, v3, s15
	v_sub_nc_u32_e32 v3, v3, v8
	v_lshrrev_b32_e32 v1, s31, v1
	v_mul_lo_u32 v8, v3, s24
	v_mul_lo_u32 v3, v3, s25
	v_sub_nc_u32_e32 v2, v2, v6
	v_mul_lo_u32 v9, v1, s29
	v_mul_lo_u32 v6, v2, s22
	;; [unrolled: 1-line block ×3, first 2 shown]
	v_sub_nc_u32_e32 v4, v4, v9
	v_add3_u32 v5, v5, v41, v6
	v_mul_lo_u32 v9, v4, s26
	v_mul_lo_u32 v4, v4, s27
	v_add3_u32 v0, v7, v0, v2
	v_add3_u32 v41, v8, v5, v9
	;; [unrolled: 1-line block ×3, first 2 shown]
	s_cbranch_scc1 .LBB84_6
	s_branch .LBB84_76
.LBB84_7:
	s_andn2_saveexec_b32 s4, s85
	s_cbranch_execz .LBB84_101
.LBB84_8:
	v_cndmask_b32_e64 v3, 0, 1, s84
	s_andn2_b32 vcc_lo, exec_lo, s84
	s_cbranch_vccnz .LBB84_20
; %bb.9:
	s_cmp_lg_u32 s33, 0
	s_mov_b32 s8, 0
	s_cbranch_scc0 .LBB84_23
; %bb.10:
	s_min_u32 s10, s39, 15
	s_add_i32 s10, s10, 1
	s_cmp_eq_u32 s39, 2
	s_cbranch_scc1 .LBB84_24
; %bb.11:
	v_mov_b32_e32 v0, 0
	v_mov_b32_e32 v50, 0
	;; [unrolled: 1-line block ×3, first 2 shown]
	s_and_b32 s9, s10, 28
	s_add_u32 s4, s68, 0xc4
	s_addc_u32 s5, s69, 0
	s_mov_b32 s11, 0
	s_mov_b64 s[6:7], s[68:69]
.LBB84_12:                              ; =>This Inner Loop Header: Depth=1
	s_clause 0x1
	s_load_dwordx8 s[12:19], s[6:7], 0x4
	s_load_dwordx4 s[28:31], s[6:7], 0x24
	s_load_dwordx8 s[20:27], s[4:5], 0x0
	s_add_u32 s6, s6, 48
	s_addc_u32 s7, s7, 0
	s_add_i32 s11, s11, 4
	s_add_u32 s4, s4, 32
	s_addc_u32 s5, s5, 0
	s_cmp_lg_u32 s9, s11
	s_waitcnt lgkmcnt(0)
	v_mul_hi_u32 v4, s13, v1
	v_add_nc_u32_e32 v4, v1, v4
	v_lshrrev_b32_e32 v4, s14, v4
	v_mul_hi_u32 v5, s16, v4
	v_mul_lo_u32 v7, v4, s12
	v_add_nc_u32_e32 v5, v4, v5
	v_sub_nc_u32_e32 v1, v1, v7
	v_lshrrev_b32_e32 v5, s17, v5
	v_mul_lo_u32 v7, v1, s20
	v_mul_lo_u32 v9, v1, s21
	v_mul_hi_u32 v6, s19, v5
	v_add_nc_u32_e32 v6, v5, v6
	v_lshrrev_b32_e32 v6, s28, v6
	v_mul_hi_u32 v8, s30, v6
	v_mul_lo_u32 v10, v6, s18
	v_add_nc_u32_e32 v1, v6, v8
	v_mul_lo_u32 v8, v5, s15
	v_sub_nc_u32_e32 v5, v5, v10
	v_lshrrev_b32_e32 v1, s31, v1
	v_mul_lo_u32 v10, v5, s24
	v_mul_lo_u32 v5, v5, s25
	v_sub_nc_u32_e32 v4, v4, v8
	v_mul_lo_u32 v11, v1, s29
	v_mul_lo_u32 v8, v4, s22
	;; [unrolled: 1-line block ×3, first 2 shown]
	v_sub_nc_u32_e32 v6, v6, v11
	v_add3_u32 v7, v7, v50, v8
	v_mul_lo_u32 v11, v6, s26
	v_mul_lo_u32 v6, v6, s27
	v_add3_u32 v0, v9, v0, v4
	v_add3_u32 v50, v10, v7, v11
	;; [unrolled: 1-line block ×3, first 2 shown]
	s_cbranch_scc1 .LBB84_12
; %bb.13:
	s_and_b32 s10, s10, 3
	s_cmp_eq_u32 s10, 0
	s_cbranch_scc0 .LBB84_25
	s_branch .LBB84_27
.LBB84_14:
	s_or_b32 exec_lo, exec_lo, s98
	s_mov_b32 s98, exec_lo
	v_cmpx_gt_i32_e64 s87, v45
	s_cbranch_execz .LBB84_83
.LBB84_15:
	s_andn2_b32 vcc_lo, exec_lo, s84
	s_cbranch_vccnz .LBB84_22
; %bb.16:
	s_andn2_b32 vcc_lo, exec_lo, s97
	s_cbranch_vccnz .LBB84_74
; %bb.17:
	s_add_i32 s9, s96, 1
	s_cmp_eq_u32 s39, 2
	s_cbranch_scc1 .LBB84_91
; %bb.18:
	v_mov_b32_e32 v0, 0
	v_mov_b32_e32 v41, 0
	v_mov_b32_e32 v1, v45
	s_and_b32 s8, s9, 28
	s_mov_b32 s10, 0
	s_mov_b64 s[4:5], s[68:69]
	s_mov_b64 s[6:7], s[82:83]
.LBB84_19:                              ; =>This Inner Loop Header: Depth=1
	s_clause 0x1
	s_load_dwordx8 s[12:19], s[4:5], 0x4
	s_load_dwordx4 s[28:31], s[4:5], 0x24
	s_load_dwordx8 s[20:27], s[6:7], 0x0
	s_add_u32 s4, s4, 48
	s_addc_u32 s5, s5, 0
	s_add_i32 s10, s10, 4
	s_add_u32 s6, s6, 32
	s_addc_u32 s7, s7, 0
	s_cmp_eq_u32 s8, s10
	s_waitcnt lgkmcnt(0)
	v_mul_hi_u32 v2, s13, v1
	v_add_nc_u32_e32 v2, v1, v2
	v_lshrrev_b32_e32 v2, s14, v2
	v_mul_hi_u32 v3, s16, v2
	v_mul_lo_u32 v5, v2, s12
	v_add_nc_u32_e32 v3, v2, v3
	v_sub_nc_u32_e32 v1, v1, v5
	v_lshrrev_b32_e32 v3, s17, v3
	v_mul_lo_u32 v5, v1, s20
	v_mul_lo_u32 v7, v1, s21
	v_mul_hi_u32 v4, s19, v3
	v_add_nc_u32_e32 v4, v3, v4
	v_lshrrev_b32_e32 v4, s28, v4
	v_mul_hi_u32 v6, s30, v4
	v_mul_lo_u32 v8, v4, s18
	v_add_nc_u32_e32 v1, v4, v6
	v_mul_lo_u32 v6, v3, s15
	v_sub_nc_u32_e32 v3, v3, v8
	v_lshrrev_b32_e32 v1, s31, v1
	v_mul_lo_u32 v8, v3, s24
	v_mul_lo_u32 v3, v3, s25
	v_sub_nc_u32_e32 v2, v2, v6
	v_mul_lo_u32 v9, v1, s29
	v_mul_lo_u32 v6, v2, s22
	v_mul_lo_u32 v2, v2, s23
	v_sub_nc_u32_e32 v4, v4, v9
	v_add3_u32 v5, v5, v41, v6
	v_mul_lo_u32 v9, v4, s26
	v_mul_lo_u32 v4, v4, s27
	v_add3_u32 v0, v7, v0, v2
	v_add3_u32 v41, v8, v5, v9
	;; [unrolled: 1-line block ×3, first 2 shown]
	s_cbranch_scc0 .LBB84_19
	s_branch .LBB84_92
.LBB84_20:
	s_mov_b32 s8, -1
                                        ; implicit-def: $vgpr50
                                        ; implicit-def: $vgpr0
	s_branch .LBB84_27
.LBB84_21:
                                        ; implicit-def: $vgpr41
                                        ; implicit-def: $vgpr0
	s_branch .LBB84_80
.LBB84_22:
                                        ; implicit-def: $vgpr41
                                        ; implicit-def: $vgpr0
	s_branch .LBB84_96
.LBB84_23:
	v_mov_b32_e32 v50, 0
	v_mov_b32_e32 v0, 0
	s_branch .LBB84_27
.LBB84_24:
	v_mov_b32_e32 v50, 0
	v_mov_b32_e32 v0, 0
	;; [unrolled: 1-line block ×3, first 2 shown]
	s_mov_b32 s9, 0
	s_and_b32 s10, s10, 3
	s_cmp_eq_u32 s10, 0
	s_cbranch_scc1 .LBB84_27
.LBB84_25:
	s_lshl_b32 s4, s9, 3
	s_mul_i32 s6, s9, 12
	s_add_u32 s4, s68, s4
	s_addc_u32 s5, s69, 0
	s_add_u32 s4, s4, 0xc4
	s_addc_u32 s5, s5, 0
	;; [unrolled: 2-line block ×3, first 2 shown]
	.p2align	6
.LBB84_26:                              ; =>This Inner Loop Header: Depth=1
	s_clause 0x1
	s_load_dwordx2 s[12:13], s[6:7], 0x4
	s_load_dword s9, s[6:7], 0xc
	s_load_dwordx2 s[14:15], s[4:5], 0x0
	s_add_u32 s6, s6, 12
	s_addc_u32 s7, s7, 0
	s_add_u32 s4, s4, 8
	s_addc_u32 s5, s5, 0
	s_add_i32 s10, s10, -1
	s_cmp_lg_u32 s10, 0
	s_waitcnt lgkmcnt(0)
	v_mul_hi_u32 v4, s13, v1
	v_add_nc_u32_e32 v4, v1, v4
	v_lshrrev_b32_e32 v4, s9, v4
	v_mul_lo_u32 v5, v4, s12
	v_sub_nc_u32_e32 v1, v1, v5
	v_mad_u64_u32 v[50:51], null, v1, s14, v[50:51]
	v_mad_u64_u32 v[0:1], null, v1, s15, v[0:1]
	v_mov_b32_e32 v1, v4
	s_cbranch_scc1 .LBB84_26
.LBB84_27:
	s_andn2_b32 vcc_lo, exec_lo, s8
	s_cbranch_vccnz .LBB84_30
; %bb.28:
	s_clause 0x1
	s_load_dwordx4 s[4:7], s[68:69], 0x4
	s_load_dwordx2 s[8:9], s[68:69], 0xc4
	s_cmp_lt_u32 s33, 2
	s_waitcnt lgkmcnt(0)
	v_mul_hi_u32 v0, s5, v45
	v_add_nc_u32_e32 v0, v45, v0
	v_lshrrev_b32_e32 v1, s6, v0
	v_mul_lo_u32 v0, v1, s4
	v_sub_nc_u32_e32 v0, v45, v0
	v_mul_lo_u32 v50, v0, s8
	v_mul_lo_u32 v0, v0, s9
	s_cbranch_scc1 .LBB84_30
; %bb.29:
	s_clause 0x1
	s_load_dwordx4 s[4:7], s[68:69], 0x10
	s_load_dwordx2 s[8:9], s[68:69], 0xcc
	s_waitcnt lgkmcnt(0)
	v_mul_hi_u32 v4, s5, v1
	v_add_nc_u32_e32 v4, v1, v4
	v_lshrrev_b32_e32 v4, s6, v4
	v_mul_lo_u32 v4, v4, s4
	v_sub_nc_u32_e32 v1, v1, v4
	v_mad_u64_u32 v[50:51], null, v1, s8, v[50:51]
	v_mad_u64_u32 v[0:1], null, v1, s9, v[0:1]
.LBB84_30:
	v_cmp_ne_u32_e32 vcc_lo, 1, v3
	v_add_nc_u32_e32 v1, 0x80, v45
	s_cbranch_vccnz .LBB84_36
; %bb.31:
	s_cmp_lg_u32 s33, 0
	s_mov_b32 s8, 0
	s_cbranch_scc0 .LBB84_37
; %bb.32:
	s_min_u32 s10, s39, 15
	s_add_i32 s10, s10, 1
	s_cmp_eq_u32 s39, 2
	s_cbranch_scc1 .LBB84_38
; %bb.33:
	v_mov_b32_e32 v43, 0
	v_mov_b32_e32 v51, 0
	;; [unrolled: 1-line block ×3, first 2 shown]
	s_and_b32 s9, s10, 28
	s_add_u32 s4, s68, 0xc4
	s_addc_u32 s5, s69, 0
	s_mov_b32 s11, 0
	s_mov_b64 s[6:7], s[68:69]
.LBB84_34:                              ; =>This Inner Loop Header: Depth=1
	s_clause 0x1
	s_load_dwordx8 s[12:19], s[6:7], 0x4
	s_load_dwordx4 s[28:31], s[6:7], 0x24
	s_load_dwordx8 s[20:27], s[4:5], 0x0
	s_add_u32 s6, s6, 48
	s_addc_u32 s7, s7, 0
	s_add_i32 s11, s11, 4
	s_add_u32 s4, s4, 32
	s_addc_u32 s5, s5, 0
	s_cmp_lg_u32 s9, s11
	s_waitcnt lgkmcnt(0)
	v_mul_hi_u32 v5, s13, v4
	v_add_nc_u32_e32 v5, v4, v5
	v_lshrrev_b32_e32 v5, s14, v5
	v_mul_hi_u32 v6, s16, v5
	v_mul_lo_u32 v8, v5, s12
	v_add_nc_u32_e32 v6, v5, v6
	v_sub_nc_u32_e32 v4, v4, v8
	v_lshrrev_b32_e32 v6, s17, v6
	v_mul_lo_u32 v8, v4, s20
	v_mul_lo_u32 v10, v4, s21
	v_mul_hi_u32 v7, s19, v6
	v_add_nc_u32_e32 v7, v6, v7
	v_lshrrev_b32_e32 v7, s28, v7
	v_mul_hi_u32 v9, s30, v7
	v_mul_lo_u32 v11, v7, s18
	v_add_nc_u32_e32 v4, v7, v9
	v_mul_lo_u32 v9, v6, s15
	v_sub_nc_u32_e32 v6, v6, v11
	v_lshrrev_b32_e32 v4, s31, v4
	v_mul_lo_u32 v11, v6, s24
	v_mul_lo_u32 v6, v6, s25
	v_sub_nc_u32_e32 v5, v5, v9
	v_mul_lo_u32 v12, v4, s29
	v_mul_lo_u32 v9, v5, s22
	;; [unrolled: 1-line block ×3, first 2 shown]
	v_sub_nc_u32_e32 v7, v7, v12
	v_add3_u32 v8, v8, v51, v9
	v_mul_lo_u32 v12, v7, s26
	v_mul_lo_u32 v7, v7, s27
	v_add3_u32 v5, v10, v43, v5
	v_add3_u32 v51, v11, v8, v12
	;; [unrolled: 1-line block ×3, first 2 shown]
	s_cbranch_scc1 .LBB84_34
; %bb.35:
	s_and_b32 s10, s10, 3
	s_cmp_eq_u32 s10, 0
	s_cbranch_scc0 .LBB84_39
	s_branch .LBB84_41
.LBB84_36:
	s_mov_b32 s8, -1
                                        ; implicit-def: $vgpr51
                                        ; implicit-def: $vgpr43
	s_branch .LBB84_41
.LBB84_37:
	v_mov_b32_e32 v51, 0
	v_mov_b32_e32 v43, 0
	s_branch .LBB84_41
.LBB84_38:
	v_mov_b32_e32 v51, 0
	v_mov_b32_e32 v43, 0
	;; [unrolled: 1-line block ×3, first 2 shown]
	s_mov_b32 s9, 0
	s_and_b32 s10, s10, 3
	s_cmp_eq_u32 s10, 0
	s_cbranch_scc1 .LBB84_41
.LBB84_39:
	s_lshl_b32 s4, s9, 3
	s_mul_i32 s6, s9, 12
	s_add_u32 s4, s68, s4
	s_addc_u32 s5, s69, 0
	s_add_u32 s4, s4, 0xc4
	s_addc_u32 s5, s5, 0
	;; [unrolled: 2-line block ×3, first 2 shown]
	.p2align	6
.LBB84_40:                              ; =>This Inner Loop Header: Depth=1
	s_clause 0x1
	s_load_dwordx2 s[12:13], s[6:7], 0x4
	s_load_dword s9, s[6:7], 0xc
	s_load_dwordx2 s[14:15], s[4:5], 0x0
	s_add_u32 s6, s6, 12
	s_addc_u32 s7, s7, 0
	s_add_u32 s4, s4, 8
	s_addc_u32 s5, s5, 0
	s_add_i32 s10, s10, -1
	s_cmp_lg_u32 s10, 0
	s_waitcnt lgkmcnt(0)
	v_mul_hi_u32 v5, s13, v4
	v_add_nc_u32_e32 v5, v4, v5
	v_lshrrev_b32_e32 v5, s9, v5
	v_mul_lo_u32 v6, v5, s12
	v_sub_nc_u32_e32 v4, v4, v6
	v_mad_u64_u32 v[51:52], null, v4, s14, v[51:52]
	v_mad_u64_u32 v[43:44], null, v4, s15, v[43:44]
	v_mov_b32_e32 v4, v5
	s_cbranch_scc1 .LBB84_40
.LBB84_41:
	s_andn2_b32 vcc_lo, exec_lo, s8
	s_cbranch_vccnz .LBB84_44
; %bb.42:
	s_clause 0x1
	s_load_dwordx4 s[4:7], s[68:69], 0x4
	s_load_dwordx2 s[8:9], s[68:69], 0xc4
	s_cmp_lt_u32 s33, 2
	s_waitcnt lgkmcnt(0)
	v_mul_hi_u32 v4, s5, v1
	v_add_nc_u32_e32 v4, v1, v4
	v_lshrrev_b32_e32 v4, s6, v4
	v_mul_lo_u32 v5, v4, s4
	v_sub_nc_u32_e32 v1, v1, v5
	v_mul_lo_u32 v51, v1, s8
	v_mul_lo_u32 v43, v1, s9
	s_cbranch_scc1 .LBB84_44
; %bb.43:
	s_clause 0x1
	s_load_dwordx4 s[4:7], s[68:69], 0x10
	s_load_dwordx2 s[8:9], s[68:69], 0xcc
	s_waitcnt lgkmcnt(0)
	v_mul_hi_u32 v1, s5, v4
	v_add_nc_u32_e32 v1, v4, v1
	v_lshrrev_b32_e32 v1, s6, v1
	v_mul_lo_u32 v1, v1, s4
	v_sub_nc_u32_e32 v1, v4, v1
	v_mad_u64_u32 v[51:52], null, v1, s8, v[51:52]
	v_mad_u64_u32 v[43:44], null, v1, s9, v[43:44]
.LBB84_44:
	v_cmp_ne_u32_e32 vcc_lo, 1, v3
	v_add_nc_u32_e32 v1, 0x100, v45
	s_cbranch_vccnz .LBB84_50
; %bb.45:
	s_cmp_lg_u32 s33, 0
	s_mov_b32 s8, 0
	s_cbranch_scc0 .LBB84_51
; %bb.46:
	s_min_u32 s10, s39, 15
	s_add_i32 s10, s10, 1
	s_cmp_eq_u32 s39, 2
	s_cbranch_scc1 .LBB84_52
; %bb.47:
	v_mov_b32_e32 v45, 0
	v_mov_b32_e32 v52, 0
	;; [unrolled: 1-line block ×3, first 2 shown]
	s_and_b32 s9, s10, 28
	s_add_u32 s4, s68, 0xc4
	s_addc_u32 s5, s69, 0
	s_mov_b32 s11, 0
	s_mov_b64 s[6:7], s[68:69]
.LBB84_48:                              ; =>This Inner Loop Header: Depth=1
	s_clause 0x1
	s_load_dwordx8 s[12:19], s[6:7], 0x4
	s_load_dwordx4 s[28:31], s[6:7], 0x24
	s_load_dwordx8 s[20:27], s[4:5], 0x0
	s_add_u32 s6, s6, 48
	s_addc_u32 s7, s7, 0
	s_add_i32 s11, s11, 4
	s_add_u32 s4, s4, 32
	s_addc_u32 s5, s5, 0
	s_cmp_lg_u32 s9, s11
	s_waitcnt lgkmcnt(0)
	v_mul_hi_u32 v5, s13, v4
	v_add_nc_u32_e32 v5, v4, v5
	v_lshrrev_b32_e32 v5, s14, v5
	v_mul_hi_u32 v6, s16, v5
	v_mul_lo_u32 v8, v5, s12
	v_add_nc_u32_e32 v6, v5, v6
	v_sub_nc_u32_e32 v4, v4, v8
	v_lshrrev_b32_e32 v6, s17, v6
	v_mul_lo_u32 v8, v4, s20
	v_mul_lo_u32 v10, v4, s21
	v_mul_hi_u32 v7, s19, v6
	v_add_nc_u32_e32 v7, v6, v7
	v_lshrrev_b32_e32 v7, s28, v7
	v_mul_hi_u32 v9, s30, v7
	v_mul_lo_u32 v11, v7, s18
	v_add_nc_u32_e32 v4, v7, v9
	v_mul_lo_u32 v9, v6, s15
	v_sub_nc_u32_e32 v6, v6, v11
	v_lshrrev_b32_e32 v4, s31, v4
	v_mul_lo_u32 v11, v6, s24
	v_mul_lo_u32 v6, v6, s25
	v_sub_nc_u32_e32 v5, v5, v9
	v_mul_lo_u32 v12, v4, s29
	v_mul_lo_u32 v9, v5, s22
	;; [unrolled: 1-line block ×3, first 2 shown]
	v_sub_nc_u32_e32 v7, v7, v12
	v_add3_u32 v8, v8, v52, v9
	v_mul_lo_u32 v12, v7, s26
	v_mul_lo_u32 v7, v7, s27
	v_add3_u32 v5, v10, v45, v5
	v_add3_u32 v52, v11, v8, v12
	;; [unrolled: 1-line block ×3, first 2 shown]
	s_cbranch_scc1 .LBB84_48
; %bb.49:
	s_and_b32 s10, s10, 3
	s_cmp_eq_u32 s10, 0
	s_cbranch_scc0 .LBB84_53
	s_branch .LBB84_55
.LBB84_50:
	s_mov_b32 s8, -1
                                        ; implicit-def: $vgpr52
                                        ; implicit-def: $vgpr45
	s_branch .LBB84_55
.LBB84_51:
	v_mov_b32_e32 v52, 0
	v_mov_b32_e32 v45, 0
	s_branch .LBB84_55
.LBB84_52:
	v_mov_b32_e32 v52, 0
	v_mov_b32_e32 v45, 0
	;; [unrolled: 1-line block ×3, first 2 shown]
	s_mov_b32 s9, 0
	s_and_b32 s10, s10, 3
	s_cmp_eq_u32 s10, 0
	s_cbranch_scc1 .LBB84_55
.LBB84_53:
	s_lshl_b32 s4, s9, 3
	s_mul_i32 s6, s9, 12
	s_add_u32 s4, s68, s4
	s_addc_u32 s5, s69, 0
	s_add_u32 s4, s4, 0xc4
	s_addc_u32 s5, s5, 0
	;; [unrolled: 2-line block ×3, first 2 shown]
	.p2align	6
.LBB84_54:                              ; =>This Inner Loop Header: Depth=1
	s_clause 0x1
	s_load_dwordx2 s[12:13], s[6:7], 0x4
	s_load_dword s9, s[6:7], 0xc
	s_load_dwordx2 s[14:15], s[4:5], 0x0
	s_add_u32 s6, s6, 12
	s_addc_u32 s7, s7, 0
	s_add_u32 s4, s4, 8
	s_addc_u32 s5, s5, 0
	s_add_i32 s10, s10, -1
	s_cmp_lg_u32 s10, 0
	s_waitcnt lgkmcnt(0)
	v_mul_hi_u32 v5, s13, v4
	v_add_nc_u32_e32 v5, v4, v5
	v_lshrrev_b32_e32 v5, s9, v5
	v_mul_lo_u32 v6, v5, s12
	v_sub_nc_u32_e32 v4, v4, v6
	v_mad_u64_u32 v[52:53], null, v4, s14, v[52:53]
	v_mad_u64_u32 v[45:46], null, v4, s15, v[45:46]
	v_mov_b32_e32 v4, v5
	s_cbranch_scc1 .LBB84_54
.LBB84_55:
	s_andn2_b32 vcc_lo, exec_lo, s8
	s_cbranch_vccnz .LBB84_58
; %bb.56:
	s_clause 0x1
	s_load_dwordx4 s[4:7], s[68:69], 0x4
	s_load_dwordx2 s[8:9], s[68:69], 0xc4
	s_cmp_lt_u32 s33, 2
	s_waitcnt lgkmcnt(0)
	v_mul_hi_u32 v4, s5, v1
	v_add_nc_u32_e32 v4, v1, v4
	v_lshrrev_b32_e32 v4, s6, v4
	v_mul_lo_u32 v5, v4, s4
	v_sub_nc_u32_e32 v1, v1, v5
	v_mul_lo_u32 v52, v1, s8
	v_mul_lo_u32 v45, v1, s9
	s_cbranch_scc1 .LBB84_58
; %bb.57:
	s_clause 0x1
	s_load_dwordx4 s[4:7], s[68:69], 0x10
	s_load_dwordx2 s[8:9], s[68:69], 0xcc
	s_waitcnt lgkmcnt(0)
	v_mul_hi_u32 v1, s5, v4
	v_add_nc_u32_e32 v1, v4, v1
	v_lshrrev_b32_e32 v1, s6, v1
	v_mul_lo_u32 v1, v1, s4
	v_sub_nc_u32_e32 v1, v4, v1
	v_mad_u64_u32 v[52:53], null, v1, s8, v[52:53]
	v_mad_u64_u32 v[45:46], null, v1, s9, v[45:46]
.LBB84_58:
	v_cmp_ne_u32_e32 vcc_lo, 1, v3
	s_cbranch_vccnz .LBB84_64
; %bb.59:
	s_cmp_lg_u32 s33, 0
	s_mov_b32 s8, 0
	s_cbranch_scc0 .LBB84_65
; %bb.60:
	s_min_u32 s10, s39, 15
	s_add_i32 s10, s10, 1
	s_cmp_eq_u32 s39, 2
	s_cbranch_scc1 .LBB84_66
; %bb.61:
	v_mov_b32_e32 v55, 0
	v_mov_b32_e32 v53, 0
	;; [unrolled: 1-line block ×3, first 2 shown]
	s_and_b32 s9, s10, 28
	s_add_u32 s4, s68, 0xc4
	s_addc_u32 s5, s69, 0
	s_mov_b32 s11, 0
	s_mov_b64 s[6:7], s[68:69]
.LBB84_62:                              ; =>This Inner Loop Header: Depth=1
	s_clause 0x1
	s_load_dwordx8 s[12:19], s[6:7], 0x4
	s_load_dwordx4 s[28:31], s[6:7], 0x24
	s_load_dwordx8 s[20:27], s[4:5], 0x0
	s_add_u32 s6, s6, 48
	s_addc_u32 s7, s7, 0
	s_add_i32 s11, s11, 4
	s_add_u32 s4, s4, 32
	s_addc_u32 s5, s5, 0
	s_cmp_lg_u32 s9, s11
	s_waitcnt lgkmcnt(0)
	v_mul_hi_u32 v3, s13, v1
	v_add_nc_u32_e32 v3, v1, v3
	v_lshrrev_b32_e32 v3, s14, v3
	v_mul_hi_u32 v4, s16, v3
	v_mul_lo_u32 v6, v3, s12
	v_add_nc_u32_e32 v4, v3, v4
	v_sub_nc_u32_e32 v1, v1, v6
	v_lshrrev_b32_e32 v4, s17, v4
	v_mul_lo_u32 v6, v1, s20
	v_mul_lo_u32 v8, v1, s21
	v_mul_hi_u32 v5, s19, v4
	v_add_nc_u32_e32 v5, v4, v5
	v_lshrrev_b32_e32 v5, s28, v5
	v_mul_hi_u32 v7, s30, v5
	v_mul_lo_u32 v9, v5, s18
	v_add_nc_u32_e32 v1, v5, v7
	v_mul_lo_u32 v7, v4, s15
	v_sub_nc_u32_e32 v4, v4, v9
	v_lshrrev_b32_e32 v1, s31, v1
	v_mul_lo_u32 v9, v4, s24
	v_mul_lo_u32 v4, v4, s25
	v_sub_nc_u32_e32 v3, v3, v7
	v_mul_lo_u32 v10, v1, s29
	v_mul_lo_u32 v7, v3, s22
	;; [unrolled: 1-line block ×3, first 2 shown]
	v_sub_nc_u32_e32 v5, v5, v10
	v_add3_u32 v6, v6, v53, v7
	v_mul_lo_u32 v10, v5, s26
	v_mul_lo_u32 v5, v5, s27
	v_add3_u32 v3, v8, v55, v3
	v_add3_u32 v53, v9, v6, v10
	;; [unrolled: 1-line block ×3, first 2 shown]
	s_cbranch_scc1 .LBB84_62
; %bb.63:
	s_and_b32 s10, s10, 3
	s_cmp_eq_u32 s10, 0
	s_cbranch_scc0 .LBB84_67
	s_branch .LBB84_69
.LBB84_64:
	s_mov_b32 s8, -1
                                        ; implicit-def: $vgpr53
                                        ; implicit-def: $vgpr55
	s_branch .LBB84_69
.LBB84_65:
	v_mov_b32_e32 v53, 0
	v_mov_b32_e32 v55, 0
	s_branch .LBB84_69
.LBB84_66:
	v_mov_b32_e32 v53, 0
	v_mov_b32_e32 v55, 0
	;; [unrolled: 1-line block ×3, first 2 shown]
	s_mov_b32 s9, 0
	s_and_b32 s10, s10, 3
	s_cmp_eq_u32 s10, 0
	s_cbranch_scc1 .LBB84_69
.LBB84_67:
	s_lshl_b32 s4, s9, 3
	s_mul_i32 s6, s9, 12
	s_add_u32 s4, s68, s4
	s_addc_u32 s5, s69, 0
	s_add_u32 s4, s4, 0xc4
	s_addc_u32 s5, s5, 0
	;; [unrolled: 2-line block ×3, first 2 shown]
	.p2align	6
.LBB84_68:                              ; =>This Inner Loop Header: Depth=1
	s_clause 0x1
	s_load_dwordx2 s[12:13], s[6:7], 0x4
	s_load_dword s9, s[6:7], 0xc
	s_load_dwordx2 s[14:15], s[4:5], 0x0
	s_add_u32 s6, s6, 12
	s_addc_u32 s7, s7, 0
	s_add_u32 s4, s4, 8
	s_addc_u32 s5, s5, 0
	s_add_i32 s10, s10, -1
	s_cmp_lg_u32 s10, 0
	s_waitcnt lgkmcnt(0)
	v_mul_hi_u32 v3, s13, v1
	v_add_nc_u32_e32 v3, v1, v3
	v_lshrrev_b32_e32 v3, s9, v3
	v_mul_lo_u32 v4, v3, s12
	v_sub_nc_u32_e32 v1, v1, v4
	v_mad_u64_u32 v[53:54], null, v1, s14, v[53:54]
	v_mad_u64_u32 v[55:56], null, v1, s15, v[55:56]
	v_mov_b32_e32 v1, v3
	s_cbranch_scc1 .LBB84_68
.LBB84_69:
	s_andn2_b32 vcc_lo, exec_lo, s8
	s_cbranch_vccnz .LBB84_72
; %bb.70:
	s_clause 0x1
	s_load_dwordx4 s[4:7], s[68:69], 0x4
	s_load_dwordx2 s[8:9], s[68:69], 0xc4
	s_cmp_lt_u32 s33, 2
	s_waitcnt lgkmcnt(0)
	v_mul_hi_u32 v1, s5, v2
	v_add_nc_u32_e32 v1, v2, v1
	v_lshrrev_b32_e32 v1, s6, v1
	v_mul_lo_u32 v3, v1, s4
	v_sub_nc_u32_e32 v2, v2, v3
	v_mul_lo_u32 v53, v2, s8
	v_mul_lo_u32 v55, v2, s9
	s_cbranch_scc1 .LBB84_72
; %bb.71:
	s_clause 0x1
	s_load_dwordx4 s[4:7], s[68:69], 0x10
	s_load_dwordx2 s[8:9], s[68:69], 0xcc
	s_waitcnt lgkmcnt(0)
	v_mul_hi_u32 v2, s5, v1
	v_add_nc_u32_e32 v2, v1, v2
	v_lshrrev_b32_e32 v2, s6, v2
	v_mul_lo_u32 v2, v2, s4
	v_sub_nc_u32_e32 v1, v1, v2
	v_mad_u64_u32 v[53:54], null, v1, s8, v[53:54]
	v_mad_u64_u32 v[55:56], null, v1, s9, v[55:56]
.LBB84_72:
	s_waitcnt lgkmcnt(0)
	s_clause 0x1
	s_load_dwordx4 s[48:51], s[68:69], 0x148
	s_load_dwordx2 s[52:53], s[68:69], 0x158
	s_getpc_b64 s[54:55]
	s_add_u32 s54, s54, _ZZZZN2at6native21polygamma_kernel_cudaERNS_18TensorIteratorBaseElENKUlvE_clEvENKUlvE_clEvENKUldE_clEd@rel32@lo+4
	s_addc_u32 s55, s55, _ZZZZN2at6native21polygamma_kernel_cudaERNS_18TensorIteratorBaseElENKUlvE_clEvENKUlvE_clEvENKUldE_clEd@rel32@hi+12
	s_waitcnt lgkmcnt(0)
	global_load_dwordx2 v[2:3], v0, s[50:51]
	v_mov_b32_e32 v0, s52
	v_mov_b32_e32 v1, s53
	s_swappc_b64 s[30:31], s[54:55]
	global_load_dwordx2 v[2:3], v43, s[50:51]
	v_mov_b32_e32 v41, v0
	v_mov_b32_e32 v42, v1
	v_mov_b32_e32 v0, s52
	v_mov_b32_e32 v1, s53
	s_swappc_b64 s[30:31], s[54:55]
	global_load_dwordx2 v[2:3], v45, s[50:51]
	v_mov_b32_e32 v43, v0
	v_mov_b32_e32 v44, v1
	;; [unrolled: 6-line block ×3, first 2 shown]
	v_mov_b32_e32 v0, s52
	v_mov_b32_e32 v1, s53
	s_swappc_b64 s[30:31], s[54:55]
	global_store_dwordx2 v50, v[41:42], s[48:49]
	global_store_dwordx2 v51, v[43:44], s[48:49]
	;; [unrolled: 1-line block ×4, first 2 shown]
	s_endpgm
.LBB84_73:
	v_mov_b32_e32 v41, 0
	v_mov_b32_e32 v0, 0
	s_branch .LBB84_79
.LBB84_74:
	v_mov_b32_e32 v41, 0
	v_mov_b32_e32 v0, 0
	s_branch .LBB84_95
.LBB84_75:
	v_mov_b32_e32 v41, 0
	v_mov_b32_e32 v0, 0
	;; [unrolled: 1-line block ×3, first 2 shown]
	s_mov_b32 s8, 0
.LBB84_76:
	s_and_b32 s9, s9, 3
	s_cmp_eq_u32 s9, 0
	s_cbranch_scc1 .LBB84_79
; %bb.77:
	s_lshl_b32 s4, s8, 3
	s_mul_i32 s6, s8, 12
	s_add_u32 s4, s68, s4
	s_addc_u32 s5, s69, 0
	s_add_u32 s4, s4, 0xc4
	s_addc_u32 s5, s5, 0
	;; [unrolled: 2-line block ×3, first 2 shown]
	.p2align	6
.LBB84_78:                              ; =>This Inner Loop Header: Depth=1
	s_clause 0x1
	s_load_dwordx2 s[10:11], s[6:7], 0x4
	s_load_dword s8, s[6:7], 0xc
	s_load_dwordx2 s[12:13], s[4:5], 0x0
	s_add_u32 s6, s6, 12
	s_addc_u32 s7, s7, 0
	s_add_u32 s4, s4, 8
	s_addc_u32 s5, s5, 0
	s_add_i32 s9, s9, -1
	s_cmp_lg_u32 s9, 0
	s_waitcnt lgkmcnt(0)
	v_mul_hi_u32 v2, s11, v1
	v_add_nc_u32_e32 v2, v1, v2
	v_lshrrev_b32_e32 v2, s8, v2
	v_mul_lo_u32 v3, v2, s10
	v_sub_nc_u32_e32 v1, v1, v3
	v_mad_u64_u32 v[41:42], null, v1, s12, v[41:42]
	v_mad_u64_u32 v[0:1], null, v1, s13, v[0:1]
	v_mov_b32_e32 v1, v2
	s_cbranch_scc1 .LBB84_78
.LBB84_79:
	s_cbranch_execnz .LBB84_82
.LBB84_80:
	s_waitcnt lgkmcnt(0)
	v_mul_hi_u32 v0, s53, v45
	s_andn2_b32 vcc_lo, exec_lo, s86
	v_add_nc_u32_e32 v0, v45, v0
	v_lshrrev_b32_e32 v1, s54, v0
	v_mul_lo_u32 v0, v1, s52
	v_sub_nc_u32_e32 v0, v45, v0
	v_mul_lo_u32 v41, v0, s64
	v_mul_lo_u32 v0, v0, s65
	s_cbranch_vccnz .LBB84_82
; %bb.81:
	v_mul_hi_u32 v2, s80, v1
	v_add_nc_u32_e32 v2, v1, v2
	v_lshrrev_b32_e32 v2, s81, v2
	v_mul_lo_u32 v2, v2, s55
	v_sub_nc_u32_e32 v1, v1, v2
	v_mad_u64_u32 v[41:42], null, v1, s66, v[41:42]
	v_mad_u64_u32 v[0:1], null, v1, s67, v[0:1]
.LBB84_82:
	s_waitcnt lgkmcnt(0)
	global_load_dwordx2 v[2:3], v0, s[50:51]
	v_mov_b32_e32 v0, s70
	v_mov_b32_e32 v1, s71
	s_getpc_b64 s[4:5]
	s_add_u32 s4, s4, _ZZZZN2at6native21polygamma_kernel_cudaERNS_18TensorIteratorBaseElENKUlvE_clEvENKUlvE_clEvENKUldE_clEd@rel32@lo+4
	s_addc_u32 s5, s5, _ZZZZN2at6native21polygamma_kernel_cudaERNS_18TensorIteratorBaseElENKUlvE_clEvENKUlvE_clEvENKUldE_clEd@rel32@hi+12
	s_swappc_b64 s[30:31], s[4:5]
	v_add_nc_u32_e32 v45, 0x80, v45
	global_store_dwordx2 v41, v[0:1], s[48:49]
	s_or_b32 exec_lo, exec_lo, s98
	s_mov_b32 s98, exec_lo
	v_cmpx_gt_i32_e64 s87, v45
	s_cbranch_execnz .LBB84_15
.LBB84_83:
	s_or_b32 exec_lo, exec_lo, s98
	s_mov_b32 s98, exec_lo
	v_cmpx_gt_i32_e64 s87, v45
	s_cbranch_execz .LBB84_99
.LBB84_84:
	s_andn2_b32 vcc_lo, exec_lo, s84
	s_cbranch_vccnz .LBB84_89
; %bb.85:
	s_andn2_b32 vcc_lo, exec_lo, s97
	s_cbranch_vccnz .LBB84_90
; %bb.86:
	s_add_i32 s9, s96, 1
	s_cmp_eq_u32 s39, 2
	s_cbranch_scc1 .LBB84_102
; %bb.87:
	v_mov_b32_e32 v0, 0
	v_mov_b32_e32 v41, 0
	;; [unrolled: 1-line block ×3, first 2 shown]
	s_and_b32 s8, s9, 28
	s_mov_b32 s10, 0
	s_mov_b64 s[4:5], s[68:69]
	s_mov_b64 s[6:7], s[82:83]
.LBB84_88:                              ; =>This Inner Loop Header: Depth=1
	s_clause 0x1
	s_load_dwordx8 s[12:19], s[4:5], 0x4
	s_load_dwordx4 s[28:31], s[4:5], 0x24
	s_load_dwordx8 s[20:27], s[6:7], 0x0
	s_add_u32 s4, s4, 48
	s_addc_u32 s5, s5, 0
	s_add_i32 s10, s10, 4
	s_add_u32 s6, s6, 32
	s_addc_u32 s7, s7, 0
	s_cmp_eq_u32 s8, s10
	s_waitcnt lgkmcnt(0)
	v_mul_hi_u32 v2, s13, v1
	v_add_nc_u32_e32 v2, v1, v2
	v_lshrrev_b32_e32 v2, s14, v2
	v_mul_hi_u32 v3, s16, v2
	v_mul_lo_u32 v5, v2, s12
	v_add_nc_u32_e32 v3, v2, v3
	v_sub_nc_u32_e32 v1, v1, v5
	v_lshrrev_b32_e32 v3, s17, v3
	v_mul_lo_u32 v5, v1, s20
	v_mul_lo_u32 v7, v1, s21
	v_mul_hi_u32 v4, s19, v3
	v_add_nc_u32_e32 v4, v3, v4
	v_lshrrev_b32_e32 v4, s28, v4
	v_mul_hi_u32 v6, s30, v4
	v_mul_lo_u32 v8, v4, s18
	v_add_nc_u32_e32 v1, v4, v6
	v_mul_lo_u32 v6, v3, s15
	v_sub_nc_u32_e32 v3, v3, v8
	v_lshrrev_b32_e32 v1, s31, v1
	v_mul_lo_u32 v8, v3, s24
	v_mul_lo_u32 v3, v3, s25
	v_sub_nc_u32_e32 v2, v2, v6
	v_mul_lo_u32 v9, v1, s29
	v_mul_lo_u32 v6, v2, s22
	;; [unrolled: 1-line block ×3, first 2 shown]
	v_sub_nc_u32_e32 v4, v4, v9
	v_add3_u32 v5, v5, v41, v6
	v_mul_lo_u32 v9, v4, s26
	v_mul_lo_u32 v4, v4, s27
	v_add3_u32 v0, v7, v0, v2
	v_add3_u32 v41, v8, v5, v9
	;; [unrolled: 1-line block ×3, first 2 shown]
	s_cbranch_scc0 .LBB84_88
	s_branch .LBB84_103
.LBB84_89:
                                        ; implicit-def: $vgpr41
                                        ; implicit-def: $vgpr0
	s_branch .LBB84_107
.LBB84_90:
	v_mov_b32_e32 v41, 0
	v_mov_b32_e32 v0, 0
	s_branch .LBB84_106
.LBB84_91:
	v_mov_b32_e32 v41, 0
	v_mov_b32_e32 v0, 0
	;; [unrolled: 1-line block ×3, first 2 shown]
	s_mov_b32 s8, 0
.LBB84_92:
	s_and_b32 s9, s9, 3
	s_cmp_eq_u32 s9, 0
	s_cbranch_scc1 .LBB84_95
; %bb.93:
	s_lshl_b32 s4, s8, 3
	s_mul_i32 s6, s8, 12
	s_add_u32 s4, s68, s4
	s_addc_u32 s5, s69, 0
	s_add_u32 s4, s4, 0xc4
	s_addc_u32 s5, s5, 0
	;; [unrolled: 2-line block ×3, first 2 shown]
	.p2align	6
.LBB84_94:                              ; =>This Inner Loop Header: Depth=1
	s_clause 0x1
	s_load_dwordx2 s[10:11], s[6:7], 0x4
	s_load_dword s8, s[6:7], 0xc
	s_load_dwordx2 s[12:13], s[4:5], 0x0
	s_add_u32 s6, s6, 12
	s_addc_u32 s7, s7, 0
	s_add_u32 s4, s4, 8
	s_addc_u32 s5, s5, 0
	s_add_i32 s9, s9, -1
	s_cmp_lg_u32 s9, 0
	s_waitcnt lgkmcnt(0)
	v_mul_hi_u32 v2, s11, v1
	v_add_nc_u32_e32 v2, v1, v2
	v_lshrrev_b32_e32 v2, s8, v2
	v_mul_lo_u32 v3, v2, s10
	v_sub_nc_u32_e32 v1, v1, v3
	v_mad_u64_u32 v[41:42], null, v1, s12, v[41:42]
	v_mad_u64_u32 v[0:1], null, v1, s13, v[0:1]
	v_mov_b32_e32 v1, v2
	s_cbranch_scc1 .LBB84_94
.LBB84_95:
	s_cbranch_execnz .LBB84_98
.LBB84_96:
	s_waitcnt lgkmcnt(0)
	v_mul_hi_u32 v0, s53, v45
	s_andn2_b32 vcc_lo, exec_lo, s86
	v_add_nc_u32_e32 v0, v45, v0
	v_lshrrev_b32_e32 v1, s54, v0
	v_mul_lo_u32 v0, v1, s52
	v_sub_nc_u32_e32 v0, v45, v0
	v_mul_lo_u32 v41, v0, s64
	v_mul_lo_u32 v0, v0, s65
	s_cbranch_vccnz .LBB84_98
; %bb.97:
	v_mul_hi_u32 v2, s80, v1
	v_add_nc_u32_e32 v2, v1, v2
	v_lshrrev_b32_e32 v2, s81, v2
	v_mul_lo_u32 v2, v2, s55
	v_sub_nc_u32_e32 v1, v1, v2
	v_mad_u64_u32 v[41:42], null, v1, s66, v[41:42]
	v_mad_u64_u32 v[0:1], null, v1, s67, v[0:1]
.LBB84_98:
	s_waitcnt lgkmcnt(0)
	global_load_dwordx2 v[2:3], v0, s[50:51]
	v_mov_b32_e32 v0, s70
	v_mov_b32_e32 v1, s71
	s_getpc_b64 s[4:5]
	s_add_u32 s4, s4, _ZZZZN2at6native21polygamma_kernel_cudaERNS_18TensorIteratorBaseElENKUlvE_clEvENKUlvE_clEvENKUldE_clEd@rel32@lo+4
	s_addc_u32 s5, s5, _ZZZZN2at6native21polygamma_kernel_cudaERNS_18TensorIteratorBaseElENKUlvE_clEvENKUlvE_clEvENKUldE_clEd@rel32@hi+12
	s_swappc_b64 s[30:31], s[4:5]
	v_add_nc_u32_e32 v45, 0x80, v45
	global_store_dwordx2 v41, v[0:1], s[48:49]
	s_or_b32 exec_lo, exec_lo, s98
	s_mov_b32 s98, exec_lo
	v_cmpx_gt_i32_e64 s87, v45
	s_cbranch_execnz .LBB84_84
.LBB84_99:
	s_or_b32 exec_lo, exec_lo, s98
	v_cmp_gt_i32_e32 vcc_lo, s87, v45
	s_and_saveexec_b32 s87, vcc_lo
	s_cbranch_execnz .LBB84_110
.LBB84_100:
	s_or_b32 exec_lo, exec_lo, s87
                                        ; implicit-def: $vgpr2
                                        ; implicit-def: $vgpr45
	s_andn2_saveexec_b32 s4, s85
	s_cbranch_execnz .LBB84_8
.LBB84_101:
	s_endpgm
.LBB84_102:
	v_mov_b32_e32 v41, 0
	v_mov_b32_e32 v0, 0
	;; [unrolled: 1-line block ×3, first 2 shown]
	s_mov_b32 s8, 0
.LBB84_103:
	s_and_b32 s9, s9, 3
	s_cmp_eq_u32 s9, 0
	s_cbranch_scc1 .LBB84_106
; %bb.104:
	s_lshl_b32 s4, s8, 3
	s_mul_i32 s6, s8, 12
	s_add_u32 s4, s68, s4
	s_addc_u32 s5, s69, 0
	s_add_u32 s4, s4, 0xc4
	s_addc_u32 s5, s5, 0
	;; [unrolled: 2-line block ×3, first 2 shown]
	.p2align	6
.LBB84_105:                             ; =>This Inner Loop Header: Depth=1
	s_clause 0x1
	s_load_dwordx2 s[10:11], s[6:7], 0x4
	s_load_dword s8, s[6:7], 0xc
	s_load_dwordx2 s[12:13], s[4:5], 0x0
	s_add_u32 s6, s6, 12
	s_addc_u32 s7, s7, 0
	s_add_u32 s4, s4, 8
	s_addc_u32 s5, s5, 0
	s_add_i32 s9, s9, -1
	s_cmp_lg_u32 s9, 0
	s_waitcnt lgkmcnt(0)
	v_mul_hi_u32 v2, s11, v1
	v_add_nc_u32_e32 v2, v1, v2
	v_lshrrev_b32_e32 v2, s8, v2
	v_mul_lo_u32 v3, v2, s10
	v_sub_nc_u32_e32 v1, v1, v3
	v_mad_u64_u32 v[41:42], null, v1, s12, v[41:42]
	v_mad_u64_u32 v[0:1], null, v1, s13, v[0:1]
	v_mov_b32_e32 v1, v2
	s_cbranch_scc1 .LBB84_105
.LBB84_106:
	s_cbranch_execnz .LBB84_109
.LBB84_107:
	s_waitcnt lgkmcnt(0)
	v_mul_hi_u32 v0, s53, v45
	s_andn2_b32 vcc_lo, exec_lo, s86
	v_add_nc_u32_e32 v0, v45, v0
	v_lshrrev_b32_e32 v1, s54, v0
	v_mul_lo_u32 v0, v1, s52
	v_sub_nc_u32_e32 v0, v45, v0
	v_mul_lo_u32 v41, v0, s64
	v_mul_lo_u32 v0, v0, s65
	s_cbranch_vccnz .LBB84_109
; %bb.108:
	v_mul_hi_u32 v2, s80, v1
	v_add_nc_u32_e32 v2, v1, v2
	v_lshrrev_b32_e32 v2, s81, v2
	v_mul_lo_u32 v2, v2, s55
	v_sub_nc_u32_e32 v1, v1, v2
	v_mad_u64_u32 v[41:42], null, v1, s66, v[41:42]
	v_mad_u64_u32 v[0:1], null, v1, s67, v[0:1]
.LBB84_109:
	s_waitcnt lgkmcnt(0)
	global_load_dwordx2 v[2:3], v0, s[50:51]
	v_mov_b32_e32 v0, s70
	v_mov_b32_e32 v1, s71
	s_getpc_b64 s[4:5]
	s_add_u32 s4, s4, _ZZZZN2at6native21polygamma_kernel_cudaERNS_18TensorIteratorBaseElENKUlvE_clEvENKUlvE_clEvENKUldE_clEd@rel32@lo+4
	s_addc_u32 s5, s5, _ZZZZN2at6native21polygamma_kernel_cudaERNS_18TensorIteratorBaseElENKUlvE_clEvENKUlvE_clEvENKUldE_clEd@rel32@hi+12
	s_swappc_b64 s[30:31], s[4:5]
	v_add_nc_u32_e32 v45, 0x80, v45
	global_store_dwordx2 v41, v[0:1], s[48:49]
	s_or_b32 exec_lo, exec_lo, s98
	v_cmp_gt_i32_e32 vcc_lo, s87, v45
	s_and_saveexec_b32 s87, vcc_lo
	s_cbranch_execz .LBB84_100
.LBB84_110:
	s_andn2_b32 vcc_lo, exec_lo, s84
	s_cbranch_vccnz .LBB84_115
; %bb.111:
	s_andn2_b32 vcc_lo, exec_lo, s97
	s_cbranch_vccnz .LBB84_116
; %bb.112:
	s_add_i32 s96, s96, 1
	s_cmp_eq_u32 s39, 2
	s_cbranch_scc1 .LBB84_117
; %bb.113:
	v_mov_b32_e32 v0, 0
	v_mov_b32_e32 v41, 0
	;; [unrolled: 1-line block ×3, first 2 shown]
	s_and_b32 s6, s96, 28
	s_mov_b32 s7, 0
	s_mov_b64 s[4:5], s[68:69]
.LBB84_114:                             ; =>This Inner Loop Header: Depth=1
	s_clause 0x1
	s_load_dwordx8 s[8:15], s[4:5], 0x4
	s_load_dwordx4 s[24:27], s[4:5], 0x24
	s_load_dwordx8 s[16:23], s[82:83], 0x0
	s_add_u32 s4, s4, 48
	s_addc_u32 s5, s5, 0
	s_add_i32 s7, s7, 4
	s_add_u32 s82, s82, 32
	s_addc_u32 s83, s83, 0
	s_cmp_eq_u32 s6, s7
	s_waitcnt lgkmcnt(0)
	v_mul_hi_u32 v2, s9, v1
	v_add_nc_u32_e32 v2, v1, v2
	v_lshrrev_b32_e32 v2, s10, v2
	v_mul_hi_u32 v3, s12, v2
	v_mul_lo_u32 v5, v2, s8
	v_add_nc_u32_e32 v3, v2, v3
	v_sub_nc_u32_e32 v1, v1, v5
	v_lshrrev_b32_e32 v3, s13, v3
	v_mul_lo_u32 v5, v1, s16
	v_mul_lo_u32 v7, v1, s17
	v_mul_hi_u32 v4, s15, v3
	v_add_nc_u32_e32 v4, v3, v4
	v_lshrrev_b32_e32 v4, s24, v4
	v_mul_hi_u32 v6, s26, v4
	v_mul_lo_u32 v8, v4, s14
	v_add_nc_u32_e32 v1, v4, v6
	v_mul_lo_u32 v6, v3, s11
	v_sub_nc_u32_e32 v3, v3, v8
	v_lshrrev_b32_e32 v1, s27, v1
	v_mul_lo_u32 v8, v3, s20
	v_mul_lo_u32 v3, v3, s21
	v_sub_nc_u32_e32 v2, v2, v6
	v_mul_lo_u32 v9, v1, s25
	v_mul_lo_u32 v6, v2, s18
	;; [unrolled: 1-line block ×3, first 2 shown]
	v_sub_nc_u32_e32 v4, v4, v9
	v_add3_u32 v5, v5, v41, v6
	v_mul_lo_u32 v9, v4, s22
	v_mul_lo_u32 v4, v4, s23
	v_add3_u32 v0, v7, v0, v2
	v_add3_u32 v41, v8, v5, v9
	;; [unrolled: 1-line block ×3, first 2 shown]
	s_cbranch_scc0 .LBB84_114
	s_branch .LBB84_118
.LBB84_115:
                                        ; implicit-def: $vgpr41
                                        ; implicit-def: $vgpr0
	s_branch .LBB84_122
.LBB84_116:
	v_mov_b32_e32 v41, 0
	v_mov_b32_e32 v0, 0
	s_branch .LBB84_121
.LBB84_117:
	v_mov_b32_e32 v41, 0
	v_mov_b32_e32 v0, 0
	;; [unrolled: 1-line block ×3, first 2 shown]
	s_mov_b32 s6, 0
.LBB84_118:
	s_and_b32 s8, s96, 3
	s_cmp_eq_u32 s8, 0
	s_cbranch_scc1 .LBB84_121
; %bb.119:
	s_lshl_b32 s4, s6, 3
	s_mul_i32 s6, s6, 12
	s_add_u32 s4, s68, s4
	s_addc_u32 s5, s69, 0
	s_add_u32 s4, s4, 0xc4
	s_addc_u32 s5, s5, 0
	;; [unrolled: 2-line block ×3, first 2 shown]
	.p2align	6
.LBB84_120:                             ; =>This Inner Loop Header: Depth=1
	s_clause 0x1
	s_load_dwordx2 s[10:11], s[6:7], 0x4
	s_load_dword s9, s[6:7], 0xc
	s_load_dwordx2 s[12:13], s[4:5], 0x0
	s_add_u32 s6, s6, 12
	s_addc_u32 s7, s7, 0
	s_add_u32 s4, s4, 8
	s_addc_u32 s5, s5, 0
	s_add_i32 s8, s8, -1
	s_cmp_lg_u32 s8, 0
	s_waitcnt lgkmcnt(0)
	v_mul_hi_u32 v2, s11, v1
	v_add_nc_u32_e32 v2, v1, v2
	v_lshrrev_b32_e32 v2, s9, v2
	v_mul_lo_u32 v3, v2, s10
	v_sub_nc_u32_e32 v1, v1, v3
	v_mad_u64_u32 v[41:42], null, v1, s12, v[41:42]
	v_mad_u64_u32 v[0:1], null, v1, s13, v[0:1]
	v_mov_b32_e32 v1, v2
	s_cbranch_scc1 .LBB84_120
.LBB84_121:
	s_cbranch_execnz .LBB84_124
.LBB84_122:
	s_waitcnt lgkmcnt(0)
	v_mul_hi_u32 v0, s53, v45
	s_andn2_b32 vcc_lo, exec_lo, s86
	v_add_nc_u32_e32 v0, v45, v0
	v_lshrrev_b32_e32 v1, s54, v0
	v_mul_lo_u32 v0, v1, s52
	v_sub_nc_u32_e32 v0, v45, v0
	v_mul_lo_u32 v41, v0, s64
	v_mul_lo_u32 v0, v0, s65
	s_cbranch_vccnz .LBB84_124
; %bb.123:
	v_mul_hi_u32 v2, s80, v1
	v_add_nc_u32_e32 v2, v1, v2
	v_lshrrev_b32_e32 v2, s81, v2
	v_mul_lo_u32 v2, v2, s55
	v_sub_nc_u32_e32 v1, v1, v2
	v_mad_u64_u32 v[41:42], null, v1, s66, v[41:42]
	v_mad_u64_u32 v[0:1], null, v1, s67, v[0:1]
.LBB84_124:
	s_waitcnt lgkmcnt(0)
	global_load_dwordx2 v[2:3], v0, s[50:51]
	v_mov_b32_e32 v0, s70
	v_mov_b32_e32 v1, s71
	s_getpc_b64 s[4:5]
	s_add_u32 s4, s4, _ZZZZN2at6native21polygamma_kernel_cudaERNS_18TensorIteratorBaseElENKUlvE_clEvENKUlvE_clEvENKUldE_clEd@rel32@lo+4
	s_addc_u32 s5, s5, _ZZZZN2at6native21polygamma_kernel_cudaERNS_18TensorIteratorBaseElENKUlvE_clEvENKUlvE_clEvENKUldE_clEd@rel32@hi+12
	s_swappc_b64 s[30:31], s[4:5]
	global_store_dwordx2 v41, v[0:1], s[48:49]
	s_or_b32 exec_lo, exec_lo, s87
                                        ; implicit-def: $vgpr2
                                        ; implicit-def: $vgpr45
	s_andn2_saveexec_b32 s4, s85
	s_cbranch_execz .LBB84_101
	s_branch .LBB84_8
	.section	.rodata,"a",@progbits
	.p2align	6, 0x0
	.amdhsa_kernel _ZN2at6native32elementwise_kernel_manual_unrollILi128ELi4EZNS0_22gpu_kernel_impl_nocastIZZZNS0_21polygamma_kernel_cudaERNS_18TensorIteratorBaseElENKUlvE_clEvENKUlvE_clEvEUldE_EEvS4_RKT_EUlibE_EEviT1_
		.amdhsa_group_segment_fixed_size 0
		.amdhsa_private_segment_fixed_size 8
		.amdhsa_kernarg_size 360
		.amdhsa_user_sgpr_count 6
		.amdhsa_user_sgpr_private_segment_buffer 1
		.amdhsa_user_sgpr_dispatch_ptr 0
		.amdhsa_user_sgpr_queue_ptr 0
		.amdhsa_user_sgpr_kernarg_segment_ptr 1
		.amdhsa_user_sgpr_dispatch_id 0
		.amdhsa_user_sgpr_flat_scratch_init 0
		.amdhsa_user_sgpr_private_segment_size 0
		.amdhsa_wavefront_size32 1
		.amdhsa_uses_dynamic_stack 0
		.amdhsa_system_sgpr_private_segment_wavefront_offset 1
		.amdhsa_system_sgpr_workgroup_id_x 1
		.amdhsa_system_sgpr_workgroup_id_y 0
		.amdhsa_system_sgpr_workgroup_id_z 0
		.amdhsa_system_sgpr_workgroup_info 0
		.amdhsa_system_vgpr_workitem_id 0
		.amdhsa_next_free_vgpr 57
		.amdhsa_next_free_sgpr 99
		.amdhsa_reserve_vcc 1
		.amdhsa_reserve_flat_scratch 0
		.amdhsa_float_round_mode_32 0
		.amdhsa_float_round_mode_16_64 0
		.amdhsa_float_denorm_mode_32 3
		.amdhsa_float_denorm_mode_16_64 3
		.amdhsa_dx10_clamp 1
		.amdhsa_ieee_mode 1
		.amdhsa_fp16_overflow 0
		.amdhsa_workgroup_processor_mode 1
		.amdhsa_memory_ordered 1
		.amdhsa_forward_progress 1
		.amdhsa_shared_vgpr_count 0
		.amdhsa_exception_fp_ieee_invalid_op 0
		.amdhsa_exception_fp_denorm_src 0
		.amdhsa_exception_fp_ieee_div_zero 0
		.amdhsa_exception_fp_ieee_overflow 0
		.amdhsa_exception_fp_ieee_underflow 0
		.amdhsa_exception_fp_ieee_inexact 0
		.amdhsa_exception_int_div_zero 0
	.end_amdhsa_kernel
	.section	.text._ZN2at6native32elementwise_kernel_manual_unrollILi128ELi4EZNS0_22gpu_kernel_impl_nocastIZZZNS0_21polygamma_kernel_cudaERNS_18TensorIteratorBaseElENKUlvE_clEvENKUlvE_clEvEUldE_EEvS4_RKT_EUlibE_EEviT1_,"axG",@progbits,_ZN2at6native32elementwise_kernel_manual_unrollILi128ELi4EZNS0_22gpu_kernel_impl_nocastIZZZNS0_21polygamma_kernel_cudaERNS_18TensorIteratorBaseElENKUlvE_clEvENKUlvE_clEvEUldE_EEvS4_RKT_EUlibE_EEviT1_,comdat
.Lfunc_end84:
	.size	_ZN2at6native32elementwise_kernel_manual_unrollILi128ELi4EZNS0_22gpu_kernel_impl_nocastIZZZNS0_21polygamma_kernel_cudaERNS_18TensorIteratorBaseElENKUlvE_clEvENKUlvE_clEvEUldE_EEvS4_RKT_EUlibE_EEviT1_, .Lfunc_end84-_ZN2at6native32elementwise_kernel_manual_unrollILi128ELi4EZNS0_22gpu_kernel_impl_nocastIZZZNS0_21polygamma_kernel_cudaERNS_18TensorIteratorBaseElENKUlvE_clEvENKUlvE_clEvEUldE_EEvS4_RKT_EUlibE_EEviT1_
                                        ; -- End function
	.set _ZN2at6native32elementwise_kernel_manual_unrollILi128ELi4EZNS0_22gpu_kernel_impl_nocastIZZZNS0_21polygamma_kernel_cudaERNS_18TensorIteratorBaseElENKUlvE_clEvENKUlvE_clEvEUldE_EEvS4_RKT_EUlibE_EEviT1_.num_vgpr, max(57, .L_ZZZZN2at6native21polygamma_kernel_cudaERNS_18TensorIteratorBaseElENKUlvE_clEvENKUlvE_clEvENKUldE_clEd.num_vgpr)
	.set _ZN2at6native32elementwise_kernel_manual_unrollILi128ELi4EZNS0_22gpu_kernel_impl_nocastIZZZNS0_21polygamma_kernel_cudaERNS_18TensorIteratorBaseElENKUlvE_clEvENKUlvE_clEvEUldE_EEvS4_RKT_EUlibE_EEviT1_.num_agpr, max(0, .L_ZZZZN2at6native21polygamma_kernel_cudaERNS_18TensorIteratorBaseElENKUlvE_clEvENKUlvE_clEvENKUldE_clEd.num_agpr)
	.set _ZN2at6native32elementwise_kernel_manual_unrollILi128ELi4EZNS0_22gpu_kernel_impl_nocastIZZZNS0_21polygamma_kernel_cudaERNS_18TensorIteratorBaseElENKUlvE_clEvENKUlvE_clEvEUldE_EEvS4_RKT_EUlibE_EEviT1_.numbered_sgpr, max(99, .L_ZZZZN2at6native21polygamma_kernel_cudaERNS_18TensorIteratorBaseElENKUlvE_clEvENKUlvE_clEvENKUldE_clEd.numbered_sgpr)
	.set _ZN2at6native32elementwise_kernel_manual_unrollILi128ELi4EZNS0_22gpu_kernel_impl_nocastIZZZNS0_21polygamma_kernel_cudaERNS_18TensorIteratorBaseElENKUlvE_clEvENKUlvE_clEvEUldE_EEvS4_RKT_EUlibE_EEviT1_.num_named_barrier, max(0, .L_ZZZZN2at6native21polygamma_kernel_cudaERNS_18TensorIteratorBaseElENKUlvE_clEvENKUlvE_clEvENKUldE_clEd.num_named_barrier)
	.set _ZN2at6native32elementwise_kernel_manual_unrollILi128ELi4EZNS0_22gpu_kernel_impl_nocastIZZZNS0_21polygamma_kernel_cudaERNS_18TensorIteratorBaseElENKUlvE_clEvENKUlvE_clEvEUldE_EEvS4_RKT_EUlibE_EEviT1_.private_seg_size, 0+max(.L_ZZZZN2at6native21polygamma_kernel_cudaERNS_18TensorIteratorBaseElENKUlvE_clEvENKUlvE_clEvENKUldE_clEd.private_seg_size)
	.set _ZN2at6native32elementwise_kernel_manual_unrollILi128ELi4EZNS0_22gpu_kernel_impl_nocastIZZZNS0_21polygamma_kernel_cudaERNS_18TensorIteratorBaseElENKUlvE_clEvENKUlvE_clEvEUldE_EEvS4_RKT_EUlibE_EEviT1_.uses_vcc, or(1, .L_ZZZZN2at6native21polygamma_kernel_cudaERNS_18TensorIteratorBaseElENKUlvE_clEvENKUlvE_clEvENKUldE_clEd.uses_vcc)
	.set _ZN2at6native32elementwise_kernel_manual_unrollILi128ELi4EZNS0_22gpu_kernel_impl_nocastIZZZNS0_21polygamma_kernel_cudaERNS_18TensorIteratorBaseElENKUlvE_clEvENKUlvE_clEvEUldE_EEvS4_RKT_EUlibE_EEviT1_.uses_flat_scratch, or(0, .L_ZZZZN2at6native21polygamma_kernel_cudaERNS_18TensorIteratorBaseElENKUlvE_clEvENKUlvE_clEvENKUldE_clEd.uses_flat_scratch)
	.set _ZN2at6native32elementwise_kernel_manual_unrollILi128ELi4EZNS0_22gpu_kernel_impl_nocastIZZZNS0_21polygamma_kernel_cudaERNS_18TensorIteratorBaseElENKUlvE_clEvENKUlvE_clEvEUldE_EEvS4_RKT_EUlibE_EEviT1_.has_dyn_sized_stack, or(0, .L_ZZZZN2at6native21polygamma_kernel_cudaERNS_18TensorIteratorBaseElENKUlvE_clEvENKUlvE_clEvENKUldE_clEd.has_dyn_sized_stack)
	.set _ZN2at6native32elementwise_kernel_manual_unrollILi128ELi4EZNS0_22gpu_kernel_impl_nocastIZZZNS0_21polygamma_kernel_cudaERNS_18TensorIteratorBaseElENKUlvE_clEvENKUlvE_clEvEUldE_EEvS4_RKT_EUlibE_EEviT1_.has_recursion, or(0, .L_ZZZZN2at6native21polygamma_kernel_cudaERNS_18TensorIteratorBaseElENKUlvE_clEvENKUlvE_clEvENKUldE_clEd.has_recursion)
	.set _ZN2at6native32elementwise_kernel_manual_unrollILi128ELi4EZNS0_22gpu_kernel_impl_nocastIZZZNS0_21polygamma_kernel_cudaERNS_18TensorIteratorBaseElENKUlvE_clEvENKUlvE_clEvEUldE_EEvS4_RKT_EUlibE_EEviT1_.has_indirect_call, or(0, .L_ZZZZN2at6native21polygamma_kernel_cudaERNS_18TensorIteratorBaseElENKUlvE_clEvENKUlvE_clEvENKUldE_clEd.has_indirect_call)
	.section	.AMDGPU.csdata,"",@progbits
; Kernel info:
; codeLenInByte = 6360
; TotalNumSgprs: 101
; NumVgprs: 57
; ScratchSize: 8
; MemoryBound: 0
; FloatMode: 240
; IeeeMode: 1
; LDSByteSize: 0 bytes/workgroup (compile time only)
; SGPRBlocks: 0
; VGPRBlocks: 7
; NumSGPRsForWavesPerEU: 101
; NumVGPRsForWavesPerEU: 57
; Occupancy: 16
; WaveLimiterHint : 1
; COMPUTE_PGM_RSRC2:SCRATCH_EN: 1
; COMPUTE_PGM_RSRC2:USER_SGPR: 6
; COMPUTE_PGM_RSRC2:TRAP_HANDLER: 0
; COMPUTE_PGM_RSRC2:TGID_X_EN: 1
; COMPUTE_PGM_RSRC2:TGID_Y_EN: 0
; COMPUTE_PGM_RSRC2:TGID_Z_EN: 0
; COMPUTE_PGM_RSRC2:TIDIG_COMP_CNT: 0
	.section	.text._ZN2at6native32elementwise_kernel_manual_unrollILi128ELi4EZNS0_15gpu_kernel_implIZZZNS0_21polygamma_kernel_cudaERNS_18TensorIteratorBaseElENKUlvE_clEvENKUlvE_clEvEUldE_EEvS4_RKT_EUlibE_EEviT1_,"axG",@progbits,_ZN2at6native32elementwise_kernel_manual_unrollILi128ELi4EZNS0_15gpu_kernel_implIZZZNS0_21polygamma_kernel_cudaERNS_18TensorIteratorBaseElENKUlvE_clEvENKUlvE_clEvEUldE_EEvS4_RKT_EUlibE_EEviT1_,comdat
	.globl	_ZN2at6native32elementwise_kernel_manual_unrollILi128ELi4EZNS0_15gpu_kernel_implIZZZNS0_21polygamma_kernel_cudaERNS_18TensorIteratorBaseElENKUlvE_clEvENKUlvE_clEvEUldE_EEvS4_RKT_EUlibE_EEviT1_ ; -- Begin function _ZN2at6native32elementwise_kernel_manual_unrollILi128ELi4EZNS0_15gpu_kernel_implIZZZNS0_21polygamma_kernel_cudaERNS_18TensorIteratorBaseElENKUlvE_clEvENKUlvE_clEvEUldE_EEvS4_RKT_EUlibE_EEviT1_
	.p2align	8
	.type	_ZN2at6native32elementwise_kernel_manual_unrollILi128ELi4EZNS0_15gpu_kernel_implIZZZNS0_21polygamma_kernel_cudaERNS_18TensorIteratorBaseElENKUlvE_clEvENKUlvE_clEvEUldE_EEvS4_RKT_EUlibE_EEviT1_,@function
_ZN2at6native32elementwise_kernel_manual_unrollILi128ELi4EZNS0_15gpu_kernel_implIZZZNS0_21polygamma_kernel_cudaERNS_18TensorIteratorBaseElENKUlvE_clEvENKUlvE_clEvEUldE_EEvS4_RKT_EUlibE_EEviT1_: ; @_ZN2at6native32elementwise_kernel_manual_unrollILi128ELi4EZNS0_15gpu_kernel_implIZZZNS0_21polygamma_kernel_cudaERNS_18TensorIteratorBaseElENKUlvE_clEvENKUlvE_clEvEUldE_EEvS4_RKT_EUlibE_EEviT1_
; %bb.0:
	s_clause 0x2
	s_load_dword s67, s[4:5], 0x0
	s_load_dword s33, s[4:5], 0x28
	s_load_dwordx8 s[48:55], s[4:5], 0x8
	v_lshl_or_b32 v47, s6, 9, v0
	s_add_u32 s0, s0, s7
	s_addc_u32 s1, s1, 0
	s_mov_b32 s39, 0
	s_mov_b32 s66, 0
	v_or_b32_e32 v0, 0x180, v47
	s_mov_b32 s32, 0
	s_mov_b32 s4, exec_lo
	s_waitcnt lgkmcnt(0)
	s_bfe_u32 s64, s33, 0x80008
	v_cmpx_le_i32_e64 s67, v0
	s_xor_b32 s65, exec_lo, s4
	s_cbranch_execz .LBB85_1031
; %bb.1:
	s_mov_b32 s5, -1
	s_mov_b32 s70, 0
	s_mov_b32 s68, 0
	s_mov_b32 s69, exec_lo
	v_cmpx_gt_i32_e64 s67, v47
	s_cbranch_execz .LBB85_252
; %bb.2:
	v_mul_lo_u32 v0, v47, s53
	s_and_b32 s4, 0xffff, s64
	s_cmp_lt_i32 s4, 11
	v_ashrrev_i32_e32 v1, 31, v0
	v_add_co_u32 v0, vcc_lo, s50, v0
	v_add_co_ci_u32_e64 v1, null, s51, v1, vcc_lo
	s_cbranch_scc1 .LBB85_9
; %bb.3:
	s_cmp_gt_i32 s4, 25
	s_cbranch_scc0 .LBB85_18
; %bb.4:
	s_cmp_gt_i32 s4, 28
	s_cbranch_scc0 .LBB85_21
	;; [unrolled: 3-line block ×4, first 2 shown]
; %bb.7:
	s_cmp_eq_u32 s4, 46
	s_mov_b32 s6, 0
	s_cbranch_scc0 .LBB85_27
; %bb.8:
	global_load_dword v2, v[0:1], off
	s_waitcnt vmcnt(0)
	v_lshlrev_b32_e32 v2, 16, v2
	v_cvt_f64_f32_e32 v[2:3], v2
	s_branch .LBB85_29
.LBB85_9:
	s_mov_b32 s5, 0
                                        ; implicit-def: $vgpr2_vgpr3
	s_cbranch_execnz .LBB85_202
.LBB85_10:
	s_andn2_b32 vcc_lo, exec_lo, s5
	s_cbranch_vccnz .LBB85_249
.LBB85_11:
	v_mov_b32_e32 v0, s54
	v_mov_b32_e32 v1, s55
	s_getpc_b64 s[4:5]
	s_add_u32 s4, s4, _ZZZZN2at6native21polygamma_kernel_cudaERNS_18TensorIteratorBaseElENKUlvE_clEvENKUlvE_clEvENKUldE_clEd@rel32@lo+4
	s_addc_u32 s5, s5, _ZZZZN2at6native21polygamma_kernel_cudaERNS_18TensorIteratorBaseElENKUlvE_clEvENKUlvE_clEvENKUldE_clEd@rel32@hi+12
	s_swappc_b64 s[30:31], s[4:5]
	v_mul_lo_u32 v2, v47, s52
	s_and_b32 s5, s33, 0xff
	s_cmp_lt_i32 s5, 11
	v_ashrrev_i32_e32 v3, 31, v2
	v_add_co_u32 v4, vcc_lo, s48, v2
	v_add_co_ci_u32_e64 v5, null, s49, v3, vcc_lo
	s_cbranch_scc1 .LBB85_19
; %bb.12:
	s_and_b32 s6, 0xffff, s5
	s_cmp_gt_i32 s6, 25
	s_cbranch_scc0 .LBB85_22
; %bb.13:
	s_cmp_gt_i32 s6, 28
	s_cbranch_scc0 .LBB85_24
; %bb.14:
	;; [unrolled: 3-line block ×4, first 2 shown]
	s_mov_b32 s8, 0
	s_mov_b32 s4, -1
	s_cmp_eq_u32 s6, 46
	s_mov_b32 s7, 0
	s_cbranch_scc0 .LBB85_33
; %bb.17:
	v_cvt_f32_f64_e32 v2, v[0:1]
	s_mov_b32 s7, -1
	s_mov_b32 s4, 0
	v_bfe_u32 v3, v2, 16, 1
	v_cmp_o_f32_e32 vcc_lo, v2, v2
	v_add3_u32 v2, v2, v3, 0x7fff
	v_mov_b32_e32 v3, 0x7fc0
	v_cndmask_b32_sdwa v2, v3, v2, vcc_lo dst_sel:DWORD dst_unused:UNUSED_PAD src0_sel:DWORD src1_sel:WORD_1
	global_store_dword v[4:5], v2, off
	s_branch .LBB85_33
.LBB85_18:
	s_mov_b32 s5, 0
                                        ; implicit-def: $vgpr2_vgpr3
	s_cbranch_execnz .LBB85_169
	s_branch .LBB85_201
.LBB85_19:
	s_mov_b32 s4, 0
	s_mov_b32 s7, 0
	s_cbranch_execnz .LBB85_102
.LBB85_20:
	s_andn2_b32 vcc_lo, exec_lo, s7
	s_cbranch_vccnz .LBB85_250
	s_branch .LBB85_140
.LBB85_21:
	s_mov_b32 s6, -1
	s_mov_b32 s5, 0
                                        ; implicit-def: $vgpr2_vgpr3
	s_branch .LBB85_148
.LBB85_22:
	s_mov_b32 s8, -1
	s_mov_b32 s4, 0
	s_mov_b32 s7, 0
	s_branch .LBB85_60
.LBB85_23:
	s_mov_b32 s6, -1
	s_mov_b32 s5, 0
                                        ; implicit-def: $vgpr2_vgpr3
	s_branch .LBB85_143
.LBB85_24:
	s_mov_b32 s8, -1
	s_mov_b32 s4, 0
	s_mov_b32 s7, 0
	s_branch .LBB85_43
.LBB85_25:
	s_mov_b32 s6, -1
	s_branch .LBB85_28
.LBB85_26:
	s_mov_b32 s8, -1
	s_mov_b32 s4, 0
	s_mov_b32 s7, 0
	s_branch .LBB85_39
.LBB85_27:
	s_mov_b32 s68, -1
.LBB85_28:
	s_mov_b32 s5, 0
                                        ; implicit-def: $vgpr2_vgpr3
.LBB85_29:
	s_and_b32 vcc_lo, exec_lo, s6
	s_cbranch_vccz .LBB85_142
; %bb.30:
	s_cmp_eq_u32 s4, 44
	s_cbranch_scc0 .LBB85_141
; %bb.31:
	global_load_ubyte v4, v[0:1], off
	s_mov_b32 s68, 0
	s_mov_b32 s5, -1
	s_waitcnt vmcnt(0)
	v_lshlrev_b32_e32 v2, 23, v4
	v_cmp_ne_u32_e32 vcc_lo, 0xff, v4
	v_cvt_f64_f32_e32 v[2:3], v2
	v_cndmask_b32_e32 v2, 0x20000000, v2, vcc_lo
	v_cndmask_b32_e32 v3, 0x7ff80000, v3, vcc_lo
	v_cmp_ne_u32_e32 vcc_lo, 0, v4
	v_cndmask_b32_e32 v3, 0x38000000, v3, vcc_lo
	v_cndmask_b32_e32 v2, 0, v2, vcc_lo
	s_branch .LBB85_142
.LBB85_32:
	s_mov_b32 s8, -1
	s_mov_b32 s4, 0
	s_mov_b32 s7, 0
.LBB85_33:
	s_and_b32 vcc_lo, exec_lo, s8
	s_cbranch_vccz .LBB85_38
; %bb.34:
	s_cmp_eq_u32 s6, 44
	s_mov_b32 s4, -1
	s_cbranch_scc0 .LBB85_38
; %bb.35:
	v_cvt_f32_f64_e32 v2, v[0:1]
	v_mov_b32_e32 v3, 0xff
	s_mov_b32 s7, exec_lo
	v_bfe_u32 v6, v2, 23, 8
	v_cmpx_ne_u32_e32 0xff, v6
	s_cbranch_execz .LBB85_37
; %bb.36:
	v_and_b32_e32 v3, 0x400000, v2
	v_and_or_b32 v6, 0x3fffff, v2, v6
	v_lshrrev_b32_e32 v2, 23, v2
	v_cmp_ne_u32_e32 vcc_lo, 0, v3
	v_cmp_ne_u32_e64 s4, 0, v6
	s_and_b32 s4, vcc_lo, s4
	v_cndmask_b32_e64 v3, 0, 1, s4
	v_add_nc_u32_e32 v3, v2, v3
.LBB85_37:
	s_or_b32 exec_lo, exec_lo, s7
	s_mov_b32 s7, -1
	s_mov_b32 s4, 0
	global_store_byte v[4:5], v3, off
.LBB85_38:
	s_mov_b32 s8, 0
.LBB85_39:
	s_and_b32 vcc_lo, exec_lo, s8
	s_cbranch_vccz .LBB85_42
; %bb.40:
	s_cmp_eq_u32 s6, 29
	s_mov_b32 s4, -1
	s_cbranch_scc0 .LBB85_42
; %bb.41:
	v_trunc_f64_e32 v[2:3], v[0:1]
	s_mov_b32 s7, -1
	s_mov_b32 s4, 0
	s_mov_b32 s8, 0
	v_ldexp_f64 v[6:7], v[2:3], 0xffffffe0
	v_floor_f64_e32 v[6:7], v[6:7]
	v_fma_f64 v[2:3], 0xc1f00000, v[6:7], v[2:3]
	v_cvt_u32_f64_e32 v7, v[6:7]
	v_cvt_u32_f64_e32 v6, v[2:3]
	global_store_dwordx2 v[4:5], v[6:7], off
	s_branch .LBB85_43
.LBB85_42:
	s_mov_b32 s8, 0
.LBB85_43:
	s_and_b32 vcc_lo, exec_lo, s8
	s_cbranch_vccz .LBB85_59
; %bb.44:
	s_cmp_lt_i32 s6, 27
	s_mov_b32 s7, -1
	s_cbranch_scc1 .LBB85_50
; %bb.45:
	v_cvt_u32_f64_e32 v2, v[0:1]
	s_cmp_gt_i32 s6, 27
	s_cbranch_scc0 .LBB85_47
; %bb.46:
	s_mov_b32 s7, 0
	global_store_dword v[4:5], v2, off
.LBB85_47:
	s_andn2_b32 vcc_lo, exec_lo, s7
	s_cbranch_vccnz .LBB85_49
; %bb.48:
	global_store_short v[4:5], v2, off
.LBB85_49:
	s_mov_b32 s7, 0
.LBB85_50:
	s_andn2_b32 vcc_lo, exec_lo, s7
	s_cbranch_vccnz .LBB85_58
; %bb.51:
	v_cvt_f32_f64_e32 v2, v[0:1]
	v_mov_b32_e32 v6, 0x80
	s_mov_b32 s7, exec_lo
	v_and_b32_e32 v3, 0x7fffffff, v2
	v_cmpx_gt_u32_e32 0x43800000, v3
	s_cbranch_execz .LBB85_57
; %bb.52:
	v_cmp_lt_u32_e32 vcc_lo, 0x3bffffff, v3
	s_mov_b32 s8, 0
                                        ; implicit-def: $vgpr3
	s_and_saveexec_b32 s9, vcc_lo
	s_xor_b32 s9, exec_lo, s9
	s_cbranch_execz .LBB85_279
; %bb.53:
	v_bfe_u32 v3, v2, 20, 1
	s_mov_b32 s8, exec_lo
	v_add3_u32 v3, v2, v3, 0x487ffff
	v_lshrrev_b32_e32 v3, 20, v3
	s_andn2_saveexec_b32 s9, s9
	s_cbranch_execnz .LBB85_280
.LBB85_54:
	s_or_b32 exec_lo, exec_lo, s9
	v_mov_b32_e32 v6, 0
	s_and_saveexec_b32 s9, s8
.LBB85_55:
	v_lshrrev_b32_e32 v2, 24, v2
	v_and_or_b32 v6, 0x80, v2, v3
.LBB85_56:
	s_or_b32 exec_lo, exec_lo, s9
.LBB85_57:
	s_or_b32 exec_lo, exec_lo, s7
	global_store_byte v[4:5], v6, off
.LBB85_58:
	s_mov_b32 s7, -1
.LBB85_59:
	s_mov_b32 s8, 0
.LBB85_60:
	s_and_b32 vcc_lo, exec_lo, s8
	s_cbranch_vccz .LBB85_101
; %bb.61:
	s_cmp_gt_i32 s6, 22
	s_mov_b32 s8, -1
	s_cbranch_scc0 .LBB85_93
; %bb.62:
	s_cmp_lt_i32 s6, 24
	s_mov_b32 s7, -1
	s_cbranch_scc1 .LBB85_82
; %bb.63:
	s_cmp_gt_i32 s6, 24
	s_cbranch_scc0 .LBB85_71
; %bb.64:
	v_cvt_f32_f64_e32 v2, v[0:1]
	v_mov_b32_e32 v6, 0x80
	s_mov_b32 s7, exec_lo
	v_and_b32_e32 v3, 0x7fffffff, v2
	v_cmpx_gt_u32_e32 0x47800000, v3
	s_cbranch_execz .LBB85_70
; %bb.65:
	v_cmp_lt_u32_e32 vcc_lo, 0x37ffffff, v3
	s_mov_b32 s8, 0
                                        ; implicit-def: $vgpr3
	s_and_saveexec_b32 s9, vcc_lo
	s_xor_b32 s9, exec_lo, s9
	s_cbranch_execz .LBB85_283
; %bb.66:
	v_bfe_u32 v3, v2, 21, 1
	s_mov_b32 s8, exec_lo
	v_add3_u32 v3, v2, v3, 0x88fffff
	v_lshrrev_b32_e32 v3, 21, v3
	s_andn2_saveexec_b32 s9, s9
	s_cbranch_execnz .LBB85_284
.LBB85_67:
	s_or_b32 exec_lo, exec_lo, s9
	v_mov_b32_e32 v6, 0
	s_and_saveexec_b32 s9, s8
.LBB85_68:
	v_lshrrev_b32_e32 v2, 24, v2
	v_and_or_b32 v6, 0x80, v2, v3
.LBB85_69:
	s_or_b32 exec_lo, exec_lo, s9
.LBB85_70:
	s_or_b32 exec_lo, exec_lo, s7
	s_mov_b32 s7, 0
	global_store_byte v[4:5], v6, off
.LBB85_71:
	s_and_b32 vcc_lo, exec_lo, s7
	s_cbranch_vccz .LBB85_81
; %bb.72:
	v_cvt_f32_f64_e32 v2, v[0:1]
	s_mov_b32 s7, exec_lo
                                        ; implicit-def: $vgpr3
	v_and_b32_e32 v6, 0x7fffffff, v2
	v_cmpx_gt_u32_e32 0x43f00000, v6
	s_xor_b32 s7, exec_lo, s7
	s_cbranch_execz .LBB85_78
; %bb.73:
	s_mov_b32 s8, exec_lo
                                        ; implicit-def: $vgpr3
	v_cmpx_lt_u32_e32 0x3c7fffff, v6
	s_xor_b32 s8, exec_lo, s8
; %bb.74:
	v_bfe_u32 v3, v2, 20, 1
	v_add3_u32 v3, v2, v3, 0x407ffff
	v_and_b32_e32 v6, 0xff00000, v3
	v_lshrrev_b32_e32 v3, 20, v3
	v_cmp_ne_u32_e32 vcc_lo, 0x7f00000, v6
	v_cndmask_b32_e32 v3, 0x7e, v3, vcc_lo
; %bb.75:
	s_andn2_saveexec_b32 s8, s8
; %bb.76:
	v_add_f32_e64 v3, 0x46800000, |v2|
; %bb.77:
	s_or_b32 exec_lo, exec_lo, s8
                                        ; implicit-def: $vgpr6
.LBB85_78:
	s_andn2_saveexec_b32 s7, s7
; %bb.79:
	v_mov_b32_e32 v3, 0x7f
	v_cmp_lt_u32_e32 vcc_lo, 0x7f800000, v6
	v_cndmask_b32_e32 v3, 0x7e, v3, vcc_lo
; %bb.80:
	s_or_b32 exec_lo, exec_lo, s7
	v_lshrrev_b32_e32 v2, 24, v2
	v_and_or_b32 v2, 0x80, v2, v3
	global_store_byte v[4:5], v2, off
.LBB85_81:
	s_mov_b32 s7, 0
.LBB85_82:
	s_andn2_b32 vcc_lo, exec_lo, s7
	s_cbranch_vccnz .LBB85_92
; %bb.83:
	v_cvt_f32_f64_e32 v2, v[0:1]
	s_mov_b32 s7, exec_lo
                                        ; implicit-def: $vgpr3
	v_and_b32_e32 v6, 0x7fffffff, v2
	v_cmpx_gt_u32_e32 0x47800000, v6
	s_xor_b32 s7, exec_lo, s7
	s_cbranch_execz .LBB85_89
; %bb.84:
	s_mov_b32 s8, exec_lo
                                        ; implicit-def: $vgpr3
	v_cmpx_lt_u32_e32 0x387fffff, v6
	s_xor_b32 s8, exec_lo, s8
; %bb.85:
	v_bfe_u32 v3, v2, 21, 1
	v_add3_u32 v3, v2, v3, 0x80fffff
	v_lshrrev_b32_e32 v3, 21, v3
; %bb.86:
	s_andn2_saveexec_b32 s8, s8
; %bb.87:
	v_add_f32_e64 v3, 0x43000000, |v2|
; %bb.88:
	s_or_b32 exec_lo, exec_lo, s8
                                        ; implicit-def: $vgpr6
.LBB85_89:
	s_andn2_saveexec_b32 s7, s7
; %bb.90:
	v_mov_b32_e32 v3, 0x7f
	v_cmp_lt_u32_e32 vcc_lo, 0x7f800000, v6
	v_cndmask_b32_e32 v3, 0x7c, v3, vcc_lo
; %bb.91:
	s_or_b32 exec_lo, exec_lo, s7
	v_lshrrev_b32_e32 v2, 24, v2
	v_and_or_b32 v2, 0x80, v2, v3
	global_store_byte v[4:5], v2, off
.LBB85_92:
	s_mov_b32 s8, 0
	s_mov_b32 s7, -1
.LBB85_93:
	s_andn2_b32 vcc_lo, exec_lo, s8
	s_cbranch_vccnz .LBB85_101
; %bb.94:
	s_cmp_gt_i32 s6, 14
	s_mov_b32 s8, -1
	s_cbranch_scc0 .LBB85_98
; %bb.95:
	s_cmp_eq_u32 s6, 15
	s_mov_b32 s4, -1
	s_cbranch_scc0 .LBB85_97
; %bb.96:
	v_cvt_f32_f64_e32 v2, v[0:1]
	s_mov_b32 s7, -1
	s_mov_b32 s4, 0
	v_bfe_u32 v3, v2, 16, 1
	v_cmp_o_f32_e32 vcc_lo, v2, v2
	v_add3_u32 v2, v2, v3, 0x7fff
	v_mov_b32_e32 v3, 0x7fc0
	v_cndmask_b32_sdwa v2, v3, v2, vcc_lo dst_sel:DWORD dst_unused:UNUSED_PAD src0_sel:DWORD src1_sel:WORD_1
	global_store_short v[4:5], v2, off
.LBB85_97:
	s_mov_b32 s8, 0
.LBB85_98:
	s_and_b32 vcc_lo, exec_lo, s8
	s_cbranch_vccz .LBB85_101
; %bb.99:
	s_cmp_eq_u32 s6, 11
	s_mov_b32 s4, -1
	s_cbranch_scc0 .LBB85_101
; %bb.100:
	v_cmp_neq_f64_e32 vcc_lo, 0, v[0:1]
	s_mov_b32 s7, -1
	s_mov_b32 s4, 0
	v_cndmask_b32_e64 v2, 0, 1, vcc_lo
	global_store_byte v[4:5], v2, off
.LBB85_101:
	s_branch .LBB85_20
.LBB85_102:
	s_and_b32 s5, 0xffff, s5
	s_mov_b32 s6, -1
	s_cmp_lt_i32 s5, 5
	s_cbranch_scc1 .LBB85_123
; %bb.103:
	s_cmp_lt_i32 s5, 8
	s_cbranch_scc1 .LBB85_113
; %bb.104:
	;; [unrolled: 3-line block ×3, first 2 shown]
	s_cmp_gt_i32 s5, 9
	s_cbranch_scc0 .LBB85_107
; %bb.106:
	v_mov_b32_e32 v2, 0
	s_mov_b32 s6, 0
	v_mov_b32_e32 v3, v2
	global_store_dwordx4 v[4:5], v[0:3], off
.LBB85_107:
	s_andn2_b32 vcc_lo, exec_lo, s6
	s_cbranch_vccnz .LBB85_109
; %bb.108:
	v_cvt_f32_f64_e32 v2, v[0:1]
	v_mov_b32_e32 v3, 0
	global_store_dwordx2 v[4:5], v[2:3], off
.LBB85_109:
	s_mov_b32 s6, 0
.LBB85_110:
	s_andn2_b32 vcc_lo, exec_lo, s6
	s_cbranch_vccnz .LBB85_112
; %bb.111:
	v_and_or_b32 v2, 0x1ff, v1, v0
	v_lshrrev_b32_e32 v3, 8, v1
	v_bfe_u32 v6, v1, 20, 11
	v_cmp_ne_u32_e32 vcc_lo, 0, v2
	v_sub_nc_u32_e32 v7, 0x3f1, v6
	v_add_nc_u32_e32 v6, 0xfffffc10, v6
	v_cndmask_b32_e64 v2, 0, 1, vcc_lo
	v_and_or_b32 v2, 0xffe, v3, v2
	v_med3_i32 v3, v7, 0, 13
	v_or_b32_e32 v7, 0x1000, v2
	v_lshrrev_b32_e32 v8, v3, v7
	v_lshlrev_b32_e32 v3, v3, v8
	v_cmp_ne_u32_e32 vcc_lo, v3, v7
	v_lshl_or_b32 v7, v6, 12, v2
	v_cndmask_b32_e64 v3, 0, 1, vcc_lo
	v_cmp_gt_i32_e32 vcc_lo, 1, v6
	v_or_b32_e32 v3, v8, v3
	v_cndmask_b32_e32 v3, v7, v3, vcc_lo
	v_and_b32_e32 v7, 7, v3
	v_lshrrev_b32_e32 v3, 2, v3
	v_cmp_lt_i32_e32 vcc_lo, 5, v7
	v_cndmask_b32_e64 v8, 0, 1, vcc_lo
	v_cmp_eq_u32_e32 vcc_lo, 3, v7
	v_cndmask_b32_e64 v7, 0, 1, vcc_lo
	v_cmp_ne_u32_e32 vcc_lo, 0, v2
	v_or_b32_e32 v7, v7, v8
	v_mov_b32_e32 v8, 0x7e00
	v_add_nc_u32_e32 v3, v3, v7
	v_cndmask_b32_e32 v2, 0x7c00, v8, vcc_lo
	v_cmp_gt_i32_e32 vcc_lo, 31, v6
	v_cndmask_b32_e32 v3, 0x7c00, v3, vcc_lo
	v_cmp_eq_u32_e32 vcc_lo, 0x40f, v6
	v_cndmask_b32_e32 v2, v3, v2, vcc_lo
	v_lshrrev_b32_e32 v3, 16, v1
	v_and_or_b32 v2, 0x8000, v3, v2
	v_and_b32_e32 v2, 0xffff, v2
	global_store_dword v[4:5], v2, off
.LBB85_112:
	s_mov_b32 s6, 0
.LBB85_113:
	s_andn2_b32 vcc_lo, exec_lo, s6
	s_cbranch_vccnz .LBB85_122
; %bb.114:
	s_cmp_lt_i32 s5, 6
	s_mov_b32 s6, -1
	s_cbranch_scc1 .LBB85_120
; %bb.115:
	s_cmp_gt_i32 s5, 6
	s_cbranch_scc0 .LBB85_117
; %bb.116:
	s_mov_b32 s6, 0
	global_store_dwordx2 v[4:5], v[0:1], off
.LBB85_117:
	s_andn2_b32 vcc_lo, exec_lo, s6
	s_cbranch_vccnz .LBB85_119
; %bb.118:
	v_cvt_f32_f64_e32 v2, v[0:1]
	global_store_dword v[4:5], v2, off
.LBB85_119:
	s_mov_b32 s6, 0
.LBB85_120:
	s_andn2_b32 vcc_lo, exec_lo, s6
	s_cbranch_vccnz .LBB85_122
; %bb.121:
	v_and_or_b32 v2, 0x1ff, v1, v0
	v_lshrrev_b32_e32 v3, 8, v1
	v_bfe_u32 v6, v1, 20, 11
	v_cmp_ne_u32_e32 vcc_lo, 0, v2
	v_sub_nc_u32_e32 v7, 0x3f1, v6
	v_add_nc_u32_e32 v6, 0xfffffc10, v6
	v_cndmask_b32_e64 v2, 0, 1, vcc_lo
	v_and_or_b32 v2, 0xffe, v3, v2
	v_med3_i32 v3, v7, 0, 13
	v_or_b32_e32 v7, 0x1000, v2
	v_lshrrev_b32_e32 v8, v3, v7
	v_lshlrev_b32_e32 v3, v3, v8
	v_cmp_ne_u32_e32 vcc_lo, v3, v7
	v_lshl_or_b32 v7, v6, 12, v2
	v_cndmask_b32_e64 v3, 0, 1, vcc_lo
	v_cmp_gt_i32_e32 vcc_lo, 1, v6
	v_or_b32_e32 v3, v8, v3
	v_cndmask_b32_e32 v3, v7, v3, vcc_lo
	v_and_b32_e32 v7, 7, v3
	v_lshrrev_b32_e32 v3, 2, v3
	v_cmp_lt_i32_e32 vcc_lo, 5, v7
	v_cndmask_b32_e64 v8, 0, 1, vcc_lo
	v_cmp_eq_u32_e32 vcc_lo, 3, v7
	v_cndmask_b32_e64 v7, 0, 1, vcc_lo
	v_cmp_ne_u32_e32 vcc_lo, 0, v2
	v_or_b32_e32 v7, v7, v8
	v_mov_b32_e32 v8, 0x7e00
	v_add_nc_u32_e32 v3, v3, v7
	v_cndmask_b32_e32 v2, 0x7c00, v8, vcc_lo
	v_cmp_gt_i32_e32 vcc_lo, 31, v6
	v_cndmask_b32_e32 v3, 0x7c00, v3, vcc_lo
	v_cmp_eq_u32_e32 vcc_lo, 0x40f, v6
	v_cndmask_b32_e32 v2, v3, v2, vcc_lo
	v_lshrrev_b32_e32 v3, 16, v1
	v_and_or_b32 v2, 0x8000, v3, v2
	global_store_short v[4:5], v2, off
.LBB85_122:
	s_mov_b32 s6, 0
.LBB85_123:
	s_andn2_b32 vcc_lo, exec_lo, s6
	s_cbranch_vccnz .LBB85_139
; %bb.124:
	s_cmp_lt_i32 s5, 2
	s_mov_b32 s6, -1
	s_cbranch_scc1 .LBB85_134
; %bb.125:
	s_cmp_lt_i32 s5, 3
	s_cbranch_scc1 .LBB85_131
; %bb.126:
	s_cmp_gt_i32 s5, 3
	s_cbranch_scc0 .LBB85_128
; %bb.127:
	v_trunc_f64_e32 v[2:3], v[0:1]
	s_mov_b32 s6, 0
	v_ldexp_f64 v[6:7], v[2:3], 0xffffffe0
	v_floor_f64_e32 v[6:7], v[6:7]
	v_fma_f64 v[2:3], 0xc1f00000, v[6:7], v[2:3]
	v_cvt_i32_f64_e32 v7, v[6:7]
	v_cvt_u32_f64_e32 v6, v[2:3]
	global_store_dwordx2 v[4:5], v[6:7], off
.LBB85_128:
	s_andn2_b32 vcc_lo, exec_lo, s6
	s_cbranch_vccnz .LBB85_130
; %bb.129:
	v_cvt_i32_f64_e32 v2, v[0:1]
	global_store_dword v[4:5], v2, off
.LBB85_130:
	s_mov_b32 s6, 0
.LBB85_131:
	s_andn2_b32 vcc_lo, exec_lo, s6
	s_cbranch_vccnz .LBB85_133
; %bb.132:
	v_cvt_i32_f64_e32 v2, v[0:1]
	global_store_short v[4:5], v2, off
.LBB85_133:
	s_mov_b32 s6, 0
.LBB85_134:
	s_andn2_b32 vcc_lo, exec_lo, s6
	s_cbranch_vccnz .LBB85_139
; %bb.135:
	s_cmp_gt_i32 s5, 0
	s_mov_b32 s5, -1
	s_cbranch_scc0 .LBB85_137
; %bb.136:
	v_cvt_i32_f64_e32 v2, v[0:1]
	s_mov_b32 s5, 0
	global_store_byte v[4:5], v2, off
.LBB85_137:
	s_andn2_b32 vcc_lo, exec_lo, s5
	s_cbranch_vccnz .LBB85_139
; %bb.138:
	v_trunc_f64_e32 v[0:1], v[0:1]
	v_ldexp_f64 v[2:3], v[0:1], 0xffffffe0
	v_floor_f64_e32 v[2:3], v[2:3]
	v_fma_f64 v[0:1], 0xc1f00000, v[2:3], v[0:1]
	v_cvt_u32_f64_e32 v0, v[0:1]
	global_store_byte v[4:5], v0, off
.LBB85_139:
.LBB85_140:
	v_add_nc_u32_e32 v47, 0x80, v47
	s_mov_b32 s5, -1
	s_branch .LBB85_251
.LBB85_141:
	s_mov_b32 s68, -1
                                        ; implicit-def: $vgpr2_vgpr3
.LBB85_142:
	s_mov_b32 s6, 0
.LBB85_143:
	s_and_b32 vcc_lo, exec_lo, s6
	s_cbranch_vccz .LBB85_147
; %bb.144:
	s_cmp_eq_u32 s4, 29
	s_cbranch_scc0 .LBB85_146
; %bb.145:
	global_load_dwordx2 v[2:3], v[0:1], off
	s_mov_b32 s5, -1
	s_mov_b32 s68, 0
	s_mov_b32 s6, 0
	s_waitcnt vmcnt(0)
	v_cvt_f64_u32_e32 v[3:4], v3
	v_cvt_f64_u32_e32 v[5:6], v2
	v_ldexp_f64 v[3:4], v[3:4], 32
	v_add_f64 v[2:3], v[3:4], v[5:6]
	s_branch .LBB85_148
.LBB85_146:
	s_mov_b32 s68, -1
                                        ; implicit-def: $vgpr2_vgpr3
.LBB85_147:
	s_mov_b32 s6, 0
.LBB85_148:
	s_and_b32 vcc_lo, exec_lo, s6
	s_cbranch_vccz .LBB85_168
; %bb.149:
	s_cmp_lt_i32 s4, 27
	s_cbranch_scc1 .LBB85_152
; %bb.150:
	s_cmp_gt_i32 s4, 27
	s_cbranch_scc0 .LBB85_153
; %bb.151:
	global_load_dword v2, v[0:1], off
	s_mov_b32 s5, 0
	s_waitcnt vmcnt(0)
	v_cvt_f64_u32_e32 v[2:3], v2
	s_branch .LBB85_154
.LBB85_152:
	s_mov_b32 s5, -1
                                        ; implicit-def: $vgpr2_vgpr3
	s_branch .LBB85_157
.LBB85_153:
	s_mov_b32 s5, -1
                                        ; implicit-def: $vgpr2_vgpr3
.LBB85_154:
	s_andn2_b32 vcc_lo, exec_lo, s5
	s_cbranch_vccnz .LBB85_156
; %bb.155:
	global_load_ushort v2, v[0:1], off
	s_waitcnt vmcnt(0)
	v_cvt_f64_u32_e32 v[2:3], v2
.LBB85_156:
	s_mov_b32 s5, 0
.LBB85_157:
	s_andn2_b32 vcc_lo, exec_lo, s5
	s_cbranch_vccnz .LBB85_167
; %bb.158:
	global_load_ubyte v4, v[0:1], off
	s_mov_b32 s5, 0
	s_mov_b32 s6, exec_lo
	s_waitcnt vmcnt(0)
	v_cmpx_lt_i16_e32 0x7f, v4
	s_xor_b32 s6, exec_lo, s6
	s_cbranch_execz .LBB85_162
; %bb.159:
	s_mov_b32 s5, -1
	s_mov_b32 s7, exec_lo
	v_cmpx_eq_u16_e32 0x80, v4
; %bb.160:
	s_xor_b32 s5, exec_lo, -1
; %bb.161:
	s_or_b32 exec_lo, exec_lo, s7
	s_and_b32 s5, s5, exec_lo
.LBB85_162:
	s_or_saveexec_b32 s6, s6
	v_bfrev_b32_e32 v2, 4
	v_mov_b32_e32 v3, 0x7ff80000
	s_xor_b32 exec_lo, exec_lo, s6
; %bb.163:
	v_cmp_ne_u16_e32 vcc_lo, 0, v4
	v_mov_b32_e32 v2, 0
	v_mov_b32_e32 v3, 0
	s_andn2_b32 s5, s5, exec_lo
	s_and_b32 s7, vcc_lo, exec_lo
	s_or_b32 s5, s5, s7
; %bb.164:
	s_or_b32 exec_lo, exec_lo, s6
	s_and_saveexec_b32 s6, s5
	s_cbranch_execz .LBB85_166
; %bb.165:
	v_and_b32_e32 v2, 0xffff, v4
	v_lshlrev_b32_e32 v4, 24, v4
	v_and_b32_e32 v3, 7, v2
	v_bfe_u32 v7, v2, 3, 4
	v_ffbh_u32_e32 v5, v3
	v_cmp_eq_u32_e32 vcc_lo, 0, v7
	v_min_u32_e32 v5, 32, v5
	v_subrev_nc_u32_e32 v6, 28, v5
	v_sub_nc_u32_e32 v5, 29, v5
	v_lshlrev_b32_e32 v2, v6, v2
	v_cndmask_b32_e32 v5, v7, v5, vcc_lo
	v_and_b32_e32 v2, 7, v2
	v_cndmask_b32_e32 v2, v3, v2, vcc_lo
	v_and_b32_e32 v3, 0x80000000, v4
	v_lshl_add_u32 v4, v5, 23, 0x3b800000
	v_lshlrev_b32_e32 v2, 20, v2
	v_or3_b32 v2, v3, v4, v2
	v_cvt_f64_f32_e32 v[2:3], v2
.LBB85_166:
	s_or_b32 exec_lo, exec_lo, s6
.LBB85_167:
	s_mov_b32 s5, -1
.LBB85_168:
	s_branch .LBB85_201
.LBB85_169:
	s_cmp_gt_i32 s4, 22
	s_cbranch_scc0 .LBB85_181
; %bb.170:
	s_cmp_lt_i32 s4, 24
	s_cbranch_scc1 .LBB85_182
; %bb.171:
	s_cmp_gt_i32 s4, 24
	s_cbranch_scc0 .LBB85_183
; %bb.172:
	global_load_ubyte v4, v[0:1], off
	s_mov_b32 s5, 0
	s_mov_b32 s6, exec_lo
	s_waitcnt vmcnt(0)
	v_cmpx_lt_i16_e32 0x7f, v4
	s_xor_b32 s6, exec_lo, s6
	s_cbranch_execz .LBB85_176
; %bb.173:
	s_mov_b32 s5, -1
	s_mov_b32 s7, exec_lo
	v_cmpx_eq_u16_e32 0x80, v4
; %bb.174:
	s_xor_b32 s5, exec_lo, -1
; %bb.175:
	s_or_b32 exec_lo, exec_lo, s7
	s_and_b32 s5, s5, exec_lo
.LBB85_176:
	s_or_saveexec_b32 s6, s6
	v_bfrev_b32_e32 v2, 4
	v_mov_b32_e32 v3, 0x7ff80000
	s_xor_b32 exec_lo, exec_lo, s6
; %bb.177:
	v_cmp_ne_u16_e32 vcc_lo, 0, v4
	v_mov_b32_e32 v2, 0
	v_mov_b32_e32 v3, 0
	s_andn2_b32 s5, s5, exec_lo
	s_and_b32 s7, vcc_lo, exec_lo
	s_or_b32 s5, s5, s7
; %bb.178:
	s_or_b32 exec_lo, exec_lo, s6
	s_and_saveexec_b32 s6, s5
	s_cbranch_execz .LBB85_180
; %bb.179:
	v_and_b32_e32 v2, 0xffff, v4
	v_lshlrev_b32_e32 v4, 24, v4
	v_and_b32_e32 v3, 3, v2
	v_bfe_u32 v7, v2, 2, 5
	v_ffbh_u32_e32 v5, v3
	v_cmp_eq_u32_e32 vcc_lo, 0, v7
	v_min_u32_e32 v5, 32, v5
	v_subrev_nc_u32_e32 v6, 29, v5
	v_sub_nc_u32_e32 v5, 30, v5
	v_lshlrev_b32_e32 v2, v6, v2
	v_cndmask_b32_e32 v5, v7, v5, vcc_lo
	v_and_b32_e32 v2, 3, v2
	v_cndmask_b32_e32 v2, v3, v2, vcc_lo
	v_and_b32_e32 v3, 0x80000000, v4
	v_lshl_add_u32 v4, v5, 23, 0x37800000
	v_lshlrev_b32_e32 v2, 21, v2
	v_or3_b32 v2, v3, v4, v2
	v_cvt_f64_f32_e32 v[2:3], v2
.LBB85_180:
	s_or_b32 exec_lo, exec_lo, s6
	s_mov_b32 s5, 0
	s_branch .LBB85_184
.LBB85_181:
	s_mov_b32 s6, -1
                                        ; implicit-def: $vgpr2_vgpr3
	s_branch .LBB85_190
.LBB85_182:
	s_mov_b32 s5, -1
                                        ; implicit-def: $vgpr2_vgpr3
	s_branch .LBB85_187
.LBB85_183:
	s_mov_b32 s5, -1
                                        ; implicit-def: $vgpr2_vgpr3
.LBB85_184:
	s_and_b32 vcc_lo, exec_lo, s5
	s_cbranch_vccz .LBB85_186
; %bb.185:
	global_load_ubyte v2, v[0:1], off
	s_waitcnt vmcnt(0)
	v_lshlrev_b32_e32 v2, 24, v2
	v_and_b32_e32 v3, 0x7f000000, v2
	v_ffbh_u32_e32 v4, v3
	v_add_nc_u32_e32 v6, 0x1000000, v3
	v_cmp_ne_u32_e32 vcc_lo, 0, v3
	v_min_u32_e32 v4, 32, v4
	v_sub_nc_u32_e64 v4, v4, 4 clamp
	v_lshlrev_b32_e32 v5, v4, v3
	v_lshlrev_b32_e32 v4, 23, v4
	v_lshrrev_b32_e32 v5, 4, v5
	v_sub_nc_u32_e32 v4, v5, v4
	v_ashrrev_i32_e32 v5, 8, v6
	v_add_nc_u32_e32 v4, 0x3c000000, v4
	v_and_or_b32 v4, 0x7f800000, v5, v4
	v_cndmask_b32_e32 v3, 0, v4, vcc_lo
	v_and_or_b32 v2, 0x80000000, v2, v3
	v_cvt_f64_f32_e32 v[2:3], v2
.LBB85_186:
	s_mov_b32 s5, 0
.LBB85_187:
	s_andn2_b32 vcc_lo, exec_lo, s5
	s_cbranch_vccnz .LBB85_189
; %bb.188:
	global_load_ubyte v2, v[0:1], off
	s_waitcnt vmcnt(0)
	v_lshlrev_b32_e32 v3, 25, v2
	v_lshlrev_b16 v2, 8, v2
	v_lshrrev_b32_e32 v4, 4, v3
	v_and_or_b32 v5, 0x7f00, v2, 0.5
	v_cmp_gt_u32_e32 vcc_lo, 0x8000000, v3
	v_bfe_i32 v2, v2, 0, 16
	v_or_b32_e32 v4, 0x70000000, v4
	v_add_f32_e32 v5, -0.5, v5
	v_mul_f32_e32 v4, 0x7800000, v4
	v_cndmask_b32_e32 v3, v4, v5, vcc_lo
	v_and_or_b32 v2, 0x80000000, v2, v3
	v_cvt_f64_f32_e32 v[2:3], v2
.LBB85_189:
	s_mov_b32 s6, 0
	s_mov_b32 s5, -1
.LBB85_190:
	s_andn2_b32 vcc_lo, exec_lo, s6
	s_cbranch_vccnz .LBB85_201
; %bb.191:
	s_cmp_gt_i32 s4, 14
	s_cbranch_scc0 .LBB85_194
; %bb.192:
	s_cmp_eq_u32 s4, 15
	s_cbranch_scc0 .LBB85_195
; %bb.193:
	global_load_ushort v2, v[0:1], off
	s_mov_b32 s5, -1
	s_mov_b32 s68, 0
	s_waitcnt vmcnt(0)
	v_lshlrev_b32_e32 v2, 16, v2
	v_cvt_f64_f32_e32 v[2:3], v2
	s_branch .LBB85_196
.LBB85_194:
	s_mov_b32 s6, -1
                                        ; implicit-def: $vgpr2_vgpr3
	s_branch .LBB85_197
.LBB85_195:
	s_mov_b32 s68, -1
                                        ; implicit-def: $vgpr2_vgpr3
.LBB85_196:
	s_mov_b32 s6, 0
.LBB85_197:
	s_and_b32 vcc_lo, exec_lo, s6
	s_cbranch_vccz .LBB85_201
; %bb.198:
	s_cmp_eq_u32 s4, 11
	s_cbranch_scc0 .LBB85_200
; %bb.199:
	global_load_ubyte v2, v[0:1], off
	s_mov_b32 s68, 0
	s_mov_b32 s5, -1
	s_waitcnt vmcnt(0)
	v_cmp_ne_u16_e32 vcc_lo, 0, v2
	v_mov_b32_e32 v2, 0
	v_cndmask_b32_e64 v3, 0, 0x3ff00000, vcc_lo
	s_branch .LBB85_201
.LBB85_200:
	s_mov_b32 s68, -1
                                        ; implicit-def: $vgpr2_vgpr3
.LBB85_201:
	s_branch .LBB85_10
.LBB85_202:
	s_cmp_lt_i32 s4, 5
	s_cbranch_scc1 .LBB85_207
; %bb.203:
	s_cmp_lt_i32 s4, 8
	s_cbranch_scc1 .LBB85_208
; %bb.204:
	;; [unrolled: 3-line block ×3, first 2 shown]
	s_cmp_gt_i32 s4, 9
	s_cbranch_scc0 .LBB85_210
; %bb.206:
	global_load_dwordx2 v[2:3], v[0:1], off
	s_mov_b32 s5, 0
	s_branch .LBB85_211
.LBB85_207:
                                        ; implicit-def: $vgpr2_vgpr3
	s_branch .LBB85_229
.LBB85_208:
	s_mov_b32 s5, -1
                                        ; implicit-def: $vgpr2_vgpr3
	s_branch .LBB85_217
.LBB85_209:
	s_mov_b32 s5, -1
                                        ; implicit-def: $vgpr2_vgpr3
	s_branch .LBB85_214
.LBB85_210:
	s_mov_b32 s5, -1
                                        ; implicit-def: $vgpr2_vgpr3
.LBB85_211:
	s_andn2_b32 vcc_lo, exec_lo, s5
	s_cbranch_vccnz .LBB85_213
; %bb.212:
	global_load_dword v2, v[0:1], off
	s_waitcnt vmcnt(0)
	v_cvt_f64_f32_e32 v[2:3], v2
.LBB85_213:
	s_mov_b32 s5, 0
.LBB85_214:
	s_andn2_b32 vcc_lo, exec_lo, s5
	s_cbranch_vccnz .LBB85_216
; %bb.215:
	global_load_dword v2, v[0:1], off
	s_waitcnt vmcnt(0)
	v_cvt_f32_f16_e32 v2, v2
	v_cvt_f64_f32_e32 v[2:3], v2
.LBB85_216:
	s_mov_b32 s5, 0
.LBB85_217:
	s_andn2_b32 vcc_lo, exec_lo, s5
	s_cbranch_vccnz .LBB85_228
; %bb.218:
	s_cmp_lt_i32 s4, 6
	s_cbranch_scc1 .LBB85_221
; %bb.219:
	s_cmp_gt_i32 s4, 6
	s_cbranch_scc0 .LBB85_222
; %bb.220:
	global_load_dwordx2 v[2:3], v[0:1], off
	s_mov_b32 s5, 0
	s_branch .LBB85_223
.LBB85_221:
	s_mov_b32 s5, -1
                                        ; implicit-def: $vgpr2_vgpr3
	s_branch .LBB85_226
.LBB85_222:
	s_mov_b32 s5, -1
                                        ; implicit-def: $vgpr2_vgpr3
.LBB85_223:
	s_andn2_b32 vcc_lo, exec_lo, s5
	s_cbranch_vccnz .LBB85_225
; %bb.224:
	global_load_dword v2, v[0:1], off
	s_waitcnt vmcnt(0)
	v_cvt_f64_f32_e32 v[2:3], v2
.LBB85_225:
	s_mov_b32 s5, 0
.LBB85_226:
	s_andn2_b32 vcc_lo, exec_lo, s5
	s_cbranch_vccnz .LBB85_228
; %bb.227:
	global_load_ushort v2, v[0:1], off
	s_waitcnt vmcnt(0)
	v_cvt_f32_f16_e32 v2, v2
	v_cvt_f64_f32_e32 v[2:3], v2
.LBB85_228:
	s_cbranch_execnz .LBB85_248
.LBB85_229:
	s_cmp_lt_i32 s4, 2
	s_cbranch_scc1 .LBB85_233
; %bb.230:
	s_cmp_lt_i32 s4, 3
	s_cbranch_scc1 .LBB85_234
; %bb.231:
	s_cmp_gt_i32 s4, 3
	s_cbranch_scc0 .LBB85_235
; %bb.232:
	global_load_dwordx2 v[2:3], v[0:1], off
	s_mov_b32 s5, 0
	s_waitcnt vmcnt(0)
	v_cvt_f64_i32_e32 v[3:4], v3
	v_cvt_f64_u32_e32 v[5:6], v2
	v_ldexp_f64 v[3:4], v[3:4], 32
	v_add_f64 v[2:3], v[3:4], v[5:6]
	s_branch .LBB85_236
.LBB85_233:
	s_mov_b32 s5, -1
                                        ; implicit-def: $vgpr2_vgpr3
	s_branch .LBB85_242
.LBB85_234:
	s_mov_b32 s5, -1
                                        ; implicit-def: $vgpr2_vgpr3
	s_branch .LBB85_239
.LBB85_235:
	s_mov_b32 s5, -1
                                        ; implicit-def: $vgpr2_vgpr3
.LBB85_236:
	s_andn2_b32 vcc_lo, exec_lo, s5
	s_cbranch_vccnz .LBB85_238
; %bb.237:
	global_load_dword v2, v[0:1], off
	s_waitcnt vmcnt(0)
	v_cvt_f64_i32_e32 v[2:3], v2
.LBB85_238:
	s_mov_b32 s5, 0
.LBB85_239:
	s_andn2_b32 vcc_lo, exec_lo, s5
	s_cbranch_vccnz .LBB85_241
; %bb.240:
	global_load_sshort v2, v[0:1], off
	s_waitcnt vmcnt(0)
	v_cvt_f64_i32_e32 v[2:3], v2
.LBB85_241:
	s_mov_b32 s5, 0
.LBB85_242:
	s_andn2_b32 vcc_lo, exec_lo, s5
	s_cbranch_vccnz .LBB85_248
; %bb.243:
	s_cmp_gt_i32 s4, 0
	s_mov_b32 s4, 0
	s_cbranch_scc0 .LBB85_245
; %bb.244:
	global_load_sbyte v2, v[0:1], off
	s_waitcnt vmcnt(0)
	v_cvt_f64_i32_e32 v[2:3], v2
	s_branch .LBB85_246
.LBB85_245:
	s_mov_b32 s4, -1
                                        ; implicit-def: $vgpr2_vgpr3
.LBB85_246:
	s_andn2_b32 vcc_lo, exec_lo, s4
	s_cbranch_vccnz .LBB85_248
; %bb.247:
	global_load_ubyte v0, v[0:1], off
	s_waitcnt vmcnt(0)
	v_cvt_f64_u32_e32 v[2:3], v0
.LBB85_248:
	s_branch .LBB85_11
.LBB85_249:
	s_mov_b32 s4, 0
.LBB85_250:
	s_mov_b32 s5, 0
                                        ; implicit-def: $vgpr47
.LBB85_251:
	s_and_b32 s66, s4, exec_lo
	s_and_b32 s68, s68, exec_lo
	s_orn2_b32 s5, s5, exec_lo
.LBB85_252:
	s_or_b32 exec_lo, exec_lo, s69
	s_mov_b32 s6, 0
	s_mov_b32 s4, 0
                                        ; implicit-def: $vgpr0_vgpr1
                                        ; implicit-def: $vgpr2_vgpr3
	s_and_saveexec_b32 s69, s5
	s_cbranch_execz .LBB85_261
; %bb.253:
	s_mov_b32 s4, -1
	s_mov_b32 s70, s68
	s_mov_b32 s71, s66
	s_mov_b32 s80, exec_lo
	v_cmpx_gt_i32_e64 s67, v47
	s_cbranch_execz .LBB85_515
; %bb.254:
	v_mul_lo_u32 v0, v47, s53
	s_and_b32 s4, 0xffff, s64
	s_cmp_lt_i32 s4, 11
	v_ashrrev_i32_e32 v1, 31, v0
	v_add_co_u32 v0, vcc_lo, s50, v0
	v_add_co_ci_u32_e64 v1, null, s51, v1, vcc_lo
	s_cbranch_scc1 .LBB85_264
; %bb.255:
	s_cmp_gt_i32 s4, 25
	s_cbranch_scc0 .LBB85_273
; %bb.256:
	s_cmp_gt_i32 s4, 28
	s_cbranch_scc0 .LBB85_275
	;; [unrolled: 3-line block ×4, first 2 shown]
; %bb.259:
	s_cmp_eq_u32 s4, 46
	s_cbranch_scc0 .LBB85_285
; %bb.260:
	global_load_dword v2, v[0:1], off
	s_mov_b32 s5, -1
	s_mov_b32 s70, 0
	s_waitcnt vmcnt(0)
	v_lshlrev_b32_e32 v2, 16, v2
	v_cvt_f64_f32_e32 v[2:3], v2
	s_branch .LBB85_287
.LBB85_261:
	s_or_b32 exec_lo, exec_lo, s69
	s_mov_b32 s67, 0
	s_and_saveexec_b32 s5, s68
	s_cbranch_execnz .LBB85_863
.LBB85_262:
	s_or_b32 exec_lo, exec_lo, s5
	s_and_saveexec_b32 s5, s70
	s_xor_b32 s5, exec_lo, s5
	s_cbranch_execz .LBB85_864
.LBB85_263:
	global_load_ubyte v2, v[0:1], off
	s_or_b32 s4, s4, exec_lo
	s_waitcnt vmcnt(0)
	v_cmp_ne_u16_e32 vcc_lo, 0, v2
	v_mov_b32_e32 v2, 0
	v_cndmask_b32_e64 v3, 0, 0x3ff00000, vcc_lo
	s_or_b32 exec_lo, exec_lo, s5
	s_and_saveexec_b32 s5, s6
	s_cbranch_execz .LBB85_910
	s_branch .LBB85_865
.LBB85_264:
	s_mov_b32 s5, 0
	s_mov_b32 s70, s68
                                        ; implicit-def: $vgpr2_vgpr3
	s_cbranch_execnz .LBB85_464
.LBB85_265:
	s_andn2_b32 vcc_lo, exec_lo, s5
	s_cbranch_vccnz .LBB85_512
.LBB85_266:
	v_mov_b32_e32 v0, s54
	v_mov_b32_e32 v1, s55
	s_getpc_b64 s[4:5]
	s_add_u32 s4, s4, _ZZZZN2at6native21polygamma_kernel_cudaERNS_18TensorIteratorBaseElENKUlvE_clEvENKUlvE_clEvENKUldE_clEd@rel32@lo+4
	s_addc_u32 s5, s5, _ZZZZN2at6native21polygamma_kernel_cudaERNS_18TensorIteratorBaseElENKUlvE_clEvENKUlvE_clEvENKUldE_clEd@rel32@hi+12
	s_swappc_b64 s[30:31], s[4:5]
	v_mul_lo_u32 v2, v47, s52
	s_and_b32 s5, s33, 0xff
	s_cmp_lt_i32 s5, 11
	v_ashrrev_i32_e32 v3, 31, v2
	v_add_co_u32 v4, vcc_lo, s48, v2
	v_add_co_ci_u32_e64 v5, null, s49, v3, vcc_lo
	s_cbranch_scc1 .LBB85_274
; %bb.267:
	s_and_b32 s6, 0xffff, s5
	s_cmp_gt_i32 s6, 25
	s_cbranch_scc0 .LBB85_276
; %bb.268:
	s_cmp_gt_i32 s6, 28
	s_cbranch_scc0 .LBB85_278
; %bb.269:
	;; [unrolled: 3-line block ×4, first 2 shown]
	s_mov_b32 s8, 0
	s_mov_b32 s4, -1
	s_cmp_eq_u32 s6, 46
	s_mov_b32 s7, 0
	s_cbranch_scc0 .LBB85_291
; %bb.272:
	v_cvt_f32_f64_e32 v2, v[0:1]
	s_mov_b32 s7, -1
	s_mov_b32 s4, 0
	v_bfe_u32 v3, v2, 16, 1
	v_cmp_o_f32_e32 vcc_lo, v2, v2
	v_add3_u32 v2, v2, v3, 0x7fff
	v_mov_b32_e32 v3, 0x7fc0
	v_cndmask_b32_sdwa v2, v3, v2, vcc_lo dst_sel:DWORD dst_unused:UNUSED_PAD src0_sel:DWORD src1_sel:WORD_1
	global_store_dword v[4:5], v2, off
	s_branch .LBB85_291
.LBB85_273:
	s_mov_b32 s6, -1
	s_mov_b32 s5, 0
	s_mov_b32 s70, s68
                                        ; implicit-def: $vgpr2_vgpr3
	s_branch .LBB85_430
.LBB85_274:
	s_mov_b32 s6, -1
	s_mov_b32 s7, 0
	s_mov_b32 s4, s66
	s_branch .LBB85_360
.LBB85_275:
	s_mov_b32 s6, -1
	s_mov_b32 s5, 0
	s_mov_b32 s70, s68
                                        ; implicit-def: $vgpr2_vgpr3
	s_branch .LBB85_409
.LBB85_276:
	s_mov_b32 s8, -1
	s_mov_b32 s7, 0
	s_mov_b32 s4, s66
	s_branch .LBB85_318
.LBB85_277:
	s_mov_b32 s6, -1
	s_mov_b32 s5, 0
	s_mov_b32 s70, s68
                                        ; implicit-def: $vgpr2_vgpr3
	s_branch .LBB85_404
.LBB85_278:
	s_mov_b32 s8, -1
	s_mov_b32 s7, 0
	s_mov_b32 s4, s66
	s_branch .LBB85_301
.LBB85_279:
	s_andn2_saveexec_b32 s9, s9
	s_cbranch_execz .LBB85_54
.LBB85_280:
	v_add_f32_e64 v3, 0x46000000, |v2|
	s_andn2_b32 s8, s8, exec_lo
	v_and_b32_e32 v3, 0xff, v3
	v_cmp_ne_u32_e32 vcc_lo, 0, v3
	s_and_b32 s10, vcc_lo, exec_lo
	s_or_b32 s8, s8, s10
	s_or_b32 exec_lo, exec_lo, s9
	v_mov_b32_e32 v6, 0
	s_and_saveexec_b32 s9, s8
	s_cbranch_execnz .LBB85_55
	s_branch .LBB85_56
.LBB85_281:
	s_mov_b32 s6, -1
	s_mov_b32 s5, 0
	s_mov_b32 s70, s68
	s_branch .LBB85_286
.LBB85_282:
	s_mov_b32 s8, -1
	s_mov_b32 s7, 0
	s_mov_b32 s4, s66
	s_branch .LBB85_297
.LBB85_283:
	s_andn2_saveexec_b32 s9, s9
	s_cbranch_execz .LBB85_67
.LBB85_284:
	v_add_f32_e64 v3, 0x42800000, |v2|
	s_andn2_b32 s8, s8, exec_lo
	v_and_b32_e32 v3, 0xff, v3
	v_cmp_ne_u32_e32 vcc_lo, 0, v3
	s_and_b32 s10, vcc_lo, exec_lo
	s_or_b32 s8, s8, s10
	s_or_b32 exec_lo, exec_lo, s9
	v_mov_b32_e32 v6, 0
	s_and_saveexec_b32 s9, s8
	s_cbranch_execnz .LBB85_68
	s_branch .LBB85_69
.LBB85_285:
	s_mov_b32 s70, -1
	s_mov_b32 s5, 0
.LBB85_286:
                                        ; implicit-def: $vgpr2_vgpr3
.LBB85_287:
	s_and_b32 vcc_lo, exec_lo, s6
	s_cbranch_vccz .LBB85_403
; %bb.288:
	s_cmp_eq_u32 s4, 44
	s_cbranch_scc0 .LBB85_402
; %bb.289:
	global_load_ubyte v4, v[0:1], off
	s_mov_b32 s70, 0
	s_mov_b32 s5, -1
	s_waitcnt vmcnt(0)
	v_lshlrev_b32_e32 v2, 23, v4
	v_cmp_ne_u32_e32 vcc_lo, 0xff, v4
	v_cvt_f64_f32_e32 v[2:3], v2
	v_cndmask_b32_e32 v2, 0x20000000, v2, vcc_lo
	v_cndmask_b32_e32 v3, 0x7ff80000, v3, vcc_lo
	v_cmp_ne_u32_e32 vcc_lo, 0, v4
	v_cndmask_b32_e32 v3, 0x38000000, v3, vcc_lo
	v_cndmask_b32_e32 v2, 0, v2, vcc_lo
	s_branch .LBB85_403
.LBB85_290:
	s_mov_b32 s8, -1
	s_mov_b32 s7, 0
	s_mov_b32 s4, s66
.LBB85_291:
	s_and_b32 vcc_lo, exec_lo, s8
	s_cbranch_vccz .LBB85_296
; %bb.292:
	s_cmp_eq_u32 s6, 44
	s_mov_b32 s4, -1
	s_cbranch_scc0 .LBB85_296
; %bb.293:
	v_cvt_f32_f64_e32 v2, v[0:1]
	v_mov_b32_e32 v3, 0xff
	s_mov_b32 s7, exec_lo
	v_bfe_u32 v6, v2, 23, 8
	v_cmpx_ne_u32_e32 0xff, v6
	s_cbranch_execz .LBB85_295
; %bb.294:
	v_and_b32_e32 v3, 0x400000, v2
	v_and_or_b32 v6, 0x3fffff, v2, v6
	v_lshrrev_b32_e32 v2, 23, v2
	v_cmp_ne_u32_e32 vcc_lo, 0, v3
	v_cmp_ne_u32_e64 s4, 0, v6
	s_and_b32 s4, vcc_lo, s4
	v_cndmask_b32_e64 v3, 0, 1, s4
	v_add_nc_u32_e32 v3, v2, v3
.LBB85_295:
	s_or_b32 exec_lo, exec_lo, s7
	s_mov_b32 s7, -1
	s_mov_b32 s4, 0
	global_store_byte v[4:5], v3, off
.LBB85_296:
	s_mov_b32 s8, 0
.LBB85_297:
	s_and_b32 vcc_lo, exec_lo, s8
	s_cbranch_vccz .LBB85_300
; %bb.298:
	s_cmp_eq_u32 s6, 29
	s_mov_b32 s4, -1
	s_cbranch_scc0 .LBB85_300
; %bb.299:
	v_trunc_f64_e32 v[2:3], v[0:1]
	s_mov_b32 s7, -1
	s_mov_b32 s4, 0
	s_mov_b32 s8, 0
	v_ldexp_f64 v[6:7], v[2:3], 0xffffffe0
	v_floor_f64_e32 v[6:7], v[6:7]
	v_fma_f64 v[2:3], 0xc1f00000, v[6:7], v[2:3]
	v_cvt_u32_f64_e32 v7, v[6:7]
	v_cvt_u32_f64_e32 v6, v[2:3]
	global_store_dwordx2 v[4:5], v[6:7], off
	s_branch .LBB85_301
.LBB85_300:
	s_mov_b32 s8, 0
.LBB85_301:
	s_and_b32 vcc_lo, exec_lo, s8
	s_cbranch_vccz .LBB85_317
; %bb.302:
	s_cmp_lt_i32 s6, 27
	s_mov_b32 s7, -1
	s_cbranch_scc1 .LBB85_308
; %bb.303:
	v_cvt_u32_f64_e32 v2, v[0:1]
	s_cmp_gt_i32 s6, 27
	s_cbranch_scc0 .LBB85_305
; %bb.304:
	s_mov_b32 s7, 0
	global_store_dword v[4:5], v2, off
.LBB85_305:
	s_andn2_b32 vcc_lo, exec_lo, s7
	s_cbranch_vccnz .LBB85_307
; %bb.306:
	global_store_short v[4:5], v2, off
.LBB85_307:
	s_mov_b32 s7, 0
.LBB85_308:
	s_andn2_b32 vcc_lo, exec_lo, s7
	s_cbranch_vccnz .LBB85_316
; %bb.309:
	v_cvt_f32_f64_e32 v2, v[0:1]
	v_mov_b32_e32 v6, 0x80
	s_mov_b32 s7, exec_lo
	v_and_b32_e32 v3, 0x7fffffff, v2
	v_cmpx_gt_u32_e32 0x43800000, v3
	s_cbranch_execz .LBB85_315
; %bb.310:
	v_cmp_lt_u32_e32 vcc_lo, 0x3bffffff, v3
	s_mov_b32 s8, 0
                                        ; implicit-def: $vgpr3
	s_and_saveexec_b32 s9, vcc_lo
	s_xor_b32 s9, exec_lo, s9
	s_cbranch_execz .LBB85_528
; %bb.311:
	v_bfe_u32 v3, v2, 20, 1
	s_mov_b32 s8, exec_lo
	v_add3_u32 v3, v2, v3, 0x487ffff
	v_lshrrev_b32_e32 v3, 20, v3
	s_andn2_saveexec_b32 s9, s9
	s_cbranch_execnz .LBB85_529
.LBB85_312:
	s_or_b32 exec_lo, exec_lo, s9
	v_mov_b32_e32 v6, 0
	s_and_saveexec_b32 s9, s8
.LBB85_313:
	v_lshrrev_b32_e32 v2, 24, v2
	v_and_or_b32 v6, 0x80, v2, v3
.LBB85_314:
	s_or_b32 exec_lo, exec_lo, s9
.LBB85_315:
	s_or_b32 exec_lo, exec_lo, s7
	global_store_byte v[4:5], v6, off
.LBB85_316:
	s_mov_b32 s7, -1
.LBB85_317:
	s_mov_b32 s8, 0
.LBB85_318:
	s_and_b32 vcc_lo, exec_lo, s8
	s_cbranch_vccz .LBB85_359
; %bb.319:
	s_cmp_gt_i32 s6, 22
	s_mov_b32 s8, -1
	s_cbranch_scc0 .LBB85_351
; %bb.320:
	s_cmp_lt_i32 s6, 24
	s_mov_b32 s7, -1
	s_cbranch_scc1 .LBB85_340
; %bb.321:
	s_cmp_gt_i32 s6, 24
	s_cbranch_scc0 .LBB85_329
; %bb.322:
	v_cvt_f32_f64_e32 v2, v[0:1]
	v_mov_b32_e32 v6, 0x80
	s_mov_b32 s7, exec_lo
	v_and_b32_e32 v3, 0x7fffffff, v2
	v_cmpx_gt_u32_e32 0x47800000, v3
	s_cbranch_execz .LBB85_328
; %bb.323:
	v_cmp_lt_u32_e32 vcc_lo, 0x37ffffff, v3
	s_mov_b32 s8, 0
                                        ; implicit-def: $vgpr3
	s_and_saveexec_b32 s9, vcc_lo
	s_xor_b32 s9, exec_lo, s9
	s_cbranch_execz .LBB85_531
; %bb.324:
	v_bfe_u32 v3, v2, 21, 1
	s_mov_b32 s8, exec_lo
	v_add3_u32 v3, v2, v3, 0x88fffff
	v_lshrrev_b32_e32 v3, 21, v3
	s_andn2_saveexec_b32 s9, s9
	s_cbranch_execnz .LBB85_532
.LBB85_325:
	s_or_b32 exec_lo, exec_lo, s9
	v_mov_b32_e32 v6, 0
	s_and_saveexec_b32 s9, s8
.LBB85_326:
	v_lshrrev_b32_e32 v2, 24, v2
	v_and_or_b32 v6, 0x80, v2, v3
.LBB85_327:
	s_or_b32 exec_lo, exec_lo, s9
.LBB85_328:
	s_or_b32 exec_lo, exec_lo, s7
	s_mov_b32 s7, 0
	global_store_byte v[4:5], v6, off
.LBB85_329:
	s_and_b32 vcc_lo, exec_lo, s7
	s_cbranch_vccz .LBB85_339
; %bb.330:
	v_cvt_f32_f64_e32 v2, v[0:1]
	s_mov_b32 s7, exec_lo
                                        ; implicit-def: $vgpr3
	v_and_b32_e32 v6, 0x7fffffff, v2
	v_cmpx_gt_u32_e32 0x43f00000, v6
	s_xor_b32 s7, exec_lo, s7
	s_cbranch_execz .LBB85_336
; %bb.331:
	s_mov_b32 s8, exec_lo
                                        ; implicit-def: $vgpr3
	v_cmpx_lt_u32_e32 0x3c7fffff, v6
	s_xor_b32 s8, exec_lo, s8
; %bb.332:
	v_bfe_u32 v3, v2, 20, 1
	v_add3_u32 v3, v2, v3, 0x407ffff
	v_and_b32_e32 v6, 0xff00000, v3
	v_lshrrev_b32_e32 v3, 20, v3
	v_cmp_ne_u32_e32 vcc_lo, 0x7f00000, v6
	v_cndmask_b32_e32 v3, 0x7e, v3, vcc_lo
; %bb.333:
	s_andn2_saveexec_b32 s8, s8
; %bb.334:
	v_add_f32_e64 v3, 0x46800000, |v2|
; %bb.335:
	s_or_b32 exec_lo, exec_lo, s8
                                        ; implicit-def: $vgpr6
.LBB85_336:
	s_andn2_saveexec_b32 s7, s7
; %bb.337:
	v_mov_b32_e32 v3, 0x7f
	v_cmp_lt_u32_e32 vcc_lo, 0x7f800000, v6
	v_cndmask_b32_e32 v3, 0x7e, v3, vcc_lo
; %bb.338:
	s_or_b32 exec_lo, exec_lo, s7
	v_lshrrev_b32_e32 v2, 24, v2
	v_and_or_b32 v2, 0x80, v2, v3
	global_store_byte v[4:5], v2, off
.LBB85_339:
	s_mov_b32 s7, 0
.LBB85_340:
	s_andn2_b32 vcc_lo, exec_lo, s7
	s_cbranch_vccnz .LBB85_350
; %bb.341:
	v_cvt_f32_f64_e32 v2, v[0:1]
	s_mov_b32 s7, exec_lo
                                        ; implicit-def: $vgpr3
	v_and_b32_e32 v6, 0x7fffffff, v2
	v_cmpx_gt_u32_e32 0x47800000, v6
	s_xor_b32 s7, exec_lo, s7
	s_cbranch_execz .LBB85_347
; %bb.342:
	s_mov_b32 s8, exec_lo
                                        ; implicit-def: $vgpr3
	v_cmpx_lt_u32_e32 0x387fffff, v6
	s_xor_b32 s8, exec_lo, s8
; %bb.343:
	v_bfe_u32 v3, v2, 21, 1
	v_add3_u32 v3, v2, v3, 0x80fffff
	v_lshrrev_b32_e32 v3, 21, v3
; %bb.344:
	s_andn2_saveexec_b32 s8, s8
; %bb.345:
	v_add_f32_e64 v3, 0x43000000, |v2|
; %bb.346:
	s_or_b32 exec_lo, exec_lo, s8
                                        ; implicit-def: $vgpr6
.LBB85_347:
	s_andn2_saveexec_b32 s7, s7
; %bb.348:
	v_mov_b32_e32 v3, 0x7f
	v_cmp_lt_u32_e32 vcc_lo, 0x7f800000, v6
	v_cndmask_b32_e32 v3, 0x7c, v3, vcc_lo
; %bb.349:
	s_or_b32 exec_lo, exec_lo, s7
	v_lshrrev_b32_e32 v2, 24, v2
	v_and_or_b32 v2, 0x80, v2, v3
	global_store_byte v[4:5], v2, off
.LBB85_350:
	s_mov_b32 s8, 0
	s_mov_b32 s7, -1
.LBB85_351:
	s_andn2_b32 vcc_lo, exec_lo, s8
	s_cbranch_vccnz .LBB85_359
; %bb.352:
	s_cmp_gt_i32 s6, 14
	s_mov_b32 s8, -1
	s_cbranch_scc0 .LBB85_356
; %bb.353:
	s_cmp_eq_u32 s6, 15
	s_mov_b32 s4, -1
	s_cbranch_scc0 .LBB85_355
; %bb.354:
	v_cvt_f32_f64_e32 v2, v[0:1]
	s_mov_b32 s7, -1
	s_mov_b32 s4, 0
	v_bfe_u32 v3, v2, 16, 1
	v_cmp_o_f32_e32 vcc_lo, v2, v2
	v_add3_u32 v2, v2, v3, 0x7fff
	v_mov_b32_e32 v3, 0x7fc0
	v_cndmask_b32_sdwa v2, v3, v2, vcc_lo dst_sel:DWORD dst_unused:UNUSED_PAD src0_sel:DWORD src1_sel:WORD_1
	global_store_short v[4:5], v2, off
.LBB85_355:
	s_mov_b32 s8, 0
.LBB85_356:
	s_and_b32 vcc_lo, exec_lo, s8
	s_cbranch_vccz .LBB85_359
; %bb.357:
	s_cmp_eq_u32 s6, 11
	s_mov_b32 s4, -1
	s_cbranch_scc0 .LBB85_359
; %bb.358:
	v_cmp_neq_f64_e32 vcc_lo, 0, v[0:1]
	s_mov_b32 s7, -1
	s_mov_b32 s4, 0
	v_cndmask_b32_e64 v2, 0, 1, vcc_lo
	global_store_byte v[4:5], v2, off
.LBB85_359:
	s_mov_b32 s6, 0
.LBB85_360:
	s_and_b32 vcc_lo, exec_lo, s6
	s_cbranch_vccz .LBB85_399
; %bb.361:
	s_and_b32 s5, 0xffff, s5
	s_mov_b32 s6, -1
	s_cmp_lt_i32 s5, 5
	s_cbranch_scc1 .LBB85_382
; %bb.362:
	s_cmp_lt_i32 s5, 8
	s_cbranch_scc1 .LBB85_372
; %bb.363:
	;; [unrolled: 3-line block ×3, first 2 shown]
	s_cmp_gt_i32 s5, 9
	s_cbranch_scc0 .LBB85_366
; %bb.365:
	v_mov_b32_e32 v2, 0
	s_mov_b32 s6, 0
	v_mov_b32_e32 v3, v2
	global_store_dwordx4 v[4:5], v[0:3], off
.LBB85_366:
	s_andn2_b32 vcc_lo, exec_lo, s6
	s_cbranch_vccnz .LBB85_368
; %bb.367:
	v_cvt_f32_f64_e32 v2, v[0:1]
	v_mov_b32_e32 v3, 0
	global_store_dwordx2 v[4:5], v[2:3], off
.LBB85_368:
	s_mov_b32 s6, 0
.LBB85_369:
	s_andn2_b32 vcc_lo, exec_lo, s6
	s_cbranch_vccnz .LBB85_371
; %bb.370:
	v_and_or_b32 v2, 0x1ff, v1, v0
	v_lshrrev_b32_e32 v3, 8, v1
	v_bfe_u32 v6, v1, 20, 11
	v_cmp_ne_u32_e32 vcc_lo, 0, v2
	v_sub_nc_u32_e32 v7, 0x3f1, v6
	v_add_nc_u32_e32 v6, 0xfffffc10, v6
	v_cndmask_b32_e64 v2, 0, 1, vcc_lo
	v_and_or_b32 v2, 0xffe, v3, v2
	v_med3_i32 v3, v7, 0, 13
	v_or_b32_e32 v7, 0x1000, v2
	v_lshrrev_b32_e32 v8, v3, v7
	v_lshlrev_b32_e32 v3, v3, v8
	v_cmp_ne_u32_e32 vcc_lo, v3, v7
	v_lshl_or_b32 v7, v6, 12, v2
	v_cndmask_b32_e64 v3, 0, 1, vcc_lo
	v_cmp_gt_i32_e32 vcc_lo, 1, v6
	v_or_b32_e32 v3, v8, v3
	v_cndmask_b32_e32 v3, v7, v3, vcc_lo
	v_and_b32_e32 v7, 7, v3
	v_lshrrev_b32_e32 v3, 2, v3
	v_cmp_lt_i32_e32 vcc_lo, 5, v7
	v_cndmask_b32_e64 v8, 0, 1, vcc_lo
	v_cmp_eq_u32_e32 vcc_lo, 3, v7
	v_cndmask_b32_e64 v7, 0, 1, vcc_lo
	v_cmp_ne_u32_e32 vcc_lo, 0, v2
	v_or_b32_e32 v7, v7, v8
	v_mov_b32_e32 v8, 0x7e00
	v_add_nc_u32_e32 v3, v3, v7
	v_cndmask_b32_e32 v2, 0x7c00, v8, vcc_lo
	v_cmp_gt_i32_e32 vcc_lo, 31, v6
	v_cndmask_b32_e32 v3, 0x7c00, v3, vcc_lo
	v_cmp_eq_u32_e32 vcc_lo, 0x40f, v6
	v_cndmask_b32_e32 v2, v3, v2, vcc_lo
	v_lshrrev_b32_e32 v3, 16, v1
	v_and_or_b32 v2, 0x8000, v3, v2
	v_and_b32_e32 v2, 0xffff, v2
	global_store_dword v[4:5], v2, off
.LBB85_371:
	s_mov_b32 s6, 0
.LBB85_372:
	s_andn2_b32 vcc_lo, exec_lo, s6
	s_cbranch_vccnz .LBB85_381
; %bb.373:
	s_cmp_lt_i32 s5, 6
	s_mov_b32 s6, -1
	s_cbranch_scc1 .LBB85_379
; %bb.374:
	s_cmp_gt_i32 s5, 6
	s_cbranch_scc0 .LBB85_376
; %bb.375:
	s_mov_b32 s6, 0
	global_store_dwordx2 v[4:5], v[0:1], off
.LBB85_376:
	s_andn2_b32 vcc_lo, exec_lo, s6
	s_cbranch_vccnz .LBB85_378
; %bb.377:
	v_cvt_f32_f64_e32 v2, v[0:1]
	global_store_dword v[4:5], v2, off
.LBB85_378:
	s_mov_b32 s6, 0
.LBB85_379:
	s_andn2_b32 vcc_lo, exec_lo, s6
	s_cbranch_vccnz .LBB85_381
; %bb.380:
	v_and_or_b32 v2, 0x1ff, v1, v0
	v_lshrrev_b32_e32 v3, 8, v1
	v_bfe_u32 v6, v1, 20, 11
	v_cmp_ne_u32_e32 vcc_lo, 0, v2
	v_sub_nc_u32_e32 v7, 0x3f1, v6
	v_add_nc_u32_e32 v6, 0xfffffc10, v6
	v_cndmask_b32_e64 v2, 0, 1, vcc_lo
	v_and_or_b32 v2, 0xffe, v3, v2
	v_med3_i32 v3, v7, 0, 13
	v_or_b32_e32 v7, 0x1000, v2
	v_lshrrev_b32_e32 v8, v3, v7
	v_lshlrev_b32_e32 v3, v3, v8
	v_cmp_ne_u32_e32 vcc_lo, v3, v7
	v_lshl_or_b32 v7, v6, 12, v2
	v_cndmask_b32_e64 v3, 0, 1, vcc_lo
	v_cmp_gt_i32_e32 vcc_lo, 1, v6
	v_or_b32_e32 v3, v8, v3
	v_cndmask_b32_e32 v3, v7, v3, vcc_lo
	v_and_b32_e32 v7, 7, v3
	v_lshrrev_b32_e32 v3, 2, v3
	v_cmp_lt_i32_e32 vcc_lo, 5, v7
	v_cndmask_b32_e64 v8, 0, 1, vcc_lo
	v_cmp_eq_u32_e32 vcc_lo, 3, v7
	v_cndmask_b32_e64 v7, 0, 1, vcc_lo
	v_cmp_ne_u32_e32 vcc_lo, 0, v2
	v_or_b32_e32 v7, v7, v8
	v_mov_b32_e32 v8, 0x7e00
	v_add_nc_u32_e32 v3, v3, v7
	v_cndmask_b32_e32 v2, 0x7c00, v8, vcc_lo
	v_cmp_gt_i32_e32 vcc_lo, 31, v6
	v_cndmask_b32_e32 v3, 0x7c00, v3, vcc_lo
	v_cmp_eq_u32_e32 vcc_lo, 0x40f, v6
	v_cndmask_b32_e32 v2, v3, v2, vcc_lo
	v_lshrrev_b32_e32 v3, 16, v1
	v_and_or_b32 v2, 0x8000, v3, v2
	global_store_short v[4:5], v2, off
.LBB85_381:
	s_mov_b32 s6, 0
.LBB85_382:
	s_andn2_b32 vcc_lo, exec_lo, s6
	s_cbranch_vccnz .LBB85_398
; %bb.383:
	s_cmp_lt_i32 s5, 2
	s_mov_b32 s6, -1
	s_cbranch_scc1 .LBB85_393
; %bb.384:
	s_cmp_lt_i32 s5, 3
	s_cbranch_scc1 .LBB85_390
; %bb.385:
	s_cmp_gt_i32 s5, 3
	s_cbranch_scc0 .LBB85_387
; %bb.386:
	v_trunc_f64_e32 v[2:3], v[0:1]
	s_mov_b32 s6, 0
	v_ldexp_f64 v[6:7], v[2:3], 0xffffffe0
	v_floor_f64_e32 v[6:7], v[6:7]
	v_fma_f64 v[2:3], 0xc1f00000, v[6:7], v[2:3]
	v_cvt_i32_f64_e32 v7, v[6:7]
	v_cvt_u32_f64_e32 v6, v[2:3]
	global_store_dwordx2 v[4:5], v[6:7], off
.LBB85_387:
	s_andn2_b32 vcc_lo, exec_lo, s6
	s_cbranch_vccnz .LBB85_389
; %bb.388:
	v_cvt_i32_f64_e32 v2, v[0:1]
	global_store_dword v[4:5], v2, off
.LBB85_389:
	s_mov_b32 s6, 0
.LBB85_390:
	s_andn2_b32 vcc_lo, exec_lo, s6
	s_cbranch_vccnz .LBB85_392
; %bb.391:
	v_cvt_i32_f64_e32 v2, v[0:1]
	global_store_short v[4:5], v2, off
.LBB85_392:
	s_mov_b32 s6, 0
.LBB85_393:
	s_andn2_b32 vcc_lo, exec_lo, s6
	s_cbranch_vccnz .LBB85_398
; %bb.394:
	s_cmp_gt_i32 s5, 0
	s_mov_b32 s5, -1
	s_cbranch_scc0 .LBB85_396
; %bb.395:
	v_cvt_i32_f64_e32 v2, v[0:1]
	s_mov_b32 s5, 0
	global_store_byte v[4:5], v2, off
.LBB85_396:
	s_andn2_b32 vcc_lo, exec_lo, s5
	s_cbranch_vccnz .LBB85_398
; %bb.397:
	v_trunc_f64_e32 v[0:1], v[0:1]
	v_ldexp_f64 v[2:3], v[0:1], 0xffffffe0
	v_floor_f64_e32 v[2:3], v[2:3]
	v_fma_f64 v[0:1], 0xc1f00000, v[2:3], v[0:1]
	v_cvt_u32_f64_e32 v0, v[0:1]
	global_store_byte v[4:5], v0, off
.LBB85_398:
	s_mov_b32 s7, -1
.LBB85_399:
	s_andn2_b32 vcc_lo, exec_lo, s7
	s_cbranch_vccnz .LBB85_401
; %bb.400:
	v_add_nc_u32_e32 v47, 0x80, v47
	s_mov_b32 s5, -1
	s_branch .LBB85_514
.LBB85_401:
	s_mov_b32 s5, 0
	s_branch .LBB85_513
.LBB85_402:
	s_mov_b32 s70, -1
                                        ; implicit-def: $vgpr2_vgpr3
.LBB85_403:
	s_mov_b32 s6, 0
.LBB85_404:
	s_and_b32 vcc_lo, exec_lo, s6
	s_cbranch_vccz .LBB85_408
; %bb.405:
	s_cmp_eq_u32 s4, 29
	s_cbranch_scc0 .LBB85_407
; %bb.406:
	global_load_dwordx2 v[2:3], v[0:1], off
	s_mov_b32 s5, -1
	s_mov_b32 s70, 0
	s_mov_b32 s6, 0
	s_waitcnt vmcnt(0)
	v_cvt_f64_u32_e32 v[3:4], v3
	v_cvt_f64_u32_e32 v[5:6], v2
	v_ldexp_f64 v[3:4], v[3:4], 32
	v_add_f64 v[2:3], v[3:4], v[5:6]
	s_branch .LBB85_409
.LBB85_407:
	s_mov_b32 s70, -1
                                        ; implicit-def: $vgpr2_vgpr3
.LBB85_408:
	s_mov_b32 s6, 0
.LBB85_409:
	s_and_b32 vcc_lo, exec_lo, s6
	s_cbranch_vccz .LBB85_429
; %bb.410:
	s_cmp_lt_i32 s4, 27
	s_cbranch_scc1 .LBB85_413
; %bb.411:
	s_cmp_gt_i32 s4, 27
	s_cbranch_scc0 .LBB85_414
; %bb.412:
	global_load_dword v2, v[0:1], off
	s_mov_b32 s5, 0
	s_waitcnt vmcnt(0)
	v_cvt_f64_u32_e32 v[2:3], v2
	s_branch .LBB85_415
.LBB85_413:
	s_mov_b32 s5, -1
                                        ; implicit-def: $vgpr2_vgpr3
	s_branch .LBB85_418
.LBB85_414:
	s_mov_b32 s5, -1
                                        ; implicit-def: $vgpr2_vgpr3
.LBB85_415:
	s_andn2_b32 vcc_lo, exec_lo, s5
	s_cbranch_vccnz .LBB85_417
; %bb.416:
	global_load_ushort v2, v[0:1], off
	s_waitcnt vmcnt(0)
	v_cvt_f64_u32_e32 v[2:3], v2
.LBB85_417:
	s_mov_b32 s5, 0
.LBB85_418:
	s_andn2_b32 vcc_lo, exec_lo, s5
	s_cbranch_vccnz .LBB85_428
; %bb.419:
	global_load_ubyte v4, v[0:1], off
	s_mov_b32 s5, 0
	s_mov_b32 s6, exec_lo
	s_waitcnt vmcnt(0)
	v_cmpx_lt_i16_e32 0x7f, v4
	s_xor_b32 s6, exec_lo, s6
	s_cbranch_execz .LBB85_423
; %bb.420:
	s_mov_b32 s5, -1
	s_mov_b32 s7, exec_lo
	v_cmpx_eq_u16_e32 0x80, v4
; %bb.421:
	s_xor_b32 s5, exec_lo, -1
; %bb.422:
	s_or_b32 exec_lo, exec_lo, s7
	s_and_b32 s5, s5, exec_lo
.LBB85_423:
	s_or_saveexec_b32 s6, s6
	v_bfrev_b32_e32 v2, 4
	v_mov_b32_e32 v3, 0x7ff80000
	s_xor_b32 exec_lo, exec_lo, s6
; %bb.424:
	v_cmp_ne_u16_e32 vcc_lo, 0, v4
	v_mov_b32_e32 v2, 0
	v_mov_b32_e32 v3, 0
	s_andn2_b32 s5, s5, exec_lo
	s_and_b32 s7, vcc_lo, exec_lo
	s_or_b32 s5, s5, s7
; %bb.425:
	s_or_b32 exec_lo, exec_lo, s6
	s_and_saveexec_b32 s6, s5
	s_cbranch_execz .LBB85_427
; %bb.426:
	v_and_b32_e32 v2, 0xffff, v4
	v_lshlrev_b32_e32 v4, 24, v4
	v_and_b32_e32 v3, 7, v2
	v_bfe_u32 v7, v2, 3, 4
	v_ffbh_u32_e32 v5, v3
	v_cmp_eq_u32_e32 vcc_lo, 0, v7
	v_min_u32_e32 v5, 32, v5
	v_subrev_nc_u32_e32 v6, 28, v5
	v_sub_nc_u32_e32 v5, 29, v5
	v_lshlrev_b32_e32 v2, v6, v2
	v_cndmask_b32_e32 v5, v7, v5, vcc_lo
	v_and_b32_e32 v2, 7, v2
	v_cndmask_b32_e32 v2, v3, v2, vcc_lo
	v_and_b32_e32 v3, 0x80000000, v4
	v_lshl_add_u32 v4, v5, 23, 0x3b800000
	v_lshlrev_b32_e32 v2, 20, v2
	v_or3_b32 v2, v3, v4, v2
	v_cvt_f64_f32_e32 v[2:3], v2
.LBB85_427:
	s_or_b32 exec_lo, exec_lo, s6
.LBB85_428:
	s_mov_b32 s5, -1
.LBB85_429:
	s_mov_b32 s6, 0
.LBB85_430:
	s_and_b32 vcc_lo, exec_lo, s6
	s_cbranch_vccz .LBB85_463
; %bb.431:
	s_cmp_gt_i32 s4, 22
	s_cbranch_scc0 .LBB85_443
; %bb.432:
	s_cmp_lt_i32 s4, 24
	s_cbranch_scc1 .LBB85_444
; %bb.433:
	s_cmp_gt_i32 s4, 24
	s_cbranch_scc0 .LBB85_445
; %bb.434:
	global_load_ubyte v4, v[0:1], off
	s_mov_b32 s5, 0
	s_mov_b32 s6, exec_lo
	s_waitcnt vmcnt(0)
	v_cmpx_lt_i16_e32 0x7f, v4
	s_xor_b32 s6, exec_lo, s6
	s_cbranch_execz .LBB85_438
; %bb.435:
	s_mov_b32 s5, -1
	s_mov_b32 s7, exec_lo
	v_cmpx_eq_u16_e32 0x80, v4
; %bb.436:
	s_xor_b32 s5, exec_lo, -1
; %bb.437:
	s_or_b32 exec_lo, exec_lo, s7
	s_and_b32 s5, s5, exec_lo
.LBB85_438:
	s_or_saveexec_b32 s6, s6
	v_bfrev_b32_e32 v2, 4
	v_mov_b32_e32 v3, 0x7ff80000
	s_xor_b32 exec_lo, exec_lo, s6
; %bb.439:
	v_cmp_ne_u16_e32 vcc_lo, 0, v4
	v_mov_b32_e32 v2, 0
	v_mov_b32_e32 v3, 0
	s_andn2_b32 s5, s5, exec_lo
	s_and_b32 s7, vcc_lo, exec_lo
	s_or_b32 s5, s5, s7
; %bb.440:
	s_or_b32 exec_lo, exec_lo, s6
	s_and_saveexec_b32 s6, s5
	s_cbranch_execz .LBB85_442
; %bb.441:
	v_and_b32_e32 v2, 0xffff, v4
	v_lshlrev_b32_e32 v4, 24, v4
	v_and_b32_e32 v3, 3, v2
	v_bfe_u32 v7, v2, 2, 5
	v_ffbh_u32_e32 v5, v3
	v_cmp_eq_u32_e32 vcc_lo, 0, v7
	v_min_u32_e32 v5, 32, v5
	v_subrev_nc_u32_e32 v6, 29, v5
	v_sub_nc_u32_e32 v5, 30, v5
	v_lshlrev_b32_e32 v2, v6, v2
	v_cndmask_b32_e32 v5, v7, v5, vcc_lo
	v_and_b32_e32 v2, 3, v2
	v_cndmask_b32_e32 v2, v3, v2, vcc_lo
	v_and_b32_e32 v3, 0x80000000, v4
	v_lshl_add_u32 v4, v5, 23, 0x37800000
	v_lshlrev_b32_e32 v2, 21, v2
	v_or3_b32 v2, v3, v4, v2
	v_cvt_f64_f32_e32 v[2:3], v2
.LBB85_442:
	s_or_b32 exec_lo, exec_lo, s6
	s_mov_b32 s5, 0
	s_branch .LBB85_446
.LBB85_443:
	s_mov_b32 s6, -1
                                        ; implicit-def: $vgpr2_vgpr3
	s_branch .LBB85_452
.LBB85_444:
	s_mov_b32 s5, -1
                                        ; implicit-def: $vgpr2_vgpr3
	s_branch .LBB85_449
.LBB85_445:
	s_mov_b32 s5, -1
                                        ; implicit-def: $vgpr2_vgpr3
.LBB85_446:
	s_and_b32 vcc_lo, exec_lo, s5
	s_cbranch_vccz .LBB85_448
; %bb.447:
	global_load_ubyte v2, v[0:1], off
	s_waitcnt vmcnt(0)
	v_lshlrev_b32_e32 v2, 24, v2
	v_and_b32_e32 v3, 0x7f000000, v2
	v_ffbh_u32_e32 v4, v3
	v_add_nc_u32_e32 v6, 0x1000000, v3
	v_cmp_ne_u32_e32 vcc_lo, 0, v3
	v_min_u32_e32 v4, 32, v4
	v_sub_nc_u32_e64 v4, v4, 4 clamp
	v_lshlrev_b32_e32 v5, v4, v3
	v_lshlrev_b32_e32 v4, 23, v4
	v_lshrrev_b32_e32 v5, 4, v5
	v_sub_nc_u32_e32 v4, v5, v4
	v_ashrrev_i32_e32 v5, 8, v6
	v_add_nc_u32_e32 v4, 0x3c000000, v4
	v_and_or_b32 v4, 0x7f800000, v5, v4
	v_cndmask_b32_e32 v3, 0, v4, vcc_lo
	v_and_or_b32 v2, 0x80000000, v2, v3
	v_cvt_f64_f32_e32 v[2:3], v2
.LBB85_448:
	s_mov_b32 s5, 0
.LBB85_449:
	s_andn2_b32 vcc_lo, exec_lo, s5
	s_cbranch_vccnz .LBB85_451
; %bb.450:
	global_load_ubyte v2, v[0:1], off
	s_waitcnt vmcnt(0)
	v_lshlrev_b32_e32 v3, 25, v2
	v_lshlrev_b16 v2, 8, v2
	v_lshrrev_b32_e32 v4, 4, v3
	v_and_or_b32 v5, 0x7f00, v2, 0.5
	v_cmp_gt_u32_e32 vcc_lo, 0x8000000, v3
	v_bfe_i32 v2, v2, 0, 16
	v_or_b32_e32 v4, 0x70000000, v4
	v_add_f32_e32 v5, -0.5, v5
	v_mul_f32_e32 v4, 0x7800000, v4
	v_cndmask_b32_e32 v3, v4, v5, vcc_lo
	v_and_or_b32 v2, 0x80000000, v2, v3
	v_cvt_f64_f32_e32 v[2:3], v2
.LBB85_451:
	s_mov_b32 s6, 0
	s_mov_b32 s5, -1
.LBB85_452:
	s_andn2_b32 vcc_lo, exec_lo, s6
	s_cbranch_vccnz .LBB85_463
; %bb.453:
	s_cmp_gt_i32 s4, 14
	s_cbranch_scc0 .LBB85_456
; %bb.454:
	s_cmp_eq_u32 s4, 15
	s_cbranch_scc0 .LBB85_457
; %bb.455:
	global_load_ushort v2, v[0:1], off
	s_mov_b32 s5, -1
	s_mov_b32 s70, 0
	s_waitcnt vmcnt(0)
	v_lshlrev_b32_e32 v2, 16, v2
	v_cvt_f64_f32_e32 v[2:3], v2
	s_branch .LBB85_458
.LBB85_456:
	s_mov_b32 s6, -1
                                        ; implicit-def: $vgpr2_vgpr3
	s_branch .LBB85_459
.LBB85_457:
	s_mov_b32 s70, -1
                                        ; implicit-def: $vgpr2_vgpr3
.LBB85_458:
	s_mov_b32 s6, 0
.LBB85_459:
	s_and_b32 vcc_lo, exec_lo, s6
	s_cbranch_vccz .LBB85_463
; %bb.460:
	s_cmp_eq_u32 s4, 11
	s_cbranch_scc0 .LBB85_462
; %bb.461:
	global_load_ubyte v2, v[0:1], off
	s_mov_b32 s70, 0
	s_mov_b32 s5, -1
	s_waitcnt vmcnt(0)
	v_cmp_ne_u16_e32 vcc_lo, 0, v2
	v_mov_b32_e32 v2, 0
	v_cndmask_b32_e64 v3, 0, 0x3ff00000, vcc_lo
	s_branch .LBB85_463
.LBB85_462:
	s_mov_b32 s70, -1
                                        ; implicit-def: $vgpr2_vgpr3
.LBB85_463:
	s_branch .LBB85_265
.LBB85_464:
	s_cmp_lt_i32 s4, 5
	s_cbranch_scc1 .LBB85_469
; %bb.465:
	s_cmp_lt_i32 s4, 8
	s_cbranch_scc1 .LBB85_470
; %bb.466:
	;; [unrolled: 3-line block ×3, first 2 shown]
	s_cmp_gt_i32 s4, 9
	s_cbranch_scc0 .LBB85_472
; %bb.468:
	global_load_dwordx2 v[2:3], v[0:1], off
	s_mov_b32 s5, 0
	s_branch .LBB85_473
.LBB85_469:
	s_mov_b32 s5, -1
                                        ; implicit-def: $vgpr2_vgpr3
	s_branch .LBB85_491
.LBB85_470:
	s_mov_b32 s5, -1
                                        ; implicit-def: $vgpr2_vgpr3
	s_branch .LBB85_479
.LBB85_471:
	s_mov_b32 s5, -1
                                        ; implicit-def: $vgpr2_vgpr3
	s_branch .LBB85_476
.LBB85_472:
	s_mov_b32 s5, -1
                                        ; implicit-def: $vgpr2_vgpr3
.LBB85_473:
	s_andn2_b32 vcc_lo, exec_lo, s5
	s_cbranch_vccnz .LBB85_475
; %bb.474:
	global_load_dword v2, v[0:1], off
	s_waitcnt vmcnt(0)
	v_cvt_f64_f32_e32 v[2:3], v2
.LBB85_475:
	s_mov_b32 s5, 0
.LBB85_476:
	s_andn2_b32 vcc_lo, exec_lo, s5
	s_cbranch_vccnz .LBB85_478
; %bb.477:
	global_load_dword v2, v[0:1], off
	s_waitcnt vmcnt(0)
	v_cvt_f32_f16_e32 v2, v2
	v_cvt_f64_f32_e32 v[2:3], v2
.LBB85_478:
	s_mov_b32 s5, 0
.LBB85_479:
	s_andn2_b32 vcc_lo, exec_lo, s5
	s_cbranch_vccnz .LBB85_490
; %bb.480:
	s_cmp_lt_i32 s4, 6
	s_cbranch_scc1 .LBB85_483
; %bb.481:
	s_cmp_gt_i32 s4, 6
	s_cbranch_scc0 .LBB85_484
; %bb.482:
	global_load_dwordx2 v[2:3], v[0:1], off
	s_mov_b32 s5, 0
	s_branch .LBB85_485
.LBB85_483:
	s_mov_b32 s5, -1
                                        ; implicit-def: $vgpr2_vgpr3
	s_branch .LBB85_488
.LBB85_484:
	s_mov_b32 s5, -1
                                        ; implicit-def: $vgpr2_vgpr3
.LBB85_485:
	s_andn2_b32 vcc_lo, exec_lo, s5
	s_cbranch_vccnz .LBB85_487
; %bb.486:
	global_load_dword v2, v[0:1], off
	s_waitcnt vmcnt(0)
	v_cvt_f64_f32_e32 v[2:3], v2
.LBB85_487:
	s_mov_b32 s5, 0
.LBB85_488:
	s_andn2_b32 vcc_lo, exec_lo, s5
	s_cbranch_vccnz .LBB85_490
; %bb.489:
	global_load_ushort v2, v[0:1], off
	s_waitcnt vmcnt(0)
	v_cvt_f32_f16_e32 v2, v2
	v_cvt_f64_f32_e32 v[2:3], v2
.LBB85_490:
	s_mov_b32 s5, 0
.LBB85_491:
	s_andn2_b32 vcc_lo, exec_lo, s5
	s_cbranch_vccnz .LBB85_511
; %bb.492:
	s_cmp_lt_i32 s4, 2
	s_cbranch_scc1 .LBB85_496
; %bb.493:
	s_cmp_lt_i32 s4, 3
	s_cbranch_scc1 .LBB85_497
; %bb.494:
	s_cmp_gt_i32 s4, 3
	s_cbranch_scc0 .LBB85_498
; %bb.495:
	global_load_dwordx2 v[2:3], v[0:1], off
	s_mov_b32 s5, 0
	s_waitcnt vmcnt(0)
	v_cvt_f64_i32_e32 v[3:4], v3
	v_cvt_f64_u32_e32 v[5:6], v2
	v_ldexp_f64 v[3:4], v[3:4], 32
	v_add_f64 v[2:3], v[3:4], v[5:6]
	s_branch .LBB85_499
.LBB85_496:
	s_mov_b32 s5, -1
                                        ; implicit-def: $vgpr2_vgpr3
	s_branch .LBB85_505
.LBB85_497:
	s_mov_b32 s5, -1
                                        ; implicit-def: $vgpr2_vgpr3
	s_branch .LBB85_502
.LBB85_498:
	s_mov_b32 s5, -1
                                        ; implicit-def: $vgpr2_vgpr3
.LBB85_499:
	s_andn2_b32 vcc_lo, exec_lo, s5
	s_cbranch_vccnz .LBB85_501
; %bb.500:
	global_load_dword v2, v[0:1], off
	s_waitcnt vmcnt(0)
	v_cvt_f64_i32_e32 v[2:3], v2
.LBB85_501:
	s_mov_b32 s5, 0
.LBB85_502:
	s_andn2_b32 vcc_lo, exec_lo, s5
	s_cbranch_vccnz .LBB85_504
; %bb.503:
	global_load_sshort v2, v[0:1], off
	s_waitcnt vmcnt(0)
	v_cvt_f64_i32_e32 v[2:3], v2
.LBB85_504:
	s_mov_b32 s5, 0
.LBB85_505:
	s_andn2_b32 vcc_lo, exec_lo, s5
	s_cbranch_vccnz .LBB85_511
; %bb.506:
	s_cmp_gt_i32 s4, 0
	s_mov_b32 s4, 0
	s_cbranch_scc0 .LBB85_508
; %bb.507:
	global_load_sbyte v2, v[0:1], off
	s_waitcnt vmcnt(0)
	v_cvt_f64_i32_e32 v[2:3], v2
	s_branch .LBB85_509
.LBB85_508:
	s_mov_b32 s4, -1
                                        ; implicit-def: $vgpr2_vgpr3
.LBB85_509:
	s_andn2_b32 vcc_lo, exec_lo, s4
	s_cbranch_vccnz .LBB85_511
; %bb.510:
	global_load_ubyte v0, v[0:1], off
	s_waitcnt vmcnt(0)
	v_cvt_f64_u32_e32 v[2:3], v0
.LBB85_511:
	s_branch .LBB85_266
.LBB85_512:
	s_mov_b32 s5, 0
	s_mov_b32 s4, s66
.LBB85_513:
                                        ; implicit-def: $vgpr47
.LBB85_514:
	s_andn2_b32 s6, s66, exec_lo
	s_and_b32 s4, s4, exec_lo
	s_andn2_b32 s7, s68, exec_lo
	s_and_b32 s8, s70, exec_lo
	s_or_b32 s71, s6, s4
	s_or_b32 s70, s7, s8
	s_orn2_b32 s4, s5, exec_lo
.LBB85_515:
	s_or_b32 exec_lo, exec_lo, s80
	s_mov_b32 s5, 0
	s_mov_b32 s6, 0
	;; [unrolled: 1-line block ×3, first 2 shown]
                                        ; implicit-def: $vgpr0_vgpr1
                                        ; implicit-def: $vgpr2_vgpr3
	s_and_saveexec_b32 s80, s4
	s_cbranch_execz .LBB85_862
; %bb.516:
	s_mov_b32 s10, -1
	s_mov_b32 s4, s70
	s_mov_b32 s5, s71
	s_mov_b32 s81, exec_lo
	v_cmpx_gt_i32_e64 s67, v47
	s_cbranch_execz .LBB85_776
; %bb.517:
	v_mul_lo_u32 v0, v47, s53
	s_and_b32 s4, 0xffff, s64
	s_cmp_lt_i32 s4, 11
	v_ashrrev_i32_e32 v1, 31, v0
	v_add_co_u32 v0, vcc_lo, s50, v0
	v_add_co_ci_u32_e64 v1, null, s51, v1, vcc_lo
	s_cbranch_scc1 .LBB85_524
; %bb.518:
	s_cmp_gt_i32 s4, 25
	s_cbranch_scc0 .LBB85_525
; %bb.519:
	s_cmp_gt_i32 s4, 28
	s_cbranch_scc0 .LBB85_526
	;; [unrolled: 3-line block ×4, first 2 shown]
; %bb.522:
	s_cmp_eq_u32 s4, 46
	s_cbranch_scc0 .LBB85_533
; %bb.523:
	global_load_dword v2, v[0:1], off
	s_mov_b32 s5, -1
	s_mov_b32 s82, 0
	s_waitcnt vmcnt(0)
	v_lshlrev_b32_e32 v2, 16, v2
	v_cvt_f64_f32_e32 v[2:3], v2
	s_branch .LBB85_535
.LBB85_524:
	s_mov_b32 s6, -1
	s_mov_b32 s5, 0
	s_mov_b32 s82, s70
                                        ; implicit-def: $vgpr2_vgpr3
	s_branch .LBB85_600
.LBB85_525:
	s_mov_b32 s6, -1
	s_mov_b32 s5, 0
	s_mov_b32 s82, s70
                                        ; implicit-def: $vgpr2_vgpr3
	s_branch .LBB85_566
.LBB85_526:
	s_mov_b32 s6, -1
	s_mov_b32 s5, 0
	s_mov_b32 s82, s70
                                        ; implicit-def: $vgpr2_vgpr3
	s_branch .LBB85_545
.LBB85_527:
	s_mov_b32 s6, -1
	s_mov_b32 s5, 0
	s_mov_b32 s82, s70
                                        ; implicit-def: $vgpr2_vgpr3
	s_branch .LBB85_540
.LBB85_528:
	s_andn2_saveexec_b32 s9, s9
	s_cbranch_execz .LBB85_312
.LBB85_529:
	v_add_f32_e64 v3, 0x46000000, |v2|
	s_andn2_b32 s8, s8, exec_lo
	v_and_b32_e32 v3, 0xff, v3
	v_cmp_ne_u32_e32 vcc_lo, 0, v3
	s_and_b32 s10, vcc_lo, exec_lo
	s_or_b32 s8, s8, s10
	s_or_b32 exec_lo, exec_lo, s9
	v_mov_b32_e32 v6, 0
	s_and_saveexec_b32 s9, s8
	s_cbranch_execnz .LBB85_313
	s_branch .LBB85_314
.LBB85_530:
	s_mov_b32 s6, -1
	s_mov_b32 s5, 0
	s_mov_b32 s82, s70
	s_branch .LBB85_534
.LBB85_531:
	s_andn2_saveexec_b32 s9, s9
	s_cbranch_execz .LBB85_325
.LBB85_532:
	v_add_f32_e64 v3, 0x42800000, |v2|
	s_andn2_b32 s8, s8, exec_lo
	v_and_b32_e32 v3, 0xff, v3
	v_cmp_ne_u32_e32 vcc_lo, 0, v3
	s_and_b32 s10, vcc_lo, exec_lo
	s_or_b32 s8, s8, s10
	s_or_b32 exec_lo, exec_lo, s9
	v_mov_b32_e32 v6, 0
	s_and_saveexec_b32 s9, s8
	s_cbranch_execnz .LBB85_326
	s_branch .LBB85_327
.LBB85_533:
	s_mov_b32 s82, -1
	s_mov_b32 s5, 0
.LBB85_534:
                                        ; implicit-def: $vgpr2_vgpr3
.LBB85_535:
	s_and_b32 vcc_lo, exec_lo, s6
	s_cbranch_vccz .LBB85_539
; %bb.536:
	s_cmp_eq_u32 s4, 44
	s_cbranch_scc0 .LBB85_538
; %bb.537:
	global_load_ubyte v4, v[0:1], off
	s_mov_b32 s82, 0
	s_mov_b32 s5, -1
	s_waitcnt vmcnt(0)
	v_lshlrev_b32_e32 v2, 23, v4
	v_cmp_ne_u32_e32 vcc_lo, 0xff, v4
	v_cvt_f64_f32_e32 v[2:3], v2
	v_cndmask_b32_e32 v2, 0x20000000, v2, vcc_lo
	v_cndmask_b32_e32 v3, 0x7ff80000, v3, vcc_lo
	v_cmp_ne_u32_e32 vcc_lo, 0, v4
	v_cndmask_b32_e32 v3, 0x38000000, v3, vcc_lo
	v_cndmask_b32_e32 v2, 0, v2, vcc_lo
	s_branch .LBB85_539
.LBB85_538:
	s_mov_b32 s82, -1
                                        ; implicit-def: $vgpr2_vgpr3
.LBB85_539:
	s_mov_b32 s6, 0
.LBB85_540:
	s_and_b32 vcc_lo, exec_lo, s6
	s_cbranch_vccz .LBB85_544
; %bb.541:
	s_cmp_eq_u32 s4, 29
	s_cbranch_scc0 .LBB85_543
; %bb.542:
	global_load_dwordx2 v[2:3], v[0:1], off
	s_mov_b32 s5, -1
	s_mov_b32 s82, 0
	s_mov_b32 s6, 0
	s_waitcnt vmcnt(0)
	v_cvt_f64_u32_e32 v[3:4], v3
	v_cvt_f64_u32_e32 v[5:6], v2
	v_ldexp_f64 v[3:4], v[3:4], 32
	v_add_f64 v[2:3], v[3:4], v[5:6]
	s_branch .LBB85_545
.LBB85_543:
	s_mov_b32 s82, -1
                                        ; implicit-def: $vgpr2_vgpr3
.LBB85_544:
	s_mov_b32 s6, 0
.LBB85_545:
	s_and_b32 vcc_lo, exec_lo, s6
	s_cbranch_vccz .LBB85_565
; %bb.546:
	s_cmp_lt_i32 s4, 27
	s_cbranch_scc1 .LBB85_549
; %bb.547:
	s_cmp_gt_i32 s4, 27
	s_cbranch_scc0 .LBB85_550
; %bb.548:
	global_load_dword v2, v[0:1], off
	s_mov_b32 s5, 0
	s_waitcnt vmcnt(0)
	v_cvt_f64_u32_e32 v[2:3], v2
	s_branch .LBB85_551
.LBB85_549:
	s_mov_b32 s5, -1
                                        ; implicit-def: $vgpr2_vgpr3
	s_branch .LBB85_554
.LBB85_550:
	s_mov_b32 s5, -1
                                        ; implicit-def: $vgpr2_vgpr3
.LBB85_551:
	s_andn2_b32 vcc_lo, exec_lo, s5
	s_cbranch_vccnz .LBB85_553
; %bb.552:
	global_load_ushort v2, v[0:1], off
	s_waitcnt vmcnt(0)
	v_cvt_f64_u32_e32 v[2:3], v2
.LBB85_553:
	s_mov_b32 s5, 0
.LBB85_554:
	s_andn2_b32 vcc_lo, exec_lo, s5
	s_cbranch_vccnz .LBB85_564
; %bb.555:
	global_load_ubyte v4, v[0:1], off
	s_mov_b32 s5, 0
	s_mov_b32 s6, exec_lo
	s_waitcnt vmcnt(0)
	v_cmpx_lt_i16_e32 0x7f, v4
	s_xor_b32 s6, exec_lo, s6
	s_cbranch_execz .LBB85_559
; %bb.556:
	s_mov_b32 s5, -1
	s_mov_b32 s7, exec_lo
	v_cmpx_eq_u16_e32 0x80, v4
; %bb.557:
	s_xor_b32 s5, exec_lo, -1
; %bb.558:
	s_or_b32 exec_lo, exec_lo, s7
	s_and_b32 s5, s5, exec_lo
.LBB85_559:
	s_or_saveexec_b32 s6, s6
	v_bfrev_b32_e32 v2, 4
	v_mov_b32_e32 v3, 0x7ff80000
	s_xor_b32 exec_lo, exec_lo, s6
; %bb.560:
	v_cmp_ne_u16_e32 vcc_lo, 0, v4
	v_mov_b32_e32 v2, 0
	v_mov_b32_e32 v3, 0
	s_andn2_b32 s5, s5, exec_lo
	s_and_b32 s7, vcc_lo, exec_lo
	s_or_b32 s5, s5, s7
; %bb.561:
	s_or_b32 exec_lo, exec_lo, s6
	s_and_saveexec_b32 s6, s5
	s_cbranch_execz .LBB85_563
; %bb.562:
	v_and_b32_e32 v2, 0xffff, v4
	v_lshlrev_b32_e32 v4, 24, v4
	v_and_b32_e32 v3, 7, v2
	v_bfe_u32 v7, v2, 3, 4
	v_ffbh_u32_e32 v5, v3
	v_cmp_eq_u32_e32 vcc_lo, 0, v7
	v_min_u32_e32 v5, 32, v5
	v_subrev_nc_u32_e32 v6, 28, v5
	v_sub_nc_u32_e32 v5, 29, v5
	v_lshlrev_b32_e32 v2, v6, v2
	v_cndmask_b32_e32 v5, v7, v5, vcc_lo
	v_and_b32_e32 v2, 7, v2
	v_cndmask_b32_e32 v2, v3, v2, vcc_lo
	v_and_b32_e32 v3, 0x80000000, v4
	v_lshl_add_u32 v4, v5, 23, 0x3b800000
	v_lshlrev_b32_e32 v2, 20, v2
	v_or3_b32 v2, v3, v4, v2
	v_cvt_f64_f32_e32 v[2:3], v2
.LBB85_563:
	s_or_b32 exec_lo, exec_lo, s6
.LBB85_564:
	s_mov_b32 s5, -1
.LBB85_565:
	s_mov_b32 s6, 0
.LBB85_566:
	s_and_b32 vcc_lo, exec_lo, s6
	s_cbranch_vccz .LBB85_599
; %bb.567:
	s_cmp_gt_i32 s4, 22
	s_cbranch_scc0 .LBB85_579
; %bb.568:
	s_cmp_lt_i32 s4, 24
	s_cbranch_scc1 .LBB85_580
; %bb.569:
	s_cmp_gt_i32 s4, 24
	s_cbranch_scc0 .LBB85_581
; %bb.570:
	global_load_ubyte v4, v[0:1], off
	s_mov_b32 s5, 0
	s_mov_b32 s6, exec_lo
	s_waitcnt vmcnt(0)
	v_cmpx_lt_i16_e32 0x7f, v4
	s_xor_b32 s6, exec_lo, s6
	s_cbranch_execz .LBB85_574
; %bb.571:
	s_mov_b32 s5, -1
	s_mov_b32 s7, exec_lo
	v_cmpx_eq_u16_e32 0x80, v4
; %bb.572:
	s_xor_b32 s5, exec_lo, -1
; %bb.573:
	s_or_b32 exec_lo, exec_lo, s7
	s_and_b32 s5, s5, exec_lo
.LBB85_574:
	s_or_saveexec_b32 s6, s6
	v_bfrev_b32_e32 v2, 4
	v_mov_b32_e32 v3, 0x7ff80000
	s_xor_b32 exec_lo, exec_lo, s6
; %bb.575:
	v_cmp_ne_u16_e32 vcc_lo, 0, v4
	v_mov_b32_e32 v2, 0
	v_mov_b32_e32 v3, 0
	s_andn2_b32 s5, s5, exec_lo
	s_and_b32 s7, vcc_lo, exec_lo
	s_or_b32 s5, s5, s7
; %bb.576:
	s_or_b32 exec_lo, exec_lo, s6
	s_and_saveexec_b32 s6, s5
	s_cbranch_execz .LBB85_578
; %bb.577:
	v_and_b32_e32 v2, 0xffff, v4
	v_lshlrev_b32_e32 v4, 24, v4
	v_and_b32_e32 v3, 3, v2
	v_bfe_u32 v7, v2, 2, 5
	v_ffbh_u32_e32 v5, v3
	v_cmp_eq_u32_e32 vcc_lo, 0, v7
	v_min_u32_e32 v5, 32, v5
	v_subrev_nc_u32_e32 v6, 29, v5
	v_sub_nc_u32_e32 v5, 30, v5
	v_lshlrev_b32_e32 v2, v6, v2
	v_cndmask_b32_e32 v5, v7, v5, vcc_lo
	v_and_b32_e32 v2, 3, v2
	v_cndmask_b32_e32 v2, v3, v2, vcc_lo
	v_and_b32_e32 v3, 0x80000000, v4
	v_lshl_add_u32 v4, v5, 23, 0x37800000
	v_lshlrev_b32_e32 v2, 21, v2
	v_or3_b32 v2, v3, v4, v2
	v_cvt_f64_f32_e32 v[2:3], v2
.LBB85_578:
	s_or_b32 exec_lo, exec_lo, s6
	s_mov_b32 s5, 0
	s_branch .LBB85_582
.LBB85_579:
	s_mov_b32 s6, -1
                                        ; implicit-def: $vgpr2_vgpr3
	s_branch .LBB85_588
.LBB85_580:
	s_mov_b32 s5, -1
                                        ; implicit-def: $vgpr2_vgpr3
	s_branch .LBB85_585
.LBB85_581:
	s_mov_b32 s5, -1
                                        ; implicit-def: $vgpr2_vgpr3
.LBB85_582:
	s_and_b32 vcc_lo, exec_lo, s5
	s_cbranch_vccz .LBB85_584
; %bb.583:
	global_load_ubyte v2, v[0:1], off
	s_waitcnt vmcnt(0)
	v_lshlrev_b32_e32 v2, 24, v2
	v_and_b32_e32 v3, 0x7f000000, v2
	v_ffbh_u32_e32 v4, v3
	v_add_nc_u32_e32 v6, 0x1000000, v3
	v_cmp_ne_u32_e32 vcc_lo, 0, v3
	v_min_u32_e32 v4, 32, v4
	v_sub_nc_u32_e64 v4, v4, 4 clamp
	v_lshlrev_b32_e32 v5, v4, v3
	v_lshlrev_b32_e32 v4, 23, v4
	v_lshrrev_b32_e32 v5, 4, v5
	v_sub_nc_u32_e32 v4, v5, v4
	v_ashrrev_i32_e32 v5, 8, v6
	v_add_nc_u32_e32 v4, 0x3c000000, v4
	v_and_or_b32 v4, 0x7f800000, v5, v4
	v_cndmask_b32_e32 v3, 0, v4, vcc_lo
	v_and_or_b32 v2, 0x80000000, v2, v3
	v_cvt_f64_f32_e32 v[2:3], v2
.LBB85_584:
	s_mov_b32 s5, 0
.LBB85_585:
	s_andn2_b32 vcc_lo, exec_lo, s5
	s_cbranch_vccnz .LBB85_587
; %bb.586:
	global_load_ubyte v2, v[0:1], off
	s_waitcnt vmcnt(0)
	v_lshlrev_b32_e32 v3, 25, v2
	v_lshlrev_b16 v2, 8, v2
	v_lshrrev_b32_e32 v4, 4, v3
	v_and_or_b32 v5, 0x7f00, v2, 0.5
	v_cmp_gt_u32_e32 vcc_lo, 0x8000000, v3
	v_bfe_i32 v2, v2, 0, 16
	v_or_b32_e32 v4, 0x70000000, v4
	v_add_f32_e32 v5, -0.5, v5
	v_mul_f32_e32 v4, 0x7800000, v4
	v_cndmask_b32_e32 v3, v4, v5, vcc_lo
	v_and_or_b32 v2, 0x80000000, v2, v3
	v_cvt_f64_f32_e32 v[2:3], v2
.LBB85_587:
	s_mov_b32 s6, 0
	s_mov_b32 s5, -1
.LBB85_588:
	s_andn2_b32 vcc_lo, exec_lo, s6
	s_cbranch_vccnz .LBB85_599
; %bb.589:
	s_cmp_gt_i32 s4, 14
	s_cbranch_scc0 .LBB85_592
; %bb.590:
	s_cmp_eq_u32 s4, 15
	s_cbranch_scc0 .LBB85_593
; %bb.591:
	global_load_ushort v2, v[0:1], off
	s_mov_b32 s5, -1
	s_mov_b32 s82, 0
	s_waitcnt vmcnt(0)
	v_lshlrev_b32_e32 v2, 16, v2
	v_cvt_f64_f32_e32 v[2:3], v2
	s_branch .LBB85_594
.LBB85_592:
	s_mov_b32 s6, -1
                                        ; implicit-def: $vgpr2_vgpr3
	s_branch .LBB85_595
.LBB85_593:
	s_mov_b32 s82, -1
                                        ; implicit-def: $vgpr2_vgpr3
.LBB85_594:
	s_mov_b32 s6, 0
.LBB85_595:
	s_and_b32 vcc_lo, exec_lo, s6
	s_cbranch_vccz .LBB85_599
; %bb.596:
	s_cmp_eq_u32 s4, 11
	s_cbranch_scc0 .LBB85_598
; %bb.597:
	global_load_ubyte v2, v[0:1], off
	s_mov_b32 s82, 0
	s_mov_b32 s5, -1
	s_waitcnt vmcnt(0)
	v_cmp_ne_u16_e32 vcc_lo, 0, v2
	v_mov_b32_e32 v2, 0
	v_cndmask_b32_e64 v3, 0, 0x3ff00000, vcc_lo
	s_branch .LBB85_599
.LBB85_598:
	s_mov_b32 s82, -1
                                        ; implicit-def: $vgpr2_vgpr3
.LBB85_599:
	s_mov_b32 s6, 0
.LBB85_600:
	s_and_b32 vcc_lo, exec_lo, s6
	s_cbranch_vccz .LBB85_649
; %bb.601:
	s_cmp_lt_i32 s4, 5
	s_cbranch_scc1 .LBB85_606
; %bb.602:
	s_cmp_lt_i32 s4, 8
	s_cbranch_scc1 .LBB85_607
	;; [unrolled: 3-line block ×3, first 2 shown]
; %bb.604:
	s_cmp_gt_i32 s4, 9
	s_cbranch_scc0 .LBB85_609
; %bb.605:
	global_load_dwordx2 v[2:3], v[0:1], off
	s_mov_b32 s5, 0
	s_branch .LBB85_610
.LBB85_606:
	s_mov_b32 s5, -1
                                        ; implicit-def: $vgpr2_vgpr3
	s_branch .LBB85_628
.LBB85_607:
	s_mov_b32 s5, -1
                                        ; implicit-def: $vgpr2_vgpr3
	s_branch .LBB85_616
.LBB85_608:
	s_mov_b32 s5, -1
                                        ; implicit-def: $vgpr2_vgpr3
	s_branch .LBB85_613
.LBB85_609:
	s_mov_b32 s5, -1
                                        ; implicit-def: $vgpr2_vgpr3
.LBB85_610:
	s_andn2_b32 vcc_lo, exec_lo, s5
	s_cbranch_vccnz .LBB85_612
; %bb.611:
	global_load_dword v2, v[0:1], off
	s_waitcnt vmcnt(0)
	v_cvt_f64_f32_e32 v[2:3], v2
.LBB85_612:
	s_mov_b32 s5, 0
.LBB85_613:
	s_andn2_b32 vcc_lo, exec_lo, s5
	s_cbranch_vccnz .LBB85_615
; %bb.614:
	global_load_dword v2, v[0:1], off
	s_waitcnt vmcnt(0)
	v_cvt_f32_f16_e32 v2, v2
	v_cvt_f64_f32_e32 v[2:3], v2
.LBB85_615:
	s_mov_b32 s5, 0
.LBB85_616:
	s_andn2_b32 vcc_lo, exec_lo, s5
	s_cbranch_vccnz .LBB85_627
; %bb.617:
	s_cmp_lt_i32 s4, 6
	s_cbranch_scc1 .LBB85_620
; %bb.618:
	s_cmp_gt_i32 s4, 6
	s_cbranch_scc0 .LBB85_621
; %bb.619:
	global_load_dwordx2 v[2:3], v[0:1], off
	s_mov_b32 s5, 0
	s_branch .LBB85_622
.LBB85_620:
	s_mov_b32 s5, -1
                                        ; implicit-def: $vgpr2_vgpr3
	s_branch .LBB85_625
.LBB85_621:
	s_mov_b32 s5, -1
                                        ; implicit-def: $vgpr2_vgpr3
.LBB85_622:
	s_andn2_b32 vcc_lo, exec_lo, s5
	s_cbranch_vccnz .LBB85_624
; %bb.623:
	global_load_dword v2, v[0:1], off
	s_waitcnt vmcnt(0)
	v_cvt_f64_f32_e32 v[2:3], v2
.LBB85_624:
	s_mov_b32 s5, 0
.LBB85_625:
	s_andn2_b32 vcc_lo, exec_lo, s5
	s_cbranch_vccnz .LBB85_627
; %bb.626:
	global_load_ushort v2, v[0:1], off
	s_waitcnt vmcnt(0)
	v_cvt_f32_f16_e32 v2, v2
	v_cvt_f64_f32_e32 v[2:3], v2
.LBB85_627:
	s_mov_b32 s5, 0
.LBB85_628:
	s_andn2_b32 vcc_lo, exec_lo, s5
	s_cbranch_vccnz .LBB85_648
; %bb.629:
	s_cmp_lt_i32 s4, 2
	s_cbranch_scc1 .LBB85_633
; %bb.630:
	s_cmp_lt_i32 s4, 3
	s_cbranch_scc1 .LBB85_634
; %bb.631:
	s_cmp_gt_i32 s4, 3
	s_cbranch_scc0 .LBB85_635
; %bb.632:
	global_load_dwordx2 v[2:3], v[0:1], off
	s_mov_b32 s5, 0
	s_waitcnt vmcnt(0)
	v_cvt_f64_i32_e32 v[3:4], v3
	v_cvt_f64_u32_e32 v[5:6], v2
	v_ldexp_f64 v[3:4], v[3:4], 32
	v_add_f64 v[2:3], v[3:4], v[5:6]
	s_branch .LBB85_636
.LBB85_633:
	s_mov_b32 s5, -1
                                        ; implicit-def: $vgpr2_vgpr3
	s_branch .LBB85_642
.LBB85_634:
	s_mov_b32 s5, -1
                                        ; implicit-def: $vgpr2_vgpr3
	s_branch .LBB85_639
.LBB85_635:
	s_mov_b32 s5, -1
                                        ; implicit-def: $vgpr2_vgpr3
.LBB85_636:
	s_andn2_b32 vcc_lo, exec_lo, s5
	s_cbranch_vccnz .LBB85_638
; %bb.637:
	global_load_dword v2, v[0:1], off
	s_waitcnt vmcnt(0)
	v_cvt_f64_i32_e32 v[2:3], v2
.LBB85_638:
	s_mov_b32 s5, 0
.LBB85_639:
	s_andn2_b32 vcc_lo, exec_lo, s5
	s_cbranch_vccnz .LBB85_641
; %bb.640:
	global_load_sshort v2, v[0:1], off
	s_waitcnt vmcnt(0)
	v_cvt_f64_i32_e32 v[2:3], v2
.LBB85_641:
	s_mov_b32 s5, 0
.LBB85_642:
	s_andn2_b32 vcc_lo, exec_lo, s5
	s_cbranch_vccnz .LBB85_648
; %bb.643:
	s_cmp_gt_i32 s4, 0
	s_mov_b32 s4, 0
	s_cbranch_scc0 .LBB85_645
; %bb.644:
	global_load_sbyte v2, v[0:1], off
	s_waitcnt vmcnt(0)
	v_cvt_f64_i32_e32 v[2:3], v2
	s_branch .LBB85_646
.LBB85_645:
	s_mov_b32 s4, -1
                                        ; implicit-def: $vgpr2_vgpr3
.LBB85_646:
	s_andn2_b32 vcc_lo, exec_lo, s4
	s_cbranch_vccnz .LBB85_648
; %bb.647:
	global_load_ubyte v0, v[0:1], off
	s_waitcnt vmcnt(0)
	v_cvt_f64_u32_e32 v[2:3], v0
.LBB85_648:
	s_mov_b32 s5, -1
.LBB85_649:
	s_andn2_b32 vcc_lo, exec_lo, s5
	s_cbranch_vccnz .LBB85_657
; %bb.650:
	v_mov_b32_e32 v0, s54
	v_mov_b32_e32 v1, s55
	s_getpc_b64 s[4:5]
	s_add_u32 s4, s4, _ZZZZN2at6native21polygamma_kernel_cudaERNS_18TensorIteratorBaseElENKUlvE_clEvENKUlvE_clEvENKUldE_clEd@rel32@lo+4
	s_addc_u32 s5, s5, _ZZZZN2at6native21polygamma_kernel_cudaERNS_18TensorIteratorBaseElENKUlvE_clEvENKUlvE_clEvENKUldE_clEd@rel32@hi+12
	s_swappc_b64 s[30:31], s[4:5]
	v_mul_lo_u32 v2, v47, s52
	s_and_b32 s5, s33, 0xff
	s_cmp_lt_i32 s5, 11
	v_ashrrev_i32_e32 v3, 31, v2
	v_add_co_u32 v4, vcc_lo, s48, v2
	v_add_co_ci_u32_e64 v5, null, s49, v3, vcc_lo
	s_cbranch_scc1 .LBB85_658
; %bb.651:
	s_and_b32 s6, 0xffff, s5
	s_cmp_gt_i32 s6, 25
	s_cbranch_scc0 .LBB85_659
; %bb.652:
	s_cmp_gt_i32 s6, 28
	s_cbranch_scc0 .LBB85_660
; %bb.653:
	;; [unrolled: 3-line block ×4, first 2 shown]
	s_mov_b32 s8, 0
	s_mov_b32 s4, -1
	s_cmp_eq_u32 s6, 46
	s_mov_b32 s7, 0
	s_cbranch_scc0 .LBB85_663
; %bb.656:
	v_cvt_f32_f64_e32 v2, v[0:1]
	s_mov_b32 s7, -1
	s_mov_b32 s4, 0
	v_bfe_u32 v3, v2, 16, 1
	v_cmp_o_f32_e32 vcc_lo, v2, v2
	v_add3_u32 v2, v2, v3, 0x7fff
	v_mov_b32_e32 v3, 0x7fc0
	v_cndmask_b32_sdwa v2, v3, v2, vcc_lo dst_sel:DWORD dst_unused:UNUSED_PAD src0_sel:DWORD src1_sel:WORD_1
	global_store_dword v[4:5], v2, off
	s_branch .LBB85_663
.LBB85_657:
	s_mov_b32 s6, 0
	s_mov_b32 s4, s71
	s_branch .LBB85_774
.LBB85_658:
	s_mov_b32 s6, -1
	s_mov_b32 s7, 0
	s_mov_b32 s4, s71
	s_branch .LBB85_732
.LBB85_659:
	s_mov_b32 s8, -1
	s_mov_b32 s7, 0
	s_mov_b32 s4, s71
	s_branch .LBB85_690
.LBB85_660:
	s_mov_b32 s8, -1
	s_mov_b32 s7, 0
	s_mov_b32 s4, s71
	s_branch .LBB85_673
.LBB85_661:
	s_mov_b32 s8, -1
	s_mov_b32 s7, 0
	s_mov_b32 s4, s71
	s_branch .LBB85_669
.LBB85_662:
	s_mov_b32 s8, -1
	s_mov_b32 s7, 0
	s_mov_b32 s4, s71
.LBB85_663:
	s_and_b32 vcc_lo, exec_lo, s8
	s_cbranch_vccz .LBB85_668
; %bb.664:
	s_cmp_eq_u32 s6, 44
	s_mov_b32 s4, -1
	s_cbranch_scc0 .LBB85_668
; %bb.665:
	v_cvt_f32_f64_e32 v2, v[0:1]
	v_mov_b32_e32 v3, 0xff
	s_mov_b32 s7, exec_lo
	v_bfe_u32 v6, v2, 23, 8
	v_cmpx_ne_u32_e32 0xff, v6
	s_cbranch_execz .LBB85_667
; %bb.666:
	v_and_b32_e32 v3, 0x400000, v2
	v_and_or_b32 v6, 0x3fffff, v2, v6
	v_lshrrev_b32_e32 v2, 23, v2
	v_cmp_ne_u32_e32 vcc_lo, 0, v3
	v_cmp_ne_u32_e64 s4, 0, v6
	s_and_b32 s4, vcc_lo, s4
	v_cndmask_b32_e64 v3, 0, 1, s4
	v_add_nc_u32_e32 v3, v2, v3
.LBB85_667:
	s_or_b32 exec_lo, exec_lo, s7
	s_mov_b32 s7, -1
	s_mov_b32 s4, 0
	global_store_byte v[4:5], v3, off
.LBB85_668:
	s_mov_b32 s8, 0
.LBB85_669:
	s_and_b32 vcc_lo, exec_lo, s8
	s_cbranch_vccz .LBB85_672
; %bb.670:
	s_cmp_eq_u32 s6, 29
	s_mov_b32 s4, -1
	s_cbranch_scc0 .LBB85_672
; %bb.671:
	v_trunc_f64_e32 v[2:3], v[0:1]
	s_mov_b32 s7, -1
	s_mov_b32 s4, 0
	s_mov_b32 s8, 0
	v_ldexp_f64 v[6:7], v[2:3], 0xffffffe0
	v_floor_f64_e32 v[6:7], v[6:7]
	v_fma_f64 v[2:3], 0xc1f00000, v[6:7], v[2:3]
	v_cvt_u32_f64_e32 v7, v[6:7]
	v_cvt_u32_f64_e32 v6, v[2:3]
	global_store_dwordx2 v[4:5], v[6:7], off
	s_branch .LBB85_673
.LBB85_672:
	s_mov_b32 s8, 0
.LBB85_673:
	s_and_b32 vcc_lo, exec_lo, s8
	s_cbranch_vccz .LBB85_689
; %bb.674:
	s_cmp_lt_i32 s6, 27
	s_mov_b32 s7, -1
	s_cbranch_scc1 .LBB85_680
; %bb.675:
	v_cvt_u32_f64_e32 v2, v[0:1]
	s_cmp_gt_i32 s6, 27
	s_cbranch_scc0 .LBB85_677
; %bb.676:
	s_mov_b32 s7, 0
	global_store_dword v[4:5], v2, off
.LBB85_677:
	s_andn2_b32 vcc_lo, exec_lo, s7
	s_cbranch_vccnz .LBB85_679
; %bb.678:
	global_store_short v[4:5], v2, off
.LBB85_679:
	s_mov_b32 s7, 0
.LBB85_680:
	s_andn2_b32 vcc_lo, exec_lo, s7
	s_cbranch_vccnz .LBB85_688
; %bb.681:
	v_cvt_f32_f64_e32 v2, v[0:1]
	v_mov_b32_e32 v6, 0x80
	s_mov_b32 s7, exec_lo
	v_and_b32_e32 v3, 0x7fffffff, v2
	v_cmpx_gt_u32_e32 0x43800000, v3
	s_cbranch_execz .LBB85_687
; %bb.682:
	v_cmp_lt_u32_e32 vcc_lo, 0x3bffffff, v3
	s_mov_b32 s8, 0
                                        ; implicit-def: $vgpr3
	s_and_saveexec_b32 s9, vcc_lo
	s_xor_b32 s9, exec_lo, s9
	s_cbranch_execz .LBB85_789
; %bb.683:
	v_bfe_u32 v3, v2, 20, 1
	s_mov_b32 s8, exec_lo
	v_add3_u32 v3, v2, v3, 0x487ffff
	v_lshrrev_b32_e32 v3, 20, v3
	s_andn2_saveexec_b32 s9, s9
	s_cbranch_execnz .LBB85_790
.LBB85_684:
	s_or_b32 exec_lo, exec_lo, s9
	v_mov_b32_e32 v6, 0
	s_and_saveexec_b32 s9, s8
.LBB85_685:
	v_lshrrev_b32_e32 v2, 24, v2
	v_and_or_b32 v6, 0x80, v2, v3
.LBB85_686:
	s_or_b32 exec_lo, exec_lo, s9
.LBB85_687:
	s_or_b32 exec_lo, exec_lo, s7
	global_store_byte v[4:5], v6, off
.LBB85_688:
	s_mov_b32 s7, -1
.LBB85_689:
	s_mov_b32 s8, 0
.LBB85_690:
	s_and_b32 vcc_lo, exec_lo, s8
	s_cbranch_vccz .LBB85_731
; %bb.691:
	s_cmp_gt_i32 s6, 22
	s_mov_b32 s8, -1
	s_cbranch_scc0 .LBB85_723
; %bb.692:
	s_cmp_lt_i32 s6, 24
	s_mov_b32 s7, -1
	s_cbranch_scc1 .LBB85_712
; %bb.693:
	s_cmp_gt_i32 s6, 24
	s_cbranch_scc0 .LBB85_701
; %bb.694:
	v_cvt_f32_f64_e32 v2, v[0:1]
	v_mov_b32_e32 v6, 0x80
	s_mov_b32 s7, exec_lo
	v_and_b32_e32 v3, 0x7fffffff, v2
	v_cmpx_gt_u32_e32 0x47800000, v3
	s_cbranch_execz .LBB85_700
; %bb.695:
	v_cmp_lt_u32_e32 vcc_lo, 0x37ffffff, v3
	s_mov_b32 s8, 0
                                        ; implicit-def: $vgpr3
	s_and_saveexec_b32 s9, vcc_lo
	s_xor_b32 s9, exec_lo, s9
	s_cbranch_execz .LBB85_792
; %bb.696:
	v_bfe_u32 v3, v2, 21, 1
	s_mov_b32 s8, exec_lo
	v_add3_u32 v3, v2, v3, 0x88fffff
	v_lshrrev_b32_e32 v3, 21, v3
	s_andn2_saveexec_b32 s9, s9
	s_cbranch_execnz .LBB85_793
.LBB85_697:
	s_or_b32 exec_lo, exec_lo, s9
	v_mov_b32_e32 v6, 0
	s_and_saveexec_b32 s9, s8
.LBB85_698:
	v_lshrrev_b32_e32 v2, 24, v2
	v_and_or_b32 v6, 0x80, v2, v3
.LBB85_699:
	s_or_b32 exec_lo, exec_lo, s9
.LBB85_700:
	s_or_b32 exec_lo, exec_lo, s7
	s_mov_b32 s7, 0
	global_store_byte v[4:5], v6, off
.LBB85_701:
	s_and_b32 vcc_lo, exec_lo, s7
	s_cbranch_vccz .LBB85_711
; %bb.702:
	v_cvt_f32_f64_e32 v2, v[0:1]
	s_mov_b32 s7, exec_lo
                                        ; implicit-def: $vgpr3
	v_and_b32_e32 v6, 0x7fffffff, v2
	v_cmpx_gt_u32_e32 0x43f00000, v6
	s_xor_b32 s7, exec_lo, s7
	s_cbranch_execz .LBB85_708
; %bb.703:
	s_mov_b32 s8, exec_lo
                                        ; implicit-def: $vgpr3
	v_cmpx_lt_u32_e32 0x3c7fffff, v6
	s_xor_b32 s8, exec_lo, s8
; %bb.704:
	v_bfe_u32 v3, v2, 20, 1
	v_add3_u32 v3, v2, v3, 0x407ffff
	v_and_b32_e32 v6, 0xff00000, v3
	v_lshrrev_b32_e32 v3, 20, v3
	v_cmp_ne_u32_e32 vcc_lo, 0x7f00000, v6
	v_cndmask_b32_e32 v3, 0x7e, v3, vcc_lo
; %bb.705:
	s_andn2_saveexec_b32 s8, s8
; %bb.706:
	v_add_f32_e64 v3, 0x46800000, |v2|
; %bb.707:
	s_or_b32 exec_lo, exec_lo, s8
                                        ; implicit-def: $vgpr6
.LBB85_708:
	s_andn2_saveexec_b32 s7, s7
; %bb.709:
	v_mov_b32_e32 v3, 0x7f
	v_cmp_lt_u32_e32 vcc_lo, 0x7f800000, v6
	v_cndmask_b32_e32 v3, 0x7e, v3, vcc_lo
; %bb.710:
	s_or_b32 exec_lo, exec_lo, s7
	v_lshrrev_b32_e32 v2, 24, v2
	v_and_or_b32 v2, 0x80, v2, v3
	global_store_byte v[4:5], v2, off
.LBB85_711:
	s_mov_b32 s7, 0
.LBB85_712:
	s_andn2_b32 vcc_lo, exec_lo, s7
	s_cbranch_vccnz .LBB85_722
; %bb.713:
	v_cvt_f32_f64_e32 v2, v[0:1]
	s_mov_b32 s7, exec_lo
                                        ; implicit-def: $vgpr3
	v_and_b32_e32 v6, 0x7fffffff, v2
	v_cmpx_gt_u32_e32 0x47800000, v6
	s_xor_b32 s7, exec_lo, s7
	s_cbranch_execz .LBB85_719
; %bb.714:
	s_mov_b32 s8, exec_lo
                                        ; implicit-def: $vgpr3
	v_cmpx_lt_u32_e32 0x387fffff, v6
	s_xor_b32 s8, exec_lo, s8
; %bb.715:
	v_bfe_u32 v3, v2, 21, 1
	v_add3_u32 v3, v2, v3, 0x80fffff
	v_lshrrev_b32_e32 v3, 21, v3
; %bb.716:
	s_andn2_saveexec_b32 s8, s8
; %bb.717:
	v_add_f32_e64 v3, 0x43000000, |v2|
; %bb.718:
	s_or_b32 exec_lo, exec_lo, s8
                                        ; implicit-def: $vgpr6
.LBB85_719:
	s_andn2_saveexec_b32 s7, s7
; %bb.720:
	v_mov_b32_e32 v3, 0x7f
	v_cmp_lt_u32_e32 vcc_lo, 0x7f800000, v6
	v_cndmask_b32_e32 v3, 0x7c, v3, vcc_lo
; %bb.721:
	s_or_b32 exec_lo, exec_lo, s7
	v_lshrrev_b32_e32 v2, 24, v2
	v_and_or_b32 v2, 0x80, v2, v3
	global_store_byte v[4:5], v2, off
.LBB85_722:
	s_mov_b32 s8, 0
	s_mov_b32 s7, -1
.LBB85_723:
	s_andn2_b32 vcc_lo, exec_lo, s8
	s_cbranch_vccnz .LBB85_731
; %bb.724:
	s_cmp_gt_i32 s6, 14
	s_mov_b32 s8, -1
	s_cbranch_scc0 .LBB85_728
; %bb.725:
	s_cmp_eq_u32 s6, 15
	s_mov_b32 s4, -1
	s_cbranch_scc0 .LBB85_727
; %bb.726:
	v_cvt_f32_f64_e32 v2, v[0:1]
	s_mov_b32 s7, -1
	s_mov_b32 s4, 0
	v_bfe_u32 v3, v2, 16, 1
	v_cmp_o_f32_e32 vcc_lo, v2, v2
	v_add3_u32 v2, v2, v3, 0x7fff
	v_mov_b32_e32 v3, 0x7fc0
	v_cndmask_b32_sdwa v2, v3, v2, vcc_lo dst_sel:DWORD dst_unused:UNUSED_PAD src0_sel:DWORD src1_sel:WORD_1
	global_store_short v[4:5], v2, off
.LBB85_727:
	s_mov_b32 s8, 0
.LBB85_728:
	s_and_b32 vcc_lo, exec_lo, s8
	s_cbranch_vccz .LBB85_731
; %bb.729:
	s_cmp_eq_u32 s6, 11
	s_mov_b32 s4, -1
	s_cbranch_scc0 .LBB85_731
; %bb.730:
	v_cmp_neq_f64_e32 vcc_lo, 0, v[0:1]
	s_mov_b32 s7, -1
	s_mov_b32 s4, 0
	v_cndmask_b32_e64 v2, 0, 1, vcc_lo
	global_store_byte v[4:5], v2, off
.LBB85_731:
	s_mov_b32 s6, 0
.LBB85_732:
	s_and_b32 vcc_lo, exec_lo, s6
	s_cbranch_vccz .LBB85_771
; %bb.733:
	s_and_b32 s5, 0xffff, s5
	s_mov_b32 s6, -1
	s_cmp_lt_i32 s5, 5
	s_cbranch_scc1 .LBB85_754
; %bb.734:
	s_cmp_lt_i32 s5, 8
	s_cbranch_scc1 .LBB85_744
; %bb.735:
	;; [unrolled: 3-line block ×3, first 2 shown]
	s_cmp_gt_i32 s5, 9
	s_cbranch_scc0 .LBB85_738
; %bb.737:
	v_mov_b32_e32 v2, 0
	s_mov_b32 s6, 0
	v_mov_b32_e32 v3, v2
	global_store_dwordx4 v[4:5], v[0:3], off
.LBB85_738:
	s_andn2_b32 vcc_lo, exec_lo, s6
	s_cbranch_vccnz .LBB85_740
; %bb.739:
	v_cvt_f32_f64_e32 v2, v[0:1]
	v_mov_b32_e32 v3, 0
	global_store_dwordx2 v[4:5], v[2:3], off
.LBB85_740:
	s_mov_b32 s6, 0
.LBB85_741:
	s_andn2_b32 vcc_lo, exec_lo, s6
	s_cbranch_vccnz .LBB85_743
; %bb.742:
	v_and_or_b32 v2, 0x1ff, v1, v0
	v_lshrrev_b32_e32 v3, 8, v1
	v_bfe_u32 v6, v1, 20, 11
	v_cmp_ne_u32_e32 vcc_lo, 0, v2
	v_sub_nc_u32_e32 v7, 0x3f1, v6
	v_add_nc_u32_e32 v6, 0xfffffc10, v6
	v_cndmask_b32_e64 v2, 0, 1, vcc_lo
	v_and_or_b32 v2, 0xffe, v3, v2
	v_med3_i32 v3, v7, 0, 13
	v_or_b32_e32 v7, 0x1000, v2
	v_lshrrev_b32_e32 v8, v3, v7
	v_lshlrev_b32_e32 v3, v3, v8
	v_cmp_ne_u32_e32 vcc_lo, v3, v7
	v_lshl_or_b32 v7, v6, 12, v2
	v_cndmask_b32_e64 v3, 0, 1, vcc_lo
	v_cmp_gt_i32_e32 vcc_lo, 1, v6
	v_or_b32_e32 v3, v8, v3
	v_cndmask_b32_e32 v3, v7, v3, vcc_lo
	v_and_b32_e32 v7, 7, v3
	v_lshrrev_b32_e32 v3, 2, v3
	v_cmp_lt_i32_e32 vcc_lo, 5, v7
	v_cndmask_b32_e64 v8, 0, 1, vcc_lo
	v_cmp_eq_u32_e32 vcc_lo, 3, v7
	v_cndmask_b32_e64 v7, 0, 1, vcc_lo
	v_cmp_ne_u32_e32 vcc_lo, 0, v2
	v_or_b32_e32 v7, v7, v8
	v_mov_b32_e32 v8, 0x7e00
	v_add_nc_u32_e32 v3, v3, v7
	v_cndmask_b32_e32 v2, 0x7c00, v8, vcc_lo
	v_cmp_gt_i32_e32 vcc_lo, 31, v6
	v_cndmask_b32_e32 v3, 0x7c00, v3, vcc_lo
	v_cmp_eq_u32_e32 vcc_lo, 0x40f, v6
	v_cndmask_b32_e32 v2, v3, v2, vcc_lo
	v_lshrrev_b32_e32 v3, 16, v1
	v_and_or_b32 v2, 0x8000, v3, v2
	v_and_b32_e32 v2, 0xffff, v2
	global_store_dword v[4:5], v2, off
.LBB85_743:
	s_mov_b32 s6, 0
.LBB85_744:
	s_andn2_b32 vcc_lo, exec_lo, s6
	s_cbranch_vccnz .LBB85_753
; %bb.745:
	s_cmp_lt_i32 s5, 6
	s_mov_b32 s6, -1
	s_cbranch_scc1 .LBB85_751
; %bb.746:
	s_cmp_gt_i32 s5, 6
	s_cbranch_scc0 .LBB85_748
; %bb.747:
	s_mov_b32 s6, 0
	global_store_dwordx2 v[4:5], v[0:1], off
.LBB85_748:
	s_andn2_b32 vcc_lo, exec_lo, s6
	s_cbranch_vccnz .LBB85_750
; %bb.749:
	v_cvt_f32_f64_e32 v2, v[0:1]
	global_store_dword v[4:5], v2, off
.LBB85_750:
	s_mov_b32 s6, 0
.LBB85_751:
	s_andn2_b32 vcc_lo, exec_lo, s6
	s_cbranch_vccnz .LBB85_753
; %bb.752:
	v_and_or_b32 v2, 0x1ff, v1, v0
	v_lshrrev_b32_e32 v3, 8, v1
	v_bfe_u32 v6, v1, 20, 11
	v_cmp_ne_u32_e32 vcc_lo, 0, v2
	v_sub_nc_u32_e32 v7, 0x3f1, v6
	v_add_nc_u32_e32 v6, 0xfffffc10, v6
	v_cndmask_b32_e64 v2, 0, 1, vcc_lo
	v_and_or_b32 v2, 0xffe, v3, v2
	v_med3_i32 v3, v7, 0, 13
	v_or_b32_e32 v7, 0x1000, v2
	v_lshrrev_b32_e32 v8, v3, v7
	v_lshlrev_b32_e32 v3, v3, v8
	v_cmp_ne_u32_e32 vcc_lo, v3, v7
	v_lshl_or_b32 v7, v6, 12, v2
	v_cndmask_b32_e64 v3, 0, 1, vcc_lo
	v_cmp_gt_i32_e32 vcc_lo, 1, v6
	v_or_b32_e32 v3, v8, v3
	v_cndmask_b32_e32 v3, v7, v3, vcc_lo
	v_and_b32_e32 v7, 7, v3
	v_lshrrev_b32_e32 v3, 2, v3
	v_cmp_lt_i32_e32 vcc_lo, 5, v7
	v_cndmask_b32_e64 v8, 0, 1, vcc_lo
	v_cmp_eq_u32_e32 vcc_lo, 3, v7
	v_cndmask_b32_e64 v7, 0, 1, vcc_lo
	v_cmp_ne_u32_e32 vcc_lo, 0, v2
	v_or_b32_e32 v7, v7, v8
	v_mov_b32_e32 v8, 0x7e00
	v_add_nc_u32_e32 v3, v3, v7
	v_cndmask_b32_e32 v2, 0x7c00, v8, vcc_lo
	v_cmp_gt_i32_e32 vcc_lo, 31, v6
	v_cndmask_b32_e32 v3, 0x7c00, v3, vcc_lo
	v_cmp_eq_u32_e32 vcc_lo, 0x40f, v6
	v_cndmask_b32_e32 v2, v3, v2, vcc_lo
	v_lshrrev_b32_e32 v3, 16, v1
	v_and_or_b32 v2, 0x8000, v3, v2
	global_store_short v[4:5], v2, off
.LBB85_753:
	s_mov_b32 s6, 0
.LBB85_754:
	s_andn2_b32 vcc_lo, exec_lo, s6
	s_cbranch_vccnz .LBB85_770
; %bb.755:
	s_cmp_lt_i32 s5, 2
	s_mov_b32 s6, -1
	s_cbranch_scc1 .LBB85_765
; %bb.756:
	s_cmp_lt_i32 s5, 3
	s_cbranch_scc1 .LBB85_762
; %bb.757:
	s_cmp_gt_i32 s5, 3
	s_cbranch_scc0 .LBB85_759
; %bb.758:
	v_trunc_f64_e32 v[2:3], v[0:1]
	s_mov_b32 s6, 0
	v_ldexp_f64 v[6:7], v[2:3], 0xffffffe0
	v_floor_f64_e32 v[6:7], v[6:7]
	v_fma_f64 v[2:3], 0xc1f00000, v[6:7], v[2:3]
	v_cvt_i32_f64_e32 v7, v[6:7]
	v_cvt_u32_f64_e32 v6, v[2:3]
	global_store_dwordx2 v[4:5], v[6:7], off
.LBB85_759:
	s_andn2_b32 vcc_lo, exec_lo, s6
	s_cbranch_vccnz .LBB85_761
; %bb.760:
	v_cvt_i32_f64_e32 v2, v[0:1]
	global_store_dword v[4:5], v2, off
.LBB85_761:
	s_mov_b32 s6, 0
.LBB85_762:
	s_andn2_b32 vcc_lo, exec_lo, s6
	s_cbranch_vccnz .LBB85_764
; %bb.763:
	v_cvt_i32_f64_e32 v2, v[0:1]
	global_store_short v[4:5], v2, off
.LBB85_764:
	s_mov_b32 s6, 0
.LBB85_765:
	s_andn2_b32 vcc_lo, exec_lo, s6
	s_cbranch_vccnz .LBB85_770
; %bb.766:
	s_cmp_gt_i32 s5, 0
	s_mov_b32 s5, -1
	s_cbranch_scc0 .LBB85_768
; %bb.767:
	v_cvt_i32_f64_e32 v2, v[0:1]
	s_mov_b32 s5, 0
	global_store_byte v[4:5], v2, off
.LBB85_768:
	s_andn2_b32 vcc_lo, exec_lo, s5
	s_cbranch_vccnz .LBB85_770
; %bb.769:
	v_trunc_f64_e32 v[0:1], v[0:1]
	v_ldexp_f64 v[2:3], v[0:1], 0xffffffe0
	v_floor_f64_e32 v[2:3], v[2:3]
	v_fma_f64 v[0:1], 0xc1f00000, v[2:3], v[0:1]
	v_cvt_u32_f64_e32 v0, v[0:1]
	global_store_byte v[4:5], v0, off
.LBB85_770:
	s_mov_b32 s7, -1
.LBB85_771:
	s_andn2_b32 vcc_lo, exec_lo, s7
	s_cbranch_vccnz .LBB85_773
; %bb.772:
	v_add_nc_u32_e32 v47, 0x80, v47
	s_mov_b32 s6, -1
	s_branch .LBB85_775
.LBB85_773:
	s_mov_b32 s6, 0
.LBB85_774:
                                        ; implicit-def: $vgpr47
.LBB85_775:
	s_andn2_b32 s5, s71, exec_lo
	s_and_b32 s4, s4, exec_lo
	s_andn2_b32 s7, s70, exec_lo
	s_and_b32 s8, s82, exec_lo
	s_or_b32 s5, s5, s4
	s_or_b32 s4, s7, s8
	s_orn2_b32 s10, s6, exec_lo
.LBB85_776:
	s_or_b32 exec_lo, exec_lo, s81
	s_mov_b32 s8, 0
	s_mov_b32 s9, 0
	;; [unrolled: 1-line block ×3, first 2 shown]
                                        ; implicit-def: $vgpr0_vgpr1
                                        ; implicit-def: $vgpr2_vgpr3
	s_and_saveexec_b32 s6, s10
	s_cbranch_execz .LBB85_861
; %bb.777:
	s_mov_b32 s10, s4
	s_mov_b32 s11, 0
	;; [unrolled: 1-line block ×3, first 2 shown]
	s_mov_b32 s7, exec_lo
                                        ; implicit-def: $vgpr0_vgpr1
                                        ; implicit-def: $vgpr2_vgpr3
	v_cmpx_gt_i32_e64 s67, v47
	s_cbranch_execz .LBB85_860
; %bb.778:
	v_mul_lo_u32 v0, v47, s53
	s_and_b32 s8, 0xffff, s64
	s_cmp_lt_i32 s8, 11
	v_ashrrev_i32_e32 v1, 31, v0
	v_add_co_u32 v0, vcc_lo, s50, v0
	v_add_co_ci_u32_e64 v1, null, s51, v1, vcc_lo
	s_cbranch_scc1 .LBB85_785
; %bb.779:
	s_cmp_gt_i32 s8, 25
	s_mov_b32 s10, 0
	s_cbranch_scc0 .LBB85_786
; %bb.780:
	s_cmp_gt_i32 s8, 28
	s_cbranch_scc0 .LBB85_787
; %bb.781:
	s_cmp_gt_i32 s8, 43
	;; [unrolled: 3-line block ×3, first 2 shown]
	s_cbranch_scc0 .LBB85_791
; %bb.783:
	s_cmp_eq_u32 s8, 46
	s_cbranch_scc0 .LBB85_794
; %bb.784:
	global_load_dword v2, v[0:1], off
	s_mov_b32 s11, -1
	s_waitcnt vmcnt(0)
	v_lshlrev_b32_e32 v2, 16, v2
	v_cvt_f64_f32_e32 v[2:3], v2
	s_branch .LBB85_796
.LBB85_785:
	s_mov_b32 s8, -1
	s_mov_b32 s10, 0
	s_mov_b32 s9, s4
                                        ; implicit-def: $vgpr2_vgpr3
	s_branch .LBB85_859
.LBB85_786:
	s_mov_b32 s12, -1
	s_mov_b32 s9, s4
                                        ; implicit-def: $vgpr2_vgpr3
	s_branch .LBB85_827
.LBB85_787:
	s_mov_b32 s12, -1
	s_mov_b32 s9, s4
                                        ; implicit-def: $vgpr2_vgpr3
	s_branch .LBB85_806
.LBB85_788:
	s_mov_b32 s12, -1
	s_mov_b32 s9, s4
                                        ; implicit-def: $vgpr2_vgpr3
	s_branch .LBB85_801
.LBB85_789:
	s_andn2_saveexec_b32 s9, s9
	s_cbranch_execz .LBB85_684
.LBB85_790:
	v_add_f32_e64 v3, 0x46000000, |v2|
	s_andn2_b32 s8, s8, exec_lo
	v_and_b32_e32 v3, 0xff, v3
	v_cmp_ne_u32_e32 vcc_lo, 0, v3
	s_and_b32 s10, vcc_lo, exec_lo
	s_or_b32 s8, s8, s10
	s_or_b32 exec_lo, exec_lo, s9
	v_mov_b32_e32 v6, 0
	s_and_saveexec_b32 s9, s8
	s_cbranch_execnz .LBB85_685
	s_branch .LBB85_686
.LBB85_791:
	s_mov_b32 s12, -1
	s_mov_b32 s9, s4
	s_branch .LBB85_795
.LBB85_792:
	s_andn2_saveexec_b32 s9, s9
	s_cbranch_execz .LBB85_697
.LBB85_793:
	v_add_f32_e64 v3, 0x42800000, |v2|
	s_andn2_b32 s8, s8, exec_lo
	v_and_b32_e32 v3, 0xff, v3
	v_cmp_ne_u32_e32 vcc_lo, 0, v3
	s_and_b32 s10, vcc_lo, exec_lo
	s_or_b32 s8, s8, s10
	s_or_b32 exec_lo, exec_lo, s9
	v_mov_b32_e32 v6, 0
	s_and_saveexec_b32 s9, s8
	s_cbranch_execnz .LBB85_698
	s_branch .LBB85_699
.LBB85_794:
	s_mov_b32 s9, -1
.LBB85_795:
                                        ; implicit-def: $vgpr2_vgpr3
.LBB85_796:
	s_and_b32 vcc_lo, exec_lo, s12
	s_cbranch_vccz .LBB85_800
; %bb.797:
	s_cmp_eq_u32 s8, 44
	s_cbranch_scc0 .LBB85_799
; %bb.798:
	global_load_ubyte v4, v[0:1], off
	s_mov_b32 s9, 0
	s_mov_b32 s11, -1
	s_waitcnt vmcnt(0)
	v_lshlrev_b32_e32 v2, 23, v4
	v_cmp_ne_u32_e32 vcc_lo, 0xff, v4
	v_cvt_f64_f32_e32 v[2:3], v2
	v_cndmask_b32_e32 v2, 0x20000000, v2, vcc_lo
	v_cndmask_b32_e32 v3, 0x7ff80000, v3, vcc_lo
	v_cmp_ne_u32_e32 vcc_lo, 0, v4
	v_cndmask_b32_e32 v3, 0x38000000, v3, vcc_lo
	v_cndmask_b32_e32 v2, 0, v2, vcc_lo
	s_branch .LBB85_800
.LBB85_799:
	s_mov_b32 s9, -1
                                        ; implicit-def: $vgpr2_vgpr3
.LBB85_800:
	s_mov_b32 s12, 0
.LBB85_801:
	s_and_b32 vcc_lo, exec_lo, s12
	s_cbranch_vccz .LBB85_805
; %bb.802:
	s_cmp_eq_u32 s8, 29
	s_cbranch_scc0 .LBB85_804
; %bb.803:
	global_load_dwordx2 v[2:3], v[0:1], off
	s_mov_b32 s9, 0
	s_mov_b32 s11, -1
	s_mov_b32 s12, 0
	s_waitcnt vmcnt(0)
	v_cvt_f64_u32_e32 v[3:4], v3
	v_cvt_f64_u32_e32 v[5:6], v2
	v_ldexp_f64 v[3:4], v[3:4], 32
	v_add_f64 v[2:3], v[3:4], v[5:6]
	s_branch .LBB85_806
.LBB85_804:
	s_mov_b32 s9, -1
                                        ; implicit-def: $vgpr2_vgpr3
.LBB85_805:
	s_mov_b32 s12, 0
.LBB85_806:
	s_and_b32 vcc_lo, exec_lo, s12
	s_cbranch_vccz .LBB85_826
; %bb.807:
	s_cmp_lt_i32 s8, 27
	s_cbranch_scc1 .LBB85_810
; %bb.808:
	s_cmp_gt_i32 s8, 27
	s_cbranch_scc0 .LBB85_811
; %bb.809:
	global_load_dword v2, v[0:1], off
	s_mov_b32 s11, 0
	s_waitcnt vmcnt(0)
	v_cvt_f64_u32_e32 v[2:3], v2
	s_branch .LBB85_812
.LBB85_810:
	s_mov_b32 s11, -1
                                        ; implicit-def: $vgpr2_vgpr3
	s_branch .LBB85_815
.LBB85_811:
	s_mov_b32 s11, -1
                                        ; implicit-def: $vgpr2_vgpr3
.LBB85_812:
	s_andn2_b32 vcc_lo, exec_lo, s11
	s_cbranch_vccnz .LBB85_814
; %bb.813:
	global_load_ushort v2, v[0:1], off
	s_waitcnt vmcnt(0)
	v_cvt_f64_u32_e32 v[2:3], v2
.LBB85_814:
	s_mov_b32 s11, 0
.LBB85_815:
	s_andn2_b32 vcc_lo, exec_lo, s11
	s_cbranch_vccnz .LBB85_825
; %bb.816:
	global_load_ubyte v4, v[0:1], off
	s_mov_b32 s11, 0
	s_mov_b32 s12, exec_lo
	s_waitcnt vmcnt(0)
	v_cmpx_lt_i16_e32 0x7f, v4
	s_xor_b32 s12, exec_lo, s12
	s_cbranch_execz .LBB85_820
; %bb.817:
	s_mov_b32 s11, -1
	s_mov_b32 s13, exec_lo
	v_cmpx_eq_u16_e32 0x80, v4
; %bb.818:
	s_xor_b32 s11, exec_lo, -1
; %bb.819:
	s_or_b32 exec_lo, exec_lo, s13
	s_and_b32 s11, s11, exec_lo
.LBB85_820:
	s_or_saveexec_b32 s12, s12
	v_bfrev_b32_e32 v2, 4
	v_mov_b32_e32 v3, 0x7ff80000
	s_xor_b32 exec_lo, exec_lo, s12
; %bb.821:
	v_cmp_ne_u16_e32 vcc_lo, 0, v4
	v_mov_b32_e32 v2, 0
	v_mov_b32_e32 v3, 0
	s_andn2_b32 s11, s11, exec_lo
	s_and_b32 s13, vcc_lo, exec_lo
	s_or_b32 s11, s11, s13
; %bb.822:
	s_or_b32 exec_lo, exec_lo, s12
	s_and_saveexec_b32 s12, s11
	s_cbranch_execz .LBB85_824
; %bb.823:
	v_and_b32_e32 v2, 0xffff, v4
	v_lshlrev_b32_e32 v4, 24, v4
	v_and_b32_e32 v3, 7, v2
	v_bfe_u32 v7, v2, 3, 4
	v_ffbh_u32_e32 v5, v3
	v_cmp_eq_u32_e32 vcc_lo, 0, v7
	v_min_u32_e32 v5, 32, v5
	v_subrev_nc_u32_e32 v6, 28, v5
	v_sub_nc_u32_e32 v5, 29, v5
	v_lshlrev_b32_e32 v2, v6, v2
	v_cndmask_b32_e32 v5, v7, v5, vcc_lo
	v_and_b32_e32 v2, 7, v2
	v_cndmask_b32_e32 v2, v3, v2, vcc_lo
	v_and_b32_e32 v3, 0x80000000, v4
	v_lshl_add_u32 v4, v5, 23, 0x3b800000
	v_lshlrev_b32_e32 v2, 20, v2
	v_or3_b32 v2, v3, v4, v2
	v_cvt_f64_f32_e32 v[2:3], v2
.LBB85_824:
	s_or_b32 exec_lo, exec_lo, s12
.LBB85_825:
	s_mov_b32 s11, -1
.LBB85_826:
	s_mov_b32 s12, 0
.LBB85_827:
	s_and_b32 vcc_lo, exec_lo, s12
	s_cbranch_vccz .LBB85_858
; %bb.828:
	s_cmp_gt_i32 s8, 22
	s_cbranch_scc0 .LBB85_840
; %bb.829:
	s_cmp_lt_i32 s8, 24
	s_cbranch_scc1 .LBB85_841
; %bb.830:
	s_cmp_gt_i32 s8, 24
	s_cbranch_scc0 .LBB85_842
; %bb.831:
	global_load_ubyte v4, v[0:1], off
	s_mov_b32 s11, exec_lo
	s_waitcnt vmcnt(0)
	v_cmpx_lt_i16_e32 0x7f, v4
	s_xor_b32 s11, exec_lo, s11
	s_cbranch_execz .LBB85_835
; %bb.832:
	s_mov_b32 s10, -1
	s_mov_b32 s12, exec_lo
	v_cmpx_eq_u16_e32 0x80, v4
; %bb.833:
	s_xor_b32 s10, exec_lo, -1
; %bb.834:
	s_or_b32 exec_lo, exec_lo, s12
	s_and_b32 s10, s10, exec_lo
.LBB85_835:
	s_or_saveexec_b32 s11, s11
	v_bfrev_b32_e32 v2, 4
	v_mov_b32_e32 v3, 0x7ff80000
	s_xor_b32 exec_lo, exec_lo, s11
; %bb.836:
	v_cmp_ne_u16_e32 vcc_lo, 0, v4
	v_mov_b32_e32 v2, 0
	v_mov_b32_e32 v3, 0
	s_andn2_b32 s10, s10, exec_lo
	s_and_b32 s12, vcc_lo, exec_lo
	s_or_b32 s10, s10, s12
; %bb.837:
	s_or_b32 exec_lo, exec_lo, s11
	s_and_saveexec_b32 s11, s10
	s_cbranch_execz .LBB85_839
; %bb.838:
	v_and_b32_e32 v2, 0xffff, v4
	v_lshlrev_b32_e32 v4, 24, v4
	v_and_b32_e32 v3, 3, v2
	v_bfe_u32 v7, v2, 2, 5
	v_ffbh_u32_e32 v5, v3
	v_cmp_eq_u32_e32 vcc_lo, 0, v7
	v_min_u32_e32 v5, 32, v5
	v_subrev_nc_u32_e32 v6, 29, v5
	v_sub_nc_u32_e32 v5, 30, v5
	v_lshlrev_b32_e32 v2, v6, v2
	v_cndmask_b32_e32 v5, v7, v5, vcc_lo
	v_and_b32_e32 v2, 3, v2
	v_cndmask_b32_e32 v2, v3, v2, vcc_lo
	v_and_b32_e32 v3, 0x80000000, v4
	v_lshl_add_u32 v4, v5, 23, 0x37800000
	v_lshlrev_b32_e32 v2, 21, v2
	v_or3_b32 v2, v3, v4, v2
	v_cvt_f64_f32_e32 v[2:3], v2
.LBB85_839:
	s_or_b32 exec_lo, exec_lo, s11
	s_mov_b32 s10, 0
	s_branch .LBB85_843
.LBB85_840:
	s_mov_b32 s10, -1
                                        ; implicit-def: $vgpr2_vgpr3
	s_branch .LBB85_849
.LBB85_841:
	s_mov_b32 s10, -1
                                        ; implicit-def: $vgpr2_vgpr3
	s_branch .LBB85_846
.LBB85_842:
	s_mov_b32 s10, -1
                                        ; implicit-def: $vgpr2_vgpr3
.LBB85_843:
	s_and_b32 vcc_lo, exec_lo, s10
	s_cbranch_vccz .LBB85_845
; %bb.844:
	global_load_ubyte v2, v[0:1], off
	s_waitcnt vmcnt(0)
	v_lshlrev_b32_e32 v2, 24, v2
	v_and_b32_e32 v3, 0x7f000000, v2
	v_ffbh_u32_e32 v4, v3
	v_add_nc_u32_e32 v6, 0x1000000, v3
	v_cmp_ne_u32_e32 vcc_lo, 0, v3
	v_min_u32_e32 v4, 32, v4
	v_sub_nc_u32_e64 v4, v4, 4 clamp
	v_lshlrev_b32_e32 v5, v4, v3
	v_lshlrev_b32_e32 v4, 23, v4
	v_lshrrev_b32_e32 v5, 4, v5
	v_sub_nc_u32_e32 v4, v5, v4
	v_ashrrev_i32_e32 v5, 8, v6
	v_add_nc_u32_e32 v4, 0x3c000000, v4
	v_and_or_b32 v4, 0x7f800000, v5, v4
	v_cndmask_b32_e32 v3, 0, v4, vcc_lo
	v_and_or_b32 v2, 0x80000000, v2, v3
	v_cvt_f64_f32_e32 v[2:3], v2
.LBB85_845:
	s_mov_b32 s10, 0
.LBB85_846:
	s_andn2_b32 vcc_lo, exec_lo, s10
	s_cbranch_vccnz .LBB85_848
; %bb.847:
	global_load_ubyte v2, v[0:1], off
	s_waitcnt vmcnt(0)
	v_lshlrev_b32_e32 v3, 25, v2
	v_lshlrev_b16 v2, 8, v2
	v_lshrrev_b32_e32 v4, 4, v3
	v_and_or_b32 v5, 0x7f00, v2, 0.5
	v_cmp_gt_u32_e32 vcc_lo, 0x8000000, v3
	v_bfe_i32 v2, v2, 0, 16
	v_or_b32_e32 v4, 0x70000000, v4
	v_add_f32_e32 v5, -0.5, v5
	v_mul_f32_e32 v4, 0x7800000, v4
	v_cndmask_b32_e32 v3, v4, v5, vcc_lo
	v_and_or_b32 v2, 0x80000000, v2, v3
	v_cvt_f64_f32_e32 v[2:3], v2
.LBB85_848:
	s_mov_b32 s10, 0
	s_mov_b32 s11, -1
.LBB85_849:
	s_andn2_b32 vcc_lo, exec_lo, s10
	s_mov_b32 s10, 0
	s_cbranch_vccnz .LBB85_858
; %bb.850:
	s_cmp_gt_i32 s8, 14
	s_cbranch_scc0 .LBB85_853
; %bb.851:
	s_cmp_eq_u32 s8, 15
	s_cbranch_scc0 .LBB85_854
; %bb.852:
	global_load_ushort v2, v[0:1], off
	s_mov_b32 s9, 0
	s_mov_b32 s11, -1
	s_waitcnt vmcnt(0)
	v_lshlrev_b32_e32 v2, 16, v2
	v_cvt_f64_f32_e32 v[2:3], v2
	s_branch .LBB85_856
.LBB85_853:
	s_mov_b32 s10, -1
	s_branch .LBB85_855
.LBB85_854:
	s_mov_b32 s9, -1
.LBB85_855:
                                        ; implicit-def: $vgpr2_vgpr3
.LBB85_856:
	s_and_b32 vcc_lo, exec_lo, s10
	s_mov_b32 s10, 0
	s_cbranch_vccz .LBB85_858
; %bb.857:
	s_cmp_lg_u32 s8, 11
	s_mov_b32 s10, -1
	s_cselect_b32 s8, -1, 0
	s_andn2_b32 s9, s9, exec_lo
	s_and_b32 s8, s8, exec_lo
	s_or_b32 s9, s9, s8
.LBB85_858:
	s_mov_b32 s8, 0
.LBB85_859:
	s_andn2_b32 s13, s4, exec_lo
	s_and_b32 s9, s9, exec_lo
	s_and_b32 s12, s11, exec_lo
	s_and_b32 s11, s8, exec_lo
	s_and_b32 s8, s10, exec_lo
	s_or_b32 s10, s13, s9
.LBB85_860:
	s_or_b32 exec_lo, exec_lo, s7
	s_andn2_b32 s4, s4, exec_lo
	s_and_b32 s10, s10, exec_lo
	s_and_b32 s7, s12, exec_lo
	;; [unrolled: 1-line block ×4, first 2 shown]
	s_or_b32 s4, s4, s10
.LBB85_861:
	s_or_b32 exec_lo, exec_lo, s6
	s_andn2_b32 s6, s71, exec_lo
	s_and_b32 s5, s5, exec_lo
	s_and_b32 s4, s4, exec_lo
	s_or_b32 s71, s6, s5
	s_and_b32 s6, s9, exec_lo
	s_andn2_b32 s9, s70, exec_lo
	s_and_b32 s7, s7, exec_lo
	s_and_b32 s5, s8, exec_lo
	s_or_b32 s70, s9, s4
.LBB85_862:
	s_or_b32 exec_lo, exec_lo, s80
	s_andn2_b32 s4, s66, exec_lo
	s_and_b32 s8, s71, exec_lo
	s_and_b32 s6, s6, exec_lo
	s_or_b32 s66, s4, s8
	s_and_b32 s4, s7, exec_lo
	s_andn2_b32 s7, s68, exec_lo
	s_and_b32 s8, s70, exec_lo
	s_and_b32 s70, s5, exec_lo
	s_or_b32 s68, s7, s8
	s_or_b32 exec_lo, exec_lo, s69
	s_mov_b32 s67, 0
	s_and_saveexec_b32 s5, s68
	s_cbranch_execz .LBB85_262
.LBB85_863:
	s_mov_b32 s67, exec_lo
	s_andn2_b32 s70, s70, exec_lo
	s_trap 2
	s_or_b32 exec_lo, exec_lo, s5
	s_and_saveexec_b32 s5, s70
	s_xor_b32 s5, exec_lo, s5
	s_cbranch_execnz .LBB85_263
.LBB85_864:
	s_or_b32 exec_lo, exec_lo, s5
	s_and_saveexec_b32 s5, s6
	s_cbranch_execz .LBB85_910
.LBB85_865:
	s_sext_i32_i16 s6, s64
	s_cmp_lt_i32 s6, 5
	s_cbranch_scc1 .LBB85_870
; %bb.866:
	s_cmp_lt_i32 s6, 8
	s_cbranch_scc1 .LBB85_871
; %bb.867:
	;; [unrolled: 3-line block ×3, first 2 shown]
	s_cmp_gt_i32 s6, 9
	s_cbranch_scc0 .LBB85_873
; %bb.869:
	global_load_dwordx2 v[2:3], v[0:1], off
	s_mov_b32 s6, 0
	s_branch .LBB85_874
.LBB85_870:
                                        ; implicit-def: $vgpr2_vgpr3
	s_branch .LBB85_891
.LBB85_871:
                                        ; implicit-def: $vgpr2_vgpr3
	s_branch .LBB85_880
.LBB85_872:
	s_mov_b32 s6, -1
                                        ; implicit-def: $vgpr2_vgpr3
	s_branch .LBB85_877
.LBB85_873:
	s_mov_b32 s6, -1
                                        ; implicit-def: $vgpr2_vgpr3
.LBB85_874:
	s_andn2_b32 vcc_lo, exec_lo, s6
	s_cbranch_vccnz .LBB85_876
; %bb.875:
	global_load_dword v2, v[0:1], off
	s_waitcnt vmcnt(0)
	v_cvt_f64_f32_e32 v[2:3], v2
.LBB85_876:
	s_mov_b32 s6, 0
.LBB85_877:
	s_andn2_b32 vcc_lo, exec_lo, s6
	s_cbranch_vccnz .LBB85_879
; %bb.878:
	global_load_dword v2, v[0:1], off
	s_waitcnt vmcnt(0)
	v_cvt_f32_f16_e32 v2, v2
	v_cvt_f64_f32_e32 v[2:3], v2
.LBB85_879:
	s_cbranch_execnz .LBB85_890
.LBB85_880:
	s_sext_i32_i16 s6, s64
	s_cmp_lt_i32 s6, 6
	s_cbranch_scc1 .LBB85_883
; %bb.881:
	s_cmp_gt_i32 s6, 6
	s_cbranch_scc0 .LBB85_884
; %bb.882:
	global_load_dwordx2 v[2:3], v[0:1], off
	s_mov_b32 s6, 0
	s_branch .LBB85_885
.LBB85_883:
	s_mov_b32 s6, -1
                                        ; implicit-def: $vgpr2_vgpr3
	s_branch .LBB85_888
.LBB85_884:
	s_mov_b32 s6, -1
                                        ; implicit-def: $vgpr2_vgpr3
.LBB85_885:
	s_andn2_b32 vcc_lo, exec_lo, s6
	s_cbranch_vccnz .LBB85_887
; %bb.886:
	global_load_dword v2, v[0:1], off
	s_waitcnt vmcnt(0)
	v_cvt_f64_f32_e32 v[2:3], v2
.LBB85_887:
	s_mov_b32 s6, 0
.LBB85_888:
	s_andn2_b32 vcc_lo, exec_lo, s6
	s_cbranch_vccnz .LBB85_890
; %bb.889:
	global_load_ushort v2, v[0:1], off
	s_waitcnt vmcnt(0)
	v_cvt_f32_f16_e32 v2, v2
	v_cvt_f64_f32_e32 v[2:3], v2
.LBB85_890:
	s_cbranch_execnz .LBB85_909
.LBB85_891:
	s_sext_i32_i16 s6, s64
	s_cmp_lt_i32 s6, 2
	s_cbranch_scc1 .LBB85_895
; %bb.892:
	s_cmp_lt_i32 s6, 3
	s_cbranch_scc1 .LBB85_896
; %bb.893:
	s_cmp_gt_i32 s6, 3
	s_cbranch_scc0 .LBB85_897
; %bb.894:
	global_load_dwordx2 v[2:3], v[0:1], off
	s_mov_b32 s6, 0
	s_waitcnt vmcnt(0)
	v_cvt_f64_i32_e32 v[3:4], v3
	v_cvt_f64_u32_e32 v[5:6], v2
	v_ldexp_f64 v[3:4], v[3:4], 32
	v_add_f64 v[2:3], v[3:4], v[5:6]
	s_branch .LBB85_898
.LBB85_895:
                                        ; implicit-def: $vgpr2_vgpr3
	s_branch .LBB85_904
.LBB85_896:
	s_mov_b32 s6, -1
                                        ; implicit-def: $vgpr2_vgpr3
	s_branch .LBB85_901
.LBB85_897:
	s_mov_b32 s6, -1
                                        ; implicit-def: $vgpr2_vgpr3
.LBB85_898:
	s_andn2_b32 vcc_lo, exec_lo, s6
	s_cbranch_vccnz .LBB85_900
; %bb.899:
	global_load_dword v2, v[0:1], off
	s_waitcnt vmcnt(0)
	v_cvt_f64_i32_e32 v[2:3], v2
.LBB85_900:
	s_mov_b32 s6, 0
.LBB85_901:
	s_andn2_b32 vcc_lo, exec_lo, s6
	s_cbranch_vccnz .LBB85_903
; %bb.902:
	global_load_sshort v2, v[0:1], off
	s_waitcnt vmcnt(0)
	v_cvt_f64_i32_e32 v[2:3], v2
.LBB85_903:
	s_cbranch_execnz .LBB85_909
.LBB85_904:
	s_sext_i32_i16 s6, s64
	s_cmp_gt_i32 s6, 0
	s_mov_b32 s6, 0
	s_cbranch_scc0 .LBB85_906
; %bb.905:
	global_load_sbyte v2, v[0:1], off
	s_waitcnt vmcnt(0)
	v_cvt_f64_i32_e32 v[2:3], v2
	s_branch .LBB85_907
.LBB85_906:
	s_mov_b32 s6, -1
                                        ; implicit-def: $vgpr2_vgpr3
.LBB85_907:
	s_andn2_b32 vcc_lo, exec_lo, s6
	s_cbranch_vccnz .LBB85_909
; %bb.908:
	global_load_ubyte v0, v[0:1], off
	s_waitcnt vmcnt(0)
	v_cvt_f64_u32_e32 v[2:3], v0
.LBB85_909:
	s_or_b32 s4, s4, exec_lo
.LBB85_910:
	s_or_b32 exec_lo, exec_lo, s5
	s_mov_b32 s7, 0
	s_mov_b32 s6, 0
                                        ; implicit-def: $sgpr5
                                        ; implicit-def: $vgpr4_vgpr5
                                        ; implicit-def: $vgpr0_vgpr1
	s_and_saveexec_b32 s68, s4
	s_cbranch_execz .LBB85_918
; %bb.911:
	v_mov_b32_e32 v0, s54
	v_mov_b32_e32 v1, s55
	s_getpc_b64 s[4:5]
	s_add_u32 s4, s4, _ZZZZN2at6native21polygamma_kernel_cudaERNS_18TensorIteratorBaseElENKUlvE_clEvENKUlvE_clEvENKUldE_clEd@rel32@lo+4
	s_addc_u32 s5, s5, _ZZZZN2at6native21polygamma_kernel_cudaERNS_18TensorIteratorBaseElENKUlvE_clEvENKUlvE_clEvENKUldE_clEd@rel32@hi+12
	s_swappc_b64 s[30:31], s[4:5]
	v_mul_lo_u32 v2, v47, s52
	s_and_b32 s5, s33, 0xff
	s_cmp_lt_i32 s5, 11
	v_ashrrev_i32_e32 v3, 31, v2
	v_add_co_u32 v4, vcc_lo, s48, v2
	v_add_co_ci_u32_e64 v5, null, s49, v3, vcc_lo
	s_cbranch_scc1 .LBB85_921
; %bb.912:
	s_and_b32 s6, 0xffff, s5
	s_mov_b32 s7, -1
	s_cmp_gt_i32 s6, 25
	s_mov_b32 s4, s66
	s_cbranch_scc0 .LBB85_949
; %bb.913:
	s_cmp_gt_i32 s6, 28
	s_mov_b32 s4, s66
	s_cbranch_scc0 .LBB85_933
; %bb.914:
	;; [unrolled: 4-line block ×4, first 2 shown]
	s_cmp_eq_u32 s6, 46
	s_mov_b32 s4, -1
	s_cbranch_scc0 .LBB85_922
; %bb.917:
	v_cvt_f32_f64_e32 v2, v[0:1]
	s_mov_b32 s4, 0
	s_mov_b32 s7, 0
	v_bfe_u32 v3, v2, 16, 1
	v_cmp_o_f32_e32 vcc_lo, v2, v2
	v_add3_u32 v2, v2, v3, 0x7fff
	v_mov_b32_e32 v3, 0x7fc0
	v_cndmask_b32_sdwa v2, v3, v2, vcc_lo dst_sel:DWORD dst_unused:UNUSED_PAD src0_sel:DWORD src1_sel:WORD_1
	global_store_dword v[4:5], v2, off
	s_branch .LBB85_923
.LBB85_918:
	s_or_b32 exec_lo, exec_lo, s68
	s_and_saveexec_b32 s4, s66
	s_cbranch_execnz .LBB85_991
.LBB85_919:
	s_or_b32 exec_lo, exec_lo, s4
	s_and_saveexec_b32 s4, s7
	s_xor_b32 s4, exec_lo, s4
	s_cbranch_execz .LBB85_992
.LBB85_920:
	v_cmp_neq_f64_e32 vcc_lo, 0, v[0:1]
	s_waitcnt vmcnt(0)
	v_cndmask_b32_e64 v2, 0, 1, vcc_lo
	global_store_byte v[4:5], v2, off
	s_or_b32 exec_lo, exec_lo, s4
	s_and_saveexec_b32 s4, s6
	s_xor_b32 s4, exec_lo, s4
	s_cbranch_execz .LBB85_1030
	s_branch .LBB85_993
.LBB85_921:
	s_mov_b32 s8, 0
	s_mov_b32 s7, -1
	s_mov_b32 s4, s66
	s_branch .LBB85_990
.LBB85_922:
	s_mov_b32 s7, 0
.LBB85_923:
	s_and_b32 vcc_lo, exec_lo, s7
	s_cbranch_vccz .LBB85_928
; %bb.924:
	s_cmp_eq_u32 s6, 44
	s_mov_b32 s4, -1
	s_cbranch_scc0 .LBB85_928
; %bb.925:
	v_cvt_f32_f64_e32 v2, v[0:1]
	v_mov_b32_e32 v3, 0xff
	s_mov_b32 s7, exec_lo
	v_bfe_u32 v6, v2, 23, 8
	v_cmpx_ne_u32_e32 0xff, v6
	s_cbranch_execz .LBB85_927
; %bb.926:
	v_and_b32_e32 v3, 0x400000, v2
	v_and_or_b32 v6, 0x3fffff, v2, v6
	v_lshrrev_b32_e32 v2, 23, v2
	v_cmp_ne_u32_e32 vcc_lo, 0, v3
	v_cmp_ne_u32_e64 s4, 0, v6
	s_and_b32 s4, vcc_lo, s4
	v_cndmask_b32_e64 v3, 0, 1, s4
	v_add_nc_u32_e32 v3, v2, v3
.LBB85_927:
	s_or_b32 exec_lo, exec_lo, s7
	s_mov_b32 s4, 0
	global_store_byte v[4:5], v3, off
.LBB85_928:
	s_mov_b32 s7, 0
.LBB85_929:
	s_and_b32 vcc_lo, exec_lo, s7
	s_cbranch_vccz .LBB85_932
; %bb.930:
	s_cmp_eq_u32 s6, 29
	s_mov_b32 s4, -1
	s_cbranch_scc0 .LBB85_932
; %bb.931:
	v_trunc_f64_e32 v[2:3], v[0:1]
	s_mov_b32 s4, 0
	s_mov_b32 s7, 0
	v_ldexp_f64 v[6:7], v[2:3], 0xffffffe0
	v_floor_f64_e32 v[6:7], v[6:7]
	v_fma_f64 v[2:3], 0xc1f00000, v[6:7], v[2:3]
	v_cvt_u32_f64_e32 v7, v[6:7]
	v_cvt_u32_f64_e32 v6, v[2:3]
	global_store_dwordx2 v[4:5], v[6:7], off
	s_branch .LBB85_933
.LBB85_932:
	s_mov_b32 s7, 0
.LBB85_933:
	s_and_b32 vcc_lo, exec_lo, s7
	s_cbranch_vccz .LBB85_948
; %bb.934:
	s_cmp_lt_i32 s6, 27
	s_mov_b32 s7, -1
	s_cbranch_scc1 .LBB85_940
; %bb.935:
	v_cvt_u32_f64_e32 v2, v[0:1]
	s_cmp_gt_i32 s6, 27
	s_cbranch_scc0 .LBB85_937
; %bb.936:
	s_mov_b32 s7, 0
	global_store_dword v[4:5], v2, off
.LBB85_937:
	s_andn2_b32 vcc_lo, exec_lo, s7
	s_cbranch_vccnz .LBB85_939
; %bb.938:
	global_store_short v[4:5], v2, off
.LBB85_939:
	s_mov_b32 s7, 0
.LBB85_940:
	s_andn2_b32 vcc_lo, exec_lo, s7
	s_cbranch_vccnz .LBB85_948
; %bb.941:
	v_cvt_f32_f64_e32 v2, v[0:1]
	v_mov_b32_e32 v6, 0x80
	s_mov_b32 s7, exec_lo
	v_and_b32_e32 v3, 0x7fffffff, v2
	v_cmpx_gt_u32_e32 0x43800000, v3
	s_cbranch_execz .LBB85_947
; %bb.942:
	v_cmp_lt_u32_e32 vcc_lo, 0x3bffffff, v3
	s_mov_b32 s8, 0
                                        ; implicit-def: $vgpr3
	s_and_saveexec_b32 s9, vcc_lo
	s_xor_b32 s9, exec_lo, s9
	s_cbranch_execz .LBB85_1045
; %bb.943:
	v_bfe_u32 v3, v2, 20, 1
	s_mov_b32 s8, exec_lo
	v_add3_u32 v3, v2, v3, 0x487ffff
	v_lshrrev_b32_e32 v3, 20, v3
	s_andn2_saveexec_b32 s9, s9
	s_cbranch_execnz .LBB85_1046
.LBB85_944:
	s_or_b32 exec_lo, exec_lo, s9
	v_mov_b32_e32 v6, 0
	s_and_saveexec_b32 s9, s8
.LBB85_945:
	v_lshrrev_b32_e32 v2, 24, v2
	v_and_or_b32 v6, 0x80, v2, v3
.LBB85_946:
	s_or_b32 exec_lo, exec_lo, s9
.LBB85_947:
	s_or_b32 exec_lo, exec_lo, s7
	global_store_byte v[4:5], v6, off
.LBB85_948:
	s_mov_b32 s7, 0
.LBB85_949:
	s_and_b32 vcc_lo, exec_lo, s7
	s_mov_b32 s7, 0
	s_cbranch_vccz .LBB85_989
; %bb.950:
	s_cmp_gt_i32 s6, 22
	s_mov_b32 s8, -1
	s_cbranch_scc0 .LBB85_982
; %bb.951:
	s_cmp_lt_i32 s6, 24
	s_cbranch_scc1 .LBB85_971
; %bb.952:
	s_cmp_gt_i32 s6, 24
	s_cbranch_scc0 .LBB85_960
; %bb.953:
	v_cvt_f32_f64_e32 v2, v[0:1]
	v_mov_b32_e32 v6, 0x80
	s_mov_b32 s8, exec_lo
	v_and_b32_e32 v3, 0x7fffffff, v2
	v_cmpx_gt_u32_e32 0x47800000, v3
	s_cbranch_execz .LBB85_959
; %bb.954:
	v_cmp_lt_u32_e32 vcc_lo, 0x37ffffff, v3
	s_mov_b32 s9, 0
                                        ; implicit-def: $vgpr3
	s_and_saveexec_b32 s10, vcc_lo
	s_xor_b32 s10, exec_lo, s10
	s_cbranch_execz .LBB85_1171
; %bb.955:
	v_bfe_u32 v3, v2, 21, 1
	s_mov_b32 s9, exec_lo
	v_add3_u32 v3, v2, v3, 0x88fffff
	v_lshrrev_b32_e32 v3, 21, v3
	s_andn2_saveexec_b32 s10, s10
	s_cbranch_execnz .LBB85_1172
.LBB85_956:
	s_or_b32 exec_lo, exec_lo, s10
	v_mov_b32_e32 v6, 0
	s_and_saveexec_b32 s10, s9
.LBB85_957:
	v_lshrrev_b32_e32 v2, 24, v2
	v_and_or_b32 v6, 0x80, v2, v3
.LBB85_958:
	s_or_b32 exec_lo, exec_lo, s10
.LBB85_959:
	s_or_b32 exec_lo, exec_lo, s8
	s_mov_b32 s8, 0
	global_store_byte v[4:5], v6, off
.LBB85_960:
	s_and_b32 vcc_lo, exec_lo, s8
	s_cbranch_vccz .LBB85_970
; %bb.961:
	v_cvt_f32_f64_e32 v2, v[0:1]
	s_mov_b32 s8, exec_lo
                                        ; implicit-def: $vgpr3
	v_and_b32_e32 v6, 0x7fffffff, v2
	v_cmpx_gt_u32_e32 0x43f00000, v6
	s_xor_b32 s8, exec_lo, s8
	s_cbranch_execz .LBB85_967
; %bb.962:
	s_mov_b32 s9, exec_lo
                                        ; implicit-def: $vgpr3
	v_cmpx_lt_u32_e32 0x3c7fffff, v6
	s_xor_b32 s9, exec_lo, s9
; %bb.963:
	v_bfe_u32 v3, v2, 20, 1
	v_add3_u32 v3, v2, v3, 0x407ffff
	v_and_b32_e32 v6, 0xff00000, v3
	v_lshrrev_b32_e32 v3, 20, v3
	v_cmp_ne_u32_e32 vcc_lo, 0x7f00000, v6
	v_cndmask_b32_e32 v3, 0x7e, v3, vcc_lo
; %bb.964:
	s_andn2_saveexec_b32 s9, s9
; %bb.965:
	v_add_f32_e64 v3, 0x46800000, |v2|
; %bb.966:
	s_or_b32 exec_lo, exec_lo, s9
                                        ; implicit-def: $vgpr6
.LBB85_967:
	s_andn2_saveexec_b32 s8, s8
; %bb.968:
	v_mov_b32_e32 v3, 0x7f
	v_cmp_lt_u32_e32 vcc_lo, 0x7f800000, v6
	v_cndmask_b32_e32 v3, 0x7e, v3, vcc_lo
; %bb.969:
	s_or_b32 exec_lo, exec_lo, s8
	v_lshrrev_b32_e32 v2, 24, v2
	v_and_or_b32 v2, 0x80, v2, v3
	global_store_byte v[4:5], v2, off
.LBB85_970:
	s_mov_b32 s8, 0
.LBB85_971:
	s_andn2_b32 vcc_lo, exec_lo, s8
	s_cbranch_vccnz .LBB85_981
; %bb.972:
	v_cvt_f32_f64_e32 v2, v[0:1]
	s_mov_b32 s8, exec_lo
                                        ; implicit-def: $vgpr3
	v_and_b32_e32 v6, 0x7fffffff, v2
	v_cmpx_gt_u32_e32 0x47800000, v6
	s_xor_b32 s8, exec_lo, s8
	s_cbranch_execz .LBB85_978
; %bb.973:
	s_mov_b32 s9, exec_lo
                                        ; implicit-def: $vgpr3
	v_cmpx_lt_u32_e32 0x387fffff, v6
	s_xor_b32 s9, exec_lo, s9
; %bb.974:
	v_bfe_u32 v3, v2, 21, 1
	v_add3_u32 v3, v2, v3, 0x80fffff
	v_lshrrev_b32_e32 v3, 21, v3
; %bb.975:
	s_andn2_saveexec_b32 s9, s9
; %bb.976:
	v_add_f32_e64 v3, 0x43000000, |v2|
; %bb.977:
	s_or_b32 exec_lo, exec_lo, s9
                                        ; implicit-def: $vgpr6
.LBB85_978:
	s_andn2_saveexec_b32 s8, s8
; %bb.979:
	v_mov_b32_e32 v3, 0x7f
	v_cmp_lt_u32_e32 vcc_lo, 0x7f800000, v6
	v_cndmask_b32_e32 v3, 0x7c, v3, vcc_lo
; %bb.980:
	s_or_b32 exec_lo, exec_lo, s8
	v_lshrrev_b32_e32 v2, 24, v2
	v_and_or_b32 v2, 0x80, v2, v3
	global_store_byte v[4:5], v2, off
.LBB85_981:
	s_mov_b32 s8, 0
.LBB85_982:
	s_andn2_b32 vcc_lo, exec_lo, s8
	s_mov_b32 s8, 0
	s_cbranch_vccnz .LBB85_990
; %bb.983:
	s_cmp_gt_i32 s6, 14
	s_mov_b32 s8, -1
	s_cbranch_scc0 .LBB85_987
; %bb.984:
	s_cmp_eq_u32 s6, 15
	s_mov_b32 s4, -1
	s_cbranch_scc0 .LBB85_986
; %bb.985:
	v_cvt_f32_f64_e32 v2, v[0:1]
	s_mov_b32 s4, 0
	v_bfe_u32 v3, v2, 16, 1
	v_cmp_o_f32_e32 vcc_lo, v2, v2
	v_add3_u32 v2, v2, v3, 0x7fff
	v_mov_b32_e32 v3, 0x7fc0
	v_cndmask_b32_sdwa v2, v3, v2, vcc_lo dst_sel:DWORD dst_unused:UNUSED_PAD src0_sel:DWORD src1_sel:WORD_1
	global_store_short v[4:5], v2, off
.LBB85_986:
	s_mov_b32 s8, 0
.LBB85_987:
	s_and_b32 vcc_lo, exec_lo, s8
	s_mov_b32 s8, 0
	s_cbranch_vccz .LBB85_990
; %bb.988:
	s_cmp_lg_u32 s6, 11
	s_mov_b32 s8, -1
	s_cselect_b32 s6, -1, 0
	s_andn2_b32 s4, s4, exec_lo
	s_and_b32 s6, s6, exec_lo
	s_or_b32 s4, s4, s6
	s_branch .LBB85_990
.LBB85_989:
	s_mov_b32 s8, 0
.LBB85_990:
	s_andn2_b32 s9, s66, exec_lo
	s_and_b32 s4, s4, exec_lo
	s_and_b32 s6, s7, exec_lo
	;; [unrolled: 1-line block ×3, first 2 shown]
	s_or_b32 s66, s9, s4
	s_or_b32 exec_lo, exec_lo, s68
	s_and_saveexec_b32 s4, s66
	s_cbranch_execz .LBB85_919
.LBB85_991:
	s_or_b32 s67, s67, exec_lo
	s_andn2_b32 s7, s7, exec_lo
	s_trap 2
	s_or_b32 exec_lo, exec_lo, s4
	s_and_saveexec_b32 s4, s7
	s_xor_b32 s4, exec_lo, s4
	s_cbranch_execnz .LBB85_920
.LBB85_992:
	s_or_b32 exec_lo, exec_lo, s4
	s_and_saveexec_b32 s4, s6
	s_xor_b32 s4, exec_lo, s4
	s_cbranch_execz .LBB85_1030
.LBB85_993:
	s_sext_i32_i16 s7, s5
	s_mov_b32 s6, -1
	s_cmp_lt_i32 s7, 5
	s_cbranch_scc1 .LBB85_1014
; %bb.994:
	s_cmp_lt_i32 s7, 8
	s_cbranch_scc1 .LBB85_1004
; %bb.995:
	;; [unrolled: 3-line block ×3, first 2 shown]
	s_cmp_gt_i32 s7, 9
	s_cbranch_scc0 .LBB85_998
; %bb.997:
	s_waitcnt vmcnt(0)
	v_mov_b32_e32 v2, 0
	s_mov_b32 s6, 0
	v_mov_b32_e32 v3, v2
	global_store_dwordx4 v[4:5], v[0:3], off
.LBB85_998:
	s_andn2_b32 vcc_lo, exec_lo, s6
	s_cbranch_vccnz .LBB85_1000
; %bb.999:
	s_waitcnt vmcnt(0)
	v_cvt_f32_f64_e32 v2, v[0:1]
	v_mov_b32_e32 v3, 0
	global_store_dwordx2 v[4:5], v[2:3], off
.LBB85_1000:
	s_mov_b32 s6, 0
.LBB85_1001:
	s_andn2_b32 vcc_lo, exec_lo, s6
	s_cbranch_vccnz .LBB85_1003
; %bb.1002:
	s_waitcnt vmcnt(0)
	v_and_or_b32 v2, 0x1ff, v1, v0
	v_lshrrev_b32_e32 v3, 8, v1
	v_bfe_u32 v6, v1, 20, 11
	v_cmp_ne_u32_e32 vcc_lo, 0, v2
	v_sub_nc_u32_e32 v7, 0x3f1, v6
	v_add_nc_u32_e32 v6, 0xfffffc10, v6
	v_cndmask_b32_e64 v2, 0, 1, vcc_lo
	v_and_or_b32 v2, 0xffe, v3, v2
	v_med3_i32 v3, v7, 0, 13
	v_or_b32_e32 v7, 0x1000, v2
	v_lshrrev_b32_e32 v8, v3, v7
	v_lshlrev_b32_e32 v3, v3, v8
	v_cmp_ne_u32_e32 vcc_lo, v3, v7
	v_lshl_or_b32 v7, v6, 12, v2
	v_cndmask_b32_e64 v3, 0, 1, vcc_lo
	v_cmp_gt_i32_e32 vcc_lo, 1, v6
	v_or_b32_e32 v3, v8, v3
	v_cndmask_b32_e32 v3, v7, v3, vcc_lo
	v_and_b32_e32 v7, 7, v3
	v_lshrrev_b32_e32 v3, 2, v3
	v_cmp_lt_i32_e32 vcc_lo, 5, v7
	v_cndmask_b32_e64 v8, 0, 1, vcc_lo
	v_cmp_eq_u32_e32 vcc_lo, 3, v7
	v_cndmask_b32_e64 v7, 0, 1, vcc_lo
	v_cmp_ne_u32_e32 vcc_lo, 0, v2
	v_or_b32_e32 v7, v7, v8
	v_mov_b32_e32 v8, 0x7e00
	v_add_nc_u32_e32 v3, v3, v7
	v_cndmask_b32_e32 v2, 0x7c00, v8, vcc_lo
	v_cmp_gt_i32_e32 vcc_lo, 31, v6
	v_cndmask_b32_e32 v3, 0x7c00, v3, vcc_lo
	v_cmp_eq_u32_e32 vcc_lo, 0x40f, v6
	v_cndmask_b32_e32 v2, v3, v2, vcc_lo
	v_lshrrev_b32_e32 v3, 16, v1
	v_and_or_b32 v2, 0x8000, v3, v2
	v_and_b32_e32 v2, 0xffff, v2
	global_store_dword v[4:5], v2, off
.LBB85_1003:
	s_mov_b32 s6, 0
.LBB85_1004:
	s_andn2_b32 vcc_lo, exec_lo, s6
	s_cbranch_vccnz .LBB85_1013
; %bb.1005:
	s_sext_i32_i16 s7, s5
	s_mov_b32 s6, -1
	s_cmp_lt_i32 s7, 6
	s_cbranch_scc1 .LBB85_1011
; %bb.1006:
	s_cmp_gt_i32 s7, 6
	s_cbranch_scc0 .LBB85_1008
; %bb.1007:
	s_mov_b32 s6, 0
	global_store_dwordx2 v[4:5], v[0:1], off
.LBB85_1008:
	s_andn2_b32 vcc_lo, exec_lo, s6
	s_cbranch_vccnz .LBB85_1010
; %bb.1009:
	s_waitcnt vmcnt(0)
	v_cvt_f32_f64_e32 v2, v[0:1]
	global_store_dword v[4:5], v2, off
.LBB85_1010:
	s_mov_b32 s6, 0
.LBB85_1011:
	s_andn2_b32 vcc_lo, exec_lo, s6
	s_cbranch_vccnz .LBB85_1013
; %bb.1012:
	s_waitcnt vmcnt(0)
	v_and_or_b32 v2, 0x1ff, v1, v0
	v_lshrrev_b32_e32 v3, 8, v1
	v_bfe_u32 v6, v1, 20, 11
	v_cmp_ne_u32_e32 vcc_lo, 0, v2
	v_sub_nc_u32_e32 v7, 0x3f1, v6
	v_add_nc_u32_e32 v6, 0xfffffc10, v6
	v_cndmask_b32_e64 v2, 0, 1, vcc_lo
	v_and_or_b32 v2, 0xffe, v3, v2
	v_med3_i32 v3, v7, 0, 13
	v_or_b32_e32 v7, 0x1000, v2
	v_lshrrev_b32_e32 v8, v3, v7
	v_lshlrev_b32_e32 v3, v3, v8
	v_cmp_ne_u32_e32 vcc_lo, v3, v7
	v_lshl_or_b32 v7, v6, 12, v2
	v_cndmask_b32_e64 v3, 0, 1, vcc_lo
	v_cmp_gt_i32_e32 vcc_lo, 1, v6
	v_or_b32_e32 v3, v8, v3
	v_cndmask_b32_e32 v3, v7, v3, vcc_lo
	v_and_b32_e32 v7, 7, v3
	v_lshrrev_b32_e32 v3, 2, v3
	v_cmp_lt_i32_e32 vcc_lo, 5, v7
	v_cndmask_b32_e64 v8, 0, 1, vcc_lo
	v_cmp_eq_u32_e32 vcc_lo, 3, v7
	v_cndmask_b32_e64 v7, 0, 1, vcc_lo
	v_cmp_ne_u32_e32 vcc_lo, 0, v2
	v_or_b32_e32 v7, v7, v8
	v_mov_b32_e32 v8, 0x7e00
	v_add_nc_u32_e32 v3, v3, v7
	v_cndmask_b32_e32 v2, 0x7c00, v8, vcc_lo
	v_cmp_gt_i32_e32 vcc_lo, 31, v6
	v_cndmask_b32_e32 v3, 0x7c00, v3, vcc_lo
	v_cmp_eq_u32_e32 vcc_lo, 0x40f, v6
	v_cndmask_b32_e32 v2, v3, v2, vcc_lo
	v_lshrrev_b32_e32 v3, 16, v1
	v_and_or_b32 v2, 0x8000, v3, v2
	global_store_short v[4:5], v2, off
.LBB85_1013:
	s_mov_b32 s6, 0
.LBB85_1014:
	s_andn2_b32 vcc_lo, exec_lo, s6
	s_cbranch_vccnz .LBB85_1030
; %bb.1015:
	s_sext_i32_i16 s7, s5
	s_mov_b32 s6, -1
	s_cmp_lt_i32 s7, 2
	s_cbranch_scc1 .LBB85_1025
; %bb.1016:
	s_cmp_lt_i32 s7, 3
	s_cbranch_scc1 .LBB85_1022
; %bb.1017:
	s_cmp_gt_i32 s7, 3
	s_cbranch_scc0 .LBB85_1019
; %bb.1018:
	s_waitcnt vmcnt(0)
	v_trunc_f64_e32 v[2:3], v[0:1]
	s_mov_b32 s6, 0
	v_ldexp_f64 v[6:7], v[2:3], 0xffffffe0
	v_floor_f64_e32 v[6:7], v[6:7]
	v_fma_f64 v[2:3], 0xc1f00000, v[6:7], v[2:3]
	v_cvt_i32_f64_e32 v7, v[6:7]
	v_cvt_u32_f64_e32 v6, v[2:3]
	global_store_dwordx2 v[4:5], v[6:7], off
.LBB85_1019:
	s_andn2_b32 vcc_lo, exec_lo, s6
	s_cbranch_vccnz .LBB85_1021
; %bb.1020:
	s_waitcnt vmcnt(0)
	v_cvt_i32_f64_e32 v2, v[0:1]
	global_store_dword v[4:5], v2, off
.LBB85_1021:
	s_mov_b32 s6, 0
.LBB85_1022:
	s_andn2_b32 vcc_lo, exec_lo, s6
	s_cbranch_vccnz .LBB85_1024
; %bb.1023:
	s_waitcnt vmcnt(0)
	v_cvt_i32_f64_e32 v2, v[0:1]
	global_store_short v[4:5], v2, off
.LBB85_1024:
	s_mov_b32 s6, 0
.LBB85_1025:
	s_andn2_b32 vcc_lo, exec_lo, s6
	s_cbranch_vccnz .LBB85_1030
; %bb.1026:
	s_sext_i32_i16 s5, s5
	s_cmp_gt_i32 s5, 0
	s_mov_b32 s5, -1
	s_cbranch_scc0 .LBB85_1028
; %bb.1027:
	s_waitcnt vmcnt(0)
	v_cvt_i32_f64_e32 v2, v[0:1]
	s_mov_b32 s5, 0
	global_store_byte v[4:5], v2, off
.LBB85_1028:
	s_andn2_b32 vcc_lo, exec_lo, s5
	s_cbranch_vccnz .LBB85_1030
; %bb.1029:
	v_trunc_f64_e32 v[0:1], v[0:1]
	s_waitcnt vmcnt(0)
	v_ldexp_f64 v[2:3], v[0:1], 0xffffffe0
	v_floor_f64_e32 v[2:3], v[2:3]
	v_fma_f64 v[0:1], 0xc1f00000, v[2:3], v[0:1]
	v_cvt_u32_f64_e32 v0, v[0:1]
	global_store_byte v[4:5], v0, off
.LBB85_1030:
	s_or_b32 exec_lo, exec_lo, s4
	s_and_b32 s66, s67, exec_lo
                                        ; implicit-def: $vgpr47
.LBB85_1031:
	s_or_saveexec_b32 s65, s65
	s_mov_b32 s4, 0
                                        ; implicit-def: $sgpr67
                                        ; implicit-def: $vgpr4_vgpr5
                                        ; implicit-def: $vgpr0_vgpr1
	s_xor_b32 exec_lo, exec_lo, s65
	s_cbranch_execz .LBB85_1983
; %bb.1032:
	v_mul_lo_u32 v4, s53, v47
	s_and_b32 s4, 0xffff, s64
	s_cmp_lt_i32 s4, 11
	v_ashrrev_i32_e32 v1, 31, v4
	v_add_co_u32 v0, vcc_lo, s50, v4
	v_add_co_ci_u32_e64 v1, null, s51, v1, vcc_lo
	s_cbranch_scc1 .LBB85_1039
; %bb.1033:
	s_cmp_gt_i32 s4, 25
	s_mov_b32 s6, 0
	s_cbranch_scc0 .LBB85_1041
; %bb.1034:
	s_cmp_gt_i32 s4, 28
	s_cbranch_scc0 .LBB85_1042
; %bb.1035:
	s_cmp_gt_i32 s4, 43
	;; [unrolled: 3-line block ×3, first 2 shown]
	s_cbranch_scc0 .LBB85_1044
; %bb.1037:
	s_cmp_eq_u32 s4, 46
	s_mov_b32 s8, 0
	s_cbranch_scc0 .LBB85_1047
; %bb.1038:
	global_load_dword v2, v[0:1], off
	s_mov_b32 s5, 0
	s_mov_b32 s7, -1
	s_waitcnt vmcnt(0)
	v_lshlrev_b32_e32 v2, 16, v2
	v_cvt_f64_f32_e32 v[2:3], v2
	s_branch .LBB85_1049
.LBB85_1039:
	s_mov_b32 s7, 0
	s_mov_b32 s39, s66
                                        ; implicit-def: $vgpr2_vgpr3
	s_cbranch_execnz .LBB85_1112
.LBB85_1040:
	s_andn2_b32 vcc_lo, exec_lo, s7
	s_cbranch_vccz .LBB85_1157
	s_branch .LBB85_1981
.LBB85_1041:
	s_mov_b32 s7, 0
	s_mov_b32 s5, 0
                                        ; implicit-def: $vgpr2_vgpr3
	s_cbranch_execnz .LBB85_1079
	s_branch .LBB85_1108
.LBB85_1042:
	s_mov_b32 s8, -1
	s_mov_b32 s7, 0
	s_mov_b32 s5, 0
                                        ; implicit-def: $vgpr2_vgpr3
	s_branch .LBB85_1058
.LBB85_1043:
	s_mov_b32 s7, 0
	s_mov_b32 s5, 0
                                        ; implicit-def: $vgpr2_vgpr3
	s_cbranch_execnz .LBB85_1054
	s_branch .LBB85_1057
.LBB85_1044:
	s_mov_b32 s8, -1
	s_mov_b32 s7, 0
	s_mov_b32 s5, 0
	s_branch .LBB85_1048
.LBB85_1045:
	s_andn2_saveexec_b32 s9, s9
	s_cbranch_execz .LBB85_944
.LBB85_1046:
	v_add_f32_e64 v3, 0x46000000, |v2|
	s_andn2_b32 s8, s8, exec_lo
	v_and_b32_e32 v3, 0xff, v3
	v_cmp_ne_u32_e32 vcc_lo, 0, v3
	s_and_b32 s10, vcc_lo, exec_lo
	s_or_b32 s8, s8, s10
	s_or_b32 exec_lo, exec_lo, s9
	v_mov_b32_e32 v6, 0
	s_and_saveexec_b32 s9, s8
	s_cbranch_execnz .LBB85_945
	s_branch .LBB85_946
.LBB85_1047:
	s_mov_b32 s5, -1
	s_mov_b32 s7, 0
.LBB85_1048:
                                        ; implicit-def: $vgpr2_vgpr3
.LBB85_1049:
	s_and_b32 vcc_lo, exec_lo, s8
	s_cbranch_vccz .LBB85_1052
; %bb.1050:
	s_cmp_eq_u32 s4, 44
	s_cbranch_scc0 .LBB85_1053
; %bb.1051:
	global_load_ubyte v5, v[0:1], off
	s_mov_b32 s5, 0
	s_mov_b32 s7, -1
	s_waitcnt vmcnt(0)
	v_lshlrev_b32_e32 v2, 23, v5
	v_cmp_ne_u32_e32 vcc_lo, 0xff, v5
	v_cvt_f64_f32_e32 v[2:3], v2
	v_cndmask_b32_e32 v2, 0x20000000, v2, vcc_lo
	v_cndmask_b32_e32 v3, 0x7ff80000, v3, vcc_lo
	v_cmp_ne_u32_e32 vcc_lo, 0, v5
	v_cndmask_b32_e32 v3, 0x38000000, v3, vcc_lo
	v_cndmask_b32_e32 v2, 0, v2, vcc_lo
.LBB85_1052:
	s_branch .LBB85_1057
.LBB85_1053:
	s_mov_b32 s5, -1
                                        ; implicit-def: $vgpr2_vgpr3
	s_branch .LBB85_1057
.LBB85_1054:
	s_cmp_eq_u32 s4, 29
	s_cbranch_scc0 .LBB85_1056
; %bb.1055:
	global_load_dwordx2 v[2:3], v[0:1], off
	s_mov_b32 s5, 0
	s_mov_b32 s7, -1
	s_mov_b32 s8, 0
	s_waitcnt vmcnt(0)
	v_cvt_f64_u32_e32 v[5:6], v3
	v_cvt_f64_u32_e32 v[2:3], v2
	v_ldexp_f64 v[5:6], v[5:6], 32
	v_add_f64 v[2:3], v[5:6], v[2:3]
	s_branch .LBB85_1058
.LBB85_1056:
	s_mov_b32 s5, -1
                                        ; implicit-def: $vgpr2_vgpr3
.LBB85_1057:
	s_mov_b32 s8, 0
.LBB85_1058:
	s_and_b32 vcc_lo, exec_lo, s8
	s_cbranch_vccz .LBB85_1078
; %bb.1059:
	s_cmp_lt_i32 s4, 27
	s_cbranch_scc1 .LBB85_1062
; %bb.1060:
	s_cmp_gt_i32 s4, 27
	s_cbranch_scc0 .LBB85_1063
; %bb.1061:
	global_load_dword v2, v[0:1], off
	s_mov_b32 s7, 0
	s_waitcnt vmcnt(0)
	v_cvt_f64_u32_e32 v[2:3], v2
	s_branch .LBB85_1064
.LBB85_1062:
	s_mov_b32 s7, -1
                                        ; implicit-def: $vgpr2_vgpr3
	s_branch .LBB85_1067
.LBB85_1063:
	s_mov_b32 s7, -1
                                        ; implicit-def: $vgpr2_vgpr3
.LBB85_1064:
	s_andn2_b32 vcc_lo, exec_lo, s7
	s_cbranch_vccnz .LBB85_1066
; %bb.1065:
	global_load_ushort v2, v[0:1], off
	s_waitcnt vmcnt(0)
	v_cvt_f64_u32_e32 v[2:3], v2
.LBB85_1066:
	s_mov_b32 s7, 0
.LBB85_1067:
	s_andn2_b32 vcc_lo, exec_lo, s7
	s_cbranch_vccnz .LBB85_1077
; %bb.1068:
	global_load_ubyte v5, v[0:1], off
	s_mov_b32 s7, 0
	s_mov_b32 s8, exec_lo
	s_waitcnt vmcnt(0)
	v_cmpx_lt_i16_e32 0x7f, v5
	s_xor_b32 s8, exec_lo, s8
	s_cbranch_execz .LBB85_1072
; %bb.1069:
	s_mov_b32 s7, -1
	s_mov_b32 s9, exec_lo
	v_cmpx_eq_u16_e32 0x80, v5
; %bb.1070:
	s_xor_b32 s7, exec_lo, -1
; %bb.1071:
	s_or_b32 exec_lo, exec_lo, s9
	s_and_b32 s7, s7, exec_lo
.LBB85_1072:
	s_or_saveexec_b32 s8, s8
	v_bfrev_b32_e32 v2, 4
	v_mov_b32_e32 v3, 0x7ff80000
	s_xor_b32 exec_lo, exec_lo, s8
; %bb.1073:
	v_cmp_ne_u16_e32 vcc_lo, 0, v5
	v_mov_b32_e32 v2, 0
	v_mov_b32_e32 v3, 0
	s_andn2_b32 s7, s7, exec_lo
	s_and_b32 s9, vcc_lo, exec_lo
	s_or_b32 s7, s7, s9
; %bb.1074:
	s_or_b32 exec_lo, exec_lo, s8
	s_and_saveexec_b32 s8, s7
	s_cbranch_execz .LBB85_1076
; %bb.1075:
	v_and_b32_e32 v2, 0xffff, v5
	v_lshlrev_b32_e32 v5, 24, v5
	v_and_b32_e32 v3, 7, v2
	v_bfe_u32 v8, v2, 3, 4
	v_ffbh_u32_e32 v6, v3
	v_cmp_eq_u32_e32 vcc_lo, 0, v8
	v_min_u32_e32 v6, 32, v6
	v_subrev_nc_u32_e32 v7, 28, v6
	v_sub_nc_u32_e32 v6, 29, v6
	v_lshlrev_b32_e32 v2, v7, v2
	v_cndmask_b32_e32 v6, v8, v6, vcc_lo
	v_and_b32_e32 v2, 7, v2
	v_cndmask_b32_e32 v2, v3, v2, vcc_lo
	v_and_b32_e32 v3, 0x80000000, v5
	v_lshl_add_u32 v5, v6, 23, 0x3b800000
	v_lshlrev_b32_e32 v2, 20, v2
	v_or3_b32 v2, v3, v5, v2
	v_cvt_f64_f32_e32 v[2:3], v2
.LBB85_1076:
	s_or_b32 exec_lo, exec_lo, s8
.LBB85_1077:
	s_mov_b32 s7, -1
.LBB85_1078:
	s_branch .LBB85_1108
.LBB85_1079:
	s_cmp_gt_i32 s4, 22
	s_cbranch_scc0 .LBB85_1091
; %bb.1080:
	s_cmp_lt_i32 s4, 24
	s_cbranch_scc1 .LBB85_1092
; %bb.1081:
	s_cmp_gt_i32 s4, 24
	s_cbranch_scc0 .LBB85_1093
; %bb.1082:
	global_load_ubyte v5, v[0:1], off
	s_mov_b32 s7, exec_lo
	s_waitcnt vmcnt(0)
	v_cmpx_lt_i16_e32 0x7f, v5
	s_xor_b32 s7, exec_lo, s7
	s_cbranch_execz .LBB85_1086
; %bb.1083:
	s_mov_b32 s6, -1
	s_mov_b32 s8, exec_lo
	v_cmpx_eq_u16_e32 0x80, v5
; %bb.1084:
	s_xor_b32 s6, exec_lo, -1
; %bb.1085:
	s_or_b32 exec_lo, exec_lo, s8
	s_and_b32 s6, s6, exec_lo
.LBB85_1086:
	s_or_saveexec_b32 s7, s7
	v_bfrev_b32_e32 v2, 4
	v_mov_b32_e32 v3, 0x7ff80000
	s_xor_b32 exec_lo, exec_lo, s7
; %bb.1087:
	v_cmp_ne_u16_e32 vcc_lo, 0, v5
	v_mov_b32_e32 v2, 0
	v_mov_b32_e32 v3, 0
	s_andn2_b32 s6, s6, exec_lo
	s_and_b32 s8, vcc_lo, exec_lo
	s_or_b32 s6, s6, s8
; %bb.1088:
	s_or_b32 exec_lo, exec_lo, s7
	s_and_saveexec_b32 s7, s6
	s_cbranch_execz .LBB85_1090
; %bb.1089:
	v_and_b32_e32 v2, 0xffff, v5
	v_lshlrev_b32_e32 v5, 24, v5
	v_and_b32_e32 v3, 3, v2
	v_bfe_u32 v8, v2, 2, 5
	v_ffbh_u32_e32 v6, v3
	v_cmp_eq_u32_e32 vcc_lo, 0, v8
	v_min_u32_e32 v6, 32, v6
	v_subrev_nc_u32_e32 v7, 29, v6
	v_sub_nc_u32_e32 v6, 30, v6
	v_lshlrev_b32_e32 v2, v7, v2
	v_cndmask_b32_e32 v6, v8, v6, vcc_lo
	v_and_b32_e32 v2, 3, v2
	v_cndmask_b32_e32 v2, v3, v2, vcc_lo
	v_and_b32_e32 v3, 0x80000000, v5
	v_lshl_add_u32 v5, v6, 23, 0x37800000
	v_lshlrev_b32_e32 v2, 21, v2
	v_or3_b32 v2, v3, v5, v2
	v_cvt_f64_f32_e32 v[2:3], v2
.LBB85_1090:
	s_or_b32 exec_lo, exec_lo, s7
	s_mov_b32 s6, 0
	s_branch .LBB85_1094
.LBB85_1091:
                                        ; implicit-def: $vgpr2_vgpr3
	s_mov_b32 s6, 0
	s_branch .LBB85_1100
.LBB85_1092:
	s_mov_b32 s6, -1
                                        ; implicit-def: $vgpr2_vgpr3
	s_branch .LBB85_1097
.LBB85_1093:
	s_mov_b32 s6, -1
                                        ; implicit-def: $vgpr2_vgpr3
.LBB85_1094:
	s_and_b32 vcc_lo, exec_lo, s6
	s_cbranch_vccz .LBB85_1096
; %bb.1095:
	global_load_ubyte v2, v[0:1], off
	s_waitcnt vmcnt(0)
	v_lshlrev_b32_e32 v2, 24, v2
	v_and_b32_e32 v3, 0x7f000000, v2
	v_ffbh_u32_e32 v5, v3
	v_add_nc_u32_e32 v7, 0x1000000, v3
	v_cmp_ne_u32_e32 vcc_lo, 0, v3
	v_min_u32_e32 v5, 32, v5
	v_sub_nc_u32_e64 v5, v5, 4 clamp
	v_lshlrev_b32_e32 v6, v5, v3
	v_lshlrev_b32_e32 v5, 23, v5
	v_lshrrev_b32_e32 v6, 4, v6
	v_sub_nc_u32_e32 v5, v6, v5
	v_ashrrev_i32_e32 v6, 8, v7
	v_add_nc_u32_e32 v5, 0x3c000000, v5
	v_and_or_b32 v5, 0x7f800000, v6, v5
	v_cndmask_b32_e32 v3, 0, v5, vcc_lo
	v_and_or_b32 v2, 0x80000000, v2, v3
	v_cvt_f64_f32_e32 v[2:3], v2
.LBB85_1096:
	s_mov_b32 s6, 0
.LBB85_1097:
	s_andn2_b32 vcc_lo, exec_lo, s6
	s_cbranch_vccnz .LBB85_1099
; %bb.1098:
	global_load_ubyte v2, v[0:1], off
	s_waitcnt vmcnt(0)
	v_lshlrev_b32_e32 v3, 25, v2
	v_lshlrev_b16 v2, 8, v2
	v_lshrrev_b32_e32 v5, 4, v3
	v_and_or_b32 v6, 0x7f00, v2, 0.5
	v_cmp_gt_u32_e32 vcc_lo, 0x8000000, v3
	v_bfe_i32 v2, v2, 0, 16
	v_or_b32_e32 v5, 0x70000000, v5
	v_add_f32_e32 v6, -0.5, v6
	v_mul_f32_e32 v5, 0x7800000, v5
	v_cndmask_b32_e32 v3, v5, v6, vcc_lo
	v_and_or_b32 v2, 0x80000000, v2, v3
	v_cvt_f64_f32_e32 v[2:3], v2
.LBB85_1099:
	s_mov_b32 s7, -1
	s_mov_b32 s6, 0
	s_cbranch_execnz .LBB85_1108
.LBB85_1100:
	s_cmp_gt_i32 s4, 14
	s_cbranch_scc0 .LBB85_1103
; %bb.1101:
	s_cmp_eq_u32 s4, 15
	s_cbranch_scc0 .LBB85_1104
; %bb.1102:
	global_load_ushort v2, v[0:1], off
	s_mov_b32 s5, 0
	s_mov_b32 s7, -1
	s_waitcnt vmcnt(0)
	v_lshlrev_b32_e32 v2, 16, v2
	v_cvt_f64_f32_e32 v[2:3], v2
	s_branch .LBB85_1106
.LBB85_1103:
	s_mov_b32 s6, -1
	s_branch .LBB85_1105
.LBB85_1104:
	s_mov_b32 s5, -1
.LBB85_1105:
                                        ; implicit-def: $vgpr2_vgpr3
.LBB85_1106:
	s_and_b32 vcc_lo, exec_lo, s6
	s_mov_b32 s6, 0
	s_cbranch_vccz .LBB85_1108
; %bb.1107:
	s_cmp_lg_u32 s4, 11
	s_mov_b32 s6, -1
	s_cselect_b32 s5, -1, 0
.LBB85_1108:
	s_and_b32 vcc_lo, exec_lo, s5
	s_mov_b32 s39, s66
	s_cbranch_vccnz .LBB85_1169
; %bb.1109:
	s_andn2_b32 vcc_lo, exec_lo, s6
	s_cbranch_vccnz .LBB85_1111
.LBB85_1110:
	global_load_ubyte v2, v[0:1], off
	s_mov_b32 s7, -1
	s_waitcnt vmcnt(0)
	v_cmp_ne_u16_e32 vcc_lo, 0, v2
	v_mov_b32_e32 v2, 0
	v_cndmask_b32_e64 v3, 0, 0x3ff00000, vcc_lo
.LBB85_1111:
	s_branch .LBB85_1040
.LBB85_1112:
	s_cmp_lt_i32 s4, 5
	s_cbranch_scc1 .LBB85_1117
; %bb.1113:
	s_cmp_lt_i32 s4, 8
	s_cbranch_scc1 .LBB85_1118
; %bb.1114:
	;; [unrolled: 3-line block ×3, first 2 shown]
	s_cmp_gt_i32 s4, 9
	s_cbranch_scc0 .LBB85_1120
; %bb.1116:
	global_load_dwordx2 v[2:3], v[0:1], off
	s_mov_b32 s5, 0
	s_branch .LBB85_1121
.LBB85_1117:
                                        ; implicit-def: $vgpr2_vgpr3
	s_branch .LBB85_1138
.LBB85_1118:
                                        ; implicit-def: $vgpr2_vgpr3
	s_branch .LBB85_1127
.LBB85_1119:
	s_mov_b32 s5, -1
                                        ; implicit-def: $vgpr2_vgpr3
	s_branch .LBB85_1124
.LBB85_1120:
	s_mov_b32 s5, -1
                                        ; implicit-def: $vgpr2_vgpr3
.LBB85_1121:
	s_andn2_b32 vcc_lo, exec_lo, s5
	s_cbranch_vccnz .LBB85_1123
; %bb.1122:
	global_load_dword v2, v[0:1], off
	s_waitcnt vmcnt(0)
	v_cvt_f64_f32_e32 v[2:3], v2
.LBB85_1123:
	s_mov_b32 s5, 0
.LBB85_1124:
	s_andn2_b32 vcc_lo, exec_lo, s5
	s_cbranch_vccnz .LBB85_1126
; %bb.1125:
	global_load_dword v2, v[0:1], off
	s_waitcnt vmcnt(0)
	v_cvt_f32_f16_e32 v2, v2
	v_cvt_f64_f32_e32 v[2:3], v2
.LBB85_1126:
	s_cbranch_execnz .LBB85_1137
.LBB85_1127:
	s_cmp_lt_i32 s4, 6
	s_cbranch_scc1 .LBB85_1130
; %bb.1128:
	s_cmp_gt_i32 s4, 6
	s_cbranch_scc0 .LBB85_1131
; %bb.1129:
	global_load_dwordx2 v[2:3], v[0:1], off
	s_mov_b32 s5, 0
	s_branch .LBB85_1132
.LBB85_1130:
	s_mov_b32 s5, -1
                                        ; implicit-def: $vgpr2_vgpr3
	s_branch .LBB85_1135
.LBB85_1131:
	s_mov_b32 s5, -1
                                        ; implicit-def: $vgpr2_vgpr3
.LBB85_1132:
	s_andn2_b32 vcc_lo, exec_lo, s5
	s_cbranch_vccnz .LBB85_1134
; %bb.1133:
	global_load_dword v2, v[0:1], off
	s_waitcnt vmcnt(0)
	v_cvt_f64_f32_e32 v[2:3], v2
.LBB85_1134:
	s_mov_b32 s5, 0
.LBB85_1135:
	s_andn2_b32 vcc_lo, exec_lo, s5
	s_cbranch_vccnz .LBB85_1137
; %bb.1136:
	global_load_ushort v2, v[0:1], off
	s_waitcnt vmcnt(0)
	v_cvt_f32_f16_e32 v2, v2
	v_cvt_f64_f32_e32 v[2:3], v2
.LBB85_1137:
	s_cbranch_execnz .LBB85_1156
.LBB85_1138:
	s_cmp_lt_i32 s4, 2
	s_cbranch_scc1 .LBB85_1142
; %bb.1139:
	s_cmp_lt_i32 s4, 3
	s_cbranch_scc1 .LBB85_1143
; %bb.1140:
	s_cmp_gt_i32 s4, 3
	s_cbranch_scc0 .LBB85_1144
; %bb.1141:
	global_load_dwordx2 v[2:3], v[0:1], off
	s_mov_b32 s5, 0
	s_waitcnt vmcnt(0)
	v_cvt_f64_i32_e32 v[5:6], v3
	v_cvt_f64_u32_e32 v[2:3], v2
	v_ldexp_f64 v[5:6], v[5:6], 32
	v_add_f64 v[2:3], v[5:6], v[2:3]
	s_branch .LBB85_1145
.LBB85_1142:
                                        ; implicit-def: $vgpr2_vgpr3
	s_branch .LBB85_1151
.LBB85_1143:
	s_mov_b32 s5, -1
                                        ; implicit-def: $vgpr2_vgpr3
	s_branch .LBB85_1148
.LBB85_1144:
	s_mov_b32 s5, -1
                                        ; implicit-def: $vgpr2_vgpr3
.LBB85_1145:
	s_andn2_b32 vcc_lo, exec_lo, s5
	s_cbranch_vccnz .LBB85_1147
; %bb.1146:
	global_load_dword v2, v[0:1], off
	s_waitcnt vmcnt(0)
	v_cvt_f64_i32_e32 v[2:3], v2
.LBB85_1147:
	s_mov_b32 s5, 0
.LBB85_1148:
	s_andn2_b32 vcc_lo, exec_lo, s5
	s_cbranch_vccnz .LBB85_1150
; %bb.1149:
	global_load_sshort v2, v[0:1], off
	s_waitcnt vmcnt(0)
	v_cvt_f64_i32_e32 v[2:3], v2
.LBB85_1150:
	s_cbranch_execnz .LBB85_1156
.LBB85_1151:
	s_cmp_gt_i32 s4, 0
	s_mov_b32 s5, 0
	s_cbranch_scc0 .LBB85_1153
; %bb.1152:
	global_load_sbyte v2, v[0:1], off
	s_waitcnt vmcnt(0)
	v_cvt_f64_i32_e32 v[2:3], v2
	s_branch .LBB85_1154
.LBB85_1153:
	s_mov_b32 s5, -1
                                        ; implicit-def: $vgpr2_vgpr3
.LBB85_1154:
	s_andn2_b32 vcc_lo, exec_lo, s5
	s_cbranch_vccnz .LBB85_1156
; %bb.1155:
	global_load_ubyte v0, v[0:1], off
	s_waitcnt vmcnt(0)
	v_cvt_f64_u32_e32 v[2:3], v0
.LBB85_1156:
.LBB85_1157:
	s_lshl_b32 s5, s53, 7
	s_cmp_lt_i32 s4, 11
	v_add_nc_u32_e32 v4, s5, v4
	v_ashrrev_i32_e32 v1, 31, v4
	v_add_co_u32 v0, vcc_lo, s50, v4
	v_add_co_ci_u32_e64 v1, null, s51, v1, vcc_lo
	s_cbranch_scc1 .LBB85_1164
; %bb.1158:
	s_cmp_gt_i32 s4, 25
	s_mov_b32 s7, 0
	s_cbranch_scc0 .LBB85_1166
; %bb.1159:
	s_cmp_gt_i32 s4, 28
	s_cbranch_scc0 .LBB85_1167
; %bb.1160:
	s_cmp_gt_i32 s4, 43
	;; [unrolled: 3-line block ×3, first 2 shown]
	s_cbranch_scc0 .LBB85_1170
; %bb.1162:
	s_cmp_eq_u32 s4, 46
	s_mov_b32 s9, 0
	s_cbranch_scc0 .LBB85_1173
; %bb.1163:
	global_load_dword v5, v[0:1], off
	s_mov_b32 s6, 0
	s_mov_b32 s8, -1
	s_waitcnt vmcnt(0)
	v_lshlrev_b32_e32 v5, 16, v5
	v_cvt_f64_f32_e32 v[45:46], v5
	s_branch .LBB85_1175
.LBB85_1164:
	s_mov_b32 s8, 0
                                        ; implicit-def: $vgpr45_vgpr46
	s_cbranch_execnz .LBB85_1240
.LBB85_1165:
	s_andn2_b32 vcc_lo, exec_lo, s8
	s_cbranch_vccnz .LBB85_1981
	s_branch .LBB85_1287
.LBB85_1166:
	s_mov_b32 s8, 0
	s_mov_b32 s6, 0
                                        ; implicit-def: $vgpr45_vgpr46
	s_cbranch_execnz .LBB85_1206
	s_branch .LBB85_1236
.LBB85_1167:
	s_mov_b32 s9, -1
	s_mov_b32 s8, 0
	s_mov_b32 s6, 0
                                        ; implicit-def: $vgpr45_vgpr46
	s_branch .LBB85_1185
.LBB85_1168:
	s_mov_b32 s9, -1
	s_mov_b32 s8, 0
	s_mov_b32 s6, 0
                                        ; implicit-def: $vgpr45_vgpr46
	s_branch .LBB85_1180
.LBB85_1169:
	s_or_b32 s39, s66, exec_lo
	s_trap 2
	s_cbranch_execz .LBB85_1110
	s_branch .LBB85_1111
.LBB85_1170:
	s_mov_b32 s9, -1
	s_mov_b32 s8, 0
	s_mov_b32 s6, 0
	s_branch .LBB85_1174
.LBB85_1171:
	s_andn2_saveexec_b32 s10, s10
	s_cbranch_execz .LBB85_956
.LBB85_1172:
	v_add_f32_e64 v3, 0x42800000, |v2|
	s_andn2_b32 s9, s9, exec_lo
	v_and_b32_e32 v3, 0xff, v3
	v_cmp_ne_u32_e32 vcc_lo, 0, v3
	s_and_b32 s11, vcc_lo, exec_lo
	s_or_b32 s9, s9, s11
	s_or_b32 exec_lo, exec_lo, s10
	v_mov_b32_e32 v6, 0
	s_and_saveexec_b32 s10, s9
	s_cbranch_execnz .LBB85_957
	s_branch .LBB85_958
.LBB85_1173:
	s_mov_b32 s6, -1
	s_mov_b32 s8, 0
.LBB85_1174:
                                        ; implicit-def: $vgpr45_vgpr46
.LBB85_1175:
	s_and_b32 vcc_lo, exec_lo, s9
	s_cbranch_vccz .LBB85_1179
; %bb.1176:
	s_cmp_eq_u32 s4, 44
	s_cbranch_scc0 .LBB85_1178
; %bb.1177:
	global_load_ubyte v7, v[0:1], off
	s_mov_b32 s6, 0
	s_mov_b32 s8, -1
	s_waitcnt vmcnt(0)
	v_lshlrev_b32_e32 v5, 23, v7
	v_cmp_ne_u32_e32 vcc_lo, 0xff, v7
	v_cvt_f64_f32_e32 v[5:6], v5
	v_cndmask_b32_e32 v5, 0x20000000, v5, vcc_lo
	v_cndmask_b32_e32 v6, 0x7ff80000, v6, vcc_lo
	v_cmp_ne_u32_e32 vcc_lo, 0, v7
	v_cndmask_b32_e32 v46, 0x38000000, v6, vcc_lo
	v_cndmask_b32_e32 v45, 0, v5, vcc_lo
	s_branch .LBB85_1179
.LBB85_1178:
	s_mov_b32 s6, -1
                                        ; implicit-def: $vgpr45_vgpr46
.LBB85_1179:
	s_mov_b32 s9, 0
.LBB85_1180:
	s_and_b32 vcc_lo, exec_lo, s9
	s_cbranch_vccz .LBB85_1184
; %bb.1181:
	s_cmp_eq_u32 s4, 29
	s_cbranch_scc0 .LBB85_1183
; %bb.1182:
	global_load_dwordx2 v[5:6], v[0:1], off
	s_mov_b32 s6, 0
	s_mov_b32 s8, -1
	s_mov_b32 s9, 0
	s_waitcnt vmcnt(0)
	v_cvt_f64_u32_e32 v[6:7], v6
	v_cvt_f64_u32_e32 v[8:9], v5
	v_ldexp_f64 v[6:7], v[6:7], 32
	v_add_f64 v[45:46], v[6:7], v[8:9]
	s_branch .LBB85_1185
.LBB85_1183:
	s_mov_b32 s6, -1
                                        ; implicit-def: $vgpr45_vgpr46
.LBB85_1184:
	s_mov_b32 s9, 0
.LBB85_1185:
	s_and_b32 vcc_lo, exec_lo, s9
	s_cbranch_vccz .LBB85_1205
; %bb.1186:
	s_cmp_lt_i32 s4, 27
	s_cbranch_scc1 .LBB85_1189
; %bb.1187:
	s_cmp_gt_i32 s4, 27
	s_cbranch_scc0 .LBB85_1190
; %bb.1188:
	global_load_dword v5, v[0:1], off
	s_mov_b32 s8, 0
	s_waitcnt vmcnt(0)
	v_cvt_f64_u32_e32 v[45:46], v5
	s_branch .LBB85_1191
.LBB85_1189:
	s_mov_b32 s8, -1
                                        ; implicit-def: $vgpr45_vgpr46
	s_branch .LBB85_1194
.LBB85_1190:
	s_mov_b32 s8, -1
                                        ; implicit-def: $vgpr45_vgpr46
.LBB85_1191:
	s_andn2_b32 vcc_lo, exec_lo, s8
	s_cbranch_vccnz .LBB85_1193
; %bb.1192:
	global_load_ushort v5, v[0:1], off
	s_waitcnt vmcnt(0)
	v_cvt_f64_u32_e32 v[45:46], v5
.LBB85_1193:
	s_mov_b32 s8, 0
.LBB85_1194:
	s_andn2_b32 vcc_lo, exec_lo, s8
	s_cbranch_vccnz .LBB85_1204
; %bb.1195:
	global_load_ubyte v5, v[0:1], off
	s_mov_b32 s8, 0
	s_mov_b32 s9, exec_lo
	s_waitcnt vmcnt(0)
	v_cmpx_lt_i16_e32 0x7f, v5
	s_xor_b32 s9, exec_lo, s9
	s_cbranch_execz .LBB85_1199
; %bb.1196:
	s_mov_b32 s8, -1
	s_mov_b32 s10, exec_lo
	v_cmpx_eq_u16_e32 0x80, v5
; %bb.1197:
	s_xor_b32 s8, exec_lo, -1
; %bb.1198:
	s_or_b32 exec_lo, exec_lo, s10
	s_and_b32 s8, s8, exec_lo
.LBB85_1199:
	s_or_saveexec_b32 s9, s9
	v_bfrev_b32_e32 v45, 4
	v_mov_b32_e32 v46, 0x7ff80000
	s_xor_b32 exec_lo, exec_lo, s9
; %bb.1200:
	v_cmp_ne_u16_e32 vcc_lo, 0, v5
	v_mov_b32_e32 v45, 0
	v_mov_b32_e32 v46, 0
	s_andn2_b32 s8, s8, exec_lo
	s_and_b32 s10, vcc_lo, exec_lo
	s_or_b32 s8, s8, s10
; %bb.1201:
	s_or_b32 exec_lo, exec_lo, s9
	s_and_saveexec_b32 s9, s8
	s_cbranch_execz .LBB85_1203
; %bb.1202:
	v_and_b32_e32 v6, 0xffff, v5
	v_lshlrev_b32_e32 v5, 24, v5
	v_and_b32_e32 v7, 7, v6
	v_bfe_u32 v10, v6, 3, 4
	v_and_b32_e32 v5, 0x80000000, v5
	v_ffbh_u32_e32 v8, v7
	v_cmp_eq_u32_e32 vcc_lo, 0, v10
	v_min_u32_e32 v8, 32, v8
	v_subrev_nc_u32_e32 v9, 28, v8
	v_sub_nc_u32_e32 v8, 29, v8
	v_lshlrev_b32_e32 v6, v9, v6
	v_cndmask_b32_e32 v8, v10, v8, vcc_lo
	v_and_b32_e32 v6, 7, v6
	v_cndmask_b32_e32 v6, v7, v6, vcc_lo
	v_lshl_add_u32 v7, v8, 23, 0x3b800000
	v_lshlrev_b32_e32 v6, 20, v6
	v_or3_b32 v5, v5, v7, v6
	v_cvt_f64_f32_e32 v[45:46], v5
.LBB85_1203:
	s_or_b32 exec_lo, exec_lo, s9
.LBB85_1204:
	s_mov_b32 s8, -1
.LBB85_1205:
	s_branch .LBB85_1236
.LBB85_1206:
	s_cmp_gt_i32 s4, 22
	s_cbranch_scc0 .LBB85_1218
; %bb.1207:
	s_cmp_lt_i32 s4, 24
	s_cbranch_scc1 .LBB85_1219
; %bb.1208:
	s_cmp_gt_i32 s4, 24
	s_cbranch_scc0 .LBB85_1220
; %bb.1209:
	global_load_ubyte v5, v[0:1], off
	s_mov_b32 s8, exec_lo
	s_waitcnt vmcnt(0)
	v_cmpx_lt_i16_e32 0x7f, v5
	s_xor_b32 s8, exec_lo, s8
	s_cbranch_execz .LBB85_1213
; %bb.1210:
	s_mov_b32 s7, -1
	s_mov_b32 s9, exec_lo
	v_cmpx_eq_u16_e32 0x80, v5
; %bb.1211:
	s_xor_b32 s7, exec_lo, -1
; %bb.1212:
	s_or_b32 exec_lo, exec_lo, s9
	s_and_b32 s7, s7, exec_lo
.LBB85_1213:
	s_or_saveexec_b32 s8, s8
	v_bfrev_b32_e32 v45, 4
	v_mov_b32_e32 v46, 0x7ff80000
	s_xor_b32 exec_lo, exec_lo, s8
; %bb.1214:
	v_cmp_ne_u16_e32 vcc_lo, 0, v5
	v_mov_b32_e32 v45, 0
	v_mov_b32_e32 v46, 0
	s_andn2_b32 s7, s7, exec_lo
	s_and_b32 s9, vcc_lo, exec_lo
	s_or_b32 s7, s7, s9
; %bb.1215:
	s_or_b32 exec_lo, exec_lo, s8
	s_and_saveexec_b32 s8, s7
	s_cbranch_execz .LBB85_1217
; %bb.1216:
	v_and_b32_e32 v6, 0xffff, v5
	v_lshlrev_b32_e32 v5, 24, v5
	v_and_b32_e32 v7, 3, v6
	v_bfe_u32 v10, v6, 2, 5
	v_and_b32_e32 v5, 0x80000000, v5
	v_ffbh_u32_e32 v8, v7
	v_cmp_eq_u32_e32 vcc_lo, 0, v10
	v_min_u32_e32 v8, 32, v8
	v_subrev_nc_u32_e32 v9, 29, v8
	v_sub_nc_u32_e32 v8, 30, v8
	v_lshlrev_b32_e32 v6, v9, v6
	v_cndmask_b32_e32 v8, v10, v8, vcc_lo
	v_and_b32_e32 v6, 3, v6
	v_cndmask_b32_e32 v6, v7, v6, vcc_lo
	v_lshl_add_u32 v7, v8, 23, 0x37800000
	v_lshlrev_b32_e32 v6, 21, v6
	v_or3_b32 v5, v5, v7, v6
	v_cvt_f64_f32_e32 v[45:46], v5
.LBB85_1217:
	s_or_b32 exec_lo, exec_lo, s8
	s_mov_b32 s7, 0
	s_branch .LBB85_1221
.LBB85_1218:
	s_mov_b32 s7, -1
                                        ; implicit-def: $vgpr45_vgpr46
	s_branch .LBB85_1227
.LBB85_1219:
	s_mov_b32 s7, -1
                                        ; implicit-def: $vgpr45_vgpr46
	s_branch .LBB85_1224
.LBB85_1220:
	s_mov_b32 s7, -1
                                        ; implicit-def: $vgpr45_vgpr46
.LBB85_1221:
	s_and_b32 vcc_lo, exec_lo, s7
	s_cbranch_vccz .LBB85_1223
; %bb.1222:
	global_load_ubyte v5, v[0:1], off
	s_waitcnt vmcnt(0)
	v_lshlrev_b32_e32 v5, 24, v5
	v_and_b32_e32 v6, 0x7f000000, v5
	v_ffbh_u32_e32 v7, v6
	v_add_nc_u32_e32 v9, 0x1000000, v6
	v_cmp_ne_u32_e32 vcc_lo, 0, v6
	v_min_u32_e32 v7, 32, v7
	v_sub_nc_u32_e64 v7, v7, 4 clamp
	v_lshlrev_b32_e32 v8, v7, v6
	v_lshlrev_b32_e32 v7, 23, v7
	v_lshrrev_b32_e32 v8, 4, v8
	v_sub_nc_u32_e32 v7, v8, v7
	v_ashrrev_i32_e32 v8, 8, v9
	v_add_nc_u32_e32 v7, 0x3c000000, v7
	v_and_or_b32 v7, 0x7f800000, v8, v7
	v_cndmask_b32_e32 v6, 0, v7, vcc_lo
	v_and_or_b32 v5, 0x80000000, v5, v6
	v_cvt_f64_f32_e32 v[45:46], v5
.LBB85_1223:
	s_mov_b32 s7, 0
.LBB85_1224:
	s_andn2_b32 vcc_lo, exec_lo, s7
	s_cbranch_vccnz .LBB85_1226
; %bb.1225:
	global_load_ubyte v5, v[0:1], off
	s_waitcnt vmcnt(0)
	v_lshlrev_b32_e32 v6, 25, v5
	v_lshlrev_b16 v5, 8, v5
	v_lshrrev_b32_e32 v7, 4, v6
	v_and_or_b32 v8, 0x7f00, v5, 0.5
	v_cmp_gt_u32_e32 vcc_lo, 0x8000000, v6
	v_bfe_i32 v5, v5, 0, 16
	v_or_b32_e32 v7, 0x70000000, v7
	v_add_f32_e32 v8, -0.5, v8
	v_mul_f32_e32 v7, 0x7800000, v7
	v_cndmask_b32_e32 v6, v7, v8, vcc_lo
	v_and_or_b32 v5, 0x80000000, v5, v6
	v_cvt_f64_f32_e32 v[45:46], v5
.LBB85_1226:
	s_mov_b32 s7, 0
	s_mov_b32 s8, -1
.LBB85_1227:
	s_andn2_b32 vcc_lo, exec_lo, s7
	s_mov_b32 s7, 0
	s_cbranch_vccnz .LBB85_1236
; %bb.1228:
	s_cmp_gt_i32 s4, 14
	s_cbranch_scc0 .LBB85_1231
; %bb.1229:
	s_cmp_eq_u32 s4, 15
	s_cbranch_scc0 .LBB85_1232
; %bb.1230:
	global_load_ushort v5, v[0:1], off
	s_mov_b32 s6, 0
	s_mov_b32 s8, -1
	s_waitcnt vmcnt(0)
	v_lshlrev_b32_e32 v5, 16, v5
	v_cvt_f64_f32_e32 v[45:46], v5
	s_branch .LBB85_1234
.LBB85_1231:
	s_mov_b32 s7, -1
	s_branch .LBB85_1233
.LBB85_1232:
	s_mov_b32 s6, -1
.LBB85_1233:
                                        ; implicit-def: $vgpr45_vgpr46
.LBB85_1234:
	s_and_b32 vcc_lo, exec_lo, s7
	s_mov_b32 s7, 0
	s_cbranch_vccz .LBB85_1236
; %bb.1235:
	s_cmp_lg_u32 s4, 11
	s_mov_b32 s7, -1
	s_cselect_b32 s6, -1, 0
.LBB85_1236:
	s_and_b32 vcc_lo, exec_lo, s6
	s_cbranch_vccnz .LBB85_1299
; %bb.1237:
	s_andn2_b32 vcc_lo, exec_lo, s7
	s_cbranch_vccnz .LBB85_1239
.LBB85_1238:
	global_load_ubyte v5, v[0:1], off
	v_mov_b32_e32 v45, 0
	s_mov_b32 s8, -1
	s_waitcnt vmcnt(0)
	v_cmp_ne_u16_e32 vcc_lo, 0, v5
	v_cndmask_b32_e64 v46, 0, 0x3ff00000, vcc_lo
.LBB85_1239:
	s_branch .LBB85_1165
.LBB85_1240:
	s_cmp_lt_i32 s4, 5
	s_cbranch_scc1 .LBB85_1245
; %bb.1241:
	s_cmp_lt_i32 s4, 8
	s_cbranch_scc1 .LBB85_1246
; %bb.1242:
	s_cmp_lt_i32 s4, 9
	s_cbranch_scc1 .LBB85_1247
; %bb.1243:
	s_cmp_gt_i32 s4, 9
	s_cbranch_scc0 .LBB85_1248
; %bb.1244:
	global_load_dwordx2 v[45:46], v[0:1], off
	s_mov_b32 s6, 0
	s_branch .LBB85_1249
.LBB85_1245:
                                        ; implicit-def: $vgpr45_vgpr46
	s_branch .LBB85_1267
.LBB85_1246:
	s_mov_b32 s6, -1
                                        ; implicit-def: $vgpr45_vgpr46
	s_branch .LBB85_1255
.LBB85_1247:
	s_mov_b32 s6, -1
                                        ; implicit-def: $vgpr45_vgpr46
	s_branch .LBB85_1252
.LBB85_1248:
	s_mov_b32 s6, -1
                                        ; implicit-def: $vgpr45_vgpr46
.LBB85_1249:
	s_andn2_b32 vcc_lo, exec_lo, s6
	s_cbranch_vccnz .LBB85_1251
; %bb.1250:
	global_load_dword v5, v[0:1], off
	s_waitcnt vmcnt(0)
	v_cvt_f64_f32_e32 v[45:46], v5
.LBB85_1251:
	s_mov_b32 s6, 0
.LBB85_1252:
	s_andn2_b32 vcc_lo, exec_lo, s6
	s_cbranch_vccnz .LBB85_1254
; %bb.1253:
	global_load_dword v5, v[0:1], off
	s_waitcnt vmcnt(0)
	v_cvt_f32_f16_e32 v5, v5
	v_cvt_f64_f32_e32 v[45:46], v5
.LBB85_1254:
	s_mov_b32 s6, 0
.LBB85_1255:
	s_andn2_b32 vcc_lo, exec_lo, s6
	s_cbranch_vccnz .LBB85_1266
; %bb.1256:
	s_cmp_lt_i32 s4, 6
	s_cbranch_scc1 .LBB85_1259
; %bb.1257:
	s_cmp_gt_i32 s4, 6
	s_cbranch_scc0 .LBB85_1260
; %bb.1258:
	global_load_dwordx2 v[45:46], v[0:1], off
	s_mov_b32 s6, 0
	s_branch .LBB85_1261
.LBB85_1259:
	s_mov_b32 s6, -1
                                        ; implicit-def: $vgpr45_vgpr46
	s_branch .LBB85_1264
.LBB85_1260:
	s_mov_b32 s6, -1
                                        ; implicit-def: $vgpr45_vgpr46
.LBB85_1261:
	s_andn2_b32 vcc_lo, exec_lo, s6
	s_cbranch_vccnz .LBB85_1263
; %bb.1262:
	global_load_dword v5, v[0:1], off
	s_waitcnt vmcnt(0)
	v_cvt_f64_f32_e32 v[45:46], v5
.LBB85_1263:
	s_mov_b32 s6, 0
.LBB85_1264:
	s_andn2_b32 vcc_lo, exec_lo, s6
	s_cbranch_vccnz .LBB85_1266
; %bb.1265:
	global_load_ushort v5, v[0:1], off
	s_waitcnt vmcnt(0)
	v_cvt_f32_f16_e32 v5, v5
	v_cvt_f64_f32_e32 v[45:46], v5
.LBB85_1266:
	s_cbranch_execnz .LBB85_1286
.LBB85_1267:
	s_cmp_lt_i32 s4, 2
	s_cbranch_scc1 .LBB85_1271
; %bb.1268:
	s_cmp_lt_i32 s4, 3
	s_cbranch_scc1 .LBB85_1272
; %bb.1269:
	s_cmp_gt_i32 s4, 3
	s_cbranch_scc0 .LBB85_1273
; %bb.1270:
	global_load_dwordx2 v[5:6], v[0:1], off
	s_mov_b32 s6, 0
	s_waitcnt vmcnt(0)
	v_cvt_f64_i32_e32 v[6:7], v6
	v_cvt_f64_u32_e32 v[8:9], v5
	v_ldexp_f64 v[6:7], v[6:7], 32
	v_add_f64 v[45:46], v[6:7], v[8:9]
	s_branch .LBB85_1274
.LBB85_1271:
	s_mov_b32 s6, -1
                                        ; implicit-def: $vgpr45_vgpr46
	s_branch .LBB85_1280
.LBB85_1272:
	s_mov_b32 s6, -1
                                        ; implicit-def: $vgpr45_vgpr46
	s_branch .LBB85_1277
.LBB85_1273:
	s_mov_b32 s6, -1
                                        ; implicit-def: $vgpr45_vgpr46
.LBB85_1274:
	s_andn2_b32 vcc_lo, exec_lo, s6
	s_cbranch_vccnz .LBB85_1276
; %bb.1275:
	global_load_dword v5, v[0:1], off
	s_waitcnt vmcnt(0)
	v_cvt_f64_i32_e32 v[45:46], v5
.LBB85_1276:
	s_mov_b32 s6, 0
.LBB85_1277:
	s_andn2_b32 vcc_lo, exec_lo, s6
	s_cbranch_vccnz .LBB85_1279
; %bb.1278:
	global_load_sshort v5, v[0:1], off
	s_waitcnt vmcnt(0)
	v_cvt_f64_i32_e32 v[45:46], v5
.LBB85_1279:
	s_mov_b32 s6, 0
.LBB85_1280:
	s_andn2_b32 vcc_lo, exec_lo, s6
	s_cbranch_vccnz .LBB85_1286
; %bb.1281:
	s_cmp_gt_i32 s4, 0
	s_mov_b32 s6, 0
	s_cbranch_scc0 .LBB85_1283
; %bb.1282:
	global_load_sbyte v5, v[0:1], off
	s_waitcnt vmcnt(0)
	v_cvt_f64_i32_e32 v[45:46], v5
	s_branch .LBB85_1284
.LBB85_1283:
	s_mov_b32 s6, -1
                                        ; implicit-def: $vgpr45_vgpr46
.LBB85_1284:
	s_andn2_b32 vcc_lo, exec_lo, s6
	s_cbranch_vccnz .LBB85_1286
; %bb.1285:
	global_load_ubyte v0, v[0:1], off
	s_waitcnt vmcnt(0)
	v_cvt_f64_u32_e32 v[45:46], v0
.LBB85_1286:
.LBB85_1287:
	v_add_nc_u32_e32 v4, s5, v4
	s_cmp_lt_i32 s4, 11
	v_ashrrev_i32_e32 v1, 31, v4
	v_add_co_u32 v0, vcc_lo, s50, v4
	v_add_co_ci_u32_e64 v1, null, s51, v1, vcc_lo
	s_cbranch_scc1 .LBB85_1294
; %bb.1288:
	s_cmp_gt_i32 s4, 25
	s_mov_b32 s7, 0
	s_cbranch_scc0 .LBB85_1296
; %bb.1289:
	s_cmp_gt_i32 s4, 28
	s_cbranch_scc0 .LBB85_1297
; %bb.1290:
	s_cmp_gt_i32 s4, 43
	;; [unrolled: 3-line block ×3, first 2 shown]
	s_cbranch_scc0 .LBB85_1300
; %bb.1292:
	s_cmp_eq_u32 s4, 46
	s_mov_b32 s9, 0
	s_cbranch_scc0 .LBB85_1301
; %bb.1293:
	global_load_dword v5, v[0:1], off
	s_mov_b32 s6, 0
	s_mov_b32 s8, -1
	s_waitcnt vmcnt(0)
	v_lshlrev_b32_e32 v5, 16, v5
	v_cvt_f64_f32_e32 v[43:44], v5
	s_branch .LBB85_1303
.LBB85_1294:
	s_mov_b32 s8, 0
                                        ; implicit-def: $vgpr43_vgpr44
	s_cbranch_execnz .LBB85_1369
.LBB85_1295:
	s_andn2_b32 vcc_lo, exec_lo, s8
	s_cbranch_vccnz .LBB85_1981
	s_branch .LBB85_1417
.LBB85_1296:
	s_mov_b32 s9, -1
	s_mov_b32 s8, 0
	s_mov_b32 s6, 0
                                        ; implicit-def: $vgpr43_vgpr44
	s_branch .LBB85_1334
.LBB85_1297:
	s_mov_b32 s9, -1
	s_mov_b32 s8, 0
	s_mov_b32 s6, 0
                                        ; implicit-def: $vgpr43_vgpr44
	s_branch .LBB85_1313
.LBB85_1298:
	s_mov_b32 s9, -1
	s_mov_b32 s8, 0
	s_mov_b32 s6, 0
                                        ; implicit-def: $vgpr43_vgpr44
	s_branch .LBB85_1308
.LBB85_1299:
	s_or_b32 s39, s39, exec_lo
	s_trap 2
	s_cbranch_execz .LBB85_1238
	s_branch .LBB85_1239
.LBB85_1300:
	s_mov_b32 s9, -1
	s_mov_b32 s8, 0
	s_mov_b32 s6, 0
	s_branch .LBB85_1302
.LBB85_1301:
	s_mov_b32 s6, -1
	s_mov_b32 s8, 0
.LBB85_1302:
                                        ; implicit-def: $vgpr43_vgpr44
.LBB85_1303:
	s_and_b32 vcc_lo, exec_lo, s9
	s_cbranch_vccz .LBB85_1307
; %bb.1304:
	s_cmp_eq_u32 s4, 44
	s_cbranch_scc0 .LBB85_1306
; %bb.1305:
	global_load_ubyte v7, v[0:1], off
	s_mov_b32 s6, 0
	s_mov_b32 s8, -1
	s_waitcnt vmcnt(0)
	v_lshlrev_b32_e32 v5, 23, v7
	v_cmp_ne_u32_e32 vcc_lo, 0xff, v7
	v_cvt_f64_f32_e32 v[5:6], v5
	v_cndmask_b32_e32 v5, 0x20000000, v5, vcc_lo
	v_cndmask_b32_e32 v6, 0x7ff80000, v6, vcc_lo
	v_cmp_ne_u32_e32 vcc_lo, 0, v7
	v_cndmask_b32_e32 v44, 0x38000000, v6, vcc_lo
	v_cndmask_b32_e32 v43, 0, v5, vcc_lo
	s_branch .LBB85_1307
.LBB85_1306:
	s_mov_b32 s6, -1
                                        ; implicit-def: $vgpr43_vgpr44
.LBB85_1307:
	s_mov_b32 s9, 0
.LBB85_1308:
	s_and_b32 vcc_lo, exec_lo, s9
	s_cbranch_vccz .LBB85_1312
; %bb.1309:
	s_cmp_eq_u32 s4, 29
	s_cbranch_scc0 .LBB85_1311
; %bb.1310:
	global_load_dwordx2 v[5:6], v[0:1], off
	s_mov_b32 s6, 0
	s_mov_b32 s8, -1
	s_mov_b32 s9, 0
	s_waitcnt vmcnt(0)
	v_cvt_f64_u32_e32 v[6:7], v6
	v_cvt_f64_u32_e32 v[8:9], v5
	v_ldexp_f64 v[6:7], v[6:7], 32
	v_add_f64 v[43:44], v[6:7], v[8:9]
	s_branch .LBB85_1313
.LBB85_1311:
	s_mov_b32 s6, -1
                                        ; implicit-def: $vgpr43_vgpr44
.LBB85_1312:
	s_mov_b32 s9, 0
.LBB85_1313:
	s_and_b32 vcc_lo, exec_lo, s9
	s_cbranch_vccz .LBB85_1333
; %bb.1314:
	s_cmp_lt_i32 s4, 27
	s_cbranch_scc1 .LBB85_1317
; %bb.1315:
	s_cmp_gt_i32 s4, 27
	s_cbranch_scc0 .LBB85_1318
; %bb.1316:
	global_load_dword v5, v[0:1], off
	s_mov_b32 s8, 0
	s_waitcnt vmcnt(0)
	v_cvt_f64_u32_e32 v[43:44], v5
	s_branch .LBB85_1319
.LBB85_1317:
	s_mov_b32 s8, -1
                                        ; implicit-def: $vgpr43_vgpr44
	s_branch .LBB85_1322
.LBB85_1318:
	s_mov_b32 s8, -1
                                        ; implicit-def: $vgpr43_vgpr44
.LBB85_1319:
	s_andn2_b32 vcc_lo, exec_lo, s8
	s_cbranch_vccnz .LBB85_1321
; %bb.1320:
	global_load_ushort v5, v[0:1], off
	s_waitcnt vmcnt(0)
	v_cvt_f64_u32_e32 v[43:44], v5
.LBB85_1321:
	s_mov_b32 s8, 0
.LBB85_1322:
	s_andn2_b32 vcc_lo, exec_lo, s8
	s_cbranch_vccnz .LBB85_1332
; %bb.1323:
	global_load_ubyte v5, v[0:1], off
	s_mov_b32 s8, 0
	s_mov_b32 s9, exec_lo
	s_waitcnt vmcnt(0)
	v_cmpx_lt_i16_e32 0x7f, v5
	s_xor_b32 s9, exec_lo, s9
	s_cbranch_execz .LBB85_1327
; %bb.1324:
	s_mov_b32 s8, -1
	s_mov_b32 s10, exec_lo
	v_cmpx_eq_u16_e32 0x80, v5
; %bb.1325:
	s_xor_b32 s8, exec_lo, -1
; %bb.1326:
	s_or_b32 exec_lo, exec_lo, s10
	s_and_b32 s8, s8, exec_lo
.LBB85_1327:
	s_or_saveexec_b32 s9, s9
	v_bfrev_b32_e32 v43, 4
	v_mov_b32_e32 v44, 0x7ff80000
	s_xor_b32 exec_lo, exec_lo, s9
; %bb.1328:
	v_cmp_ne_u16_e32 vcc_lo, 0, v5
	v_mov_b32_e32 v43, 0
	v_mov_b32_e32 v44, 0
	s_andn2_b32 s8, s8, exec_lo
	s_and_b32 s10, vcc_lo, exec_lo
	s_or_b32 s8, s8, s10
; %bb.1329:
	s_or_b32 exec_lo, exec_lo, s9
	s_and_saveexec_b32 s9, s8
	s_cbranch_execz .LBB85_1331
; %bb.1330:
	v_and_b32_e32 v6, 0xffff, v5
	v_lshlrev_b32_e32 v5, 24, v5
	v_and_b32_e32 v7, 7, v6
	v_bfe_u32 v10, v6, 3, 4
	v_and_b32_e32 v5, 0x80000000, v5
	v_ffbh_u32_e32 v8, v7
	v_cmp_eq_u32_e32 vcc_lo, 0, v10
	v_min_u32_e32 v8, 32, v8
	v_subrev_nc_u32_e32 v9, 28, v8
	v_sub_nc_u32_e32 v8, 29, v8
	v_lshlrev_b32_e32 v6, v9, v6
	v_cndmask_b32_e32 v8, v10, v8, vcc_lo
	v_and_b32_e32 v6, 7, v6
	v_cndmask_b32_e32 v6, v7, v6, vcc_lo
	v_lshl_add_u32 v7, v8, 23, 0x3b800000
	v_lshlrev_b32_e32 v6, 20, v6
	v_or3_b32 v5, v5, v7, v6
	v_cvt_f64_f32_e32 v[43:44], v5
.LBB85_1331:
	s_or_b32 exec_lo, exec_lo, s9
.LBB85_1332:
	s_mov_b32 s8, -1
.LBB85_1333:
	s_mov_b32 s9, 0
.LBB85_1334:
	s_and_b32 vcc_lo, exec_lo, s9
	s_cbranch_vccz .LBB85_1365
; %bb.1335:
	s_cmp_gt_i32 s4, 22
	s_cbranch_scc0 .LBB85_1347
; %bb.1336:
	s_cmp_lt_i32 s4, 24
	s_cbranch_scc1 .LBB85_1348
; %bb.1337:
	s_cmp_gt_i32 s4, 24
	s_cbranch_scc0 .LBB85_1349
; %bb.1338:
	global_load_ubyte v5, v[0:1], off
	s_mov_b32 s8, exec_lo
	s_waitcnt vmcnt(0)
	v_cmpx_lt_i16_e32 0x7f, v5
	s_xor_b32 s8, exec_lo, s8
	s_cbranch_execz .LBB85_1342
; %bb.1339:
	s_mov_b32 s7, -1
	s_mov_b32 s9, exec_lo
	v_cmpx_eq_u16_e32 0x80, v5
; %bb.1340:
	s_xor_b32 s7, exec_lo, -1
; %bb.1341:
	s_or_b32 exec_lo, exec_lo, s9
	s_and_b32 s7, s7, exec_lo
.LBB85_1342:
	s_or_saveexec_b32 s8, s8
	v_bfrev_b32_e32 v43, 4
	v_mov_b32_e32 v44, 0x7ff80000
	s_xor_b32 exec_lo, exec_lo, s8
; %bb.1343:
	v_cmp_ne_u16_e32 vcc_lo, 0, v5
	v_mov_b32_e32 v43, 0
	v_mov_b32_e32 v44, 0
	s_andn2_b32 s7, s7, exec_lo
	s_and_b32 s9, vcc_lo, exec_lo
	s_or_b32 s7, s7, s9
; %bb.1344:
	s_or_b32 exec_lo, exec_lo, s8
	s_and_saveexec_b32 s8, s7
	s_cbranch_execz .LBB85_1346
; %bb.1345:
	v_and_b32_e32 v6, 0xffff, v5
	v_lshlrev_b32_e32 v5, 24, v5
	v_and_b32_e32 v7, 3, v6
	v_bfe_u32 v10, v6, 2, 5
	v_and_b32_e32 v5, 0x80000000, v5
	v_ffbh_u32_e32 v8, v7
	v_cmp_eq_u32_e32 vcc_lo, 0, v10
	v_min_u32_e32 v8, 32, v8
	v_subrev_nc_u32_e32 v9, 29, v8
	v_sub_nc_u32_e32 v8, 30, v8
	v_lshlrev_b32_e32 v6, v9, v6
	v_cndmask_b32_e32 v8, v10, v8, vcc_lo
	v_and_b32_e32 v6, 3, v6
	v_cndmask_b32_e32 v6, v7, v6, vcc_lo
	v_lshl_add_u32 v7, v8, 23, 0x37800000
	v_lshlrev_b32_e32 v6, 21, v6
	v_or3_b32 v5, v5, v7, v6
	v_cvt_f64_f32_e32 v[43:44], v5
.LBB85_1346:
	s_or_b32 exec_lo, exec_lo, s8
	s_mov_b32 s7, 0
	s_branch .LBB85_1350
.LBB85_1347:
	s_mov_b32 s7, -1
                                        ; implicit-def: $vgpr43_vgpr44
	s_branch .LBB85_1356
.LBB85_1348:
	s_mov_b32 s7, -1
                                        ; implicit-def: $vgpr43_vgpr44
	s_branch .LBB85_1353
.LBB85_1349:
	s_mov_b32 s7, -1
                                        ; implicit-def: $vgpr43_vgpr44
.LBB85_1350:
	s_and_b32 vcc_lo, exec_lo, s7
	s_cbranch_vccz .LBB85_1352
; %bb.1351:
	global_load_ubyte v5, v[0:1], off
	s_waitcnt vmcnt(0)
	v_lshlrev_b32_e32 v5, 24, v5
	v_and_b32_e32 v6, 0x7f000000, v5
	v_ffbh_u32_e32 v7, v6
	v_add_nc_u32_e32 v9, 0x1000000, v6
	v_cmp_ne_u32_e32 vcc_lo, 0, v6
	v_min_u32_e32 v7, 32, v7
	v_sub_nc_u32_e64 v7, v7, 4 clamp
	v_lshlrev_b32_e32 v8, v7, v6
	v_lshlrev_b32_e32 v7, 23, v7
	v_lshrrev_b32_e32 v8, 4, v8
	v_sub_nc_u32_e32 v7, v8, v7
	v_ashrrev_i32_e32 v8, 8, v9
	v_add_nc_u32_e32 v7, 0x3c000000, v7
	v_and_or_b32 v7, 0x7f800000, v8, v7
	v_cndmask_b32_e32 v6, 0, v7, vcc_lo
	v_and_or_b32 v5, 0x80000000, v5, v6
	v_cvt_f64_f32_e32 v[43:44], v5
.LBB85_1352:
	s_mov_b32 s7, 0
.LBB85_1353:
	s_andn2_b32 vcc_lo, exec_lo, s7
	s_cbranch_vccnz .LBB85_1355
; %bb.1354:
	global_load_ubyte v5, v[0:1], off
	s_waitcnt vmcnt(0)
	v_lshlrev_b32_e32 v6, 25, v5
	v_lshlrev_b16 v5, 8, v5
	v_lshrrev_b32_e32 v7, 4, v6
	v_and_or_b32 v8, 0x7f00, v5, 0.5
	v_cmp_gt_u32_e32 vcc_lo, 0x8000000, v6
	v_bfe_i32 v5, v5, 0, 16
	v_or_b32_e32 v7, 0x70000000, v7
	v_add_f32_e32 v8, -0.5, v8
	v_mul_f32_e32 v7, 0x7800000, v7
	v_cndmask_b32_e32 v6, v7, v8, vcc_lo
	v_and_or_b32 v5, 0x80000000, v5, v6
	v_cvt_f64_f32_e32 v[43:44], v5
.LBB85_1355:
	s_mov_b32 s7, 0
	s_mov_b32 s8, -1
.LBB85_1356:
	s_andn2_b32 vcc_lo, exec_lo, s7
	s_mov_b32 s7, 0
	s_cbranch_vccnz .LBB85_1365
; %bb.1357:
	s_cmp_gt_i32 s4, 14
	s_cbranch_scc0 .LBB85_1360
; %bb.1358:
	s_cmp_eq_u32 s4, 15
	s_cbranch_scc0 .LBB85_1361
; %bb.1359:
	global_load_ushort v5, v[0:1], off
	s_mov_b32 s6, 0
	s_mov_b32 s8, -1
	s_waitcnt vmcnt(0)
	v_lshlrev_b32_e32 v5, 16, v5
	v_cvt_f64_f32_e32 v[43:44], v5
	s_branch .LBB85_1363
.LBB85_1360:
	s_mov_b32 s7, -1
	s_branch .LBB85_1362
.LBB85_1361:
	s_mov_b32 s6, -1
.LBB85_1362:
                                        ; implicit-def: $vgpr43_vgpr44
.LBB85_1363:
	s_and_b32 vcc_lo, exec_lo, s7
	s_mov_b32 s7, 0
	s_cbranch_vccz .LBB85_1365
; %bb.1364:
	s_cmp_lg_u32 s4, 11
	s_mov_b32 s7, -1
	s_cselect_b32 s6, -1, 0
.LBB85_1365:
	s_and_b32 vcc_lo, exec_lo, s6
	s_cbranch_vccnz .LBB85_1428
; %bb.1366:
	s_andn2_b32 vcc_lo, exec_lo, s7
	s_cbranch_vccnz .LBB85_1368
.LBB85_1367:
	global_load_ubyte v5, v[0:1], off
	v_mov_b32_e32 v43, 0
	s_mov_b32 s8, -1
	s_waitcnt vmcnt(0)
	v_cmp_ne_u16_e32 vcc_lo, 0, v5
	v_cndmask_b32_e64 v44, 0, 0x3ff00000, vcc_lo
.LBB85_1368:
	s_branch .LBB85_1295
.LBB85_1369:
	s_cmp_lt_i32 s4, 5
	s_cbranch_scc1 .LBB85_1374
; %bb.1370:
	s_cmp_lt_i32 s4, 8
	s_cbranch_scc1 .LBB85_1375
; %bb.1371:
	;; [unrolled: 3-line block ×3, first 2 shown]
	s_cmp_gt_i32 s4, 9
	s_cbranch_scc0 .LBB85_1377
; %bb.1373:
	global_load_dwordx2 v[43:44], v[0:1], off
	s_mov_b32 s6, 0
	s_branch .LBB85_1378
.LBB85_1374:
	s_mov_b32 s6, -1
                                        ; implicit-def: $vgpr43_vgpr44
	s_branch .LBB85_1396
.LBB85_1375:
	s_mov_b32 s6, -1
                                        ; implicit-def: $vgpr43_vgpr44
	s_branch .LBB85_1384
.LBB85_1376:
	s_mov_b32 s6, -1
                                        ; implicit-def: $vgpr43_vgpr44
	s_branch .LBB85_1381
.LBB85_1377:
	s_mov_b32 s6, -1
                                        ; implicit-def: $vgpr43_vgpr44
.LBB85_1378:
	s_andn2_b32 vcc_lo, exec_lo, s6
	s_cbranch_vccnz .LBB85_1380
; %bb.1379:
	global_load_dword v5, v[0:1], off
	s_waitcnt vmcnt(0)
	v_cvt_f64_f32_e32 v[43:44], v5
.LBB85_1380:
	s_mov_b32 s6, 0
.LBB85_1381:
	s_andn2_b32 vcc_lo, exec_lo, s6
	s_cbranch_vccnz .LBB85_1383
; %bb.1382:
	global_load_dword v5, v[0:1], off
	s_waitcnt vmcnt(0)
	v_cvt_f32_f16_e32 v5, v5
	v_cvt_f64_f32_e32 v[43:44], v5
.LBB85_1383:
	s_mov_b32 s6, 0
.LBB85_1384:
	s_andn2_b32 vcc_lo, exec_lo, s6
	s_cbranch_vccnz .LBB85_1395
; %bb.1385:
	s_cmp_lt_i32 s4, 6
	s_cbranch_scc1 .LBB85_1388
; %bb.1386:
	s_cmp_gt_i32 s4, 6
	s_cbranch_scc0 .LBB85_1389
; %bb.1387:
	global_load_dwordx2 v[43:44], v[0:1], off
	s_mov_b32 s6, 0
	s_branch .LBB85_1390
.LBB85_1388:
	s_mov_b32 s6, -1
                                        ; implicit-def: $vgpr43_vgpr44
	s_branch .LBB85_1393
.LBB85_1389:
	s_mov_b32 s6, -1
                                        ; implicit-def: $vgpr43_vgpr44
.LBB85_1390:
	s_andn2_b32 vcc_lo, exec_lo, s6
	s_cbranch_vccnz .LBB85_1392
; %bb.1391:
	global_load_dword v5, v[0:1], off
	s_waitcnt vmcnt(0)
	v_cvt_f64_f32_e32 v[43:44], v5
.LBB85_1392:
	s_mov_b32 s6, 0
.LBB85_1393:
	s_andn2_b32 vcc_lo, exec_lo, s6
	s_cbranch_vccnz .LBB85_1395
; %bb.1394:
	global_load_ushort v5, v[0:1], off
	s_waitcnt vmcnt(0)
	v_cvt_f32_f16_e32 v5, v5
	v_cvt_f64_f32_e32 v[43:44], v5
.LBB85_1395:
	s_mov_b32 s6, 0
.LBB85_1396:
	s_andn2_b32 vcc_lo, exec_lo, s6
	s_cbranch_vccnz .LBB85_1416
; %bb.1397:
	s_cmp_lt_i32 s4, 2
	s_cbranch_scc1 .LBB85_1401
; %bb.1398:
	s_cmp_lt_i32 s4, 3
	s_cbranch_scc1 .LBB85_1402
; %bb.1399:
	s_cmp_gt_i32 s4, 3
	s_cbranch_scc0 .LBB85_1403
; %bb.1400:
	global_load_dwordx2 v[5:6], v[0:1], off
	s_mov_b32 s6, 0
	s_waitcnt vmcnt(0)
	v_cvt_f64_i32_e32 v[6:7], v6
	v_cvt_f64_u32_e32 v[8:9], v5
	v_ldexp_f64 v[6:7], v[6:7], 32
	v_add_f64 v[43:44], v[6:7], v[8:9]
	s_branch .LBB85_1404
.LBB85_1401:
	s_mov_b32 s6, -1
                                        ; implicit-def: $vgpr43_vgpr44
	s_branch .LBB85_1410
.LBB85_1402:
	s_mov_b32 s6, -1
                                        ; implicit-def: $vgpr43_vgpr44
	s_branch .LBB85_1407
.LBB85_1403:
	s_mov_b32 s6, -1
                                        ; implicit-def: $vgpr43_vgpr44
.LBB85_1404:
	s_andn2_b32 vcc_lo, exec_lo, s6
	s_cbranch_vccnz .LBB85_1406
; %bb.1405:
	global_load_dword v5, v[0:1], off
	s_waitcnt vmcnt(0)
	v_cvt_f64_i32_e32 v[43:44], v5
.LBB85_1406:
	s_mov_b32 s6, 0
.LBB85_1407:
	s_andn2_b32 vcc_lo, exec_lo, s6
	s_cbranch_vccnz .LBB85_1409
; %bb.1408:
	global_load_sshort v5, v[0:1], off
	s_waitcnt vmcnt(0)
	v_cvt_f64_i32_e32 v[43:44], v5
.LBB85_1409:
	s_mov_b32 s6, 0
.LBB85_1410:
	s_andn2_b32 vcc_lo, exec_lo, s6
	s_cbranch_vccnz .LBB85_1416
; %bb.1411:
	s_cmp_gt_i32 s4, 0
	s_mov_b32 s6, 0
	s_cbranch_scc0 .LBB85_1413
; %bb.1412:
	global_load_sbyte v5, v[0:1], off
	s_waitcnt vmcnt(0)
	v_cvt_f64_i32_e32 v[43:44], v5
	s_branch .LBB85_1414
.LBB85_1413:
	s_mov_b32 s6, -1
                                        ; implicit-def: $vgpr43_vgpr44
.LBB85_1414:
	s_andn2_b32 vcc_lo, exec_lo, s6
	s_cbranch_vccnz .LBB85_1416
; %bb.1415:
	global_load_ubyte v0, v[0:1], off
	s_waitcnt vmcnt(0)
	v_cvt_f64_u32_e32 v[43:44], v0
.LBB85_1416:
.LBB85_1417:
	v_add_nc_u32_e32 v0, s5, v4
	s_cmp_lt_i32 s4, 11
	v_ashrrev_i32_e32 v1, 31, v0
	v_add_co_u32 v0, vcc_lo, s50, v0
	v_add_co_ci_u32_e64 v1, null, s51, v1, vcc_lo
	s_cbranch_scc1 .LBB85_1424
; %bb.1418:
	s_cmp_gt_i32 s4, 25
	s_mov_b32 s6, 0
	s_cbranch_scc0 .LBB85_1425
; %bb.1419:
	s_cmp_gt_i32 s4, 28
	s_cbranch_scc0 .LBB85_1426
; %bb.1420:
	s_cmp_gt_i32 s4, 43
	s_cbranch_scc0 .LBB85_1427
; %bb.1421:
	s_cmp_gt_i32 s4, 45
	s_cbranch_scc0 .LBB85_1429
; %bb.1422:
	s_cmp_eq_u32 s4, 46
	s_mov_b32 s8, 0
	s_cbranch_scc0 .LBB85_1430
; %bb.1423:
	global_load_dword v4, v[0:1], off
	s_mov_b32 s5, 0
	s_mov_b32 s7, -1
	s_waitcnt vmcnt(0)
	v_lshlrev_b32_e32 v4, 16, v4
	v_cvt_f64_f32_e32 v[41:42], v4
	s_branch .LBB85_1432
.LBB85_1424:
	s_mov_b32 s5, -1
	s_mov_b32 s7, 0
                                        ; implicit-def: $vgpr41_vgpr42
	s_branch .LBB85_1498
.LBB85_1425:
	s_mov_b32 s8, -1
	s_mov_b32 s7, 0
	s_mov_b32 s5, 0
                                        ; implicit-def: $vgpr41_vgpr42
	s_branch .LBB85_1463
.LBB85_1426:
	s_mov_b32 s8, -1
	s_mov_b32 s7, 0
	s_mov_b32 s5, 0
                                        ; implicit-def: $vgpr41_vgpr42
	s_branch .LBB85_1442
.LBB85_1427:
	s_mov_b32 s8, -1
	s_mov_b32 s7, 0
	s_mov_b32 s5, 0
                                        ; implicit-def: $vgpr41_vgpr42
	s_branch .LBB85_1437
.LBB85_1428:
	s_or_b32 s39, s39, exec_lo
	s_trap 2
	s_cbranch_execz .LBB85_1367
	s_branch .LBB85_1368
.LBB85_1429:
	s_mov_b32 s8, -1
	s_mov_b32 s7, 0
	s_mov_b32 s5, 0
	s_branch .LBB85_1431
.LBB85_1430:
	s_mov_b32 s5, -1
	s_mov_b32 s7, 0
.LBB85_1431:
                                        ; implicit-def: $vgpr41_vgpr42
.LBB85_1432:
	s_and_b32 vcc_lo, exec_lo, s8
	s_cbranch_vccz .LBB85_1436
; %bb.1433:
	s_cmp_eq_u32 s4, 44
	s_cbranch_scc0 .LBB85_1435
; %bb.1434:
	global_load_ubyte v6, v[0:1], off
	s_mov_b32 s5, 0
	s_mov_b32 s7, -1
	s_waitcnt vmcnt(0)
	v_lshlrev_b32_e32 v4, 23, v6
	v_cmp_ne_u32_e32 vcc_lo, 0xff, v6
	v_cvt_f64_f32_e32 v[4:5], v4
	v_cndmask_b32_e32 v4, 0x20000000, v4, vcc_lo
	v_cndmask_b32_e32 v5, 0x7ff80000, v5, vcc_lo
	v_cmp_ne_u32_e32 vcc_lo, 0, v6
	v_cndmask_b32_e32 v42, 0x38000000, v5, vcc_lo
	v_cndmask_b32_e32 v41, 0, v4, vcc_lo
	s_branch .LBB85_1436
.LBB85_1435:
	s_mov_b32 s5, -1
                                        ; implicit-def: $vgpr41_vgpr42
.LBB85_1436:
	s_mov_b32 s8, 0
.LBB85_1437:
	s_and_b32 vcc_lo, exec_lo, s8
	s_cbranch_vccz .LBB85_1441
; %bb.1438:
	s_cmp_eq_u32 s4, 29
	s_cbranch_scc0 .LBB85_1440
; %bb.1439:
	global_load_dwordx2 v[4:5], v[0:1], off
	s_mov_b32 s5, 0
	s_mov_b32 s7, -1
	s_mov_b32 s8, 0
	s_waitcnt vmcnt(0)
	v_cvt_f64_u32_e32 v[5:6], v5
	v_cvt_f64_u32_e32 v[7:8], v4
	v_ldexp_f64 v[5:6], v[5:6], 32
	v_add_f64 v[41:42], v[5:6], v[7:8]
	s_branch .LBB85_1442
.LBB85_1440:
	s_mov_b32 s5, -1
                                        ; implicit-def: $vgpr41_vgpr42
.LBB85_1441:
	s_mov_b32 s8, 0
.LBB85_1442:
	s_and_b32 vcc_lo, exec_lo, s8
	s_cbranch_vccz .LBB85_1462
; %bb.1443:
	s_cmp_lt_i32 s4, 27
	s_cbranch_scc1 .LBB85_1446
; %bb.1444:
	s_cmp_gt_i32 s4, 27
	s_cbranch_scc0 .LBB85_1447
; %bb.1445:
	global_load_dword v4, v[0:1], off
	s_mov_b32 s7, 0
	s_waitcnt vmcnt(0)
	v_cvt_f64_u32_e32 v[41:42], v4
	s_branch .LBB85_1448
.LBB85_1446:
	s_mov_b32 s7, -1
                                        ; implicit-def: $vgpr41_vgpr42
	s_branch .LBB85_1451
.LBB85_1447:
	s_mov_b32 s7, -1
                                        ; implicit-def: $vgpr41_vgpr42
.LBB85_1448:
	s_andn2_b32 vcc_lo, exec_lo, s7
	s_cbranch_vccnz .LBB85_1450
; %bb.1449:
	global_load_ushort v4, v[0:1], off
	s_waitcnt vmcnt(0)
	v_cvt_f64_u32_e32 v[41:42], v4
.LBB85_1450:
	s_mov_b32 s7, 0
.LBB85_1451:
	s_andn2_b32 vcc_lo, exec_lo, s7
	s_cbranch_vccnz .LBB85_1461
; %bb.1452:
	global_load_ubyte v4, v[0:1], off
	s_mov_b32 s7, 0
	s_mov_b32 s8, exec_lo
	s_waitcnt vmcnt(0)
	v_cmpx_lt_i16_e32 0x7f, v4
	s_xor_b32 s8, exec_lo, s8
	s_cbranch_execz .LBB85_1456
; %bb.1453:
	s_mov_b32 s7, -1
	s_mov_b32 s9, exec_lo
	v_cmpx_eq_u16_e32 0x80, v4
; %bb.1454:
	s_xor_b32 s7, exec_lo, -1
; %bb.1455:
	s_or_b32 exec_lo, exec_lo, s9
	s_and_b32 s7, s7, exec_lo
.LBB85_1456:
	s_or_saveexec_b32 s8, s8
	v_bfrev_b32_e32 v41, 4
	v_mov_b32_e32 v42, 0x7ff80000
	s_xor_b32 exec_lo, exec_lo, s8
; %bb.1457:
	v_cmp_ne_u16_e32 vcc_lo, 0, v4
	v_mov_b32_e32 v41, 0
	v_mov_b32_e32 v42, 0
	s_andn2_b32 s7, s7, exec_lo
	s_and_b32 s9, vcc_lo, exec_lo
	s_or_b32 s7, s7, s9
; %bb.1458:
	s_or_b32 exec_lo, exec_lo, s8
	s_and_saveexec_b32 s8, s7
	s_cbranch_execz .LBB85_1460
; %bb.1459:
	v_and_b32_e32 v5, 0xffff, v4
	v_lshlrev_b32_e32 v4, 24, v4
	v_and_b32_e32 v6, 7, v5
	v_bfe_u32 v9, v5, 3, 4
	v_and_b32_e32 v4, 0x80000000, v4
	v_ffbh_u32_e32 v7, v6
	v_cmp_eq_u32_e32 vcc_lo, 0, v9
	v_min_u32_e32 v7, 32, v7
	v_subrev_nc_u32_e32 v8, 28, v7
	v_sub_nc_u32_e32 v7, 29, v7
	v_lshlrev_b32_e32 v5, v8, v5
	v_cndmask_b32_e32 v7, v9, v7, vcc_lo
	v_and_b32_e32 v5, 7, v5
	v_cndmask_b32_e32 v5, v6, v5, vcc_lo
	v_lshl_add_u32 v6, v7, 23, 0x3b800000
	v_lshlrev_b32_e32 v5, 20, v5
	v_or3_b32 v4, v4, v6, v5
	v_cvt_f64_f32_e32 v[41:42], v4
.LBB85_1460:
	s_or_b32 exec_lo, exec_lo, s8
.LBB85_1461:
	s_mov_b32 s7, -1
.LBB85_1462:
	s_mov_b32 s8, 0
.LBB85_1463:
	s_and_b32 vcc_lo, exec_lo, s8
	s_cbranch_vccz .LBB85_1494
; %bb.1464:
	s_cmp_gt_i32 s4, 22
	s_cbranch_scc0 .LBB85_1476
; %bb.1465:
	s_cmp_lt_i32 s4, 24
	s_cbranch_scc1 .LBB85_1477
; %bb.1466:
	s_cmp_gt_i32 s4, 24
	s_cbranch_scc0 .LBB85_1478
; %bb.1467:
	global_load_ubyte v4, v[0:1], off
	s_mov_b32 s7, exec_lo
	s_waitcnt vmcnt(0)
	v_cmpx_lt_i16_e32 0x7f, v4
	s_xor_b32 s7, exec_lo, s7
	s_cbranch_execz .LBB85_1471
; %bb.1468:
	s_mov_b32 s6, -1
	s_mov_b32 s8, exec_lo
	v_cmpx_eq_u16_e32 0x80, v4
; %bb.1469:
	s_xor_b32 s6, exec_lo, -1
; %bb.1470:
	s_or_b32 exec_lo, exec_lo, s8
	s_and_b32 s6, s6, exec_lo
.LBB85_1471:
	s_or_saveexec_b32 s7, s7
	v_bfrev_b32_e32 v41, 4
	v_mov_b32_e32 v42, 0x7ff80000
	s_xor_b32 exec_lo, exec_lo, s7
; %bb.1472:
	v_cmp_ne_u16_e32 vcc_lo, 0, v4
	v_mov_b32_e32 v41, 0
	v_mov_b32_e32 v42, 0
	s_andn2_b32 s6, s6, exec_lo
	s_and_b32 s8, vcc_lo, exec_lo
	s_or_b32 s6, s6, s8
; %bb.1473:
	s_or_b32 exec_lo, exec_lo, s7
	s_and_saveexec_b32 s7, s6
	s_cbranch_execz .LBB85_1475
; %bb.1474:
	v_and_b32_e32 v5, 0xffff, v4
	v_lshlrev_b32_e32 v4, 24, v4
	v_and_b32_e32 v6, 3, v5
	v_bfe_u32 v9, v5, 2, 5
	v_and_b32_e32 v4, 0x80000000, v4
	v_ffbh_u32_e32 v7, v6
	v_cmp_eq_u32_e32 vcc_lo, 0, v9
	v_min_u32_e32 v7, 32, v7
	v_subrev_nc_u32_e32 v8, 29, v7
	v_sub_nc_u32_e32 v7, 30, v7
	v_lshlrev_b32_e32 v5, v8, v5
	v_cndmask_b32_e32 v7, v9, v7, vcc_lo
	v_and_b32_e32 v5, 3, v5
	v_cndmask_b32_e32 v5, v6, v5, vcc_lo
	v_lshl_add_u32 v6, v7, 23, 0x37800000
	v_lshlrev_b32_e32 v5, 21, v5
	v_or3_b32 v4, v4, v6, v5
	v_cvt_f64_f32_e32 v[41:42], v4
.LBB85_1475:
	s_or_b32 exec_lo, exec_lo, s7
	s_mov_b32 s6, 0
	s_branch .LBB85_1479
.LBB85_1476:
	s_mov_b32 s6, -1
                                        ; implicit-def: $vgpr41_vgpr42
	s_branch .LBB85_1485
.LBB85_1477:
	s_mov_b32 s6, -1
                                        ; implicit-def: $vgpr41_vgpr42
	s_branch .LBB85_1482
.LBB85_1478:
	s_mov_b32 s6, -1
                                        ; implicit-def: $vgpr41_vgpr42
.LBB85_1479:
	s_and_b32 vcc_lo, exec_lo, s6
	s_cbranch_vccz .LBB85_1481
; %bb.1480:
	global_load_ubyte v4, v[0:1], off
	s_waitcnt vmcnt(0)
	v_lshlrev_b32_e32 v4, 24, v4
	v_and_b32_e32 v5, 0x7f000000, v4
	v_ffbh_u32_e32 v6, v5
	v_add_nc_u32_e32 v8, 0x1000000, v5
	v_cmp_ne_u32_e32 vcc_lo, 0, v5
	v_min_u32_e32 v6, 32, v6
	v_sub_nc_u32_e64 v6, v6, 4 clamp
	v_lshlrev_b32_e32 v7, v6, v5
	v_lshlrev_b32_e32 v6, 23, v6
	v_lshrrev_b32_e32 v7, 4, v7
	v_sub_nc_u32_e32 v6, v7, v6
	v_ashrrev_i32_e32 v7, 8, v8
	v_add_nc_u32_e32 v6, 0x3c000000, v6
	v_and_or_b32 v6, 0x7f800000, v7, v6
	v_cndmask_b32_e32 v5, 0, v6, vcc_lo
	v_and_or_b32 v4, 0x80000000, v4, v5
	v_cvt_f64_f32_e32 v[41:42], v4
.LBB85_1481:
	s_mov_b32 s6, 0
.LBB85_1482:
	s_andn2_b32 vcc_lo, exec_lo, s6
	s_cbranch_vccnz .LBB85_1484
; %bb.1483:
	global_load_ubyte v4, v[0:1], off
	s_waitcnt vmcnt(0)
	v_lshlrev_b32_e32 v5, 25, v4
	v_lshlrev_b16 v4, 8, v4
	v_lshrrev_b32_e32 v6, 4, v5
	v_and_or_b32 v7, 0x7f00, v4, 0.5
	v_cmp_gt_u32_e32 vcc_lo, 0x8000000, v5
	v_bfe_i32 v4, v4, 0, 16
	v_or_b32_e32 v6, 0x70000000, v6
	v_add_f32_e32 v7, -0.5, v7
	v_mul_f32_e32 v6, 0x7800000, v6
	v_cndmask_b32_e32 v5, v6, v7, vcc_lo
	v_and_or_b32 v4, 0x80000000, v4, v5
	v_cvt_f64_f32_e32 v[41:42], v4
.LBB85_1484:
	s_mov_b32 s6, 0
	s_mov_b32 s7, -1
.LBB85_1485:
	s_andn2_b32 vcc_lo, exec_lo, s6
	s_mov_b32 s6, 0
	s_cbranch_vccnz .LBB85_1494
; %bb.1486:
	s_cmp_gt_i32 s4, 14
	s_cbranch_scc0 .LBB85_1489
; %bb.1487:
	s_cmp_eq_u32 s4, 15
	s_cbranch_scc0 .LBB85_1490
; %bb.1488:
	global_load_ushort v4, v[0:1], off
	s_mov_b32 s5, 0
	s_mov_b32 s7, -1
	s_waitcnt vmcnt(0)
	v_lshlrev_b32_e32 v4, 16, v4
	v_cvt_f64_f32_e32 v[41:42], v4
	s_branch .LBB85_1492
.LBB85_1489:
	s_mov_b32 s6, -1
	s_branch .LBB85_1491
.LBB85_1490:
	s_mov_b32 s5, -1
.LBB85_1491:
                                        ; implicit-def: $vgpr41_vgpr42
.LBB85_1492:
	s_and_b32 vcc_lo, exec_lo, s6
	s_mov_b32 s6, 0
	s_cbranch_vccz .LBB85_1494
; %bb.1493:
	s_cmp_lg_u32 s4, 11
	s_mov_b32 s6, -1
	s_cselect_b32 s5, -1, 0
.LBB85_1494:
	s_and_b32 vcc_lo, exec_lo, s5
	s_cbranch_vccnz .LBB85_2027
; %bb.1495:
	s_andn2_b32 vcc_lo, exec_lo, s6
	s_cbranch_vccnz .LBB85_1497
.LBB85_1496:
	global_load_ubyte v4, v[0:1], off
	v_mov_b32_e32 v41, 0
	s_mov_b32 s7, -1
	s_waitcnt vmcnt(0)
	v_cmp_ne_u16_e32 vcc_lo, 0, v4
	v_cndmask_b32_e64 v42, 0, 0x3ff00000, vcc_lo
.LBB85_1497:
	s_mov_b32 s5, 0
.LBB85_1498:
	s_and_b32 vcc_lo, exec_lo, s5
	s_cbranch_vccz .LBB85_1547
; %bb.1499:
	s_cmp_lt_i32 s4, 5
	s_cbranch_scc1 .LBB85_1504
; %bb.1500:
	s_cmp_lt_i32 s4, 8
	s_cbranch_scc1 .LBB85_1505
	;; [unrolled: 3-line block ×3, first 2 shown]
; %bb.1502:
	s_cmp_gt_i32 s4, 9
	s_cbranch_scc0 .LBB85_1507
; %bb.1503:
	global_load_dwordx2 v[41:42], v[0:1], off
	s_mov_b32 s5, 0
	s_branch .LBB85_1508
.LBB85_1504:
	s_mov_b32 s5, -1
                                        ; implicit-def: $vgpr41_vgpr42
	s_branch .LBB85_1526
.LBB85_1505:
	s_mov_b32 s5, -1
                                        ; implicit-def: $vgpr41_vgpr42
	s_branch .LBB85_1514
.LBB85_1506:
	s_mov_b32 s5, -1
                                        ; implicit-def: $vgpr41_vgpr42
	s_branch .LBB85_1511
.LBB85_1507:
	s_mov_b32 s5, -1
                                        ; implicit-def: $vgpr41_vgpr42
.LBB85_1508:
	s_andn2_b32 vcc_lo, exec_lo, s5
	s_cbranch_vccnz .LBB85_1510
; %bb.1509:
	global_load_dword v4, v[0:1], off
	s_waitcnt vmcnt(0)
	v_cvt_f64_f32_e32 v[41:42], v4
.LBB85_1510:
	s_mov_b32 s5, 0
.LBB85_1511:
	s_andn2_b32 vcc_lo, exec_lo, s5
	s_cbranch_vccnz .LBB85_1513
; %bb.1512:
	global_load_dword v4, v[0:1], off
	s_waitcnt vmcnt(0)
	v_cvt_f32_f16_e32 v4, v4
	v_cvt_f64_f32_e32 v[41:42], v4
.LBB85_1513:
	s_mov_b32 s5, 0
.LBB85_1514:
	s_andn2_b32 vcc_lo, exec_lo, s5
	s_cbranch_vccnz .LBB85_1525
; %bb.1515:
	s_cmp_lt_i32 s4, 6
	s_cbranch_scc1 .LBB85_1518
; %bb.1516:
	s_cmp_gt_i32 s4, 6
	s_cbranch_scc0 .LBB85_1519
; %bb.1517:
	global_load_dwordx2 v[41:42], v[0:1], off
	s_mov_b32 s5, 0
	s_branch .LBB85_1520
.LBB85_1518:
	s_mov_b32 s5, -1
                                        ; implicit-def: $vgpr41_vgpr42
	s_branch .LBB85_1523
.LBB85_1519:
	s_mov_b32 s5, -1
                                        ; implicit-def: $vgpr41_vgpr42
.LBB85_1520:
	s_andn2_b32 vcc_lo, exec_lo, s5
	s_cbranch_vccnz .LBB85_1522
; %bb.1521:
	global_load_dword v4, v[0:1], off
	s_waitcnt vmcnt(0)
	v_cvt_f64_f32_e32 v[41:42], v4
.LBB85_1522:
	s_mov_b32 s5, 0
.LBB85_1523:
	s_andn2_b32 vcc_lo, exec_lo, s5
	s_cbranch_vccnz .LBB85_1525
; %bb.1524:
	global_load_ushort v4, v[0:1], off
	s_waitcnt vmcnt(0)
	v_cvt_f32_f16_e32 v4, v4
	v_cvt_f64_f32_e32 v[41:42], v4
.LBB85_1525:
	s_mov_b32 s5, 0
.LBB85_1526:
	s_andn2_b32 vcc_lo, exec_lo, s5
	s_cbranch_vccnz .LBB85_1546
; %bb.1527:
	s_cmp_lt_i32 s4, 2
	s_cbranch_scc1 .LBB85_1531
; %bb.1528:
	s_cmp_lt_i32 s4, 3
	s_cbranch_scc1 .LBB85_1532
; %bb.1529:
	s_cmp_gt_i32 s4, 3
	s_cbranch_scc0 .LBB85_1533
; %bb.1530:
	global_load_dwordx2 v[4:5], v[0:1], off
	s_mov_b32 s5, 0
	s_waitcnt vmcnt(0)
	v_cvt_f64_i32_e32 v[5:6], v5
	v_cvt_f64_u32_e32 v[7:8], v4
	v_ldexp_f64 v[5:6], v[5:6], 32
	v_add_f64 v[41:42], v[5:6], v[7:8]
	s_branch .LBB85_1534
.LBB85_1531:
	s_mov_b32 s5, -1
                                        ; implicit-def: $vgpr41_vgpr42
	s_branch .LBB85_1540
.LBB85_1532:
	s_mov_b32 s5, -1
                                        ; implicit-def: $vgpr41_vgpr42
	s_branch .LBB85_1537
.LBB85_1533:
	s_mov_b32 s5, -1
                                        ; implicit-def: $vgpr41_vgpr42
.LBB85_1534:
	s_andn2_b32 vcc_lo, exec_lo, s5
	s_cbranch_vccnz .LBB85_1536
; %bb.1535:
	global_load_dword v4, v[0:1], off
	s_waitcnt vmcnt(0)
	v_cvt_f64_i32_e32 v[41:42], v4
.LBB85_1536:
	s_mov_b32 s5, 0
.LBB85_1537:
	s_andn2_b32 vcc_lo, exec_lo, s5
	s_cbranch_vccnz .LBB85_1539
; %bb.1538:
	global_load_sshort v4, v[0:1], off
	s_waitcnt vmcnt(0)
	v_cvt_f64_i32_e32 v[41:42], v4
.LBB85_1539:
	s_mov_b32 s5, 0
.LBB85_1540:
	s_andn2_b32 vcc_lo, exec_lo, s5
	s_cbranch_vccnz .LBB85_1546
; %bb.1541:
	s_cmp_gt_i32 s4, 0
	s_mov_b32 s4, 0
	s_cbranch_scc0 .LBB85_1543
; %bb.1542:
	global_load_sbyte v4, v[0:1], off
	s_waitcnt vmcnt(0)
	v_cvt_f64_i32_e32 v[41:42], v4
	s_branch .LBB85_1544
.LBB85_1543:
	s_mov_b32 s4, -1
                                        ; implicit-def: $vgpr41_vgpr42
.LBB85_1544:
	s_andn2_b32 vcc_lo, exec_lo, s4
	s_cbranch_vccnz .LBB85_1546
; %bb.1545:
	global_load_ubyte v0, v[0:1], off
	s_waitcnt vmcnt(0)
	v_cvt_f64_u32_e32 v[41:42], v0
.LBB85_1546:
	s_mov_b32 s7, -1
.LBB85_1547:
	s_andn2_b32 vcc_lo, exec_lo, s7
	s_cbranch_vccnz .LBB85_1981
; %bb.1548:
	v_mov_b32_e32 v0, s54
	v_mov_b32_e32 v1, s55
	s_getpc_b64 s[4:5]
	s_add_u32 s4, s4, _ZZZZN2at6native21polygamma_kernel_cudaERNS_18TensorIteratorBaseElENKUlvE_clEvENKUlvE_clEvENKUldE_clEd@rel32@lo+4
	s_addc_u32 s5, s5, _ZZZZN2at6native21polygamma_kernel_cudaERNS_18TensorIteratorBaseElENKUlvE_clEvENKUlvE_clEvENKUldE_clEd@rel32@hi+12
	s_swappc_b64 s[30:31], s[4:5]
	v_mul_lo_u32 v47, s52, v47
	s_and_b32 s67, s33, 0xff
	s_cmp_lt_i32 s67, 11
	v_ashrrev_i32_e32 v2, 31, v47
	v_add_co_u32 v4, vcc_lo, s48, v47
	v_add_co_ci_u32_e64 v5, null, s49, v2, vcc_lo
	s_cbranch_scc1 .LBB85_1626
; %bb.1549:
	s_and_b32 s5, 0xffff, s67
	s_mov_b32 s8, -1
	s_mov_b32 s6, 0
	s_cmp_gt_i32 s5, 25
	s_mov_b32 s7, 0
	s_mov_b32 s4, 0
	s_cbranch_scc0 .LBB85_1582
; %bb.1550:
	s_cmp_gt_i32 s5, 28
	s_cbranch_scc0 .LBB85_1565
; %bb.1551:
	s_cmp_gt_i32 s5, 43
	;; [unrolled: 3-line block ×3, first 2 shown]
	s_cbranch_scc0 .LBB85_1555
; %bb.1553:
	s_mov_b32 s4, -1
	s_mov_b32 s8, 0
	s_cmp_eq_u32 s5, 46
	s_cbranch_scc0 .LBB85_1555
; %bb.1554:
	v_cvt_f32_f64_e32 v2, v[0:1]
	s_mov_b32 s4, 0
	s_mov_b32 s7, -1
	v_bfe_u32 v3, v2, 16, 1
	v_cmp_o_f32_e32 vcc_lo, v2, v2
	v_add3_u32 v2, v2, v3, 0x7fff
	v_mov_b32_e32 v3, 0x7fc0
	v_cndmask_b32_sdwa v2, v3, v2, vcc_lo dst_sel:DWORD dst_unused:UNUSED_PAD src0_sel:DWORD src1_sel:WORD_1
	global_store_dword v[4:5], v2, off
.LBB85_1555:
	s_and_b32 vcc_lo, exec_lo, s8
	s_cbranch_vccz .LBB85_1560
; %bb.1556:
	s_cmp_eq_u32 s5, 44
	s_mov_b32 s4, -1
	s_cbranch_scc0 .LBB85_1560
; %bb.1557:
	v_cvt_f32_f64_e32 v2, v[0:1]
	v_mov_b32_e32 v3, 0xff
	s_mov_b32 s7, exec_lo
	v_bfe_u32 v6, v2, 23, 8
	v_cmpx_ne_u32_e32 0xff, v6
	s_cbranch_execz .LBB85_1559
; %bb.1558:
	v_and_b32_e32 v3, 0x400000, v2
	v_and_or_b32 v6, 0x3fffff, v2, v6
	v_lshrrev_b32_e32 v2, 23, v2
	v_cmp_ne_u32_e32 vcc_lo, 0, v3
	v_cmp_ne_u32_e64 s4, 0, v6
	s_and_b32 s4, vcc_lo, s4
	v_cndmask_b32_e64 v3, 0, 1, s4
	v_add_nc_u32_e32 v3, v2, v3
.LBB85_1559:
	s_or_b32 exec_lo, exec_lo, s7
	s_mov_b32 s4, 0
	s_mov_b32 s7, -1
	global_store_byte v[4:5], v3, off
.LBB85_1560:
	s_mov_b32 s8, 0
.LBB85_1561:
	s_and_b32 vcc_lo, exec_lo, s8
	s_cbranch_vccz .LBB85_1564
; %bb.1562:
	s_cmp_eq_u32 s5, 29
	s_mov_b32 s4, -1
	s_cbranch_scc0 .LBB85_1564
; %bb.1563:
	v_trunc_f64_e32 v[2:3], v[0:1]
	s_mov_b32 s4, 0
	s_mov_b32 s7, -1
	v_ldexp_f64 v[6:7], v[2:3], 0xffffffe0
	v_floor_f64_e32 v[6:7], v[6:7]
	v_fma_f64 v[2:3], 0xc1f00000, v[6:7], v[2:3]
	v_cvt_u32_f64_e32 v7, v[6:7]
	v_cvt_u32_f64_e32 v6, v[2:3]
	global_store_dwordx2 v[4:5], v[6:7], off
.LBB85_1564:
	s_mov_b32 s8, 0
.LBB85_1565:
	s_and_b32 vcc_lo, exec_lo, s8
	s_cbranch_vccz .LBB85_1581
; %bb.1566:
	s_cmp_lt_i32 s5, 27
	s_mov_b32 s7, -1
	s_cbranch_scc1 .LBB85_1572
; %bb.1567:
	v_cvt_u32_f64_e32 v2, v[0:1]
	s_cmp_gt_i32 s5, 27
	s_cbranch_scc0 .LBB85_1569
; %bb.1568:
	s_mov_b32 s7, 0
	global_store_dword v[4:5], v2, off
.LBB85_1569:
	s_andn2_b32 vcc_lo, exec_lo, s7
	s_cbranch_vccnz .LBB85_1571
; %bb.1570:
	global_store_short v[4:5], v2, off
.LBB85_1571:
	s_mov_b32 s7, 0
.LBB85_1572:
	s_andn2_b32 vcc_lo, exec_lo, s7
	s_cbranch_vccnz .LBB85_1580
; %bb.1573:
	v_cvt_f32_f64_e32 v2, v[0:1]
	v_mov_b32_e32 v6, 0x80
	s_mov_b32 s7, exec_lo
	v_and_b32_e32 v3, 0x7fffffff, v2
	v_cmpx_gt_u32_e32 0x43800000, v3
	s_cbranch_execz .LBB85_1579
; %bb.1574:
	v_cmp_lt_u32_e32 vcc_lo, 0x3bffffff, v3
	s_mov_b32 s8, 0
                                        ; implicit-def: $vgpr3
	s_and_saveexec_b32 s9, vcc_lo
	s_xor_b32 s9, exec_lo, s9
	s_cbranch_execz .LBB85_2028
; %bb.1575:
	v_bfe_u32 v3, v2, 20, 1
	s_mov_b32 s8, exec_lo
	v_add3_u32 v3, v2, v3, 0x487ffff
	v_lshrrev_b32_e32 v3, 20, v3
	s_andn2_saveexec_b32 s9, s9
	s_cbranch_execnz .LBB85_2029
.LBB85_1576:
	s_or_b32 exec_lo, exec_lo, s9
	v_mov_b32_e32 v6, 0
	s_and_saveexec_b32 s9, s8
.LBB85_1577:
	v_lshrrev_b32_e32 v2, 24, v2
	v_and_or_b32 v6, 0x80, v2, v3
.LBB85_1578:
	s_or_b32 exec_lo, exec_lo, s9
.LBB85_1579:
	s_or_b32 exec_lo, exec_lo, s7
	global_store_byte v[4:5], v6, off
.LBB85_1580:
	s_mov_b32 s7, -1
.LBB85_1581:
	s_mov_b32 s8, 0
.LBB85_1582:
	s_and_b32 vcc_lo, exec_lo, s8
	s_cbranch_vccz .LBB85_1622
; %bb.1583:
	s_cmp_gt_i32 s5, 22
	s_mov_b32 s6, -1
	s_cbranch_scc0 .LBB85_1615
; %bb.1584:
	s_cmp_lt_i32 s5, 24
	s_cbranch_scc1 .LBB85_1604
; %bb.1585:
	s_cmp_gt_i32 s5, 24
	s_cbranch_scc0 .LBB85_1593
; %bb.1586:
	v_cvt_f32_f64_e32 v2, v[0:1]
	v_mov_b32_e32 v6, 0x80
	s_mov_b32 s6, exec_lo
	v_and_b32_e32 v3, 0x7fffffff, v2
	v_cmpx_gt_u32_e32 0x47800000, v3
	s_cbranch_execz .LBB85_1592
; %bb.1587:
	v_cmp_lt_u32_e32 vcc_lo, 0x37ffffff, v3
	s_mov_b32 s7, 0
                                        ; implicit-def: $vgpr3
	s_and_saveexec_b32 s8, vcc_lo
	s_xor_b32 s8, exec_lo, s8
	s_cbranch_execz .LBB85_2031
; %bb.1588:
	v_bfe_u32 v3, v2, 21, 1
	s_mov_b32 s7, exec_lo
	v_add3_u32 v3, v2, v3, 0x88fffff
	v_lshrrev_b32_e32 v3, 21, v3
	s_andn2_saveexec_b32 s8, s8
	s_cbranch_execnz .LBB85_2032
.LBB85_1589:
	s_or_b32 exec_lo, exec_lo, s8
	v_mov_b32_e32 v6, 0
	s_and_saveexec_b32 s8, s7
.LBB85_1590:
	v_lshrrev_b32_e32 v2, 24, v2
	v_and_or_b32 v6, 0x80, v2, v3
.LBB85_1591:
	s_or_b32 exec_lo, exec_lo, s8
.LBB85_1592:
	s_or_b32 exec_lo, exec_lo, s6
	s_mov_b32 s6, 0
	global_store_byte v[4:5], v6, off
.LBB85_1593:
	s_and_b32 vcc_lo, exec_lo, s6
	s_cbranch_vccz .LBB85_1603
; %bb.1594:
	v_cvt_f32_f64_e32 v2, v[0:1]
	s_mov_b32 s6, exec_lo
                                        ; implicit-def: $vgpr3
	v_and_b32_e32 v6, 0x7fffffff, v2
	v_cmpx_gt_u32_e32 0x43f00000, v6
	s_xor_b32 s6, exec_lo, s6
	s_cbranch_execz .LBB85_1600
; %bb.1595:
	s_mov_b32 s7, exec_lo
                                        ; implicit-def: $vgpr3
	v_cmpx_lt_u32_e32 0x3c7fffff, v6
	s_xor_b32 s7, exec_lo, s7
; %bb.1596:
	v_bfe_u32 v3, v2, 20, 1
	v_add3_u32 v3, v2, v3, 0x407ffff
	v_and_b32_e32 v6, 0xff00000, v3
	v_lshrrev_b32_e32 v3, 20, v3
	v_cmp_ne_u32_e32 vcc_lo, 0x7f00000, v6
	v_cndmask_b32_e32 v3, 0x7e, v3, vcc_lo
; %bb.1597:
	s_andn2_saveexec_b32 s7, s7
; %bb.1598:
	v_add_f32_e64 v3, 0x46800000, |v2|
; %bb.1599:
	s_or_b32 exec_lo, exec_lo, s7
                                        ; implicit-def: $vgpr6
.LBB85_1600:
	s_andn2_saveexec_b32 s6, s6
; %bb.1601:
	v_mov_b32_e32 v3, 0x7f
	v_cmp_lt_u32_e32 vcc_lo, 0x7f800000, v6
	v_cndmask_b32_e32 v3, 0x7e, v3, vcc_lo
; %bb.1602:
	s_or_b32 exec_lo, exec_lo, s6
	v_lshrrev_b32_e32 v2, 24, v2
	v_and_or_b32 v2, 0x80, v2, v3
	global_store_byte v[4:5], v2, off
.LBB85_1603:
	s_mov_b32 s6, 0
.LBB85_1604:
	s_andn2_b32 vcc_lo, exec_lo, s6
	s_cbranch_vccnz .LBB85_1614
; %bb.1605:
	v_cvt_f32_f64_e32 v2, v[0:1]
	s_mov_b32 s6, exec_lo
                                        ; implicit-def: $vgpr3
	v_and_b32_e32 v6, 0x7fffffff, v2
	v_cmpx_gt_u32_e32 0x47800000, v6
	s_xor_b32 s6, exec_lo, s6
	s_cbranch_execz .LBB85_1611
; %bb.1606:
	s_mov_b32 s7, exec_lo
                                        ; implicit-def: $vgpr3
	v_cmpx_lt_u32_e32 0x387fffff, v6
	s_xor_b32 s7, exec_lo, s7
; %bb.1607:
	v_bfe_u32 v3, v2, 21, 1
	v_add3_u32 v3, v2, v3, 0x80fffff
	v_lshrrev_b32_e32 v3, 21, v3
; %bb.1608:
	s_andn2_saveexec_b32 s7, s7
; %bb.1609:
	v_add_f32_e64 v3, 0x43000000, |v2|
; %bb.1610:
	s_or_b32 exec_lo, exec_lo, s7
                                        ; implicit-def: $vgpr6
.LBB85_1611:
	s_andn2_saveexec_b32 s6, s6
; %bb.1612:
	v_mov_b32_e32 v3, 0x7f
	v_cmp_lt_u32_e32 vcc_lo, 0x7f800000, v6
	v_cndmask_b32_e32 v3, 0x7c, v3, vcc_lo
; %bb.1613:
	s_or_b32 exec_lo, exec_lo, s6
	v_lshrrev_b32_e32 v2, 24, v2
	v_and_or_b32 v2, 0x80, v2, v3
	global_store_byte v[4:5], v2, off
.LBB85_1614:
	s_mov_b32 s6, 0
	s_mov_b32 s7, -1
.LBB85_1615:
	s_andn2_b32 vcc_lo, exec_lo, s6
	s_mov_b32 s6, 0
	s_cbranch_vccnz .LBB85_1622
; %bb.1616:
	s_cmp_gt_i32 s5, 14
	s_mov_b32 s6, -1
	s_cbranch_scc0 .LBB85_1620
; %bb.1617:
	s_cmp_eq_u32 s5, 15
	s_mov_b32 s4, -1
	s_cbranch_scc0 .LBB85_1619
; %bb.1618:
	v_cvt_f32_f64_e32 v2, v[0:1]
	s_mov_b32 s4, 0
	s_mov_b32 s7, -1
	v_bfe_u32 v3, v2, 16, 1
	v_cmp_o_f32_e32 vcc_lo, v2, v2
	v_add3_u32 v2, v2, v3, 0x7fff
	v_mov_b32_e32 v3, 0x7fc0
	v_cndmask_b32_sdwa v2, v3, v2, vcc_lo dst_sel:DWORD dst_unused:UNUSED_PAD src0_sel:DWORD src1_sel:WORD_1
	global_store_short v[4:5], v2, off
.LBB85_1619:
	s_mov_b32 s6, 0
.LBB85_1620:
	s_and_b32 vcc_lo, exec_lo, s6
	s_mov_b32 s6, 0
	s_cbranch_vccz .LBB85_1622
; %bb.1621:
	s_cmp_lg_u32 s5, 11
	s_mov_b32 s6, -1
	s_cselect_b32 s4, -1, 0
.LBB85_1622:
	s_and_b32 vcc_lo, exec_lo, s4
	s_cbranch_vccnz .LBB85_2030
; %bb.1623:
	s_andn2_b32 vcc_lo, exec_lo, s6
	s_cbranch_vccnz .LBB85_1625
.LBB85_1624:
	v_cmp_neq_f64_e32 vcc_lo, 0, v[0:1]
	s_mov_b32 s7, -1
	v_cndmask_b32_e64 v2, 0, 1, vcc_lo
	global_store_byte v[4:5], v2, off
.LBB85_1625:
	s_mov_b32 s4, 0
	s_branch .LBB85_1627
.LBB85_1626:
	s_mov_b32 s4, -1
	s_mov_b32 s7, 0
.LBB85_1627:
	s_and_b32 vcc_lo, exec_lo, s4
	s_cbranch_vccz .LBB85_1666
; %bb.1628:
	s_and_b32 s4, 0xffff, s67
	s_mov_b32 s5, -1
	s_cmp_lt_i32 s4, 5
	s_cbranch_scc1 .LBB85_1649
; %bb.1629:
	s_cmp_lt_i32 s4, 8
	s_cbranch_scc1 .LBB85_1639
; %bb.1630:
	;; [unrolled: 3-line block ×3, first 2 shown]
	s_cmp_gt_i32 s4, 9
	s_cbranch_scc0 .LBB85_1633
; %bb.1632:
	v_mov_b32_e32 v2, 0
	s_mov_b32 s5, 0
	v_mov_b32_e32 v3, v2
	global_store_dwordx4 v[4:5], v[0:3], off
.LBB85_1633:
	s_andn2_b32 vcc_lo, exec_lo, s5
	s_cbranch_vccnz .LBB85_1635
; %bb.1634:
	v_cvt_f32_f64_e32 v2, v[0:1]
	v_mov_b32_e32 v3, 0
	global_store_dwordx2 v[4:5], v[2:3], off
.LBB85_1635:
	s_mov_b32 s5, 0
.LBB85_1636:
	s_andn2_b32 vcc_lo, exec_lo, s5
	s_cbranch_vccnz .LBB85_1638
; %bb.1637:
	v_and_or_b32 v2, 0x1ff, v1, v0
	v_lshrrev_b32_e32 v3, 8, v1
	v_bfe_u32 v6, v1, 20, 11
	v_cmp_ne_u32_e32 vcc_lo, 0, v2
	v_sub_nc_u32_e32 v7, 0x3f1, v6
	v_add_nc_u32_e32 v6, 0xfffffc10, v6
	v_cndmask_b32_e64 v2, 0, 1, vcc_lo
	v_and_or_b32 v2, 0xffe, v3, v2
	v_med3_i32 v3, v7, 0, 13
	v_or_b32_e32 v7, 0x1000, v2
	v_lshrrev_b32_e32 v8, v3, v7
	v_lshlrev_b32_e32 v3, v3, v8
	v_cmp_ne_u32_e32 vcc_lo, v3, v7
	v_lshl_or_b32 v7, v6, 12, v2
	v_cndmask_b32_e64 v3, 0, 1, vcc_lo
	v_cmp_gt_i32_e32 vcc_lo, 1, v6
	v_or_b32_e32 v3, v8, v3
	v_cndmask_b32_e32 v3, v7, v3, vcc_lo
	v_and_b32_e32 v7, 7, v3
	v_lshrrev_b32_e32 v3, 2, v3
	v_cmp_lt_i32_e32 vcc_lo, 5, v7
	v_cndmask_b32_e64 v8, 0, 1, vcc_lo
	v_cmp_eq_u32_e32 vcc_lo, 3, v7
	v_cndmask_b32_e64 v7, 0, 1, vcc_lo
	v_cmp_ne_u32_e32 vcc_lo, 0, v2
	v_or_b32_e32 v7, v7, v8
	v_mov_b32_e32 v8, 0x7e00
	v_add_nc_u32_e32 v3, v3, v7
	v_cndmask_b32_e32 v2, 0x7c00, v8, vcc_lo
	v_cmp_gt_i32_e32 vcc_lo, 31, v6
	v_cndmask_b32_e32 v3, 0x7c00, v3, vcc_lo
	v_cmp_eq_u32_e32 vcc_lo, 0x40f, v6
	v_cndmask_b32_e32 v2, v3, v2, vcc_lo
	v_lshrrev_b32_e32 v3, 16, v1
	v_and_or_b32 v2, 0x8000, v3, v2
	v_and_b32_e32 v2, 0xffff, v2
	global_store_dword v[4:5], v2, off
.LBB85_1638:
	s_mov_b32 s5, 0
.LBB85_1639:
	s_andn2_b32 vcc_lo, exec_lo, s5
	s_cbranch_vccnz .LBB85_1648
; %bb.1640:
	s_cmp_lt_i32 s4, 6
	s_mov_b32 s5, -1
	s_cbranch_scc1 .LBB85_1646
; %bb.1641:
	s_cmp_gt_i32 s4, 6
	s_cbranch_scc0 .LBB85_1643
; %bb.1642:
	s_mov_b32 s5, 0
	global_store_dwordx2 v[4:5], v[0:1], off
.LBB85_1643:
	s_andn2_b32 vcc_lo, exec_lo, s5
	s_cbranch_vccnz .LBB85_1645
; %bb.1644:
	v_cvt_f32_f64_e32 v2, v[0:1]
	global_store_dword v[4:5], v2, off
.LBB85_1645:
	s_mov_b32 s5, 0
.LBB85_1646:
	s_andn2_b32 vcc_lo, exec_lo, s5
	s_cbranch_vccnz .LBB85_1648
; %bb.1647:
	v_and_or_b32 v2, 0x1ff, v1, v0
	v_lshrrev_b32_e32 v3, 8, v1
	v_bfe_u32 v6, v1, 20, 11
	v_cmp_ne_u32_e32 vcc_lo, 0, v2
	v_sub_nc_u32_e32 v7, 0x3f1, v6
	v_add_nc_u32_e32 v6, 0xfffffc10, v6
	v_cndmask_b32_e64 v2, 0, 1, vcc_lo
	v_and_or_b32 v2, 0xffe, v3, v2
	v_med3_i32 v3, v7, 0, 13
	v_or_b32_e32 v7, 0x1000, v2
	v_lshrrev_b32_e32 v8, v3, v7
	v_lshlrev_b32_e32 v3, v3, v8
	v_cmp_ne_u32_e32 vcc_lo, v3, v7
	v_lshl_or_b32 v7, v6, 12, v2
	v_cndmask_b32_e64 v3, 0, 1, vcc_lo
	v_cmp_gt_i32_e32 vcc_lo, 1, v6
	v_or_b32_e32 v3, v8, v3
	v_cndmask_b32_e32 v3, v7, v3, vcc_lo
	v_and_b32_e32 v7, 7, v3
	v_lshrrev_b32_e32 v3, 2, v3
	v_cmp_lt_i32_e32 vcc_lo, 5, v7
	v_cndmask_b32_e64 v8, 0, 1, vcc_lo
	v_cmp_eq_u32_e32 vcc_lo, 3, v7
	v_cndmask_b32_e64 v7, 0, 1, vcc_lo
	v_cmp_ne_u32_e32 vcc_lo, 0, v2
	v_or_b32_e32 v7, v7, v8
	v_mov_b32_e32 v8, 0x7e00
	v_add_nc_u32_e32 v3, v3, v7
	v_cndmask_b32_e32 v2, 0x7c00, v8, vcc_lo
	v_cmp_gt_i32_e32 vcc_lo, 31, v6
	v_cndmask_b32_e32 v3, 0x7c00, v3, vcc_lo
	v_cmp_eq_u32_e32 vcc_lo, 0x40f, v6
	v_cndmask_b32_e32 v2, v3, v2, vcc_lo
	v_lshrrev_b32_e32 v3, 16, v1
	v_and_or_b32 v2, 0x8000, v3, v2
	global_store_short v[4:5], v2, off
.LBB85_1648:
	s_mov_b32 s5, 0
.LBB85_1649:
	s_andn2_b32 vcc_lo, exec_lo, s5
	s_cbranch_vccnz .LBB85_1665
; %bb.1650:
	s_cmp_lt_i32 s4, 2
	s_mov_b32 s5, -1
	s_cbranch_scc1 .LBB85_1660
; %bb.1651:
	s_cmp_lt_i32 s4, 3
	s_cbranch_scc1 .LBB85_1657
; %bb.1652:
	s_cmp_gt_i32 s4, 3
	s_cbranch_scc0 .LBB85_1654
; %bb.1653:
	v_trunc_f64_e32 v[2:3], v[0:1]
	s_mov_b32 s5, 0
	v_ldexp_f64 v[6:7], v[2:3], 0xffffffe0
	v_floor_f64_e32 v[6:7], v[6:7]
	v_fma_f64 v[2:3], 0xc1f00000, v[6:7], v[2:3]
	v_cvt_i32_f64_e32 v7, v[6:7]
	v_cvt_u32_f64_e32 v6, v[2:3]
	global_store_dwordx2 v[4:5], v[6:7], off
.LBB85_1654:
	s_andn2_b32 vcc_lo, exec_lo, s5
	s_cbranch_vccnz .LBB85_1656
; %bb.1655:
	v_cvt_i32_f64_e32 v2, v[0:1]
	global_store_dword v[4:5], v2, off
.LBB85_1656:
	s_mov_b32 s5, 0
.LBB85_1657:
	s_andn2_b32 vcc_lo, exec_lo, s5
	s_cbranch_vccnz .LBB85_1659
; %bb.1658:
	v_cvt_i32_f64_e32 v2, v[0:1]
	global_store_short v[4:5], v2, off
.LBB85_1659:
	s_mov_b32 s5, 0
.LBB85_1660:
	s_andn2_b32 vcc_lo, exec_lo, s5
	s_cbranch_vccnz .LBB85_1665
; %bb.1661:
	s_cmp_gt_i32 s4, 0
	s_mov_b32 s4, -1
	s_cbranch_scc0 .LBB85_1663
; %bb.1662:
	v_cvt_i32_f64_e32 v2, v[0:1]
	s_mov_b32 s4, 0
	global_store_byte v[4:5], v2, off
.LBB85_1663:
	s_andn2_b32 vcc_lo, exec_lo, s4
	s_cbranch_vccnz .LBB85_1665
; %bb.1664:
	v_trunc_f64_e32 v[0:1], v[0:1]
	v_ldexp_f64 v[2:3], v[0:1], 0xffffffe0
	v_floor_f64_e32 v[2:3], v[2:3]
	v_fma_f64 v[0:1], 0xc1f00000, v[2:3], v[0:1]
	v_cvt_u32_f64_e32 v0, v[0:1]
	global_store_byte v[4:5], v0, off
.LBB85_1665:
	s_mov_b32 s7, -1
.LBB85_1666:
	s_andn2_b32 vcc_lo, exec_lo, s7
	s_cbranch_vccnz .LBB85_1981
; %bb.1667:
	v_mov_b32_e32 v0, s54
	v_mov_b32_e32 v1, s55
	;; [unrolled: 1-line block ×4, first 2 shown]
	s_getpc_b64 s[4:5]
	s_add_u32 s4, s4, _ZZZZN2at6native21polygamma_kernel_cudaERNS_18TensorIteratorBaseElENKUlvE_clEvENKUlvE_clEvENKUldE_clEd@rel32@lo+4
	s_addc_u32 s5, s5, _ZZZZN2at6native21polygamma_kernel_cudaERNS_18TensorIteratorBaseElENKUlvE_clEvENKUlvE_clEvENKUldE_clEd@rel32@hi+12
	s_swappc_b64 s[30:31], s[4:5]
	s_lshl_b32 s33, s52, 7
	s_cmp_lt_i32 s67, 11
	v_add_nc_u32_e32 v45, s33, v47
	v_ashrrev_i32_e32 v2, 31, v45
	v_add_co_u32 v4, vcc_lo, s48, v45
	v_add_co_ci_u32_e64 v5, null, s49, v2, vcc_lo
	s_cbranch_scc1 .LBB85_1745
; %bb.1668:
	s_and_b32 s5, 0xffff, s67
	s_mov_b32 s8, -1
	s_mov_b32 s6, 0
	s_cmp_gt_i32 s5, 25
	s_mov_b32 s7, 0
	s_mov_b32 s4, 0
	s_cbranch_scc0 .LBB85_1701
; %bb.1669:
	s_cmp_gt_i32 s5, 28
	s_cbranch_scc0 .LBB85_1684
; %bb.1670:
	s_cmp_gt_i32 s5, 43
	;; [unrolled: 3-line block ×3, first 2 shown]
	s_cbranch_scc0 .LBB85_1674
; %bb.1672:
	s_mov_b32 s4, -1
	s_mov_b32 s8, 0
	s_cmp_eq_u32 s5, 46
	s_cbranch_scc0 .LBB85_1674
; %bb.1673:
	v_cvt_f32_f64_e32 v2, v[0:1]
	s_mov_b32 s4, 0
	s_mov_b32 s7, -1
	v_bfe_u32 v3, v2, 16, 1
	v_cmp_o_f32_e32 vcc_lo, v2, v2
	v_add3_u32 v2, v2, v3, 0x7fff
	v_mov_b32_e32 v3, 0x7fc0
	v_cndmask_b32_sdwa v2, v3, v2, vcc_lo dst_sel:DWORD dst_unused:UNUSED_PAD src0_sel:DWORD src1_sel:WORD_1
	global_store_dword v[4:5], v2, off
.LBB85_1674:
	s_and_b32 vcc_lo, exec_lo, s8
	s_cbranch_vccz .LBB85_1679
; %bb.1675:
	s_cmp_eq_u32 s5, 44
	s_mov_b32 s4, -1
	s_cbranch_scc0 .LBB85_1679
; %bb.1676:
	v_cvt_f32_f64_e32 v2, v[0:1]
	v_mov_b32_e32 v3, 0xff
	s_mov_b32 s7, exec_lo
	v_bfe_u32 v6, v2, 23, 8
	v_cmpx_ne_u32_e32 0xff, v6
	s_cbranch_execz .LBB85_1678
; %bb.1677:
	v_and_b32_e32 v3, 0x400000, v2
	v_and_or_b32 v6, 0x3fffff, v2, v6
	v_lshrrev_b32_e32 v2, 23, v2
	v_cmp_ne_u32_e32 vcc_lo, 0, v3
	v_cmp_ne_u32_e64 s4, 0, v6
	s_and_b32 s4, vcc_lo, s4
	v_cndmask_b32_e64 v3, 0, 1, s4
	v_add_nc_u32_e32 v3, v2, v3
.LBB85_1678:
	s_or_b32 exec_lo, exec_lo, s7
	s_mov_b32 s4, 0
	s_mov_b32 s7, -1
	global_store_byte v[4:5], v3, off
.LBB85_1679:
	s_mov_b32 s8, 0
.LBB85_1680:
	s_and_b32 vcc_lo, exec_lo, s8
	s_cbranch_vccz .LBB85_1683
; %bb.1681:
	s_cmp_eq_u32 s5, 29
	s_mov_b32 s4, -1
	s_cbranch_scc0 .LBB85_1683
; %bb.1682:
	v_trunc_f64_e32 v[2:3], v[0:1]
	s_mov_b32 s4, 0
	s_mov_b32 s7, -1
	v_ldexp_f64 v[6:7], v[2:3], 0xffffffe0
	v_floor_f64_e32 v[6:7], v[6:7]
	v_fma_f64 v[2:3], 0xc1f00000, v[6:7], v[2:3]
	v_cvt_u32_f64_e32 v7, v[6:7]
	v_cvt_u32_f64_e32 v6, v[2:3]
	global_store_dwordx2 v[4:5], v[6:7], off
.LBB85_1683:
	s_mov_b32 s8, 0
.LBB85_1684:
	s_and_b32 vcc_lo, exec_lo, s8
	s_cbranch_vccz .LBB85_1700
; %bb.1685:
	s_cmp_lt_i32 s5, 27
	s_mov_b32 s7, -1
	s_cbranch_scc1 .LBB85_1691
; %bb.1686:
	v_cvt_u32_f64_e32 v2, v[0:1]
	s_cmp_gt_i32 s5, 27
	s_cbranch_scc0 .LBB85_1688
; %bb.1687:
	s_mov_b32 s7, 0
	global_store_dword v[4:5], v2, off
.LBB85_1688:
	s_andn2_b32 vcc_lo, exec_lo, s7
	s_cbranch_vccnz .LBB85_1690
; %bb.1689:
	global_store_short v[4:5], v2, off
.LBB85_1690:
	s_mov_b32 s7, 0
.LBB85_1691:
	s_andn2_b32 vcc_lo, exec_lo, s7
	s_cbranch_vccnz .LBB85_1699
; %bb.1692:
	v_cvt_f32_f64_e32 v2, v[0:1]
	v_mov_b32_e32 v6, 0x80
	s_mov_b32 s7, exec_lo
	v_and_b32_e32 v3, 0x7fffffff, v2
	v_cmpx_gt_u32_e32 0x43800000, v3
	s_cbranch_execz .LBB85_1698
; %bb.1693:
	v_cmp_lt_u32_e32 vcc_lo, 0x3bffffff, v3
	s_mov_b32 s8, 0
                                        ; implicit-def: $vgpr3
	s_and_saveexec_b32 s9, vcc_lo
	s_xor_b32 s9, exec_lo, s9
	s_cbranch_execz .LBB85_2033
; %bb.1694:
	v_bfe_u32 v3, v2, 20, 1
	s_mov_b32 s8, exec_lo
	v_add3_u32 v3, v2, v3, 0x487ffff
	v_lshrrev_b32_e32 v3, 20, v3
	s_andn2_saveexec_b32 s9, s9
	s_cbranch_execnz .LBB85_2034
.LBB85_1695:
	s_or_b32 exec_lo, exec_lo, s9
	v_mov_b32_e32 v6, 0
	s_and_saveexec_b32 s9, s8
.LBB85_1696:
	v_lshrrev_b32_e32 v2, 24, v2
	v_and_or_b32 v6, 0x80, v2, v3
.LBB85_1697:
	s_or_b32 exec_lo, exec_lo, s9
.LBB85_1698:
	s_or_b32 exec_lo, exec_lo, s7
	global_store_byte v[4:5], v6, off
.LBB85_1699:
	s_mov_b32 s7, -1
.LBB85_1700:
	s_mov_b32 s8, 0
.LBB85_1701:
	s_and_b32 vcc_lo, exec_lo, s8
	s_cbranch_vccz .LBB85_1741
; %bb.1702:
	s_cmp_gt_i32 s5, 22
	s_mov_b32 s6, -1
	s_cbranch_scc0 .LBB85_1734
; %bb.1703:
	s_cmp_lt_i32 s5, 24
	s_cbranch_scc1 .LBB85_1723
; %bb.1704:
	s_cmp_gt_i32 s5, 24
	s_cbranch_scc0 .LBB85_1712
; %bb.1705:
	v_cvt_f32_f64_e32 v2, v[0:1]
	v_mov_b32_e32 v6, 0x80
	s_mov_b32 s6, exec_lo
	v_and_b32_e32 v3, 0x7fffffff, v2
	v_cmpx_gt_u32_e32 0x47800000, v3
	s_cbranch_execz .LBB85_1711
; %bb.1706:
	v_cmp_lt_u32_e32 vcc_lo, 0x37ffffff, v3
	s_mov_b32 s7, 0
                                        ; implicit-def: $vgpr3
	s_and_saveexec_b32 s8, vcc_lo
	s_xor_b32 s8, exec_lo, s8
	s_cbranch_execz .LBB85_2036
; %bb.1707:
	v_bfe_u32 v3, v2, 21, 1
	s_mov_b32 s7, exec_lo
	v_add3_u32 v3, v2, v3, 0x88fffff
	v_lshrrev_b32_e32 v3, 21, v3
	s_andn2_saveexec_b32 s8, s8
	s_cbranch_execnz .LBB85_2037
.LBB85_1708:
	s_or_b32 exec_lo, exec_lo, s8
	v_mov_b32_e32 v6, 0
	s_and_saveexec_b32 s8, s7
.LBB85_1709:
	v_lshrrev_b32_e32 v2, 24, v2
	v_and_or_b32 v6, 0x80, v2, v3
.LBB85_1710:
	s_or_b32 exec_lo, exec_lo, s8
.LBB85_1711:
	s_or_b32 exec_lo, exec_lo, s6
	s_mov_b32 s6, 0
	global_store_byte v[4:5], v6, off
.LBB85_1712:
	s_and_b32 vcc_lo, exec_lo, s6
	s_cbranch_vccz .LBB85_1722
; %bb.1713:
	v_cvt_f32_f64_e32 v2, v[0:1]
	s_mov_b32 s6, exec_lo
                                        ; implicit-def: $vgpr3
	v_and_b32_e32 v6, 0x7fffffff, v2
	v_cmpx_gt_u32_e32 0x43f00000, v6
	s_xor_b32 s6, exec_lo, s6
	s_cbranch_execz .LBB85_1719
; %bb.1714:
	s_mov_b32 s7, exec_lo
                                        ; implicit-def: $vgpr3
	v_cmpx_lt_u32_e32 0x3c7fffff, v6
	s_xor_b32 s7, exec_lo, s7
; %bb.1715:
	v_bfe_u32 v3, v2, 20, 1
	v_add3_u32 v3, v2, v3, 0x407ffff
	v_and_b32_e32 v6, 0xff00000, v3
	v_lshrrev_b32_e32 v3, 20, v3
	v_cmp_ne_u32_e32 vcc_lo, 0x7f00000, v6
	v_cndmask_b32_e32 v3, 0x7e, v3, vcc_lo
; %bb.1716:
	s_andn2_saveexec_b32 s7, s7
; %bb.1717:
	v_add_f32_e64 v3, 0x46800000, |v2|
; %bb.1718:
	s_or_b32 exec_lo, exec_lo, s7
                                        ; implicit-def: $vgpr6
.LBB85_1719:
	s_andn2_saveexec_b32 s6, s6
; %bb.1720:
	v_mov_b32_e32 v3, 0x7f
	v_cmp_lt_u32_e32 vcc_lo, 0x7f800000, v6
	v_cndmask_b32_e32 v3, 0x7e, v3, vcc_lo
; %bb.1721:
	s_or_b32 exec_lo, exec_lo, s6
	v_lshrrev_b32_e32 v2, 24, v2
	v_and_or_b32 v2, 0x80, v2, v3
	global_store_byte v[4:5], v2, off
.LBB85_1722:
	s_mov_b32 s6, 0
.LBB85_1723:
	s_andn2_b32 vcc_lo, exec_lo, s6
	s_cbranch_vccnz .LBB85_1733
; %bb.1724:
	v_cvt_f32_f64_e32 v2, v[0:1]
	s_mov_b32 s6, exec_lo
                                        ; implicit-def: $vgpr3
	v_and_b32_e32 v6, 0x7fffffff, v2
	v_cmpx_gt_u32_e32 0x47800000, v6
	s_xor_b32 s6, exec_lo, s6
	s_cbranch_execz .LBB85_1730
; %bb.1725:
	s_mov_b32 s7, exec_lo
                                        ; implicit-def: $vgpr3
	v_cmpx_lt_u32_e32 0x387fffff, v6
	s_xor_b32 s7, exec_lo, s7
; %bb.1726:
	v_bfe_u32 v3, v2, 21, 1
	v_add3_u32 v3, v2, v3, 0x80fffff
	v_lshrrev_b32_e32 v3, 21, v3
; %bb.1727:
	s_andn2_saveexec_b32 s7, s7
; %bb.1728:
	v_add_f32_e64 v3, 0x43000000, |v2|
; %bb.1729:
	s_or_b32 exec_lo, exec_lo, s7
                                        ; implicit-def: $vgpr6
.LBB85_1730:
	s_andn2_saveexec_b32 s6, s6
; %bb.1731:
	v_mov_b32_e32 v3, 0x7f
	v_cmp_lt_u32_e32 vcc_lo, 0x7f800000, v6
	v_cndmask_b32_e32 v3, 0x7c, v3, vcc_lo
; %bb.1732:
	s_or_b32 exec_lo, exec_lo, s6
	v_lshrrev_b32_e32 v2, 24, v2
	v_and_or_b32 v2, 0x80, v2, v3
	global_store_byte v[4:5], v2, off
.LBB85_1733:
	s_mov_b32 s6, 0
	s_mov_b32 s7, -1
.LBB85_1734:
	s_andn2_b32 vcc_lo, exec_lo, s6
	s_mov_b32 s6, 0
	s_cbranch_vccnz .LBB85_1741
; %bb.1735:
	s_cmp_gt_i32 s5, 14
	s_mov_b32 s6, -1
	s_cbranch_scc0 .LBB85_1739
; %bb.1736:
	s_cmp_eq_u32 s5, 15
	s_mov_b32 s4, -1
	s_cbranch_scc0 .LBB85_1738
; %bb.1737:
	v_cvt_f32_f64_e32 v2, v[0:1]
	s_mov_b32 s4, 0
	s_mov_b32 s7, -1
	v_bfe_u32 v3, v2, 16, 1
	v_cmp_o_f32_e32 vcc_lo, v2, v2
	v_add3_u32 v2, v2, v3, 0x7fff
	v_mov_b32_e32 v3, 0x7fc0
	v_cndmask_b32_sdwa v2, v3, v2, vcc_lo dst_sel:DWORD dst_unused:UNUSED_PAD src0_sel:DWORD src1_sel:WORD_1
	global_store_short v[4:5], v2, off
.LBB85_1738:
	s_mov_b32 s6, 0
.LBB85_1739:
	s_and_b32 vcc_lo, exec_lo, s6
	s_mov_b32 s6, 0
	s_cbranch_vccz .LBB85_1741
; %bb.1740:
	s_cmp_lg_u32 s5, 11
	s_mov_b32 s6, -1
	s_cselect_b32 s4, -1, 0
.LBB85_1741:
	s_and_b32 vcc_lo, exec_lo, s4
	s_cbranch_vccnz .LBB85_2035
; %bb.1742:
	s_andn2_b32 vcc_lo, exec_lo, s6
	s_cbranch_vccnz .LBB85_1744
.LBB85_1743:
	v_cmp_neq_f64_e32 vcc_lo, 0, v[0:1]
	s_mov_b32 s7, -1
	v_cndmask_b32_e64 v2, 0, 1, vcc_lo
	global_store_byte v[4:5], v2, off
.LBB85_1744:
	s_mov_b32 s4, 0
	s_branch .LBB85_1746
.LBB85_1745:
	s_mov_b32 s4, -1
	s_mov_b32 s7, 0
.LBB85_1746:
	s_and_b32 vcc_lo, exec_lo, s4
	s_cbranch_vccz .LBB85_1785
; %bb.1747:
	s_and_b32 s4, 0xffff, s67
	s_mov_b32 s5, -1
	s_cmp_lt_i32 s4, 5
	s_cbranch_scc1 .LBB85_1768
; %bb.1748:
	s_cmp_lt_i32 s4, 8
	s_cbranch_scc1 .LBB85_1758
; %bb.1749:
	;; [unrolled: 3-line block ×3, first 2 shown]
	s_cmp_gt_i32 s4, 9
	s_cbranch_scc0 .LBB85_1752
; %bb.1751:
	v_mov_b32_e32 v2, 0
	s_mov_b32 s5, 0
	v_mov_b32_e32 v3, v2
	global_store_dwordx4 v[4:5], v[0:3], off
.LBB85_1752:
	s_andn2_b32 vcc_lo, exec_lo, s5
	s_cbranch_vccnz .LBB85_1754
; %bb.1753:
	v_cvt_f32_f64_e32 v2, v[0:1]
	v_mov_b32_e32 v3, 0
	global_store_dwordx2 v[4:5], v[2:3], off
.LBB85_1754:
	s_mov_b32 s5, 0
.LBB85_1755:
	s_andn2_b32 vcc_lo, exec_lo, s5
	s_cbranch_vccnz .LBB85_1757
; %bb.1756:
	v_and_or_b32 v2, 0x1ff, v1, v0
	v_lshrrev_b32_e32 v3, 8, v1
	v_bfe_u32 v6, v1, 20, 11
	v_cmp_ne_u32_e32 vcc_lo, 0, v2
	v_sub_nc_u32_e32 v7, 0x3f1, v6
	v_add_nc_u32_e32 v6, 0xfffffc10, v6
	v_cndmask_b32_e64 v2, 0, 1, vcc_lo
	v_and_or_b32 v2, 0xffe, v3, v2
	v_med3_i32 v3, v7, 0, 13
	v_or_b32_e32 v7, 0x1000, v2
	v_lshrrev_b32_e32 v8, v3, v7
	v_lshlrev_b32_e32 v3, v3, v8
	v_cmp_ne_u32_e32 vcc_lo, v3, v7
	v_lshl_or_b32 v7, v6, 12, v2
	v_cndmask_b32_e64 v3, 0, 1, vcc_lo
	v_cmp_gt_i32_e32 vcc_lo, 1, v6
	v_or_b32_e32 v3, v8, v3
	v_cndmask_b32_e32 v3, v7, v3, vcc_lo
	v_and_b32_e32 v7, 7, v3
	v_lshrrev_b32_e32 v3, 2, v3
	v_cmp_lt_i32_e32 vcc_lo, 5, v7
	v_cndmask_b32_e64 v8, 0, 1, vcc_lo
	v_cmp_eq_u32_e32 vcc_lo, 3, v7
	v_cndmask_b32_e64 v7, 0, 1, vcc_lo
	v_cmp_ne_u32_e32 vcc_lo, 0, v2
	v_or_b32_e32 v7, v7, v8
	v_mov_b32_e32 v8, 0x7e00
	v_add_nc_u32_e32 v3, v3, v7
	v_cndmask_b32_e32 v2, 0x7c00, v8, vcc_lo
	v_cmp_gt_i32_e32 vcc_lo, 31, v6
	v_cndmask_b32_e32 v3, 0x7c00, v3, vcc_lo
	v_cmp_eq_u32_e32 vcc_lo, 0x40f, v6
	v_cndmask_b32_e32 v2, v3, v2, vcc_lo
	v_lshrrev_b32_e32 v3, 16, v1
	v_and_or_b32 v2, 0x8000, v3, v2
	v_and_b32_e32 v2, 0xffff, v2
	global_store_dword v[4:5], v2, off
.LBB85_1757:
	s_mov_b32 s5, 0
.LBB85_1758:
	s_andn2_b32 vcc_lo, exec_lo, s5
	s_cbranch_vccnz .LBB85_1767
; %bb.1759:
	s_cmp_lt_i32 s4, 6
	s_mov_b32 s5, -1
	s_cbranch_scc1 .LBB85_1765
; %bb.1760:
	s_cmp_gt_i32 s4, 6
	s_cbranch_scc0 .LBB85_1762
; %bb.1761:
	s_mov_b32 s5, 0
	global_store_dwordx2 v[4:5], v[0:1], off
.LBB85_1762:
	s_andn2_b32 vcc_lo, exec_lo, s5
	s_cbranch_vccnz .LBB85_1764
; %bb.1763:
	v_cvt_f32_f64_e32 v2, v[0:1]
	global_store_dword v[4:5], v2, off
.LBB85_1764:
	s_mov_b32 s5, 0
.LBB85_1765:
	s_andn2_b32 vcc_lo, exec_lo, s5
	s_cbranch_vccnz .LBB85_1767
; %bb.1766:
	v_and_or_b32 v2, 0x1ff, v1, v0
	v_lshrrev_b32_e32 v3, 8, v1
	v_bfe_u32 v6, v1, 20, 11
	v_cmp_ne_u32_e32 vcc_lo, 0, v2
	v_sub_nc_u32_e32 v7, 0x3f1, v6
	v_add_nc_u32_e32 v6, 0xfffffc10, v6
	v_cndmask_b32_e64 v2, 0, 1, vcc_lo
	v_and_or_b32 v2, 0xffe, v3, v2
	v_med3_i32 v3, v7, 0, 13
	v_or_b32_e32 v7, 0x1000, v2
	v_lshrrev_b32_e32 v8, v3, v7
	v_lshlrev_b32_e32 v3, v3, v8
	v_cmp_ne_u32_e32 vcc_lo, v3, v7
	v_lshl_or_b32 v7, v6, 12, v2
	v_cndmask_b32_e64 v3, 0, 1, vcc_lo
	v_cmp_gt_i32_e32 vcc_lo, 1, v6
	v_or_b32_e32 v3, v8, v3
	v_cndmask_b32_e32 v3, v7, v3, vcc_lo
	v_and_b32_e32 v7, 7, v3
	v_lshrrev_b32_e32 v3, 2, v3
	v_cmp_lt_i32_e32 vcc_lo, 5, v7
	v_cndmask_b32_e64 v8, 0, 1, vcc_lo
	v_cmp_eq_u32_e32 vcc_lo, 3, v7
	v_cndmask_b32_e64 v7, 0, 1, vcc_lo
	v_cmp_ne_u32_e32 vcc_lo, 0, v2
	v_or_b32_e32 v7, v7, v8
	v_mov_b32_e32 v8, 0x7e00
	v_add_nc_u32_e32 v3, v3, v7
	v_cndmask_b32_e32 v2, 0x7c00, v8, vcc_lo
	v_cmp_gt_i32_e32 vcc_lo, 31, v6
	v_cndmask_b32_e32 v3, 0x7c00, v3, vcc_lo
	v_cmp_eq_u32_e32 vcc_lo, 0x40f, v6
	v_cndmask_b32_e32 v2, v3, v2, vcc_lo
	v_lshrrev_b32_e32 v3, 16, v1
	v_and_or_b32 v2, 0x8000, v3, v2
	global_store_short v[4:5], v2, off
.LBB85_1767:
	s_mov_b32 s5, 0
.LBB85_1768:
	s_andn2_b32 vcc_lo, exec_lo, s5
	s_cbranch_vccnz .LBB85_1784
; %bb.1769:
	s_cmp_lt_i32 s4, 2
	s_mov_b32 s5, -1
	s_cbranch_scc1 .LBB85_1779
; %bb.1770:
	s_cmp_lt_i32 s4, 3
	s_cbranch_scc1 .LBB85_1776
; %bb.1771:
	s_cmp_gt_i32 s4, 3
	s_cbranch_scc0 .LBB85_1773
; %bb.1772:
	v_trunc_f64_e32 v[2:3], v[0:1]
	s_mov_b32 s5, 0
	v_ldexp_f64 v[6:7], v[2:3], 0xffffffe0
	v_floor_f64_e32 v[6:7], v[6:7]
	v_fma_f64 v[2:3], 0xc1f00000, v[6:7], v[2:3]
	v_cvt_i32_f64_e32 v7, v[6:7]
	v_cvt_u32_f64_e32 v6, v[2:3]
	global_store_dwordx2 v[4:5], v[6:7], off
.LBB85_1773:
	s_andn2_b32 vcc_lo, exec_lo, s5
	s_cbranch_vccnz .LBB85_1775
; %bb.1774:
	v_cvt_i32_f64_e32 v2, v[0:1]
	global_store_dword v[4:5], v2, off
.LBB85_1775:
	s_mov_b32 s5, 0
.LBB85_1776:
	s_andn2_b32 vcc_lo, exec_lo, s5
	s_cbranch_vccnz .LBB85_1778
; %bb.1777:
	v_cvt_i32_f64_e32 v2, v[0:1]
	global_store_short v[4:5], v2, off
.LBB85_1778:
	s_mov_b32 s5, 0
.LBB85_1779:
	s_andn2_b32 vcc_lo, exec_lo, s5
	s_cbranch_vccnz .LBB85_1784
; %bb.1780:
	s_cmp_gt_i32 s4, 0
	s_mov_b32 s4, -1
	s_cbranch_scc0 .LBB85_1782
; %bb.1781:
	v_cvt_i32_f64_e32 v2, v[0:1]
	s_mov_b32 s4, 0
	global_store_byte v[4:5], v2, off
.LBB85_1782:
	s_andn2_b32 vcc_lo, exec_lo, s4
	s_cbranch_vccnz .LBB85_1784
; %bb.1783:
	v_trunc_f64_e32 v[0:1], v[0:1]
	v_ldexp_f64 v[2:3], v[0:1], 0xffffffe0
	v_floor_f64_e32 v[2:3], v[2:3]
	v_fma_f64 v[0:1], 0xc1f00000, v[2:3], v[0:1]
	v_cvt_u32_f64_e32 v0, v[0:1]
	global_store_byte v[4:5], v0, off
.LBB85_1784:
	s_mov_b32 s7, -1
.LBB85_1785:
	s_andn2_b32 vcc_lo, exec_lo, s7
	s_cbranch_vccnz .LBB85_1981
; %bb.1786:
	v_mov_b32_e32 v0, s54
	v_mov_b32_e32 v1, s55
	v_mov_b32_e32 v2, v43
	v_mov_b32_e32 v3, v44
	s_getpc_b64 s[4:5]
	s_add_u32 s4, s4, _ZZZZN2at6native21polygamma_kernel_cudaERNS_18TensorIteratorBaseElENKUlvE_clEvENKUlvE_clEvENKUldE_clEd@rel32@lo+4
	s_addc_u32 s5, s5, _ZZZZN2at6native21polygamma_kernel_cudaERNS_18TensorIteratorBaseElENKUlvE_clEvENKUlvE_clEvENKUldE_clEd@rel32@hi+12
	s_swappc_b64 s[30:31], s[4:5]
	v_add_nc_u32_e32 v43, s33, v45
	s_cmp_lt_i32 s67, 11
	v_ashrrev_i32_e32 v2, 31, v43
	v_add_co_u32 v4, vcc_lo, s48, v43
	v_add_co_ci_u32_e64 v5, null, s49, v2, vcc_lo
	s_cbranch_scc1 .LBB85_1864
; %bb.1787:
	s_and_b32 s5, 0xffff, s67
	s_mov_b32 s8, -1
	s_mov_b32 s6, 0
	s_cmp_gt_i32 s5, 25
	s_mov_b32 s7, 0
	s_mov_b32 s4, 0
	s_cbranch_scc0 .LBB85_1820
; %bb.1788:
	s_cmp_gt_i32 s5, 28
	s_cbranch_scc0 .LBB85_1803
; %bb.1789:
	s_cmp_gt_i32 s5, 43
	;; [unrolled: 3-line block ×3, first 2 shown]
	s_cbranch_scc0 .LBB85_1793
; %bb.1791:
	s_mov_b32 s4, -1
	s_mov_b32 s8, 0
	s_cmp_eq_u32 s5, 46
	s_cbranch_scc0 .LBB85_1793
; %bb.1792:
	v_cvt_f32_f64_e32 v2, v[0:1]
	s_mov_b32 s4, 0
	s_mov_b32 s7, -1
	v_bfe_u32 v3, v2, 16, 1
	v_cmp_o_f32_e32 vcc_lo, v2, v2
	v_add3_u32 v2, v2, v3, 0x7fff
	v_mov_b32_e32 v3, 0x7fc0
	v_cndmask_b32_sdwa v2, v3, v2, vcc_lo dst_sel:DWORD dst_unused:UNUSED_PAD src0_sel:DWORD src1_sel:WORD_1
	global_store_dword v[4:5], v2, off
.LBB85_1793:
	s_and_b32 vcc_lo, exec_lo, s8
	s_cbranch_vccz .LBB85_1798
; %bb.1794:
	s_cmp_eq_u32 s5, 44
	s_mov_b32 s4, -1
	s_cbranch_scc0 .LBB85_1798
; %bb.1795:
	v_cvt_f32_f64_e32 v2, v[0:1]
	v_mov_b32_e32 v3, 0xff
	s_mov_b32 s7, exec_lo
	v_bfe_u32 v6, v2, 23, 8
	v_cmpx_ne_u32_e32 0xff, v6
	s_cbranch_execz .LBB85_1797
; %bb.1796:
	v_and_b32_e32 v3, 0x400000, v2
	v_and_or_b32 v6, 0x3fffff, v2, v6
	v_lshrrev_b32_e32 v2, 23, v2
	v_cmp_ne_u32_e32 vcc_lo, 0, v3
	v_cmp_ne_u32_e64 s4, 0, v6
	s_and_b32 s4, vcc_lo, s4
	v_cndmask_b32_e64 v3, 0, 1, s4
	v_add_nc_u32_e32 v3, v2, v3
.LBB85_1797:
	s_or_b32 exec_lo, exec_lo, s7
	s_mov_b32 s4, 0
	s_mov_b32 s7, -1
	global_store_byte v[4:5], v3, off
.LBB85_1798:
	s_mov_b32 s8, 0
.LBB85_1799:
	s_and_b32 vcc_lo, exec_lo, s8
	s_cbranch_vccz .LBB85_1802
; %bb.1800:
	s_cmp_eq_u32 s5, 29
	s_mov_b32 s4, -1
	s_cbranch_scc0 .LBB85_1802
; %bb.1801:
	v_trunc_f64_e32 v[2:3], v[0:1]
	s_mov_b32 s4, 0
	s_mov_b32 s7, -1
	v_ldexp_f64 v[6:7], v[2:3], 0xffffffe0
	v_floor_f64_e32 v[6:7], v[6:7]
	v_fma_f64 v[2:3], 0xc1f00000, v[6:7], v[2:3]
	v_cvt_u32_f64_e32 v7, v[6:7]
	v_cvt_u32_f64_e32 v6, v[2:3]
	global_store_dwordx2 v[4:5], v[6:7], off
.LBB85_1802:
	s_mov_b32 s8, 0
.LBB85_1803:
	s_and_b32 vcc_lo, exec_lo, s8
	s_cbranch_vccz .LBB85_1819
; %bb.1804:
	s_cmp_lt_i32 s5, 27
	s_mov_b32 s7, -1
	s_cbranch_scc1 .LBB85_1810
; %bb.1805:
	v_cvt_u32_f64_e32 v2, v[0:1]
	s_cmp_gt_i32 s5, 27
	s_cbranch_scc0 .LBB85_1807
; %bb.1806:
	s_mov_b32 s7, 0
	global_store_dword v[4:5], v2, off
.LBB85_1807:
	s_andn2_b32 vcc_lo, exec_lo, s7
	s_cbranch_vccnz .LBB85_1809
; %bb.1808:
	global_store_short v[4:5], v2, off
.LBB85_1809:
	s_mov_b32 s7, 0
.LBB85_1810:
	s_andn2_b32 vcc_lo, exec_lo, s7
	s_cbranch_vccnz .LBB85_1818
; %bb.1811:
	v_cvt_f32_f64_e32 v2, v[0:1]
	v_mov_b32_e32 v6, 0x80
	s_mov_b32 s7, exec_lo
	v_and_b32_e32 v3, 0x7fffffff, v2
	v_cmpx_gt_u32_e32 0x43800000, v3
	s_cbranch_execz .LBB85_1817
; %bb.1812:
	v_cmp_lt_u32_e32 vcc_lo, 0x3bffffff, v3
	s_mov_b32 s8, 0
                                        ; implicit-def: $vgpr3
	s_and_saveexec_b32 s9, vcc_lo
	s_xor_b32 s9, exec_lo, s9
	s_cbranch_execz .LBB85_2038
; %bb.1813:
	v_bfe_u32 v3, v2, 20, 1
	s_mov_b32 s8, exec_lo
	v_add3_u32 v3, v2, v3, 0x487ffff
	v_lshrrev_b32_e32 v3, 20, v3
	s_andn2_saveexec_b32 s9, s9
	s_cbranch_execnz .LBB85_2039
.LBB85_1814:
	s_or_b32 exec_lo, exec_lo, s9
	v_mov_b32_e32 v6, 0
	s_and_saveexec_b32 s9, s8
.LBB85_1815:
	v_lshrrev_b32_e32 v2, 24, v2
	v_and_or_b32 v6, 0x80, v2, v3
.LBB85_1816:
	s_or_b32 exec_lo, exec_lo, s9
.LBB85_1817:
	s_or_b32 exec_lo, exec_lo, s7
	global_store_byte v[4:5], v6, off
.LBB85_1818:
	s_mov_b32 s7, -1
.LBB85_1819:
	s_mov_b32 s8, 0
.LBB85_1820:
	s_and_b32 vcc_lo, exec_lo, s8
	s_cbranch_vccz .LBB85_1860
; %bb.1821:
	s_cmp_gt_i32 s5, 22
	s_mov_b32 s6, -1
	s_cbranch_scc0 .LBB85_1853
; %bb.1822:
	s_cmp_lt_i32 s5, 24
	s_cbranch_scc1 .LBB85_1842
; %bb.1823:
	s_cmp_gt_i32 s5, 24
	s_cbranch_scc0 .LBB85_1831
; %bb.1824:
	v_cvt_f32_f64_e32 v2, v[0:1]
	v_mov_b32_e32 v6, 0x80
	s_mov_b32 s6, exec_lo
	v_and_b32_e32 v3, 0x7fffffff, v2
	v_cmpx_gt_u32_e32 0x47800000, v3
	s_cbranch_execz .LBB85_1830
; %bb.1825:
	v_cmp_lt_u32_e32 vcc_lo, 0x37ffffff, v3
	s_mov_b32 s7, 0
                                        ; implicit-def: $vgpr3
	s_and_saveexec_b32 s8, vcc_lo
	s_xor_b32 s8, exec_lo, s8
	s_cbranch_execz .LBB85_2041
; %bb.1826:
	v_bfe_u32 v3, v2, 21, 1
	s_mov_b32 s7, exec_lo
	v_add3_u32 v3, v2, v3, 0x88fffff
	v_lshrrev_b32_e32 v3, 21, v3
	s_andn2_saveexec_b32 s8, s8
	s_cbranch_execnz .LBB85_2042
.LBB85_1827:
	s_or_b32 exec_lo, exec_lo, s8
	v_mov_b32_e32 v6, 0
	s_and_saveexec_b32 s8, s7
.LBB85_1828:
	v_lshrrev_b32_e32 v2, 24, v2
	v_and_or_b32 v6, 0x80, v2, v3
.LBB85_1829:
	s_or_b32 exec_lo, exec_lo, s8
.LBB85_1830:
	s_or_b32 exec_lo, exec_lo, s6
	s_mov_b32 s6, 0
	global_store_byte v[4:5], v6, off
.LBB85_1831:
	s_and_b32 vcc_lo, exec_lo, s6
	s_cbranch_vccz .LBB85_1841
; %bb.1832:
	v_cvt_f32_f64_e32 v2, v[0:1]
	s_mov_b32 s6, exec_lo
                                        ; implicit-def: $vgpr3
	v_and_b32_e32 v6, 0x7fffffff, v2
	v_cmpx_gt_u32_e32 0x43f00000, v6
	s_xor_b32 s6, exec_lo, s6
	s_cbranch_execz .LBB85_1838
; %bb.1833:
	s_mov_b32 s7, exec_lo
                                        ; implicit-def: $vgpr3
	v_cmpx_lt_u32_e32 0x3c7fffff, v6
	s_xor_b32 s7, exec_lo, s7
; %bb.1834:
	v_bfe_u32 v3, v2, 20, 1
	v_add3_u32 v3, v2, v3, 0x407ffff
	v_and_b32_e32 v6, 0xff00000, v3
	v_lshrrev_b32_e32 v3, 20, v3
	v_cmp_ne_u32_e32 vcc_lo, 0x7f00000, v6
	v_cndmask_b32_e32 v3, 0x7e, v3, vcc_lo
; %bb.1835:
	s_andn2_saveexec_b32 s7, s7
; %bb.1836:
	v_add_f32_e64 v3, 0x46800000, |v2|
; %bb.1837:
	s_or_b32 exec_lo, exec_lo, s7
                                        ; implicit-def: $vgpr6
.LBB85_1838:
	s_andn2_saveexec_b32 s6, s6
; %bb.1839:
	v_mov_b32_e32 v3, 0x7f
	v_cmp_lt_u32_e32 vcc_lo, 0x7f800000, v6
	v_cndmask_b32_e32 v3, 0x7e, v3, vcc_lo
; %bb.1840:
	s_or_b32 exec_lo, exec_lo, s6
	v_lshrrev_b32_e32 v2, 24, v2
	v_and_or_b32 v2, 0x80, v2, v3
	global_store_byte v[4:5], v2, off
.LBB85_1841:
	s_mov_b32 s6, 0
.LBB85_1842:
	s_andn2_b32 vcc_lo, exec_lo, s6
	s_cbranch_vccnz .LBB85_1852
; %bb.1843:
	v_cvt_f32_f64_e32 v2, v[0:1]
	s_mov_b32 s6, exec_lo
                                        ; implicit-def: $vgpr3
	v_and_b32_e32 v6, 0x7fffffff, v2
	v_cmpx_gt_u32_e32 0x47800000, v6
	s_xor_b32 s6, exec_lo, s6
	s_cbranch_execz .LBB85_1849
; %bb.1844:
	s_mov_b32 s7, exec_lo
                                        ; implicit-def: $vgpr3
	v_cmpx_lt_u32_e32 0x387fffff, v6
	s_xor_b32 s7, exec_lo, s7
; %bb.1845:
	v_bfe_u32 v3, v2, 21, 1
	v_add3_u32 v3, v2, v3, 0x80fffff
	v_lshrrev_b32_e32 v3, 21, v3
; %bb.1846:
	s_andn2_saveexec_b32 s7, s7
; %bb.1847:
	v_add_f32_e64 v3, 0x43000000, |v2|
; %bb.1848:
	s_or_b32 exec_lo, exec_lo, s7
                                        ; implicit-def: $vgpr6
.LBB85_1849:
	s_andn2_saveexec_b32 s6, s6
; %bb.1850:
	v_mov_b32_e32 v3, 0x7f
	v_cmp_lt_u32_e32 vcc_lo, 0x7f800000, v6
	v_cndmask_b32_e32 v3, 0x7c, v3, vcc_lo
; %bb.1851:
	s_or_b32 exec_lo, exec_lo, s6
	v_lshrrev_b32_e32 v2, 24, v2
	v_and_or_b32 v2, 0x80, v2, v3
	global_store_byte v[4:5], v2, off
.LBB85_1852:
	s_mov_b32 s6, 0
	s_mov_b32 s7, -1
.LBB85_1853:
	s_andn2_b32 vcc_lo, exec_lo, s6
	s_mov_b32 s6, 0
	s_cbranch_vccnz .LBB85_1860
; %bb.1854:
	s_cmp_gt_i32 s5, 14
	s_mov_b32 s6, -1
	s_cbranch_scc0 .LBB85_1858
; %bb.1855:
	s_cmp_eq_u32 s5, 15
	s_mov_b32 s4, -1
	s_cbranch_scc0 .LBB85_1857
; %bb.1856:
	v_cvt_f32_f64_e32 v2, v[0:1]
	s_mov_b32 s4, 0
	s_mov_b32 s7, -1
	v_bfe_u32 v3, v2, 16, 1
	v_cmp_o_f32_e32 vcc_lo, v2, v2
	v_add3_u32 v2, v2, v3, 0x7fff
	v_mov_b32_e32 v3, 0x7fc0
	v_cndmask_b32_sdwa v2, v3, v2, vcc_lo dst_sel:DWORD dst_unused:UNUSED_PAD src0_sel:DWORD src1_sel:WORD_1
	global_store_short v[4:5], v2, off
.LBB85_1857:
	s_mov_b32 s6, 0
.LBB85_1858:
	s_and_b32 vcc_lo, exec_lo, s6
	s_mov_b32 s6, 0
	s_cbranch_vccz .LBB85_1860
; %bb.1859:
	s_cmp_lg_u32 s5, 11
	s_mov_b32 s6, -1
	s_cselect_b32 s4, -1, 0
.LBB85_1860:
	s_and_b32 vcc_lo, exec_lo, s4
	s_cbranch_vccnz .LBB85_2040
; %bb.1861:
	s_andn2_b32 vcc_lo, exec_lo, s6
	s_cbranch_vccnz .LBB85_1863
.LBB85_1862:
	v_cmp_neq_f64_e32 vcc_lo, 0, v[0:1]
	s_mov_b32 s7, -1
	v_cndmask_b32_e64 v2, 0, 1, vcc_lo
	global_store_byte v[4:5], v2, off
.LBB85_1863:
	s_mov_b32 s4, 0
	s_branch .LBB85_1865
.LBB85_1864:
	s_mov_b32 s4, -1
	s_mov_b32 s7, 0
.LBB85_1865:
	s_and_b32 vcc_lo, exec_lo, s4
	s_cbranch_vccz .LBB85_1904
; %bb.1866:
	s_and_b32 s4, 0xffff, s67
	s_mov_b32 s5, -1
	s_cmp_lt_i32 s4, 5
	s_cbranch_scc1 .LBB85_1887
; %bb.1867:
	s_cmp_lt_i32 s4, 8
	s_cbranch_scc1 .LBB85_1877
; %bb.1868:
	;; [unrolled: 3-line block ×3, first 2 shown]
	s_cmp_gt_i32 s4, 9
	s_cbranch_scc0 .LBB85_1871
; %bb.1870:
	v_mov_b32_e32 v2, 0
	s_mov_b32 s5, 0
	v_mov_b32_e32 v3, v2
	global_store_dwordx4 v[4:5], v[0:3], off
.LBB85_1871:
	s_andn2_b32 vcc_lo, exec_lo, s5
	s_cbranch_vccnz .LBB85_1873
; %bb.1872:
	v_cvt_f32_f64_e32 v2, v[0:1]
	v_mov_b32_e32 v3, 0
	global_store_dwordx2 v[4:5], v[2:3], off
.LBB85_1873:
	s_mov_b32 s5, 0
.LBB85_1874:
	s_andn2_b32 vcc_lo, exec_lo, s5
	s_cbranch_vccnz .LBB85_1876
; %bb.1875:
	v_and_or_b32 v2, 0x1ff, v1, v0
	v_lshrrev_b32_e32 v3, 8, v1
	v_bfe_u32 v6, v1, 20, 11
	v_cmp_ne_u32_e32 vcc_lo, 0, v2
	v_sub_nc_u32_e32 v7, 0x3f1, v6
	v_add_nc_u32_e32 v6, 0xfffffc10, v6
	v_cndmask_b32_e64 v2, 0, 1, vcc_lo
	v_and_or_b32 v2, 0xffe, v3, v2
	v_med3_i32 v3, v7, 0, 13
	v_or_b32_e32 v7, 0x1000, v2
	v_lshrrev_b32_e32 v8, v3, v7
	v_lshlrev_b32_e32 v3, v3, v8
	v_cmp_ne_u32_e32 vcc_lo, v3, v7
	v_lshl_or_b32 v7, v6, 12, v2
	v_cndmask_b32_e64 v3, 0, 1, vcc_lo
	v_cmp_gt_i32_e32 vcc_lo, 1, v6
	v_or_b32_e32 v3, v8, v3
	v_cndmask_b32_e32 v3, v7, v3, vcc_lo
	v_and_b32_e32 v7, 7, v3
	v_lshrrev_b32_e32 v3, 2, v3
	v_cmp_lt_i32_e32 vcc_lo, 5, v7
	v_cndmask_b32_e64 v8, 0, 1, vcc_lo
	v_cmp_eq_u32_e32 vcc_lo, 3, v7
	v_cndmask_b32_e64 v7, 0, 1, vcc_lo
	v_cmp_ne_u32_e32 vcc_lo, 0, v2
	v_or_b32_e32 v7, v7, v8
	v_mov_b32_e32 v8, 0x7e00
	v_add_nc_u32_e32 v3, v3, v7
	v_cndmask_b32_e32 v2, 0x7c00, v8, vcc_lo
	v_cmp_gt_i32_e32 vcc_lo, 31, v6
	v_cndmask_b32_e32 v3, 0x7c00, v3, vcc_lo
	v_cmp_eq_u32_e32 vcc_lo, 0x40f, v6
	v_cndmask_b32_e32 v2, v3, v2, vcc_lo
	v_lshrrev_b32_e32 v3, 16, v1
	v_and_or_b32 v2, 0x8000, v3, v2
	v_and_b32_e32 v2, 0xffff, v2
	global_store_dword v[4:5], v2, off
.LBB85_1876:
	s_mov_b32 s5, 0
.LBB85_1877:
	s_andn2_b32 vcc_lo, exec_lo, s5
	s_cbranch_vccnz .LBB85_1886
; %bb.1878:
	s_cmp_lt_i32 s4, 6
	s_mov_b32 s5, -1
	s_cbranch_scc1 .LBB85_1884
; %bb.1879:
	s_cmp_gt_i32 s4, 6
	s_cbranch_scc0 .LBB85_1881
; %bb.1880:
	s_mov_b32 s5, 0
	global_store_dwordx2 v[4:5], v[0:1], off
.LBB85_1881:
	s_andn2_b32 vcc_lo, exec_lo, s5
	s_cbranch_vccnz .LBB85_1883
; %bb.1882:
	v_cvt_f32_f64_e32 v2, v[0:1]
	global_store_dword v[4:5], v2, off
.LBB85_1883:
	s_mov_b32 s5, 0
.LBB85_1884:
	s_andn2_b32 vcc_lo, exec_lo, s5
	s_cbranch_vccnz .LBB85_1886
; %bb.1885:
	v_and_or_b32 v2, 0x1ff, v1, v0
	v_lshrrev_b32_e32 v3, 8, v1
	v_bfe_u32 v6, v1, 20, 11
	v_cmp_ne_u32_e32 vcc_lo, 0, v2
	v_sub_nc_u32_e32 v7, 0x3f1, v6
	v_add_nc_u32_e32 v6, 0xfffffc10, v6
	v_cndmask_b32_e64 v2, 0, 1, vcc_lo
	v_and_or_b32 v2, 0xffe, v3, v2
	v_med3_i32 v3, v7, 0, 13
	v_or_b32_e32 v7, 0x1000, v2
	v_lshrrev_b32_e32 v8, v3, v7
	v_lshlrev_b32_e32 v3, v3, v8
	v_cmp_ne_u32_e32 vcc_lo, v3, v7
	v_lshl_or_b32 v7, v6, 12, v2
	v_cndmask_b32_e64 v3, 0, 1, vcc_lo
	v_cmp_gt_i32_e32 vcc_lo, 1, v6
	v_or_b32_e32 v3, v8, v3
	v_cndmask_b32_e32 v3, v7, v3, vcc_lo
	v_and_b32_e32 v7, 7, v3
	v_lshrrev_b32_e32 v3, 2, v3
	v_cmp_lt_i32_e32 vcc_lo, 5, v7
	v_cndmask_b32_e64 v8, 0, 1, vcc_lo
	v_cmp_eq_u32_e32 vcc_lo, 3, v7
	v_cndmask_b32_e64 v7, 0, 1, vcc_lo
	v_cmp_ne_u32_e32 vcc_lo, 0, v2
	v_or_b32_e32 v7, v7, v8
	v_mov_b32_e32 v8, 0x7e00
	v_add_nc_u32_e32 v3, v3, v7
	v_cndmask_b32_e32 v2, 0x7c00, v8, vcc_lo
	v_cmp_gt_i32_e32 vcc_lo, 31, v6
	v_cndmask_b32_e32 v3, 0x7c00, v3, vcc_lo
	v_cmp_eq_u32_e32 vcc_lo, 0x40f, v6
	v_cndmask_b32_e32 v2, v3, v2, vcc_lo
	v_lshrrev_b32_e32 v3, 16, v1
	v_and_or_b32 v2, 0x8000, v3, v2
	global_store_short v[4:5], v2, off
.LBB85_1886:
	s_mov_b32 s5, 0
.LBB85_1887:
	s_andn2_b32 vcc_lo, exec_lo, s5
	s_cbranch_vccnz .LBB85_1903
; %bb.1888:
	s_cmp_lt_i32 s4, 2
	s_mov_b32 s5, -1
	s_cbranch_scc1 .LBB85_1898
; %bb.1889:
	s_cmp_lt_i32 s4, 3
	s_cbranch_scc1 .LBB85_1895
; %bb.1890:
	s_cmp_gt_i32 s4, 3
	s_cbranch_scc0 .LBB85_1892
; %bb.1891:
	v_trunc_f64_e32 v[2:3], v[0:1]
	s_mov_b32 s5, 0
	v_ldexp_f64 v[6:7], v[2:3], 0xffffffe0
	v_floor_f64_e32 v[6:7], v[6:7]
	v_fma_f64 v[2:3], 0xc1f00000, v[6:7], v[2:3]
	v_cvt_i32_f64_e32 v7, v[6:7]
	v_cvt_u32_f64_e32 v6, v[2:3]
	global_store_dwordx2 v[4:5], v[6:7], off
.LBB85_1892:
	s_andn2_b32 vcc_lo, exec_lo, s5
	s_cbranch_vccnz .LBB85_1894
; %bb.1893:
	v_cvt_i32_f64_e32 v2, v[0:1]
	global_store_dword v[4:5], v2, off
.LBB85_1894:
	s_mov_b32 s5, 0
.LBB85_1895:
	s_andn2_b32 vcc_lo, exec_lo, s5
	s_cbranch_vccnz .LBB85_1897
; %bb.1896:
	v_cvt_i32_f64_e32 v2, v[0:1]
	global_store_short v[4:5], v2, off
.LBB85_1897:
	s_mov_b32 s5, 0
.LBB85_1898:
	s_andn2_b32 vcc_lo, exec_lo, s5
	s_cbranch_vccnz .LBB85_1903
; %bb.1899:
	s_cmp_gt_i32 s4, 0
	s_mov_b32 s4, -1
	s_cbranch_scc0 .LBB85_1901
; %bb.1900:
	v_cvt_i32_f64_e32 v2, v[0:1]
	s_mov_b32 s4, 0
	global_store_byte v[4:5], v2, off
.LBB85_1901:
	s_andn2_b32 vcc_lo, exec_lo, s4
	s_cbranch_vccnz .LBB85_1903
; %bb.1902:
	v_trunc_f64_e32 v[0:1], v[0:1]
	v_ldexp_f64 v[2:3], v[0:1], 0xffffffe0
	v_floor_f64_e32 v[2:3], v[2:3]
	v_fma_f64 v[0:1], 0xc1f00000, v[2:3], v[0:1]
	v_cvt_u32_f64_e32 v0, v[0:1]
	global_store_byte v[4:5], v0, off
.LBB85_1903:
	s_mov_b32 s7, -1
.LBB85_1904:
	s_andn2_b32 vcc_lo, exec_lo, s7
	s_cbranch_vccnz .LBB85_1981
; %bb.1905:
	v_mov_b32_e32 v0, s54
	v_mov_b32_e32 v1, s55
	;; [unrolled: 1-line block ×4, first 2 shown]
	s_getpc_b64 s[4:5]
	s_add_u32 s4, s4, _ZZZZN2at6native21polygamma_kernel_cudaERNS_18TensorIteratorBaseElENKUlvE_clEvENKUlvE_clEvENKUldE_clEd@rel32@lo+4
	s_addc_u32 s5, s5, _ZZZZN2at6native21polygamma_kernel_cudaERNS_18TensorIteratorBaseElENKUlvE_clEvENKUlvE_clEvENKUldE_clEd@rel32@hi+12
	s_swappc_b64 s[30:31], s[4:5]
	v_add_nc_u32_e32 v2, s33, v43
	s_cmp_lt_i32 s67, 11
	v_ashrrev_i32_e32 v3, 31, v2
	v_add_co_u32 v4, vcc_lo, s48, v2
	v_add_co_ci_u32_e64 v5, null, s49, v3, vcc_lo
	s_cbranch_scc1 .LBB85_2026
; %bb.1906:
	s_and_b32 s5, 0xffff, s67
	s_mov_b32 s7, -1
	s_mov_b32 s6, 0
	s_cmp_gt_i32 s5, 25
	s_mov_b32 s4, 0
	s_cbranch_scc0 .LBB85_1939
; %bb.1907:
	s_cmp_gt_i32 s5, 28
	s_cbranch_scc0 .LBB85_1923
; %bb.1908:
	s_cmp_gt_i32 s5, 43
	;; [unrolled: 3-line block ×3, first 2 shown]
	s_cbranch_scc0 .LBB85_1913
; %bb.1910:
	s_cmp_eq_u32 s5, 46
	s_mov_b32 s4, -1
	s_cbranch_scc0 .LBB85_1912
; %bb.1911:
	v_cvt_f32_f64_e32 v2, v[0:1]
	s_mov_b32 s4, 0
	v_bfe_u32 v3, v2, 16, 1
	v_cmp_o_f32_e32 vcc_lo, v2, v2
	v_add3_u32 v2, v2, v3, 0x7fff
	v_mov_b32_e32 v3, 0x7fc0
	v_cndmask_b32_sdwa v2, v3, v2, vcc_lo dst_sel:DWORD dst_unused:UNUSED_PAD src0_sel:DWORD src1_sel:WORD_1
	global_store_dword v[4:5], v2, off
.LBB85_1912:
	s_mov_b32 s7, 0
.LBB85_1913:
	s_and_b32 vcc_lo, exec_lo, s7
	s_cbranch_vccz .LBB85_1918
; %bb.1914:
	s_cmp_eq_u32 s5, 44
	s_mov_b32 s4, -1
	s_cbranch_scc0 .LBB85_1918
; %bb.1915:
	v_cvt_f32_f64_e32 v2, v[0:1]
	v_mov_b32_e32 v3, 0xff
	s_mov_b32 s7, exec_lo
	v_bfe_u32 v6, v2, 23, 8
	v_cmpx_ne_u32_e32 0xff, v6
	s_cbranch_execz .LBB85_1917
; %bb.1916:
	v_and_b32_e32 v3, 0x400000, v2
	v_and_or_b32 v6, 0x3fffff, v2, v6
	v_lshrrev_b32_e32 v2, 23, v2
	v_cmp_ne_u32_e32 vcc_lo, 0, v3
	v_cmp_ne_u32_e64 s4, 0, v6
	s_and_b32 s4, vcc_lo, s4
	v_cndmask_b32_e64 v3, 0, 1, s4
	v_add_nc_u32_e32 v3, v2, v3
.LBB85_1917:
	s_or_b32 exec_lo, exec_lo, s7
	s_mov_b32 s4, 0
	global_store_byte v[4:5], v3, off
.LBB85_1918:
	s_mov_b32 s7, 0
.LBB85_1919:
	s_and_b32 vcc_lo, exec_lo, s7
	s_cbranch_vccz .LBB85_1922
; %bb.1920:
	s_cmp_eq_u32 s5, 29
	s_mov_b32 s4, -1
	s_cbranch_scc0 .LBB85_1922
; %bb.1921:
	v_trunc_f64_e32 v[2:3], v[0:1]
	s_mov_b32 s4, 0
	v_ldexp_f64 v[6:7], v[2:3], 0xffffffe0
	v_floor_f64_e32 v[6:7], v[6:7]
	v_fma_f64 v[2:3], 0xc1f00000, v[6:7], v[2:3]
	v_cvt_u32_f64_e32 v7, v[6:7]
	v_cvt_u32_f64_e32 v6, v[2:3]
	global_store_dwordx2 v[4:5], v[6:7], off
.LBB85_1922:
	s_mov_b32 s7, 0
.LBB85_1923:
	s_and_b32 vcc_lo, exec_lo, s7
	s_cbranch_vccz .LBB85_1938
; %bb.1924:
	s_cmp_lt_i32 s5, 27
	s_mov_b32 s7, -1
	s_cbranch_scc1 .LBB85_1930
; %bb.1925:
	v_cvt_u32_f64_e32 v2, v[0:1]
	s_cmp_gt_i32 s5, 27
	s_cbranch_scc0 .LBB85_1927
; %bb.1926:
	s_mov_b32 s7, 0
	global_store_dword v[4:5], v2, off
.LBB85_1927:
	s_andn2_b32 vcc_lo, exec_lo, s7
	s_cbranch_vccnz .LBB85_1929
; %bb.1928:
	global_store_short v[4:5], v2, off
.LBB85_1929:
	s_mov_b32 s7, 0
.LBB85_1930:
	s_andn2_b32 vcc_lo, exec_lo, s7
	s_cbranch_vccnz .LBB85_1938
; %bb.1931:
	v_cvt_f32_f64_e32 v2, v[0:1]
	v_mov_b32_e32 v6, 0x80
	s_mov_b32 s7, exec_lo
	v_and_b32_e32 v3, 0x7fffffff, v2
	v_cmpx_gt_u32_e32 0x43800000, v3
	s_cbranch_execz .LBB85_1937
; %bb.1932:
	v_cmp_lt_u32_e32 vcc_lo, 0x3bffffff, v3
	s_mov_b32 s8, 0
                                        ; implicit-def: $vgpr3
	s_and_saveexec_b32 s9, vcc_lo
	s_xor_b32 s9, exec_lo, s9
	s_cbranch_execz .LBB85_2043
; %bb.1933:
	v_bfe_u32 v3, v2, 20, 1
	s_mov_b32 s8, exec_lo
	v_add3_u32 v3, v2, v3, 0x487ffff
	v_lshrrev_b32_e32 v3, 20, v3
	s_andn2_saveexec_b32 s9, s9
	s_cbranch_execnz .LBB85_2044
.LBB85_1934:
	s_or_b32 exec_lo, exec_lo, s9
	v_mov_b32_e32 v6, 0
	s_and_saveexec_b32 s9, s8
.LBB85_1935:
	v_lshrrev_b32_e32 v2, 24, v2
	v_and_or_b32 v6, 0x80, v2, v3
.LBB85_1936:
	s_or_b32 exec_lo, exec_lo, s9
.LBB85_1937:
	s_or_b32 exec_lo, exec_lo, s7
	global_store_byte v[4:5], v6, off
.LBB85_1938:
	s_mov_b32 s7, 0
.LBB85_1939:
	s_and_b32 vcc_lo, exec_lo, s7
	s_cbranch_vccz .LBB85_1979
; %bb.1940:
	s_cmp_gt_i32 s5, 22
	s_mov_b32 s6, -1
	s_cbranch_scc0 .LBB85_1972
; %bb.1941:
	s_cmp_lt_i32 s5, 24
	s_cbranch_scc1 .LBB85_1961
; %bb.1942:
	s_cmp_gt_i32 s5, 24
	s_cbranch_scc0 .LBB85_1950
; %bb.1943:
	v_cvt_f32_f64_e32 v2, v[0:1]
	v_mov_b32_e32 v6, 0x80
	s_mov_b32 s6, exec_lo
	v_and_b32_e32 v3, 0x7fffffff, v2
	v_cmpx_gt_u32_e32 0x47800000, v3
	s_cbranch_execz .LBB85_1949
; %bb.1944:
	v_cmp_lt_u32_e32 vcc_lo, 0x37ffffff, v3
	s_mov_b32 s7, 0
                                        ; implicit-def: $vgpr3
	s_and_saveexec_b32 s8, vcc_lo
	s_xor_b32 s8, exec_lo, s8
	s_cbranch_execz .LBB85_2046
; %bb.1945:
	v_bfe_u32 v3, v2, 21, 1
	s_mov_b32 s7, exec_lo
	v_add3_u32 v3, v2, v3, 0x88fffff
	v_lshrrev_b32_e32 v3, 21, v3
	s_andn2_saveexec_b32 s8, s8
	s_cbranch_execnz .LBB85_2047
.LBB85_1946:
	s_or_b32 exec_lo, exec_lo, s8
	v_mov_b32_e32 v6, 0
	s_and_saveexec_b32 s8, s7
.LBB85_1947:
	v_lshrrev_b32_e32 v2, 24, v2
	v_and_or_b32 v6, 0x80, v2, v3
.LBB85_1948:
	s_or_b32 exec_lo, exec_lo, s8
.LBB85_1949:
	s_or_b32 exec_lo, exec_lo, s6
	s_mov_b32 s6, 0
	global_store_byte v[4:5], v6, off
.LBB85_1950:
	s_and_b32 vcc_lo, exec_lo, s6
	s_cbranch_vccz .LBB85_1960
; %bb.1951:
	v_cvt_f32_f64_e32 v2, v[0:1]
	s_mov_b32 s6, exec_lo
                                        ; implicit-def: $vgpr3
	v_and_b32_e32 v6, 0x7fffffff, v2
	v_cmpx_gt_u32_e32 0x43f00000, v6
	s_xor_b32 s6, exec_lo, s6
	s_cbranch_execz .LBB85_1957
; %bb.1952:
	s_mov_b32 s7, exec_lo
                                        ; implicit-def: $vgpr3
	v_cmpx_lt_u32_e32 0x3c7fffff, v6
	s_xor_b32 s7, exec_lo, s7
; %bb.1953:
	v_bfe_u32 v3, v2, 20, 1
	v_add3_u32 v3, v2, v3, 0x407ffff
	v_and_b32_e32 v6, 0xff00000, v3
	v_lshrrev_b32_e32 v3, 20, v3
	v_cmp_ne_u32_e32 vcc_lo, 0x7f00000, v6
	v_cndmask_b32_e32 v3, 0x7e, v3, vcc_lo
; %bb.1954:
	s_andn2_saveexec_b32 s7, s7
; %bb.1955:
	v_add_f32_e64 v3, 0x46800000, |v2|
; %bb.1956:
	s_or_b32 exec_lo, exec_lo, s7
                                        ; implicit-def: $vgpr6
.LBB85_1957:
	s_andn2_saveexec_b32 s6, s6
; %bb.1958:
	v_mov_b32_e32 v3, 0x7f
	v_cmp_lt_u32_e32 vcc_lo, 0x7f800000, v6
	v_cndmask_b32_e32 v3, 0x7e, v3, vcc_lo
; %bb.1959:
	s_or_b32 exec_lo, exec_lo, s6
	v_lshrrev_b32_e32 v2, 24, v2
	v_and_or_b32 v2, 0x80, v2, v3
	global_store_byte v[4:5], v2, off
.LBB85_1960:
	s_mov_b32 s6, 0
.LBB85_1961:
	s_andn2_b32 vcc_lo, exec_lo, s6
	s_cbranch_vccnz .LBB85_1971
; %bb.1962:
	v_cvt_f32_f64_e32 v2, v[0:1]
	s_mov_b32 s6, exec_lo
                                        ; implicit-def: $vgpr3
	v_and_b32_e32 v6, 0x7fffffff, v2
	v_cmpx_gt_u32_e32 0x47800000, v6
	s_xor_b32 s6, exec_lo, s6
	s_cbranch_execz .LBB85_1968
; %bb.1963:
	s_mov_b32 s7, exec_lo
                                        ; implicit-def: $vgpr3
	v_cmpx_lt_u32_e32 0x387fffff, v6
	s_xor_b32 s7, exec_lo, s7
; %bb.1964:
	v_bfe_u32 v3, v2, 21, 1
	v_add3_u32 v3, v2, v3, 0x80fffff
	v_lshrrev_b32_e32 v3, 21, v3
; %bb.1965:
	s_andn2_saveexec_b32 s7, s7
; %bb.1966:
	v_add_f32_e64 v3, 0x43000000, |v2|
; %bb.1967:
	s_or_b32 exec_lo, exec_lo, s7
                                        ; implicit-def: $vgpr6
.LBB85_1968:
	s_andn2_saveexec_b32 s6, s6
; %bb.1969:
	v_mov_b32_e32 v3, 0x7f
	v_cmp_lt_u32_e32 vcc_lo, 0x7f800000, v6
	v_cndmask_b32_e32 v3, 0x7c, v3, vcc_lo
; %bb.1970:
	s_or_b32 exec_lo, exec_lo, s6
	v_lshrrev_b32_e32 v2, 24, v2
	v_and_or_b32 v2, 0x80, v2, v3
	global_store_byte v[4:5], v2, off
.LBB85_1971:
	s_mov_b32 s6, 0
.LBB85_1972:
	s_andn2_b32 vcc_lo, exec_lo, s6
	s_mov_b32 s6, 0
	s_cbranch_vccnz .LBB85_1979
; %bb.1973:
	s_cmp_gt_i32 s5, 14
	s_mov_b32 s6, -1
	s_cbranch_scc0 .LBB85_1977
; %bb.1974:
	s_cmp_eq_u32 s5, 15
	s_mov_b32 s4, -1
	s_cbranch_scc0 .LBB85_1976
; %bb.1975:
	v_cvt_f32_f64_e32 v2, v[0:1]
	s_mov_b32 s4, 0
	v_bfe_u32 v3, v2, 16, 1
	v_cmp_o_f32_e32 vcc_lo, v2, v2
	v_add3_u32 v2, v2, v3, 0x7fff
	v_mov_b32_e32 v3, 0x7fc0
	v_cndmask_b32_sdwa v2, v3, v2, vcc_lo dst_sel:DWORD dst_unused:UNUSED_PAD src0_sel:DWORD src1_sel:WORD_1
	global_store_short v[4:5], v2, off
.LBB85_1976:
	s_mov_b32 s6, 0
.LBB85_1977:
	s_and_b32 vcc_lo, exec_lo, s6
	s_mov_b32 s6, 0
	s_cbranch_vccz .LBB85_1979
; %bb.1978:
	s_cmp_lg_u32 s5, 11
	s_mov_b32 s6, -1
	s_cselect_b32 s4, -1, 0
.LBB85_1979:
	s_and_b32 vcc_lo, exec_lo, s4
	s_cbranch_vccnz .LBB85_2045
.LBB85_1980:
	s_mov_b32 s4, 0
	s_branch .LBB85_1982
.LBB85_1981:
	s_mov_b32 s4, 0
	s_mov_b32 s6, 0
                                        ; implicit-def: $sgpr67
                                        ; implicit-def: $vgpr4_vgpr5
                                        ; implicit-def: $vgpr0_vgpr1
.LBB85_1982:
	s_andn2_b32 s5, s66, exec_lo
	s_and_b32 s7, s39, exec_lo
	s_and_b32 s4, s4, exec_lo
	;; [unrolled: 1-line block ×3, first 2 shown]
	s_or_b32 s66, s5, s7
.LBB85_1983:
	s_or_b32 exec_lo, exec_lo, s65
	s_and_saveexec_b32 s5, s66
	s_cbranch_execz .LBB85_1986
; %bb.1984:
	; divergent unreachable
	s_or_b32 exec_lo, exec_lo, s5
	s_and_saveexec_b32 s5, s39
	s_xor_b32 s5, exec_lo, s5
	s_cbranch_execnz .LBB85_1987
.LBB85_1985:
	s_or_b32 exec_lo, exec_lo, s5
	s_and_saveexec_b32 s5, s4
	s_cbranch_execnz .LBB85_1988
	s_branch .LBB85_2025
.LBB85_1986:
	s_or_b32 exec_lo, exec_lo, s5
	s_and_saveexec_b32 s5, s39
	s_xor_b32 s5, exec_lo, s5
	s_cbranch_execz .LBB85_1985
.LBB85_1987:
	v_cmp_neq_f64_e32 vcc_lo, 0, v[0:1]
	s_waitcnt vmcnt(0)
	v_cndmask_b32_e64 v2, 0, 1, vcc_lo
	global_store_byte v[4:5], v2, off
	s_or_b32 exec_lo, exec_lo, s5
	s_and_saveexec_b32 s5, s4
	s_cbranch_execz .LBB85_2025
.LBB85_1988:
	s_sext_i32_i16 s5, s67
	s_mov_b32 s4, -1
	s_cmp_lt_i32 s5, 5
	s_cbranch_scc1 .LBB85_2009
; %bb.1989:
	s_cmp_lt_i32 s5, 8
	s_cbranch_scc1 .LBB85_1999
; %bb.1990:
	;; [unrolled: 3-line block ×3, first 2 shown]
	s_cmp_gt_i32 s5, 9
	s_cbranch_scc0 .LBB85_1993
; %bb.1992:
	s_waitcnt vmcnt(0)
	v_mov_b32_e32 v2, 0
	s_mov_b32 s4, 0
	v_mov_b32_e32 v3, v2
	global_store_dwordx4 v[4:5], v[0:3], off
.LBB85_1993:
	s_andn2_b32 vcc_lo, exec_lo, s4
	s_cbranch_vccnz .LBB85_1995
; %bb.1994:
	s_waitcnt vmcnt(0)
	v_cvt_f32_f64_e32 v2, v[0:1]
	v_mov_b32_e32 v3, 0
	global_store_dwordx2 v[4:5], v[2:3], off
.LBB85_1995:
	s_mov_b32 s4, 0
.LBB85_1996:
	s_andn2_b32 vcc_lo, exec_lo, s4
	s_cbranch_vccnz .LBB85_1998
; %bb.1997:
	s_waitcnt vmcnt(0)
	v_and_or_b32 v2, 0x1ff, v1, v0
	v_lshrrev_b32_e32 v3, 8, v1
	v_bfe_u32 v6, v1, 20, 11
	v_cmp_ne_u32_e32 vcc_lo, 0, v2
	v_sub_nc_u32_e32 v7, 0x3f1, v6
	v_add_nc_u32_e32 v6, 0xfffffc10, v6
	v_cndmask_b32_e64 v2, 0, 1, vcc_lo
	v_and_or_b32 v2, 0xffe, v3, v2
	v_med3_i32 v3, v7, 0, 13
	v_or_b32_e32 v7, 0x1000, v2
	v_lshrrev_b32_e32 v8, v3, v7
	v_lshlrev_b32_e32 v3, v3, v8
	v_cmp_ne_u32_e32 vcc_lo, v3, v7
	v_lshl_or_b32 v7, v6, 12, v2
	v_cndmask_b32_e64 v3, 0, 1, vcc_lo
	v_cmp_gt_i32_e32 vcc_lo, 1, v6
	v_or_b32_e32 v3, v8, v3
	v_cndmask_b32_e32 v3, v7, v3, vcc_lo
	v_and_b32_e32 v7, 7, v3
	v_lshrrev_b32_e32 v3, 2, v3
	v_cmp_lt_i32_e32 vcc_lo, 5, v7
	v_cndmask_b32_e64 v8, 0, 1, vcc_lo
	v_cmp_eq_u32_e32 vcc_lo, 3, v7
	v_cndmask_b32_e64 v7, 0, 1, vcc_lo
	v_cmp_ne_u32_e32 vcc_lo, 0, v2
	v_or_b32_e32 v7, v7, v8
	v_mov_b32_e32 v8, 0x7e00
	v_add_nc_u32_e32 v3, v3, v7
	v_cndmask_b32_e32 v2, 0x7c00, v8, vcc_lo
	v_cmp_gt_i32_e32 vcc_lo, 31, v6
	v_cndmask_b32_e32 v3, 0x7c00, v3, vcc_lo
	v_cmp_eq_u32_e32 vcc_lo, 0x40f, v6
	v_cndmask_b32_e32 v2, v3, v2, vcc_lo
	v_lshrrev_b32_e32 v3, 16, v1
	v_and_or_b32 v2, 0x8000, v3, v2
	v_and_b32_e32 v2, 0xffff, v2
	global_store_dword v[4:5], v2, off
.LBB85_1998:
	s_mov_b32 s4, 0
.LBB85_1999:
	s_andn2_b32 vcc_lo, exec_lo, s4
	s_cbranch_vccnz .LBB85_2008
; %bb.2000:
	s_sext_i32_i16 s5, s67
	s_mov_b32 s4, -1
	s_cmp_lt_i32 s5, 6
	s_cbranch_scc1 .LBB85_2006
; %bb.2001:
	s_cmp_gt_i32 s5, 6
	s_cbranch_scc0 .LBB85_2003
; %bb.2002:
	s_mov_b32 s4, 0
	global_store_dwordx2 v[4:5], v[0:1], off
.LBB85_2003:
	s_andn2_b32 vcc_lo, exec_lo, s4
	s_cbranch_vccnz .LBB85_2005
; %bb.2004:
	s_waitcnt vmcnt(0)
	v_cvt_f32_f64_e32 v2, v[0:1]
	global_store_dword v[4:5], v2, off
.LBB85_2005:
	s_mov_b32 s4, 0
.LBB85_2006:
	s_andn2_b32 vcc_lo, exec_lo, s4
	s_cbranch_vccnz .LBB85_2008
; %bb.2007:
	s_waitcnt vmcnt(0)
	v_and_or_b32 v2, 0x1ff, v1, v0
	v_lshrrev_b32_e32 v3, 8, v1
	v_bfe_u32 v6, v1, 20, 11
	v_cmp_ne_u32_e32 vcc_lo, 0, v2
	v_sub_nc_u32_e32 v7, 0x3f1, v6
	v_add_nc_u32_e32 v6, 0xfffffc10, v6
	v_cndmask_b32_e64 v2, 0, 1, vcc_lo
	v_and_or_b32 v2, 0xffe, v3, v2
	v_med3_i32 v3, v7, 0, 13
	v_or_b32_e32 v7, 0x1000, v2
	v_lshrrev_b32_e32 v8, v3, v7
	v_lshlrev_b32_e32 v3, v3, v8
	v_cmp_ne_u32_e32 vcc_lo, v3, v7
	v_lshl_or_b32 v7, v6, 12, v2
	v_cndmask_b32_e64 v3, 0, 1, vcc_lo
	v_cmp_gt_i32_e32 vcc_lo, 1, v6
	v_or_b32_e32 v3, v8, v3
	v_cndmask_b32_e32 v3, v7, v3, vcc_lo
	v_and_b32_e32 v7, 7, v3
	v_lshrrev_b32_e32 v3, 2, v3
	v_cmp_lt_i32_e32 vcc_lo, 5, v7
	v_cndmask_b32_e64 v8, 0, 1, vcc_lo
	v_cmp_eq_u32_e32 vcc_lo, 3, v7
	v_cndmask_b32_e64 v7, 0, 1, vcc_lo
	v_cmp_ne_u32_e32 vcc_lo, 0, v2
	v_or_b32_e32 v7, v7, v8
	v_mov_b32_e32 v8, 0x7e00
	v_add_nc_u32_e32 v3, v3, v7
	v_cndmask_b32_e32 v2, 0x7c00, v8, vcc_lo
	v_cmp_gt_i32_e32 vcc_lo, 31, v6
	v_cndmask_b32_e32 v3, 0x7c00, v3, vcc_lo
	v_cmp_eq_u32_e32 vcc_lo, 0x40f, v6
	v_cndmask_b32_e32 v2, v3, v2, vcc_lo
	v_lshrrev_b32_e32 v3, 16, v1
	v_and_or_b32 v2, 0x8000, v3, v2
	global_store_short v[4:5], v2, off
.LBB85_2008:
	s_mov_b32 s4, 0
.LBB85_2009:
	s_andn2_b32 vcc_lo, exec_lo, s4
	s_cbranch_vccnz .LBB85_2025
; %bb.2010:
	s_sext_i32_i16 s5, s67
	s_mov_b32 s4, -1
	s_cmp_lt_i32 s5, 2
	s_cbranch_scc1 .LBB85_2020
; %bb.2011:
	s_cmp_lt_i32 s5, 3
	s_cbranch_scc1 .LBB85_2017
; %bb.2012:
	s_cmp_gt_i32 s5, 3
	s_cbranch_scc0 .LBB85_2014
; %bb.2013:
	s_waitcnt vmcnt(0)
	v_trunc_f64_e32 v[2:3], v[0:1]
	s_mov_b32 s4, 0
	v_ldexp_f64 v[6:7], v[2:3], 0xffffffe0
	v_floor_f64_e32 v[6:7], v[6:7]
	v_fma_f64 v[2:3], 0xc1f00000, v[6:7], v[2:3]
	v_cvt_i32_f64_e32 v7, v[6:7]
	v_cvt_u32_f64_e32 v6, v[2:3]
	global_store_dwordx2 v[4:5], v[6:7], off
.LBB85_2014:
	s_andn2_b32 vcc_lo, exec_lo, s4
	s_cbranch_vccnz .LBB85_2016
; %bb.2015:
	s_waitcnt vmcnt(0)
	v_cvt_i32_f64_e32 v2, v[0:1]
	global_store_dword v[4:5], v2, off
.LBB85_2016:
	s_mov_b32 s4, 0
.LBB85_2017:
	s_andn2_b32 vcc_lo, exec_lo, s4
	s_cbranch_vccnz .LBB85_2019
; %bb.2018:
	s_waitcnt vmcnt(0)
	v_cvt_i32_f64_e32 v2, v[0:1]
	global_store_short v[4:5], v2, off
.LBB85_2019:
	s_mov_b32 s4, 0
.LBB85_2020:
	s_andn2_b32 vcc_lo, exec_lo, s4
	s_cbranch_vccnz .LBB85_2025
; %bb.2021:
	s_sext_i32_i16 s4, s67
	s_cmp_gt_i32 s4, 0
	s_mov_b32 s4, -1
	s_cbranch_scc0 .LBB85_2023
; %bb.2022:
	s_waitcnt vmcnt(0)
	v_cvt_i32_f64_e32 v2, v[0:1]
	s_mov_b32 s4, 0
	global_store_byte v[4:5], v2, off
.LBB85_2023:
	s_andn2_b32 vcc_lo, exec_lo, s4
	s_cbranch_vccnz .LBB85_2025
; %bb.2024:
	v_trunc_f64_e32 v[0:1], v[0:1]
	s_waitcnt vmcnt(0)
	v_ldexp_f64 v[2:3], v[0:1], 0xffffffe0
	v_floor_f64_e32 v[2:3], v[2:3]
	v_fma_f64 v[0:1], 0xc1f00000, v[2:3], v[0:1]
	v_cvt_u32_f64_e32 v0, v[0:1]
	global_store_byte v[4:5], v0, off
	s_endpgm
.LBB85_2025:
	s_endpgm
.LBB85_2026:
	s_mov_b32 s6, 0
	s_mov_b32 s4, -1
	s_branch .LBB85_1982
.LBB85_2027:
	s_or_b32 s39, s39, exec_lo
	s_trap 2
	s_cbranch_execz .LBB85_1496
	s_branch .LBB85_1497
.LBB85_2028:
	s_andn2_saveexec_b32 s9, s9
	s_cbranch_execz .LBB85_1576
.LBB85_2029:
	v_add_f32_e64 v3, 0x46000000, |v2|
	s_andn2_b32 s8, s8, exec_lo
	v_and_b32_e32 v3, 0xff, v3
	v_cmp_ne_u32_e32 vcc_lo, 0, v3
	s_and_b32 s10, vcc_lo, exec_lo
	s_or_b32 s8, s8, s10
	s_or_b32 exec_lo, exec_lo, s9
	v_mov_b32_e32 v6, 0
	s_and_saveexec_b32 s9, s8
	s_cbranch_execnz .LBB85_1577
	s_branch .LBB85_1578
.LBB85_2030:
	s_or_b32 s39, s39, exec_lo
	s_trap 2
	s_cbranch_execz .LBB85_1624
	s_branch .LBB85_1625
.LBB85_2031:
	s_andn2_saveexec_b32 s8, s8
	s_cbranch_execz .LBB85_1589
.LBB85_2032:
	v_add_f32_e64 v3, 0x42800000, |v2|
	s_andn2_b32 s7, s7, exec_lo
	v_and_b32_e32 v3, 0xff, v3
	v_cmp_ne_u32_e32 vcc_lo, 0, v3
	s_and_b32 s9, vcc_lo, exec_lo
	s_or_b32 s7, s7, s9
	s_or_b32 exec_lo, exec_lo, s8
	v_mov_b32_e32 v6, 0
	s_and_saveexec_b32 s8, s7
	s_cbranch_execnz .LBB85_1590
	s_branch .LBB85_1591
.LBB85_2033:
	s_andn2_saveexec_b32 s9, s9
	s_cbranch_execz .LBB85_1695
.LBB85_2034:
	v_add_f32_e64 v3, 0x46000000, |v2|
	s_andn2_b32 s8, s8, exec_lo
	v_and_b32_e32 v3, 0xff, v3
	v_cmp_ne_u32_e32 vcc_lo, 0, v3
	s_and_b32 s10, vcc_lo, exec_lo
	s_or_b32 s8, s8, s10
	s_or_b32 exec_lo, exec_lo, s9
	v_mov_b32_e32 v6, 0
	s_and_saveexec_b32 s9, s8
	s_cbranch_execnz .LBB85_1696
	s_branch .LBB85_1697
.LBB85_2035:
	s_or_b32 s39, s39, exec_lo
	s_trap 2
	s_cbranch_execz .LBB85_1743
	s_branch .LBB85_1744
.LBB85_2036:
	s_andn2_saveexec_b32 s8, s8
	s_cbranch_execz .LBB85_1708
.LBB85_2037:
	v_add_f32_e64 v3, 0x42800000, |v2|
	s_andn2_b32 s7, s7, exec_lo
	v_and_b32_e32 v3, 0xff, v3
	v_cmp_ne_u32_e32 vcc_lo, 0, v3
	s_and_b32 s9, vcc_lo, exec_lo
	s_or_b32 s7, s7, s9
	s_or_b32 exec_lo, exec_lo, s8
	v_mov_b32_e32 v6, 0
	s_and_saveexec_b32 s8, s7
	s_cbranch_execnz .LBB85_1709
	s_branch .LBB85_1710
.LBB85_2038:
	s_andn2_saveexec_b32 s9, s9
	s_cbranch_execz .LBB85_1814
.LBB85_2039:
	v_add_f32_e64 v3, 0x46000000, |v2|
	s_andn2_b32 s8, s8, exec_lo
	v_and_b32_e32 v3, 0xff, v3
	v_cmp_ne_u32_e32 vcc_lo, 0, v3
	s_and_b32 s10, vcc_lo, exec_lo
	s_or_b32 s8, s8, s10
	s_or_b32 exec_lo, exec_lo, s9
	v_mov_b32_e32 v6, 0
	s_and_saveexec_b32 s9, s8
	s_cbranch_execnz .LBB85_1815
	s_branch .LBB85_1816
.LBB85_2040:
	s_or_b32 s39, s39, exec_lo
	s_trap 2
	s_cbranch_execz .LBB85_1862
	s_branch .LBB85_1863
.LBB85_2041:
	s_andn2_saveexec_b32 s8, s8
	s_cbranch_execz .LBB85_1827
.LBB85_2042:
	v_add_f32_e64 v3, 0x42800000, |v2|
	s_andn2_b32 s7, s7, exec_lo
	v_and_b32_e32 v3, 0xff, v3
	v_cmp_ne_u32_e32 vcc_lo, 0, v3
	s_and_b32 s9, vcc_lo, exec_lo
	s_or_b32 s7, s7, s9
	s_or_b32 exec_lo, exec_lo, s8
	v_mov_b32_e32 v6, 0
	s_and_saveexec_b32 s8, s7
	s_cbranch_execnz .LBB85_1828
	s_branch .LBB85_1829
.LBB85_2043:
	s_andn2_saveexec_b32 s9, s9
	s_cbranch_execz .LBB85_1934
.LBB85_2044:
	v_add_f32_e64 v3, 0x46000000, |v2|
	s_andn2_b32 s8, s8, exec_lo
	v_and_b32_e32 v3, 0xff, v3
	v_cmp_ne_u32_e32 vcc_lo, 0, v3
	s_and_b32 s10, vcc_lo, exec_lo
	s_or_b32 s8, s8, s10
	s_or_b32 exec_lo, exec_lo, s9
	v_mov_b32_e32 v6, 0
	s_and_saveexec_b32 s9, s8
	s_cbranch_execnz .LBB85_1935
	s_branch .LBB85_1936
.LBB85_2045:
	s_mov_b32 s6, 0
	s_or_b32 s39, s39, exec_lo
	s_trap 2
	s_branch .LBB85_1980
.LBB85_2046:
	s_andn2_saveexec_b32 s8, s8
	s_cbranch_execz .LBB85_1946
.LBB85_2047:
	v_add_f32_e64 v3, 0x42800000, |v2|
	s_andn2_b32 s7, s7, exec_lo
	v_and_b32_e32 v3, 0xff, v3
	v_cmp_ne_u32_e32 vcc_lo, 0, v3
	s_and_b32 s9, vcc_lo, exec_lo
	s_or_b32 s7, s7, s9
	s_or_b32 exec_lo, exec_lo, s8
	v_mov_b32_e32 v6, 0
	s_and_saveexec_b32 s8, s7
	s_cbranch_execnz .LBB85_1947
	s_branch .LBB85_1948
	.section	.rodata,"a",@progbits
	.p2align	6, 0x0
	.amdhsa_kernel _ZN2at6native32elementwise_kernel_manual_unrollILi128ELi4EZNS0_15gpu_kernel_implIZZZNS0_21polygamma_kernel_cudaERNS_18TensorIteratorBaseElENKUlvE_clEvENKUlvE_clEvEUldE_EEvS4_RKT_EUlibE_EEviT1_
		.amdhsa_group_segment_fixed_size 0
		.amdhsa_private_segment_fixed_size 8
		.amdhsa_kernarg_size 48
		.amdhsa_user_sgpr_count 6
		.amdhsa_user_sgpr_private_segment_buffer 1
		.amdhsa_user_sgpr_dispatch_ptr 0
		.amdhsa_user_sgpr_queue_ptr 0
		.amdhsa_user_sgpr_kernarg_segment_ptr 1
		.amdhsa_user_sgpr_dispatch_id 0
		.amdhsa_user_sgpr_flat_scratch_init 0
		.amdhsa_user_sgpr_private_segment_size 0
		.amdhsa_wavefront_size32 1
		.amdhsa_uses_dynamic_stack 0
		.amdhsa_system_sgpr_private_segment_wavefront_offset 1
		.amdhsa_system_sgpr_workgroup_id_x 1
		.amdhsa_system_sgpr_workgroup_id_y 0
		.amdhsa_system_sgpr_workgroup_id_z 0
		.amdhsa_system_sgpr_workgroup_info 0
		.amdhsa_system_vgpr_workitem_id 0
		.amdhsa_next_free_vgpr 50
		.amdhsa_next_free_sgpr 96
		.amdhsa_reserve_vcc 1
		.amdhsa_reserve_flat_scratch 0
		.amdhsa_float_round_mode_32 0
		.amdhsa_float_round_mode_16_64 0
		.amdhsa_float_denorm_mode_32 3
		.amdhsa_float_denorm_mode_16_64 3
		.amdhsa_dx10_clamp 1
		.amdhsa_ieee_mode 1
		.amdhsa_fp16_overflow 0
		.amdhsa_workgroup_processor_mode 1
		.amdhsa_memory_ordered 1
		.amdhsa_forward_progress 1
		.amdhsa_shared_vgpr_count 0
		.amdhsa_exception_fp_ieee_invalid_op 0
		.amdhsa_exception_fp_denorm_src 0
		.amdhsa_exception_fp_ieee_div_zero 0
		.amdhsa_exception_fp_ieee_overflow 0
		.amdhsa_exception_fp_ieee_underflow 0
		.amdhsa_exception_fp_ieee_inexact 0
		.amdhsa_exception_int_div_zero 0
	.end_amdhsa_kernel
	.section	.text._ZN2at6native32elementwise_kernel_manual_unrollILi128ELi4EZNS0_15gpu_kernel_implIZZZNS0_21polygamma_kernel_cudaERNS_18TensorIteratorBaseElENKUlvE_clEvENKUlvE_clEvEUldE_EEvS4_RKT_EUlibE_EEviT1_,"axG",@progbits,_ZN2at6native32elementwise_kernel_manual_unrollILi128ELi4EZNS0_15gpu_kernel_implIZZZNS0_21polygamma_kernel_cudaERNS_18TensorIteratorBaseElENKUlvE_clEvENKUlvE_clEvEUldE_EEvS4_RKT_EUlibE_EEviT1_,comdat
.Lfunc_end85:
	.size	_ZN2at6native32elementwise_kernel_manual_unrollILi128ELi4EZNS0_15gpu_kernel_implIZZZNS0_21polygamma_kernel_cudaERNS_18TensorIteratorBaseElENKUlvE_clEvENKUlvE_clEvEUldE_EEvS4_RKT_EUlibE_EEviT1_, .Lfunc_end85-_ZN2at6native32elementwise_kernel_manual_unrollILi128ELi4EZNS0_15gpu_kernel_implIZZZNS0_21polygamma_kernel_cudaERNS_18TensorIteratorBaseElENKUlvE_clEvENKUlvE_clEvEUldE_EEvS4_RKT_EUlibE_EEviT1_
                                        ; -- End function
	.set _ZN2at6native32elementwise_kernel_manual_unrollILi128ELi4EZNS0_15gpu_kernel_implIZZZNS0_21polygamma_kernel_cudaERNS_18TensorIteratorBaseElENKUlvE_clEvENKUlvE_clEvEUldE_EEvS4_RKT_EUlibE_EEviT1_.num_vgpr, max(48, .L_ZZZZN2at6native21polygamma_kernel_cudaERNS_18TensorIteratorBaseElENKUlvE_clEvENKUlvE_clEvENKUldE_clEd.num_vgpr)
	.set _ZN2at6native32elementwise_kernel_manual_unrollILi128ELi4EZNS0_15gpu_kernel_implIZZZNS0_21polygamma_kernel_cudaERNS_18TensorIteratorBaseElENKUlvE_clEvENKUlvE_clEvEUldE_EEvS4_RKT_EUlibE_EEviT1_.num_agpr, max(0, .L_ZZZZN2at6native21polygamma_kernel_cudaERNS_18TensorIteratorBaseElENKUlvE_clEvENKUlvE_clEvENKUldE_clEd.num_agpr)
	.set _ZN2at6native32elementwise_kernel_manual_unrollILi128ELi4EZNS0_15gpu_kernel_implIZZZNS0_21polygamma_kernel_cudaERNS_18TensorIteratorBaseElENKUlvE_clEvENKUlvE_clEvEUldE_EEvS4_RKT_EUlibE_EEviT1_.numbered_sgpr, max(83, .L_ZZZZN2at6native21polygamma_kernel_cudaERNS_18TensorIteratorBaseElENKUlvE_clEvENKUlvE_clEvENKUldE_clEd.numbered_sgpr)
	.set _ZN2at6native32elementwise_kernel_manual_unrollILi128ELi4EZNS0_15gpu_kernel_implIZZZNS0_21polygamma_kernel_cudaERNS_18TensorIteratorBaseElENKUlvE_clEvENKUlvE_clEvEUldE_EEvS4_RKT_EUlibE_EEviT1_.num_named_barrier, max(0, .L_ZZZZN2at6native21polygamma_kernel_cudaERNS_18TensorIteratorBaseElENKUlvE_clEvENKUlvE_clEvENKUldE_clEd.num_named_barrier)
	.set _ZN2at6native32elementwise_kernel_manual_unrollILi128ELi4EZNS0_15gpu_kernel_implIZZZNS0_21polygamma_kernel_cudaERNS_18TensorIteratorBaseElENKUlvE_clEvENKUlvE_clEvEUldE_EEvS4_RKT_EUlibE_EEviT1_.private_seg_size, 0+max(.L_ZZZZN2at6native21polygamma_kernel_cudaERNS_18TensorIteratorBaseElENKUlvE_clEvENKUlvE_clEvENKUldE_clEd.private_seg_size)
	.set _ZN2at6native32elementwise_kernel_manual_unrollILi128ELi4EZNS0_15gpu_kernel_implIZZZNS0_21polygamma_kernel_cudaERNS_18TensorIteratorBaseElENKUlvE_clEvENKUlvE_clEvEUldE_EEvS4_RKT_EUlibE_EEviT1_.uses_vcc, or(1, .L_ZZZZN2at6native21polygamma_kernel_cudaERNS_18TensorIteratorBaseElENKUlvE_clEvENKUlvE_clEvENKUldE_clEd.uses_vcc)
	.set _ZN2at6native32elementwise_kernel_manual_unrollILi128ELi4EZNS0_15gpu_kernel_implIZZZNS0_21polygamma_kernel_cudaERNS_18TensorIteratorBaseElENKUlvE_clEvENKUlvE_clEvEUldE_EEvS4_RKT_EUlibE_EEviT1_.uses_flat_scratch, or(0, .L_ZZZZN2at6native21polygamma_kernel_cudaERNS_18TensorIteratorBaseElENKUlvE_clEvENKUlvE_clEvENKUldE_clEd.uses_flat_scratch)
	.set _ZN2at6native32elementwise_kernel_manual_unrollILi128ELi4EZNS0_15gpu_kernel_implIZZZNS0_21polygamma_kernel_cudaERNS_18TensorIteratorBaseElENKUlvE_clEvENKUlvE_clEvEUldE_EEvS4_RKT_EUlibE_EEviT1_.has_dyn_sized_stack, or(0, .L_ZZZZN2at6native21polygamma_kernel_cudaERNS_18TensorIteratorBaseElENKUlvE_clEvENKUlvE_clEvENKUldE_clEd.has_dyn_sized_stack)
	.set _ZN2at6native32elementwise_kernel_manual_unrollILi128ELi4EZNS0_15gpu_kernel_implIZZZNS0_21polygamma_kernel_cudaERNS_18TensorIteratorBaseElENKUlvE_clEvENKUlvE_clEvEUldE_EEvS4_RKT_EUlibE_EEviT1_.has_recursion, or(0, .L_ZZZZN2at6native21polygamma_kernel_cudaERNS_18TensorIteratorBaseElENKUlvE_clEvENKUlvE_clEvENKUldE_clEd.has_recursion)
	.set _ZN2at6native32elementwise_kernel_manual_unrollILi128ELi4EZNS0_15gpu_kernel_implIZZZNS0_21polygamma_kernel_cudaERNS_18TensorIteratorBaseElENKUlvE_clEvENKUlvE_clEvEUldE_EEvS4_RKT_EUlibE_EEviT1_.has_indirect_call, or(0, .L_ZZZZN2at6native21polygamma_kernel_cudaERNS_18TensorIteratorBaseElENKUlvE_clEvENKUlvE_clEvENKUldE_clEd.has_indirect_call)
	.section	.AMDGPU.csdata,"",@progbits
; Kernel info:
; codeLenInByte = 34672
; TotalNumSgprs: 98
; NumVgprs: 50
; ScratchSize: 8
; MemoryBound: 1
; FloatMode: 240
; IeeeMode: 1
; LDSByteSize: 0 bytes/workgroup (compile time only)
; SGPRBlocks: 0
; VGPRBlocks: 6
; NumSGPRsForWavesPerEU: 98
; NumVGPRsForWavesPerEU: 50
; Occupancy: 16
; WaveLimiterHint : 0
; COMPUTE_PGM_RSRC2:SCRATCH_EN: 1
; COMPUTE_PGM_RSRC2:USER_SGPR: 6
; COMPUTE_PGM_RSRC2:TRAP_HANDLER: 0
; COMPUTE_PGM_RSRC2:TGID_X_EN: 1
; COMPUTE_PGM_RSRC2:TGID_Y_EN: 0
; COMPUTE_PGM_RSRC2:TGID_Z_EN: 0
; COMPUTE_PGM_RSRC2:TIDIG_COMP_CNT: 0
	.section	.text._ZN2at6native32elementwise_kernel_manual_unrollILi128ELi4EZNS0_15gpu_kernel_implIZZZNS0_21polygamma_kernel_cudaERNS_18TensorIteratorBaseElENKUlvE_clEvENKUlvE_clEvEUldE_EEvS4_RKT_EUlibE0_EEviT1_,"axG",@progbits,_ZN2at6native32elementwise_kernel_manual_unrollILi128ELi4EZNS0_15gpu_kernel_implIZZZNS0_21polygamma_kernel_cudaERNS_18TensorIteratorBaseElENKUlvE_clEvENKUlvE_clEvEUldE_EEvS4_RKT_EUlibE0_EEviT1_,comdat
	.globl	_ZN2at6native32elementwise_kernel_manual_unrollILi128ELi4EZNS0_15gpu_kernel_implIZZZNS0_21polygamma_kernel_cudaERNS_18TensorIteratorBaseElENKUlvE_clEvENKUlvE_clEvEUldE_EEvS4_RKT_EUlibE0_EEviT1_ ; -- Begin function _ZN2at6native32elementwise_kernel_manual_unrollILi128ELi4EZNS0_15gpu_kernel_implIZZZNS0_21polygamma_kernel_cudaERNS_18TensorIteratorBaseElENKUlvE_clEvENKUlvE_clEvEUldE_EEvS4_RKT_EUlibE0_EEviT1_
	.p2align	8
	.type	_ZN2at6native32elementwise_kernel_manual_unrollILi128ELi4EZNS0_15gpu_kernel_implIZZZNS0_21polygamma_kernel_cudaERNS_18TensorIteratorBaseElENKUlvE_clEvENKUlvE_clEvEUldE_EEvS4_RKT_EUlibE0_EEviT1_,@function
_ZN2at6native32elementwise_kernel_manual_unrollILi128ELi4EZNS0_15gpu_kernel_implIZZZNS0_21polygamma_kernel_cudaERNS_18TensorIteratorBaseElENKUlvE_clEvENKUlvE_clEvEUldE_EEvS4_RKT_EUlibE0_EEviT1_: ; @_ZN2at6native32elementwise_kernel_manual_unrollILi128ELi4EZNS0_15gpu_kernel_implIZZZNS0_21polygamma_kernel_cudaERNS_18TensorIteratorBaseElENKUlvE_clEvENKUlvE_clEvEUldE_EEvS4_RKT_EUlibE0_EEviT1_
; %bb.0:
	s_clause 0x1
	s_load_dword s33, s[4:5], 0x8
	s_load_dword s34, s[4:5], 0x0
	v_lshl_or_b32 v43, s6, 9, v0
	s_add_u32 s0, s0, s7
	s_mov_b64 s[48:49], s[4:5]
	s_addc_u32 s1, s1, 0
	s_add_u32 s50, s48, 8
	s_addc_u32 s51, s49, 0
	v_or_b32_e32 v8, 0x180, v43
	s_mov_b32 s5, -1
	s_mov_b32 s69, 0
	s_mov_b32 s64, 0
	;; [unrolled: 1-line block ×3, first 2 shown]
	s_mov_b32 s4, exec_lo
	s_waitcnt lgkmcnt(0)
	s_add_i32 s39, s33, -1
	s_cmp_gt_u32 s39, 1
	s_cselect_b32 s86, -1, 0
	v_cmpx_le_i32_e64 s34, v8
	s_xor_b32 s68, exec_lo, s4
	s_cbranch_execz .LBB86_1090
; %bb.1:
	s_clause 0x5
	s_load_dwordx2 s[98:99], s[50:51], 0x158
	s_load_dword s96, s[50:51], 0x160
	s_load_dwordx4 s[44:47], s[50:51], 0x4
	s_load_dwordx2 s[100:101], s[50:51], 0x14
	s_load_dwordx4 s[40:43], s[50:51], 0xc4
	s_load_dwordx4 s[56:59], s[50:51], 0x148
	s_cmp_lg_u32 s33, 0
	s_mov_b32 s103, 0
	s_cselect_b32 s102, -1, 0
	s_add_u32 s84, s50, 0xc4
	s_addc_u32 s85, s51, 0
	s_min_u32 s82, s39, 15
	s_cmp_gt_u32 s33, 1
	s_mov_b32 s80, 0
	s_cselect_b32 s67, -1, 0
	s_mov_b32 s65, exec_lo
	s_waitcnt lgkmcnt(0)
	s_bfe_u32 s97, s96, 0x80008
	v_cmpx_gt_i32_e64 s34, v43
	s_cbranch_execz .LBB86_266
; %bb.2:
	s_andn2_b32 vcc_lo, exec_lo, s86
	s_cbranch_vccnz .LBB86_7
; %bb.3:
	s_andn2_b32 vcc_lo, exec_lo, s102
	s_cbranch_vccnz .LBB86_8
; %bb.4:
	s_add_i32 s9, s82, 1
	s_cmp_eq_u32 s39, 2
	s_cbranch_scc1 .LBB86_9
; %bb.5:
	v_mov_b32_e32 v0, 0
	v_mov_b32_e32 v41, 0
	;; [unrolled: 1-line block ×3, first 2 shown]
	s_and_b32 s8, s9, 28
	s_mov_b32 s10, 0
	s_mov_b64 s[4:5], s[50:51]
	s_mov_b64 s[6:7], s[84:85]
.LBB86_6:                               ; =>This Inner Loop Header: Depth=1
	s_clause 0x1
	s_load_dwordx8 s[12:19], s[4:5], 0x4
	s_load_dwordx4 s[28:31], s[4:5], 0x24
	s_load_dwordx8 s[20:27], s[6:7], 0x0
	s_add_u32 s4, s4, 48
	s_addc_u32 s5, s5, 0
	s_add_i32 s10, s10, 4
	s_add_u32 s6, s6, 32
	s_addc_u32 s7, s7, 0
	s_cmp_lg_u32 s8, s10
	s_waitcnt lgkmcnt(0)
	v_mul_hi_u32 v2, s13, v1
	v_add_nc_u32_e32 v2, v1, v2
	v_lshrrev_b32_e32 v2, s14, v2
	v_mul_hi_u32 v3, s16, v2
	v_mul_lo_u32 v5, v2, s12
	v_add_nc_u32_e32 v3, v2, v3
	v_sub_nc_u32_e32 v1, v1, v5
	v_lshrrev_b32_e32 v3, s17, v3
	v_mul_lo_u32 v5, v1, s20
	v_mul_lo_u32 v7, v1, s21
	v_mul_hi_u32 v4, s19, v3
	v_add_nc_u32_e32 v4, v3, v4
	v_lshrrev_b32_e32 v4, s28, v4
	v_mul_hi_u32 v6, s30, v4
	v_mul_lo_u32 v8, v4, s18
	v_add_nc_u32_e32 v1, v4, v6
	v_mul_lo_u32 v6, v3, s15
	v_sub_nc_u32_e32 v3, v3, v8
	v_lshrrev_b32_e32 v1, s31, v1
	v_mul_lo_u32 v8, v3, s24
	v_mul_lo_u32 v3, v3, s25
	v_sub_nc_u32_e32 v2, v2, v6
	v_mul_lo_u32 v9, v1, s29
	v_mul_lo_u32 v6, v2, s22
	;; [unrolled: 1-line block ×3, first 2 shown]
	v_sub_nc_u32_e32 v4, v4, v9
	v_add3_u32 v5, v5, v41, v6
	v_mul_lo_u32 v9, v4, s26
	v_mul_lo_u32 v4, v4, s27
	v_add3_u32 v0, v7, v0, v2
	v_add3_u32 v41, v8, v5, v9
	;; [unrolled: 1-line block ×3, first 2 shown]
	s_cbranch_scc1 .LBB86_6
	s_branch .LBB86_10
.LBB86_7:
                                        ; implicit-def: $vgpr41
                                        ; implicit-def: $vgpr0
	s_branch .LBB86_14
.LBB86_8:
	v_mov_b32_e32 v41, 0
	v_mov_b32_e32 v0, 0
	s_branch .LBB86_13
.LBB86_9:
	v_mov_b32_e32 v41, 0
	v_mov_b32_e32 v0, 0
	;; [unrolled: 1-line block ×3, first 2 shown]
	s_mov_b32 s8, 0
.LBB86_10:
	s_and_b32 s9, s9, 3
	s_cmp_eq_u32 s9, 0
	s_cbranch_scc1 .LBB86_13
; %bb.11:
	s_lshl_b32 s4, s8, 3
	s_mul_i32 s6, s8, 12
	s_add_u32 s4, s50, s4
	s_addc_u32 s5, s51, 0
	s_add_u32 s4, s4, 0xc4
	s_addc_u32 s5, s5, 0
	;; [unrolled: 2-line block ×3, first 2 shown]
	.p2align	6
.LBB86_12:                              ; =>This Inner Loop Header: Depth=1
	s_clause 0x1
	s_load_dwordx2 s[10:11], s[6:7], 0x4
	s_load_dword s8, s[6:7], 0xc
	s_load_dwordx2 s[12:13], s[4:5], 0x0
	s_add_u32 s6, s6, 12
	s_addc_u32 s7, s7, 0
	s_add_u32 s4, s4, 8
	s_addc_u32 s5, s5, 0
	s_add_i32 s9, s9, -1
	s_cmp_lg_u32 s9, 0
	s_waitcnt lgkmcnt(0)
	v_mul_hi_u32 v2, s11, v1
	v_add_nc_u32_e32 v2, v1, v2
	v_lshrrev_b32_e32 v2, s8, v2
	v_mul_lo_u32 v3, v2, s10
	v_sub_nc_u32_e32 v1, v1, v3
	v_mad_u64_u32 v[41:42], null, v1, s12, v[41:42]
	v_mad_u64_u32 v[0:1], null, v1, s13, v[0:1]
	v_mov_b32_e32 v1, v2
	s_cbranch_scc1 .LBB86_12
.LBB86_13:
	s_cbranch_execnz .LBB86_16
.LBB86_14:
	v_mul_hi_u32 v0, s45, v43
	s_andn2_b32 vcc_lo, exec_lo, s67
	v_add_nc_u32_e32 v0, v43, v0
	v_lshrrev_b32_e32 v1, s46, v0
	v_mul_lo_u32 v0, v1, s44
	v_sub_nc_u32_e32 v0, v43, v0
	v_mul_lo_u32 v41, v0, s40
	v_mul_lo_u32 v0, v0, s41
	s_cbranch_vccnz .LBB86_16
; %bb.15:
	v_mul_hi_u32 v2, s100, v1
	v_add_nc_u32_e32 v2, v1, v2
	v_lshrrev_b32_e32 v2, s101, v2
	v_mul_lo_u32 v2, v2, s47
	v_sub_nc_u32_e32 v1, v1, v2
	v_mad_u64_u32 v[41:42], null, v1, s42, v[41:42]
	v_mad_u64_u32 v[0:1], null, v1, s43, v[0:1]
.LBB86_16:
	v_add_co_u32 v0, s4, s58, v0
	v_add_co_ci_u32_e64 v1, null, s59, 0, s4
	s_and_b32 s4, 0xffff, s97
	s_cmp_lt_i32 s4, 11
	s_cbranch_scc1 .LBB86_23
; %bb.17:
	s_cmp_gt_i32 s4, 25
	s_cbranch_scc0 .LBB86_32
; %bb.18:
	s_cmp_gt_i32 s4, 28
	s_cbranch_scc0 .LBB86_35
	;; [unrolled: 3-line block ×4, first 2 shown]
; %bb.21:
	s_cmp_eq_u32 s4, 46
	s_mov_b32 s6, 0
	s_cbranch_scc0 .LBB86_41
; %bb.22:
	global_load_dword v2, v[0:1], off
	s_mov_b32 s5, -1
	s_mov_b32 s66, 0
	s_waitcnt vmcnt(0)
	v_lshlrev_b32_e32 v2, 16, v2
	v_cvt_f64_f32_e32 v[2:3], v2
	s_branch .LBB86_43
.LBB86_23:
	s_mov_b32 s66, 0
	s_mov_b32 s5, 0
                                        ; implicit-def: $vgpr2_vgpr3
	s_cbranch_execnz .LBB86_216
.LBB86_24:
	s_andn2_b32 vcc_lo, exec_lo, s5
	s_cbranch_vccnz .LBB86_263
.LBB86_25:
	v_mov_b32_e32 v0, s98
	v_mov_b32_e32 v1, s99
	s_getpc_b64 s[4:5]
	s_add_u32 s4, s4, _ZZZZN2at6native21polygamma_kernel_cudaERNS_18TensorIteratorBaseElENKUlvE_clEvENKUlvE_clEvENKUldE_clEd@rel32@lo+4
	s_addc_u32 s5, s5, _ZZZZN2at6native21polygamma_kernel_cudaERNS_18TensorIteratorBaseElENKUlvE_clEvENKUlvE_clEvENKUldE_clEd@rel32@hi+12
	s_mov_b32 s104, s68
	s_mov_b32 s103, s82
	s_mov_b64 s[54:55], s[46:47]
	s_mov_b64 s[82:83], s[42:43]
	;; [unrolled: 1-line block ×3, first 2 shown]
	s_mov_b32 s87, s33
	s_mov_b32 s33, s34
	s_mov_b64 s[52:53], s[44:45]
	s_mov_b64 s[80:81], s[40:41]
	;; [unrolled: 1-line block ×3, first 2 shown]
	s_swappc_b64 s[30:31], s[4:5]
	s_mov_b64 s[56:57], s[68:69]
	s_and_b32 s5, s96, 0xff
	v_add_co_u32 v4, s4, s56, v41
	v_add_co_ci_u32_e64 v5, null, s57, 0, s4
	s_mov_b64 s[58:59], s[70:71]
	s_cmp_lt_i32 s5, 11
	s_cbranch_scc1 .LBB86_33
; %bb.26:
	s_and_b32 s6, 0xffff, s5
	s_cmp_gt_i32 s6, 25
	s_cbranch_scc0 .LBB86_36
; %bb.27:
	s_mov_b64 s[40:41], s[80:81]
	s_mov_b64 s[44:45], s[52:53]
	s_cmp_gt_i32 s6, 28
	s_mov_b64 s[42:43], s[82:83]
	s_mov_b64 s[46:47], s[54:55]
	s_cbranch_scc0 .LBB86_38
; %bb.28:
	s_cmp_gt_i32 s6, 43
	s_cbranch_scc0 .LBB86_40
; %bb.29:
	s_cmp_gt_i32 s6, 45
	s_mov_b32 s34, s33
	s_mov_b32 s82, s103
	;; [unrolled: 1-line block ×3, first 2 shown]
	s_cbranch_scc0 .LBB86_46
; %bb.30:
	s_mov_b32 s8, 0
	s_mov_b32 s4, -1
	s_cmp_eq_u32 s6, 46
	s_mov_b32 s7, 0
	s_mov_b32 s33, s87
	s_cbranch_scc0 .LBB86_47
; %bb.31:
	v_cvt_f32_f64_e32 v2, v[0:1]
	s_mov_b32 s7, -1
	s_mov_b32 s4, 0
	v_bfe_u32 v3, v2, 16, 1
	v_cmp_o_f32_e32 vcc_lo, v2, v2
	v_add3_u32 v2, v2, v3, 0x7fff
	v_mov_b32_e32 v3, 0x7fc0
	v_cndmask_b32_sdwa v2, v3, v2, vcc_lo dst_sel:DWORD dst_unused:UNUSED_PAD src0_sel:DWORD src1_sel:WORD_1
	global_store_dword v[4:5], v2, off
	s_branch .LBB86_47
.LBB86_32:
	s_mov_b32 s66, 0
	s_mov_b32 s5, 0
                                        ; implicit-def: $vgpr2_vgpr3
	s_cbranch_execnz .LBB86_183
	s_branch .LBB86_215
.LBB86_33:
	s_mov_b64 s[40:41], s[80:81]
	s_mov_b64 s[44:45], s[52:53]
	s_mov_b32 s4, 0
	s_mov_b32 s7, 0
	s_mov_b64 s[42:43], s[82:83]
	s_mov_b64 s[46:47], s[54:55]
	s_mov_b32 s34, s33
	s_mov_b32 s33, s87
	;; [unrolled: 1-line block ×5, first 2 shown]
	s_cbranch_execnz .LBB86_116
.LBB86_34:
	s_andn2_b32 vcc_lo, exec_lo, s7
	s_cbranch_vccz .LBB86_154
	s_branch .LBB86_264
.LBB86_35:
	s_mov_b32 s6, -1
	s_mov_b32 s66, 0
	s_mov_b32 s5, 0
                                        ; implicit-def: $vgpr2_vgpr3
	s_branch .LBB86_162
.LBB86_36:
	s_mov_b64 s[40:41], s[80:81]
	s_mov_b64 s[44:45], s[52:53]
	s_mov_b32 s8, -1
	s_mov_b32 s4, 0
	s_mov_b32 s7, 0
	s_mov_b64 s[42:43], s[82:83]
	s_mov_b64 s[46:47], s[54:55]
	s_mov_b32 s34, s33
	s_mov_b32 s33, s87
	;; [unrolled: 1-line block ×5, first 2 shown]
	s_branch .LBB86_74
.LBB86_37:
	s_mov_b32 s6, -1
	s_mov_b32 s66, 0
	s_mov_b32 s5, 0
                                        ; implicit-def: $vgpr2_vgpr3
	s_branch .LBB86_157
.LBB86_38:
	s_mov_b32 s8, -1
	s_mov_b32 s4, 0
	s_mov_b32 s7, 0
	;; [unrolled: 1-line block ×7, first 2 shown]
	s_branch .LBB86_57
.LBB86_39:
	s_mov_b32 s6, -1
	s_mov_b32 s66, 0
	s_branch .LBB86_42
.LBB86_40:
	s_mov_b32 s8, -1
	s_mov_b32 s4, 0
	s_mov_b32 s7, 0
	;; [unrolled: 1-line block ×7, first 2 shown]
	s_branch .LBB86_53
.LBB86_41:
	s_mov_b32 s66, -1
.LBB86_42:
	s_mov_b32 s5, 0
                                        ; implicit-def: $vgpr2_vgpr3
.LBB86_43:
	s_and_b32 vcc_lo, exec_lo, s6
	s_cbranch_vccz .LBB86_156
; %bb.44:
	s_cmp_eq_u32 s4, 44
	s_cbranch_scc0 .LBB86_155
; %bb.45:
	global_load_ubyte v4, v[0:1], off
	s_mov_b32 s66, 0
	s_mov_b32 s5, -1
	s_waitcnt vmcnt(0)
	v_lshlrev_b32_e32 v2, 23, v4
	v_cmp_ne_u32_e32 vcc_lo, 0xff, v4
	v_cvt_f64_f32_e32 v[2:3], v2
	v_cndmask_b32_e32 v2, 0x20000000, v2, vcc_lo
	v_cndmask_b32_e32 v3, 0x7ff80000, v3, vcc_lo
	v_cmp_ne_u32_e32 vcc_lo, 0, v4
	v_cndmask_b32_e32 v3, 0x38000000, v3, vcc_lo
	v_cndmask_b32_e32 v2, 0, v2, vcc_lo
	s_branch .LBB86_156
.LBB86_46:
	s_mov_b32 s8, -1
	s_mov_b32 s4, 0
	s_mov_b32 s7, 0
	;; [unrolled: 1-line block ×3, first 2 shown]
.LBB86_47:
	s_and_b32 vcc_lo, exec_lo, s8
	s_mov_b32 s69, 0
	s_cbranch_vccz .LBB86_52
; %bb.48:
	s_cmp_eq_u32 s6, 44
	s_mov_b32 s4, -1
	s_cbranch_scc0 .LBB86_52
; %bb.49:
	v_cvt_f32_f64_e32 v2, v[0:1]
	v_mov_b32_e32 v3, 0xff
	s_mov_b32 s7, exec_lo
	v_bfe_u32 v6, v2, 23, 8
	v_cmpx_ne_u32_e32 0xff, v6
	s_cbranch_execz .LBB86_51
; %bb.50:
	v_and_b32_e32 v3, 0x400000, v2
	v_and_or_b32 v6, 0x3fffff, v2, v6
	v_lshrrev_b32_e32 v2, 23, v2
	v_cmp_ne_u32_e32 vcc_lo, 0, v3
	v_cmp_ne_u32_e64 s4, 0, v6
	s_and_b32 s4, vcc_lo, s4
	v_cndmask_b32_e64 v3, 0, 1, s4
	v_add_nc_u32_e32 v3, v2, v3
.LBB86_51:
	s_or_b32 exec_lo, exec_lo, s7
	s_mov_b32 s7, -1
	s_mov_b32 s4, 0
	global_store_byte v[4:5], v3, off
.LBB86_52:
	s_mov_b32 s8, 0
.LBB86_53:
	s_and_b32 vcc_lo, exec_lo, s8
	s_cbranch_vccz .LBB86_56
; %bb.54:
	s_cmp_eq_u32 s6, 29
	s_mov_b32 s4, -1
	s_cbranch_scc0 .LBB86_56
; %bb.55:
	v_trunc_f64_e32 v[2:3], v[0:1]
	s_mov_b32 s7, -1
	s_mov_b32 s4, 0
	s_mov_b32 s8, 0
	v_ldexp_f64 v[6:7], v[2:3], 0xffffffe0
	v_floor_f64_e32 v[6:7], v[6:7]
	v_fma_f64 v[2:3], 0xc1f00000, v[6:7], v[2:3]
	v_cvt_u32_f64_e32 v7, v[6:7]
	v_cvt_u32_f64_e32 v6, v[2:3]
	global_store_dwordx2 v[4:5], v[6:7], off
	s_branch .LBB86_57
.LBB86_56:
	s_mov_b32 s8, 0
.LBB86_57:
	s_and_b32 vcc_lo, exec_lo, s8
	s_cbranch_vccz .LBB86_73
; %bb.58:
	s_cmp_lt_i32 s6, 27
	s_mov_b32 s7, -1
	s_cbranch_scc1 .LBB86_64
; %bb.59:
	v_cvt_u32_f64_e32 v2, v[0:1]
	s_cmp_gt_i32 s6, 27
	s_cbranch_scc0 .LBB86_61
; %bb.60:
	s_mov_b32 s7, 0
	global_store_dword v[4:5], v2, off
.LBB86_61:
	s_andn2_b32 vcc_lo, exec_lo, s7
	s_cbranch_vccnz .LBB86_63
; %bb.62:
	global_store_short v[4:5], v2, off
.LBB86_63:
	s_mov_b32 s7, 0
.LBB86_64:
	s_andn2_b32 vcc_lo, exec_lo, s7
	s_cbranch_vccnz .LBB86_72
; %bb.65:
	v_cvt_f32_f64_e32 v2, v[0:1]
	v_mov_b32_e32 v6, 0x80
	s_mov_b32 s7, exec_lo
	v_and_b32_e32 v3, 0x7fffffff, v2
	v_cmpx_gt_u32_e32 0x43800000, v3
	s_cbranch_execz .LBB86_71
; %bb.66:
	v_cmp_lt_u32_e32 vcc_lo, 0x3bffffff, v3
	s_mov_b32 s8, 0
                                        ; implicit-def: $vgpr3
	s_and_saveexec_b32 s9, vcc_lo
	s_xor_b32 s9, exec_lo, s9
	s_cbranch_execz .LBB86_307
; %bb.67:
	v_bfe_u32 v3, v2, 20, 1
	s_mov_b32 s8, exec_lo
	v_add3_u32 v3, v2, v3, 0x487ffff
	v_lshrrev_b32_e32 v3, 20, v3
	s_andn2_saveexec_b32 s9, s9
	s_cbranch_execnz .LBB86_308
.LBB86_68:
	s_or_b32 exec_lo, exec_lo, s9
	v_mov_b32_e32 v6, 0
	s_and_saveexec_b32 s9, s8
.LBB86_69:
	v_lshrrev_b32_e32 v2, 24, v2
	v_and_or_b32 v6, 0x80, v2, v3
.LBB86_70:
	s_or_b32 exec_lo, exec_lo, s9
.LBB86_71:
	s_or_b32 exec_lo, exec_lo, s7
	global_store_byte v[4:5], v6, off
.LBB86_72:
	s_mov_b32 s7, -1
.LBB86_73:
	s_mov_b32 s8, 0
.LBB86_74:
	s_and_b32 vcc_lo, exec_lo, s8
	s_cbranch_vccz .LBB86_115
; %bb.75:
	s_cmp_gt_i32 s6, 22
	s_mov_b32 s8, -1
	s_cbranch_scc0 .LBB86_107
; %bb.76:
	s_cmp_lt_i32 s6, 24
	s_mov_b32 s7, -1
	s_cbranch_scc1 .LBB86_96
; %bb.77:
	s_cmp_gt_i32 s6, 24
	s_cbranch_scc0 .LBB86_85
; %bb.78:
	v_cvt_f32_f64_e32 v2, v[0:1]
	v_mov_b32_e32 v6, 0x80
	s_mov_b32 s7, exec_lo
	v_and_b32_e32 v3, 0x7fffffff, v2
	v_cmpx_gt_u32_e32 0x47800000, v3
	s_cbranch_execz .LBB86_84
; %bb.79:
	v_cmp_lt_u32_e32 vcc_lo, 0x37ffffff, v3
	s_mov_b32 s8, 0
                                        ; implicit-def: $vgpr3
	s_and_saveexec_b32 s9, vcc_lo
	s_xor_b32 s9, exec_lo, s9
	s_cbranch_execz .LBB86_311
; %bb.80:
	v_bfe_u32 v3, v2, 21, 1
	s_mov_b32 s8, exec_lo
	v_add3_u32 v3, v2, v3, 0x88fffff
	v_lshrrev_b32_e32 v3, 21, v3
	s_andn2_saveexec_b32 s9, s9
	s_cbranch_execnz .LBB86_312
.LBB86_81:
	s_or_b32 exec_lo, exec_lo, s9
	v_mov_b32_e32 v6, 0
	s_and_saveexec_b32 s9, s8
.LBB86_82:
	v_lshrrev_b32_e32 v2, 24, v2
	v_and_or_b32 v6, 0x80, v2, v3
.LBB86_83:
	s_or_b32 exec_lo, exec_lo, s9
.LBB86_84:
	s_or_b32 exec_lo, exec_lo, s7
	s_mov_b32 s7, 0
	global_store_byte v[4:5], v6, off
.LBB86_85:
	s_and_b32 vcc_lo, exec_lo, s7
	s_cbranch_vccz .LBB86_95
; %bb.86:
	v_cvt_f32_f64_e32 v2, v[0:1]
	s_mov_b32 s7, exec_lo
                                        ; implicit-def: $vgpr3
	v_and_b32_e32 v6, 0x7fffffff, v2
	v_cmpx_gt_u32_e32 0x43f00000, v6
	s_xor_b32 s7, exec_lo, s7
	s_cbranch_execz .LBB86_92
; %bb.87:
	s_mov_b32 s8, exec_lo
                                        ; implicit-def: $vgpr3
	v_cmpx_lt_u32_e32 0x3c7fffff, v6
	s_xor_b32 s8, exec_lo, s8
; %bb.88:
	v_bfe_u32 v3, v2, 20, 1
	v_add3_u32 v3, v2, v3, 0x407ffff
	v_and_b32_e32 v6, 0xff00000, v3
	v_lshrrev_b32_e32 v3, 20, v3
	v_cmp_ne_u32_e32 vcc_lo, 0x7f00000, v6
	v_cndmask_b32_e32 v3, 0x7e, v3, vcc_lo
; %bb.89:
	s_andn2_saveexec_b32 s8, s8
; %bb.90:
	v_add_f32_e64 v3, 0x46800000, |v2|
; %bb.91:
	s_or_b32 exec_lo, exec_lo, s8
                                        ; implicit-def: $vgpr6
.LBB86_92:
	s_andn2_saveexec_b32 s7, s7
; %bb.93:
	v_mov_b32_e32 v3, 0x7f
	v_cmp_lt_u32_e32 vcc_lo, 0x7f800000, v6
	v_cndmask_b32_e32 v3, 0x7e, v3, vcc_lo
; %bb.94:
	s_or_b32 exec_lo, exec_lo, s7
	v_lshrrev_b32_e32 v2, 24, v2
	v_and_or_b32 v2, 0x80, v2, v3
	global_store_byte v[4:5], v2, off
.LBB86_95:
	s_mov_b32 s7, 0
.LBB86_96:
	s_andn2_b32 vcc_lo, exec_lo, s7
	s_cbranch_vccnz .LBB86_106
; %bb.97:
	v_cvt_f32_f64_e32 v2, v[0:1]
	s_mov_b32 s7, exec_lo
                                        ; implicit-def: $vgpr3
	v_and_b32_e32 v6, 0x7fffffff, v2
	v_cmpx_gt_u32_e32 0x47800000, v6
	s_xor_b32 s7, exec_lo, s7
	s_cbranch_execz .LBB86_103
; %bb.98:
	s_mov_b32 s8, exec_lo
                                        ; implicit-def: $vgpr3
	v_cmpx_lt_u32_e32 0x387fffff, v6
	s_xor_b32 s8, exec_lo, s8
; %bb.99:
	v_bfe_u32 v3, v2, 21, 1
	v_add3_u32 v3, v2, v3, 0x80fffff
	v_lshrrev_b32_e32 v3, 21, v3
; %bb.100:
	s_andn2_saveexec_b32 s8, s8
; %bb.101:
	v_add_f32_e64 v3, 0x43000000, |v2|
; %bb.102:
	s_or_b32 exec_lo, exec_lo, s8
                                        ; implicit-def: $vgpr6
.LBB86_103:
	s_andn2_saveexec_b32 s7, s7
; %bb.104:
	v_mov_b32_e32 v3, 0x7f
	v_cmp_lt_u32_e32 vcc_lo, 0x7f800000, v6
	v_cndmask_b32_e32 v3, 0x7c, v3, vcc_lo
; %bb.105:
	s_or_b32 exec_lo, exec_lo, s7
	v_lshrrev_b32_e32 v2, 24, v2
	v_and_or_b32 v2, 0x80, v2, v3
	global_store_byte v[4:5], v2, off
.LBB86_106:
	s_mov_b32 s8, 0
	s_mov_b32 s7, -1
.LBB86_107:
	s_andn2_b32 vcc_lo, exec_lo, s8
	s_cbranch_vccnz .LBB86_115
; %bb.108:
	s_cmp_gt_i32 s6, 14
	s_mov_b32 s8, -1
	s_cbranch_scc0 .LBB86_112
; %bb.109:
	s_cmp_eq_u32 s6, 15
	s_mov_b32 s4, -1
	s_cbranch_scc0 .LBB86_111
; %bb.110:
	v_cvt_f32_f64_e32 v2, v[0:1]
	s_mov_b32 s7, -1
	s_mov_b32 s4, 0
	v_bfe_u32 v3, v2, 16, 1
	v_cmp_o_f32_e32 vcc_lo, v2, v2
	v_add3_u32 v2, v2, v3, 0x7fff
	v_mov_b32_e32 v3, 0x7fc0
	v_cndmask_b32_sdwa v2, v3, v2, vcc_lo dst_sel:DWORD dst_unused:UNUSED_PAD src0_sel:DWORD src1_sel:WORD_1
	global_store_short v[4:5], v2, off
.LBB86_111:
	s_mov_b32 s8, 0
.LBB86_112:
	s_and_b32 vcc_lo, exec_lo, s8
	s_cbranch_vccz .LBB86_115
; %bb.113:
	s_cmp_eq_u32 s6, 11
	s_mov_b32 s4, -1
	s_cbranch_scc0 .LBB86_115
; %bb.114:
	v_cmp_neq_f64_e32 vcc_lo, 0, v[0:1]
	s_mov_b32 s7, -1
	s_mov_b32 s4, 0
	v_cndmask_b32_e64 v2, 0, 1, vcc_lo
	global_store_byte v[4:5], v2, off
.LBB86_115:
	s_branch .LBB86_34
.LBB86_116:
	s_and_b32 s5, 0xffff, s5
	s_mov_b32 s6, -1
	s_cmp_lt_i32 s5, 5
	s_cbranch_scc1 .LBB86_137
; %bb.117:
	s_cmp_lt_i32 s5, 8
	s_cbranch_scc1 .LBB86_127
; %bb.118:
	;; [unrolled: 3-line block ×3, first 2 shown]
	s_cmp_gt_i32 s5, 9
	s_cbranch_scc0 .LBB86_121
; %bb.120:
	v_mov_b32_e32 v2, 0
	s_mov_b32 s6, 0
	v_mov_b32_e32 v3, v2
	global_store_dwordx4 v[4:5], v[0:3], off
.LBB86_121:
	s_andn2_b32 vcc_lo, exec_lo, s6
	s_cbranch_vccnz .LBB86_123
; %bb.122:
	v_cvt_f32_f64_e32 v2, v[0:1]
	v_mov_b32_e32 v3, 0
	global_store_dwordx2 v[4:5], v[2:3], off
.LBB86_123:
	s_mov_b32 s6, 0
.LBB86_124:
	s_andn2_b32 vcc_lo, exec_lo, s6
	s_cbranch_vccnz .LBB86_126
; %bb.125:
	v_and_or_b32 v2, 0x1ff, v1, v0
	v_lshrrev_b32_e32 v3, 8, v1
	v_bfe_u32 v6, v1, 20, 11
	v_cmp_ne_u32_e32 vcc_lo, 0, v2
	v_sub_nc_u32_e32 v7, 0x3f1, v6
	v_add_nc_u32_e32 v6, 0xfffffc10, v6
	v_cndmask_b32_e64 v2, 0, 1, vcc_lo
	v_and_or_b32 v2, 0xffe, v3, v2
	v_med3_i32 v3, v7, 0, 13
	v_or_b32_e32 v7, 0x1000, v2
	v_lshrrev_b32_e32 v8, v3, v7
	v_lshlrev_b32_e32 v3, v3, v8
	v_cmp_ne_u32_e32 vcc_lo, v3, v7
	v_lshl_or_b32 v7, v6, 12, v2
	v_cndmask_b32_e64 v3, 0, 1, vcc_lo
	v_cmp_gt_i32_e32 vcc_lo, 1, v6
	v_or_b32_e32 v3, v8, v3
	v_cndmask_b32_e32 v3, v7, v3, vcc_lo
	v_and_b32_e32 v7, 7, v3
	v_lshrrev_b32_e32 v3, 2, v3
	v_cmp_lt_i32_e32 vcc_lo, 5, v7
	v_cndmask_b32_e64 v8, 0, 1, vcc_lo
	v_cmp_eq_u32_e32 vcc_lo, 3, v7
	v_cndmask_b32_e64 v7, 0, 1, vcc_lo
	v_cmp_ne_u32_e32 vcc_lo, 0, v2
	v_or_b32_e32 v7, v7, v8
	v_mov_b32_e32 v8, 0x7e00
	v_add_nc_u32_e32 v3, v3, v7
	v_cndmask_b32_e32 v2, 0x7c00, v8, vcc_lo
	v_cmp_gt_i32_e32 vcc_lo, 31, v6
	v_cndmask_b32_e32 v3, 0x7c00, v3, vcc_lo
	v_cmp_eq_u32_e32 vcc_lo, 0x40f, v6
	v_cndmask_b32_e32 v2, v3, v2, vcc_lo
	v_lshrrev_b32_e32 v3, 16, v1
	v_and_or_b32 v2, 0x8000, v3, v2
	v_and_b32_e32 v2, 0xffff, v2
	global_store_dword v[4:5], v2, off
.LBB86_126:
	s_mov_b32 s6, 0
.LBB86_127:
	s_andn2_b32 vcc_lo, exec_lo, s6
	s_cbranch_vccnz .LBB86_136
; %bb.128:
	s_cmp_lt_i32 s5, 6
	s_mov_b32 s6, -1
	s_cbranch_scc1 .LBB86_134
; %bb.129:
	s_cmp_gt_i32 s5, 6
	s_cbranch_scc0 .LBB86_131
; %bb.130:
	s_mov_b32 s6, 0
	global_store_dwordx2 v[4:5], v[0:1], off
.LBB86_131:
	s_andn2_b32 vcc_lo, exec_lo, s6
	s_cbranch_vccnz .LBB86_133
; %bb.132:
	v_cvt_f32_f64_e32 v2, v[0:1]
	global_store_dword v[4:5], v2, off
.LBB86_133:
	s_mov_b32 s6, 0
.LBB86_134:
	s_andn2_b32 vcc_lo, exec_lo, s6
	s_cbranch_vccnz .LBB86_136
; %bb.135:
	v_and_or_b32 v2, 0x1ff, v1, v0
	v_lshrrev_b32_e32 v3, 8, v1
	v_bfe_u32 v6, v1, 20, 11
	v_cmp_ne_u32_e32 vcc_lo, 0, v2
	v_sub_nc_u32_e32 v7, 0x3f1, v6
	v_add_nc_u32_e32 v6, 0xfffffc10, v6
	v_cndmask_b32_e64 v2, 0, 1, vcc_lo
	v_and_or_b32 v2, 0xffe, v3, v2
	v_med3_i32 v3, v7, 0, 13
	v_or_b32_e32 v7, 0x1000, v2
	v_lshrrev_b32_e32 v8, v3, v7
	v_lshlrev_b32_e32 v3, v3, v8
	v_cmp_ne_u32_e32 vcc_lo, v3, v7
	v_lshl_or_b32 v7, v6, 12, v2
	v_cndmask_b32_e64 v3, 0, 1, vcc_lo
	v_cmp_gt_i32_e32 vcc_lo, 1, v6
	v_or_b32_e32 v3, v8, v3
	v_cndmask_b32_e32 v3, v7, v3, vcc_lo
	v_and_b32_e32 v7, 7, v3
	v_lshrrev_b32_e32 v3, 2, v3
	v_cmp_lt_i32_e32 vcc_lo, 5, v7
	v_cndmask_b32_e64 v8, 0, 1, vcc_lo
	v_cmp_eq_u32_e32 vcc_lo, 3, v7
	v_cndmask_b32_e64 v7, 0, 1, vcc_lo
	v_cmp_ne_u32_e32 vcc_lo, 0, v2
	v_or_b32_e32 v7, v7, v8
	v_mov_b32_e32 v8, 0x7e00
	v_add_nc_u32_e32 v3, v3, v7
	v_cndmask_b32_e32 v2, 0x7c00, v8, vcc_lo
	v_cmp_gt_i32_e32 vcc_lo, 31, v6
	v_cndmask_b32_e32 v3, 0x7c00, v3, vcc_lo
	v_cmp_eq_u32_e32 vcc_lo, 0x40f, v6
	v_cndmask_b32_e32 v2, v3, v2, vcc_lo
	v_lshrrev_b32_e32 v3, 16, v1
	v_and_or_b32 v2, 0x8000, v3, v2
	global_store_short v[4:5], v2, off
.LBB86_136:
	s_mov_b32 s6, 0
.LBB86_137:
	s_andn2_b32 vcc_lo, exec_lo, s6
	s_cbranch_vccnz .LBB86_153
; %bb.138:
	s_cmp_lt_i32 s5, 2
	s_mov_b32 s6, -1
	s_cbranch_scc1 .LBB86_148
; %bb.139:
	s_cmp_lt_i32 s5, 3
	s_cbranch_scc1 .LBB86_145
; %bb.140:
	s_cmp_gt_i32 s5, 3
	s_cbranch_scc0 .LBB86_142
; %bb.141:
	v_trunc_f64_e32 v[2:3], v[0:1]
	s_mov_b32 s6, 0
	v_ldexp_f64 v[6:7], v[2:3], 0xffffffe0
	v_floor_f64_e32 v[6:7], v[6:7]
	v_fma_f64 v[2:3], 0xc1f00000, v[6:7], v[2:3]
	v_cvt_i32_f64_e32 v7, v[6:7]
	v_cvt_u32_f64_e32 v6, v[2:3]
	global_store_dwordx2 v[4:5], v[6:7], off
.LBB86_142:
	s_andn2_b32 vcc_lo, exec_lo, s6
	s_cbranch_vccnz .LBB86_144
; %bb.143:
	v_cvt_i32_f64_e32 v2, v[0:1]
	global_store_dword v[4:5], v2, off
.LBB86_144:
	s_mov_b32 s6, 0
.LBB86_145:
	s_andn2_b32 vcc_lo, exec_lo, s6
	s_cbranch_vccnz .LBB86_147
; %bb.146:
	v_cvt_i32_f64_e32 v2, v[0:1]
	global_store_short v[4:5], v2, off
.LBB86_147:
	s_mov_b32 s6, 0
.LBB86_148:
	s_andn2_b32 vcc_lo, exec_lo, s6
	s_cbranch_vccnz .LBB86_153
; %bb.149:
	s_cmp_gt_i32 s5, 0
	s_mov_b32 s5, -1
	s_cbranch_scc0 .LBB86_151
; %bb.150:
	v_cvt_i32_f64_e32 v2, v[0:1]
	s_mov_b32 s5, 0
	global_store_byte v[4:5], v2, off
.LBB86_151:
	s_andn2_b32 vcc_lo, exec_lo, s5
	s_cbranch_vccnz .LBB86_153
; %bb.152:
	v_trunc_f64_e32 v[0:1], v[0:1]
	v_ldexp_f64 v[2:3], v[0:1], 0xffffffe0
	v_floor_f64_e32 v[2:3], v[2:3]
	v_fma_f64 v[0:1], 0xc1f00000, v[2:3], v[0:1]
	v_cvt_u32_f64_e32 v0, v[0:1]
	global_store_byte v[4:5], v0, off
.LBB86_153:
.LBB86_154:
	v_add_nc_u32_e32 v43, 0x80, v43
	s_mov_b32 s5, -1
	s_branch .LBB86_265
.LBB86_155:
	s_mov_b32 s66, -1
                                        ; implicit-def: $vgpr2_vgpr3
.LBB86_156:
	s_mov_b32 s6, 0
.LBB86_157:
	s_and_b32 vcc_lo, exec_lo, s6
	s_cbranch_vccz .LBB86_161
; %bb.158:
	s_cmp_eq_u32 s4, 29
	s_cbranch_scc0 .LBB86_160
; %bb.159:
	global_load_dwordx2 v[2:3], v[0:1], off
	s_mov_b32 s5, -1
	s_mov_b32 s66, 0
	s_mov_b32 s6, 0
	s_waitcnt vmcnt(0)
	v_cvt_f64_u32_e32 v[3:4], v3
	v_cvt_f64_u32_e32 v[5:6], v2
	v_ldexp_f64 v[3:4], v[3:4], 32
	v_add_f64 v[2:3], v[3:4], v[5:6]
	s_branch .LBB86_162
.LBB86_160:
	s_mov_b32 s66, -1
                                        ; implicit-def: $vgpr2_vgpr3
.LBB86_161:
	s_mov_b32 s6, 0
.LBB86_162:
	s_and_b32 vcc_lo, exec_lo, s6
	s_cbranch_vccz .LBB86_182
; %bb.163:
	s_cmp_lt_i32 s4, 27
	s_cbranch_scc1 .LBB86_166
; %bb.164:
	s_cmp_gt_i32 s4, 27
	s_cbranch_scc0 .LBB86_167
; %bb.165:
	global_load_dword v2, v[0:1], off
	s_mov_b32 s5, 0
	s_waitcnt vmcnt(0)
	v_cvt_f64_u32_e32 v[2:3], v2
	s_branch .LBB86_168
.LBB86_166:
	s_mov_b32 s5, -1
                                        ; implicit-def: $vgpr2_vgpr3
	s_branch .LBB86_171
.LBB86_167:
	s_mov_b32 s5, -1
                                        ; implicit-def: $vgpr2_vgpr3
.LBB86_168:
	s_andn2_b32 vcc_lo, exec_lo, s5
	s_cbranch_vccnz .LBB86_170
; %bb.169:
	global_load_ushort v2, v[0:1], off
	s_waitcnt vmcnt(0)
	v_cvt_f64_u32_e32 v[2:3], v2
.LBB86_170:
	s_mov_b32 s5, 0
.LBB86_171:
	s_andn2_b32 vcc_lo, exec_lo, s5
	s_cbranch_vccnz .LBB86_181
; %bb.172:
	global_load_ubyte v4, v[0:1], off
	s_mov_b32 s5, 0
	s_mov_b32 s6, exec_lo
	s_waitcnt vmcnt(0)
	v_cmpx_lt_i16_e32 0x7f, v4
	s_xor_b32 s6, exec_lo, s6
	s_cbranch_execz .LBB86_176
; %bb.173:
	s_mov_b32 s5, -1
	s_mov_b32 s7, exec_lo
	v_cmpx_eq_u16_e32 0x80, v4
; %bb.174:
	s_xor_b32 s5, exec_lo, -1
; %bb.175:
	s_or_b32 exec_lo, exec_lo, s7
	s_and_b32 s5, s5, exec_lo
.LBB86_176:
	s_or_saveexec_b32 s6, s6
	v_bfrev_b32_e32 v2, 4
	v_mov_b32_e32 v3, 0x7ff80000
	s_xor_b32 exec_lo, exec_lo, s6
; %bb.177:
	v_cmp_ne_u16_e32 vcc_lo, 0, v4
	v_mov_b32_e32 v2, 0
	v_mov_b32_e32 v3, 0
	s_andn2_b32 s5, s5, exec_lo
	s_and_b32 s7, vcc_lo, exec_lo
	s_or_b32 s5, s5, s7
; %bb.178:
	s_or_b32 exec_lo, exec_lo, s6
	s_and_saveexec_b32 s6, s5
	s_cbranch_execz .LBB86_180
; %bb.179:
	v_and_b32_e32 v2, 0xffff, v4
	v_lshlrev_b32_e32 v4, 24, v4
	v_and_b32_e32 v3, 7, v2
	v_bfe_u32 v7, v2, 3, 4
	v_ffbh_u32_e32 v5, v3
	v_cmp_eq_u32_e32 vcc_lo, 0, v7
	v_min_u32_e32 v5, 32, v5
	v_subrev_nc_u32_e32 v6, 28, v5
	v_sub_nc_u32_e32 v5, 29, v5
	v_lshlrev_b32_e32 v2, v6, v2
	v_cndmask_b32_e32 v5, v7, v5, vcc_lo
	v_and_b32_e32 v2, 7, v2
	v_cndmask_b32_e32 v2, v3, v2, vcc_lo
	v_and_b32_e32 v3, 0x80000000, v4
	v_lshl_add_u32 v4, v5, 23, 0x3b800000
	v_lshlrev_b32_e32 v2, 20, v2
	v_or3_b32 v2, v3, v4, v2
	v_cvt_f64_f32_e32 v[2:3], v2
.LBB86_180:
	s_or_b32 exec_lo, exec_lo, s6
.LBB86_181:
	s_mov_b32 s5, -1
.LBB86_182:
	s_branch .LBB86_215
.LBB86_183:
	s_cmp_gt_i32 s4, 22
	s_cbranch_scc0 .LBB86_195
; %bb.184:
	s_cmp_lt_i32 s4, 24
	s_cbranch_scc1 .LBB86_196
; %bb.185:
	s_cmp_gt_i32 s4, 24
	s_cbranch_scc0 .LBB86_197
; %bb.186:
	global_load_ubyte v4, v[0:1], off
	s_mov_b32 s5, 0
	s_mov_b32 s6, exec_lo
	s_waitcnt vmcnt(0)
	v_cmpx_lt_i16_e32 0x7f, v4
	s_xor_b32 s6, exec_lo, s6
	s_cbranch_execz .LBB86_190
; %bb.187:
	s_mov_b32 s5, -1
	s_mov_b32 s7, exec_lo
	v_cmpx_eq_u16_e32 0x80, v4
; %bb.188:
	s_xor_b32 s5, exec_lo, -1
; %bb.189:
	s_or_b32 exec_lo, exec_lo, s7
	s_and_b32 s5, s5, exec_lo
.LBB86_190:
	s_or_saveexec_b32 s6, s6
	v_bfrev_b32_e32 v2, 4
	v_mov_b32_e32 v3, 0x7ff80000
	s_xor_b32 exec_lo, exec_lo, s6
; %bb.191:
	v_cmp_ne_u16_e32 vcc_lo, 0, v4
	v_mov_b32_e32 v2, 0
	v_mov_b32_e32 v3, 0
	s_andn2_b32 s5, s5, exec_lo
	s_and_b32 s7, vcc_lo, exec_lo
	s_or_b32 s5, s5, s7
; %bb.192:
	s_or_b32 exec_lo, exec_lo, s6
	s_and_saveexec_b32 s6, s5
	s_cbranch_execz .LBB86_194
; %bb.193:
	v_and_b32_e32 v2, 0xffff, v4
	v_lshlrev_b32_e32 v4, 24, v4
	v_and_b32_e32 v3, 3, v2
	v_bfe_u32 v7, v2, 2, 5
	v_ffbh_u32_e32 v5, v3
	v_cmp_eq_u32_e32 vcc_lo, 0, v7
	v_min_u32_e32 v5, 32, v5
	v_subrev_nc_u32_e32 v6, 29, v5
	v_sub_nc_u32_e32 v5, 30, v5
	v_lshlrev_b32_e32 v2, v6, v2
	v_cndmask_b32_e32 v5, v7, v5, vcc_lo
	v_and_b32_e32 v2, 3, v2
	v_cndmask_b32_e32 v2, v3, v2, vcc_lo
	v_and_b32_e32 v3, 0x80000000, v4
	v_lshl_add_u32 v4, v5, 23, 0x37800000
	v_lshlrev_b32_e32 v2, 21, v2
	v_or3_b32 v2, v3, v4, v2
	v_cvt_f64_f32_e32 v[2:3], v2
.LBB86_194:
	s_or_b32 exec_lo, exec_lo, s6
	s_mov_b32 s5, 0
	s_branch .LBB86_198
.LBB86_195:
	s_mov_b32 s6, -1
                                        ; implicit-def: $vgpr2_vgpr3
	s_branch .LBB86_204
.LBB86_196:
	s_mov_b32 s5, -1
                                        ; implicit-def: $vgpr2_vgpr3
	s_branch .LBB86_201
.LBB86_197:
	s_mov_b32 s5, -1
                                        ; implicit-def: $vgpr2_vgpr3
.LBB86_198:
	s_and_b32 vcc_lo, exec_lo, s5
	s_cbranch_vccz .LBB86_200
; %bb.199:
	global_load_ubyte v2, v[0:1], off
	s_waitcnt vmcnt(0)
	v_lshlrev_b32_e32 v2, 24, v2
	v_and_b32_e32 v3, 0x7f000000, v2
	v_ffbh_u32_e32 v4, v3
	v_add_nc_u32_e32 v6, 0x1000000, v3
	v_cmp_ne_u32_e32 vcc_lo, 0, v3
	v_min_u32_e32 v4, 32, v4
	v_sub_nc_u32_e64 v4, v4, 4 clamp
	v_lshlrev_b32_e32 v5, v4, v3
	v_lshlrev_b32_e32 v4, 23, v4
	v_lshrrev_b32_e32 v5, 4, v5
	v_sub_nc_u32_e32 v4, v5, v4
	v_ashrrev_i32_e32 v5, 8, v6
	v_add_nc_u32_e32 v4, 0x3c000000, v4
	v_and_or_b32 v4, 0x7f800000, v5, v4
	v_cndmask_b32_e32 v3, 0, v4, vcc_lo
	v_and_or_b32 v2, 0x80000000, v2, v3
	v_cvt_f64_f32_e32 v[2:3], v2
.LBB86_200:
	s_mov_b32 s5, 0
.LBB86_201:
	s_andn2_b32 vcc_lo, exec_lo, s5
	s_cbranch_vccnz .LBB86_203
; %bb.202:
	global_load_ubyte v2, v[0:1], off
	s_waitcnt vmcnt(0)
	v_lshlrev_b32_e32 v3, 25, v2
	v_lshlrev_b16 v2, 8, v2
	v_lshrrev_b32_e32 v4, 4, v3
	v_and_or_b32 v5, 0x7f00, v2, 0.5
	v_cmp_gt_u32_e32 vcc_lo, 0x8000000, v3
	v_bfe_i32 v2, v2, 0, 16
	v_or_b32_e32 v4, 0x70000000, v4
	v_add_f32_e32 v5, -0.5, v5
	v_mul_f32_e32 v4, 0x7800000, v4
	v_cndmask_b32_e32 v3, v4, v5, vcc_lo
	v_and_or_b32 v2, 0x80000000, v2, v3
	v_cvt_f64_f32_e32 v[2:3], v2
.LBB86_203:
	s_mov_b32 s6, 0
	s_mov_b32 s5, -1
.LBB86_204:
	s_andn2_b32 vcc_lo, exec_lo, s6
	s_cbranch_vccnz .LBB86_215
; %bb.205:
	s_cmp_gt_i32 s4, 14
	s_cbranch_scc0 .LBB86_208
; %bb.206:
	s_cmp_eq_u32 s4, 15
	s_cbranch_scc0 .LBB86_209
; %bb.207:
	global_load_ushort v2, v[0:1], off
	s_mov_b32 s5, -1
	s_mov_b32 s66, 0
	s_waitcnt vmcnt(0)
	v_lshlrev_b32_e32 v2, 16, v2
	v_cvt_f64_f32_e32 v[2:3], v2
	s_branch .LBB86_210
.LBB86_208:
	s_mov_b32 s6, -1
                                        ; implicit-def: $vgpr2_vgpr3
	s_branch .LBB86_211
.LBB86_209:
	s_mov_b32 s66, -1
                                        ; implicit-def: $vgpr2_vgpr3
.LBB86_210:
	s_mov_b32 s6, 0
.LBB86_211:
	s_and_b32 vcc_lo, exec_lo, s6
	s_cbranch_vccz .LBB86_215
; %bb.212:
	s_cmp_eq_u32 s4, 11
	s_cbranch_scc0 .LBB86_214
; %bb.213:
	global_load_ubyte v2, v[0:1], off
	s_mov_b32 s66, 0
	s_mov_b32 s5, -1
	s_waitcnt vmcnt(0)
	v_cmp_ne_u16_e32 vcc_lo, 0, v2
	v_mov_b32_e32 v2, 0
	v_cndmask_b32_e64 v3, 0, 0x3ff00000, vcc_lo
	s_branch .LBB86_215
.LBB86_214:
	s_mov_b32 s66, -1
                                        ; implicit-def: $vgpr2_vgpr3
.LBB86_215:
	s_branch .LBB86_24
.LBB86_216:
	s_cmp_lt_i32 s4, 5
	s_cbranch_scc1 .LBB86_221
; %bb.217:
	s_cmp_lt_i32 s4, 8
	s_cbranch_scc1 .LBB86_222
; %bb.218:
	;; [unrolled: 3-line block ×3, first 2 shown]
	s_cmp_gt_i32 s4, 9
	s_cbranch_scc0 .LBB86_224
; %bb.220:
	global_load_dwordx2 v[2:3], v[0:1], off
	s_mov_b32 s5, 0
	s_branch .LBB86_225
.LBB86_221:
                                        ; implicit-def: $vgpr2_vgpr3
	s_branch .LBB86_243
.LBB86_222:
	s_mov_b32 s5, -1
                                        ; implicit-def: $vgpr2_vgpr3
	s_branch .LBB86_231
.LBB86_223:
	s_mov_b32 s5, -1
                                        ; implicit-def: $vgpr2_vgpr3
	s_branch .LBB86_228
.LBB86_224:
	s_mov_b32 s5, -1
                                        ; implicit-def: $vgpr2_vgpr3
.LBB86_225:
	s_andn2_b32 vcc_lo, exec_lo, s5
	s_cbranch_vccnz .LBB86_227
; %bb.226:
	global_load_dword v2, v[0:1], off
	s_waitcnt vmcnt(0)
	v_cvt_f64_f32_e32 v[2:3], v2
.LBB86_227:
	s_mov_b32 s5, 0
.LBB86_228:
	s_andn2_b32 vcc_lo, exec_lo, s5
	s_cbranch_vccnz .LBB86_230
; %bb.229:
	global_load_dword v2, v[0:1], off
	s_waitcnt vmcnt(0)
	v_cvt_f32_f16_e32 v2, v2
	v_cvt_f64_f32_e32 v[2:3], v2
.LBB86_230:
	s_mov_b32 s5, 0
.LBB86_231:
	s_andn2_b32 vcc_lo, exec_lo, s5
	s_cbranch_vccnz .LBB86_242
; %bb.232:
	s_cmp_lt_i32 s4, 6
	s_cbranch_scc1 .LBB86_235
; %bb.233:
	s_cmp_gt_i32 s4, 6
	s_cbranch_scc0 .LBB86_236
; %bb.234:
	global_load_dwordx2 v[2:3], v[0:1], off
	s_mov_b32 s5, 0
	s_branch .LBB86_237
.LBB86_235:
	s_mov_b32 s5, -1
                                        ; implicit-def: $vgpr2_vgpr3
	s_branch .LBB86_240
.LBB86_236:
	s_mov_b32 s5, -1
                                        ; implicit-def: $vgpr2_vgpr3
.LBB86_237:
	s_andn2_b32 vcc_lo, exec_lo, s5
	s_cbranch_vccnz .LBB86_239
; %bb.238:
	global_load_dword v2, v[0:1], off
	s_waitcnt vmcnt(0)
	v_cvt_f64_f32_e32 v[2:3], v2
.LBB86_239:
	s_mov_b32 s5, 0
.LBB86_240:
	s_andn2_b32 vcc_lo, exec_lo, s5
	s_cbranch_vccnz .LBB86_242
; %bb.241:
	global_load_ushort v2, v[0:1], off
	s_waitcnt vmcnt(0)
	v_cvt_f32_f16_e32 v2, v2
	v_cvt_f64_f32_e32 v[2:3], v2
.LBB86_242:
	s_cbranch_execnz .LBB86_262
.LBB86_243:
	s_cmp_lt_i32 s4, 2
	s_cbranch_scc1 .LBB86_247
; %bb.244:
	s_cmp_lt_i32 s4, 3
	s_cbranch_scc1 .LBB86_248
; %bb.245:
	s_cmp_gt_i32 s4, 3
	s_cbranch_scc0 .LBB86_249
; %bb.246:
	global_load_dwordx2 v[2:3], v[0:1], off
	s_mov_b32 s5, 0
	s_waitcnt vmcnt(0)
	v_cvt_f64_i32_e32 v[3:4], v3
	v_cvt_f64_u32_e32 v[5:6], v2
	v_ldexp_f64 v[3:4], v[3:4], 32
	v_add_f64 v[2:3], v[3:4], v[5:6]
	s_branch .LBB86_250
.LBB86_247:
	s_mov_b32 s5, -1
                                        ; implicit-def: $vgpr2_vgpr3
	s_branch .LBB86_256
.LBB86_248:
	s_mov_b32 s5, -1
                                        ; implicit-def: $vgpr2_vgpr3
	s_branch .LBB86_253
.LBB86_249:
	s_mov_b32 s5, -1
                                        ; implicit-def: $vgpr2_vgpr3
.LBB86_250:
	s_andn2_b32 vcc_lo, exec_lo, s5
	s_cbranch_vccnz .LBB86_252
; %bb.251:
	global_load_dword v2, v[0:1], off
	s_waitcnt vmcnt(0)
	v_cvt_f64_i32_e32 v[2:3], v2
.LBB86_252:
	s_mov_b32 s5, 0
.LBB86_253:
	s_andn2_b32 vcc_lo, exec_lo, s5
	s_cbranch_vccnz .LBB86_255
; %bb.254:
	global_load_sshort v2, v[0:1], off
	s_waitcnt vmcnt(0)
	v_cvt_f64_i32_e32 v[2:3], v2
.LBB86_255:
	s_mov_b32 s5, 0
.LBB86_256:
	s_andn2_b32 vcc_lo, exec_lo, s5
	s_cbranch_vccnz .LBB86_262
; %bb.257:
	s_cmp_gt_i32 s4, 0
	s_mov_b32 s4, 0
	s_cbranch_scc0 .LBB86_259
; %bb.258:
	global_load_sbyte v2, v[0:1], off
	s_waitcnt vmcnt(0)
	v_cvt_f64_i32_e32 v[2:3], v2
	s_branch .LBB86_260
.LBB86_259:
	s_mov_b32 s4, -1
                                        ; implicit-def: $vgpr2_vgpr3
.LBB86_260:
	s_andn2_b32 vcc_lo, exec_lo, s4
	s_cbranch_vccnz .LBB86_262
; %bb.261:
	global_load_ubyte v0, v[0:1], off
	s_waitcnt vmcnt(0)
	v_cvt_f64_u32_e32 v[2:3], v0
.LBB86_262:
	s_branch .LBB86_25
.LBB86_263:
	s_mov_b32 s4, 0
.LBB86_264:
	s_mov_b32 s5, 0
                                        ; implicit-def: $vgpr43
.LBB86_265:
	s_and_b32 s80, s4, exec_lo
	s_and_b32 s103, s66, exec_lo
	s_orn2_b32 s5, s5, exec_lo
.LBB86_266:
	s_or_b32 exec_lo, exec_lo, s65
	s_mov_b32 s6, 0
	s_mov_b32 s4, 0
                                        ; implicit-def: $vgpr0_vgpr1
                                        ; implicit-def: $vgpr41
                                        ; implicit-def: $vgpr2_vgpr3
	s_and_saveexec_b32 s52, s5
	s_cbranch_execz .LBB86_273
; %bb.267:
	s_mov_b32 s4, -1
	s_mov_b32 s53, s103
	s_mov_b32 s54, exec_lo
                                        ; implicit-def: $vgpr47 : SGPR spill to VGPR lane
	v_writelane_b32 v47, s80, 0
	v_cmpx_gt_i32_e64 s34, v43
	s_cbranch_execz .LBB86_544
; %bb.268:
	s_andn2_b32 vcc_lo, exec_lo, s86
	s_cbranch_vccnz .LBB86_276
; %bb.269:
	s_andn2_b32 vcc_lo, exec_lo, s102
	s_cbranch_vccnz .LBB86_277
; %bb.270:
	s_add_i32 s9, s82, 1
	s_cmp_eq_u32 s39, 2
	s_cbranch_scc1 .LBB86_278
; %bb.271:
	v_mov_b32_e32 v0, 0
	v_mov_b32_e32 v41, 0
	;; [unrolled: 1-line block ×3, first 2 shown]
	s_and_b32 s8, s9, 28
	s_mov_b32 s10, 0
	s_mov_b64 s[4:5], s[50:51]
	s_mov_b64 s[6:7], s[84:85]
.LBB86_272:                             ; =>This Inner Loop Header: Depth=1
	s_clause 0x1
	s_load_dwordx8 s[12:19], s[4:5], 0x4
	s_load_dwordx4 s[28:31], s[4:5], 0x24
	s_load_dwordx8 s[20:27], s[6:7], 0x0
	s_add_u32 s4, s4, 48
	s_addc_u32 s5, s5, 0
	s_add_i32 s10, s10, 4
	s_add_u32 s6, s6, 32
	s_addc_u32 s7, s7, 0
	s_cmp_eq_u32 s8, s10
	s_waitcnt vmcnt(0) lgkmcnt(0)
	v_mul_hi_u32 v2, s13, v1
	v_add_nc_u32_e32 v2, v1, v2
	v_lshrrev_b32_e32 v2, s14, v2
	v_mul_hi_u32 v3, s16, v2
	v_mul_lo_u32 v5, v2, s12
	v_add_nc_u32_e32 v3, v2, v3
	v_sub_nc_u32_e32 v1, v1, v5
	v_lshrrev_b32_e32 v3, s17, v3
	v_mul_lo_u32 v5, v1, s20
	v_mul_lo_u32 v7, v1, s21
	v_mul_hi_u32 v4, s19, v3
	v_add_nc_u32_e32 v4, v3, v4
	v_lshrrev_b32_e32 v4, s28, v4
	v_mul_hi_u32 v6, s30, v4
	v_mul_lo_u32 v8, v4, s18
	v_add_nc_u32_e32 v1, v4, v6
	v_mul_lo_u32 v6, v3, s15
	v_sub_nc_u32_e32 v3, v3, v8
	v_lshrrev_b32_e32 v1, s31, v1
	v_mul_lo_u32 v8, v3, s24
	v_mul_lo_u32 v3, v3, s25
	v_sub_nc_u32_e32 v2, v2, v6
	v_mul_lo_u32 v9, v1, s29
	v_mul_lo_u32 v6, v2, s22
	;; [unrolled: 1-line block ×3, first 2 shown]
	v_sub_nc_u32_e32 v4, v4, v9
	v_add3_u32 v5, v5, v41, v6
	v_mul_lo_u32 v9, v4, s26
	v_mul_lo_u32 v4, v4, s27
	v_add3_u32 v0, v7, v0, v2
	v_add3_u32 v41, v8, v5, v9
	;; [unrolled: 1-line block ×3, first 2 shown]
	s_cbranch_scc0 .LBB86_272
	s_branch .LBB86_279
.LBB86_273:
	s_or_b32 exec_lo, exec_lo, s52
	s_mov_b32 s54, 0
	s_and_saveexec_b32 s5, s103
	s_cbranch_execnz .LBB86_922
.LBB86_274:
	s_or_b32 exec_lo, exec_lo, s5
	s_and_saveexec_b32 s5, s64
	s_xor_b32 s5, exec_lo, s5
	s_cbranch_execz .LBB86_923
.LBB86_275:
	global_load_ubyte v2, v[0:1], off
	s_or_b32 s4, s4, exec_lo
	s_waitcnt vmcnt(0)
	v_cmp_ne_u16_e32 vcc_lo, 0, v2
	v_mov_b32_e32 v2, 0
	v_cndmask_b32_e64 v3, 0, 0x3ff00000, vcc_lo
	s_or_b32 exec_lo, exec_lo, s5
	s_and_saveexec_b32 s5, s6
	s_cbranch_execz .LBB86_969
	s_branch .LBB86_924
.LBB86_276:
                                        ; implicit-def: $vgpr41
                                        ; implicit-def: $vgpr0
	s_andn2_b32 vcc_lo, exec_lo, s4
	s_cbranch_vccz .LBB86_283
	s_branch .LBB86_285
.LBB86_277:
	v_mov_b32_e32 v41, 0
	v_mov_b32_e32 v0, 0
	s_branch .LBB86_282
.LBB86_278:
	v_mov_b32_e32 v41, 0
	v_mov_b32_e32 v0, 0
	;; [unrolled: 1-line block ×3, first 2 shown]
	s_mov_b32 s8, 0
.LBB86_279:
	s_and_b32 s9, s9, 3
	s_cmp_eq_u32 s9, 0
	s_cbranch_scc1 .LBB86_282
; %bb.280:
	s_lshl_b32 s4, s8, 3
	s_mul_i32 s6, s8, 12
	s_add_u32 s4, s50, s4
	s_addc_u32 s5, s51, 0
	s_add_u32 s4, s4, 0xc4
	s_addc_u32 s5, s5, 0
	;; [unrolled: 2-line block ×3, first 2 shown]
	.p2align	6
.LBB86_281:                             ; =>This Inner Loop Header: Depth=1
	s_clause 0x1
	s_load_dwordx2 s[10:11], s[6:7], 0x4
	s_load_dword s8, s[6:7], 0xc
	s_load_dwordx2 s[12:13], s[4:5], 0x0
	s_add_u32 s6, s6, 12
	s_addc_u32 s7, s7, 0
	s_add_u32 s4, s4, 8
	s_addc_u32 s5, s5, 0
	s_add_i32 s9, s9, -1
	s_cmp_lg_u32 s9, 0
	s_waitcnt vmcnt(0) lgkmcnt(0)
	v_mul_hi_u32 v2, s11, v1
	v_add_nc_u32_e32 v2, v1, v2
	v_lshrrev_b32_e32 v2, s8, v2
	v_mul_lo_u32 v3, v2, s10
	v_sub_nc_u32_e32 v1, v1, v3
	v_mad_u64_u32 v[41:42], null, v1, s12, v[41:42]
	v_mad_u64_u32 v[0:1], null, v1, s13, v[0:1]
	v_mov_b32_e32 v1, v2
	s_cbranch_scc1 .LBB86_281
.LBB86_282:
	s_cbranch_execnz .LBB86_285
.LBB86_283:
	v_mul_hi_u32 v0, s45, v43
	s_andn2_b32 vcc_lo, exec_lo, s67
	v_add_nc_u32_e32 v0, v43, v0
	v_lshrrev_b32_e32 v1, s46, v0
	v_mul_lo_u32 v0, v1, s44
	v_sub_nc_u32_e32 v0, v43, v0
	v_mul_lo_u32 v41, v0, s40
	v_mul_lo_u32 v0, v0, s41
	s_cbranch_vccnz .LBB86_285
; %bb.284:
	s_waitcnt vmcnt(0)
	v_mul_hi_u32 v2, s100, v1
	v_add_nc_u32_e32 v2, v1, v2
	v_lshrrev_b32_e32 v2, s101, v2
	v_mul_lo_u32 v2, v2, s47
	v_sub_nc_u32_e32 v1, v1, v2
	v_mad_u64_u32 v[41:42], null, v1, s42, v[41:42]
	v_mad_u64_u32 v[0:1], null, v1, s43, v[0:1]
.LBB86_285:
	v_add_co_u32 v0, s4, s58, v0
	v_add_co_ci_u32_e64 v1, null, s59, 0, s4
	s_and_b32 s4, 0xffff, s97
	s_cmp_lt_i32 s4, 11
	s_cbranch_scc1 .LBB86_292
; %bb.286:
	s_cmp_gt_i32 s4, 25
	s_cbranch_scc0 .LBB86_301
; %bb.287:
	s_cmp_gt_i32 s4, 28
	s_cbranch_scc0 .LBB86_303
	;; [unrolled: 3-line block ×4, first 2 shown]
; %bb.290:
	s_cmp_eq_u32 s4, 46
	s_mov_b32 s6, 0
	s_cbranch_scc0 .LBB86_313
; %bb.291:
	global_load_dword v2, v[0:1], off
	s_mov_b32 s5, -1
	s_mov_b32 s11, 0
	s_waitcnt vmcnt(0)
	v_lshlrev_b32_e32 v2, 16, v2
	v_cvt_f64_f32_e32 v[2:3], v2
	s_branch .LBB86_315
.LBB86_292:
	s_mov_b32 s5, 0
	s_mov_b32 s11, s103
                                        ; implicit-def: $vgpr2_vgpr3
	s_cbranch_execnz .LBB86_493
.LBB86_293:
	s_andn2_b32 vcc_lo, exec_lo, s5
	s_cbranch_vccnz .LBB86_541
.LBB86_294:
	s_mov_b64 s[6:7], s[98:99]
	s_mov_b64 s[4:5], s[84:85]
	v_mov_b32_e32 v0, s6
	v_writelane_b32 v47, s6, 0
	v_mov_b32_e32 v1, s7
	s_mov_b32 s83, s67
	s_mov_b64 s[66:67], s[50:51]
	s_mov_b64 s[50:51], s[48:49]
	;; [unrolled: 1-line block ×3, first 2 shown]
	s_getpc_b64 s[4:5]
	s_add_u32 s4, s4, _ZZZZN2at6native21polygamma_kernel_cudaERNS_18TensorIteratorBaseElENKUlvE_clEvENKUlvE_clEvENKUldE_clEd@rel32@lo+4
	s_addc_u32 s5, s5, _ZZZZN2at6native21polygamma_kernel_cudaERNS_18TensorIteratorBaseElENKUlvE_clEvENKUlvE_clEvENKUldE_clEd@rel32@hi+12
	s_mov_b32 s84, s80
	s_mov_b32 s104, s39
	;; [unrolled: 1-line block ×7, first 2 shown]
	s_mov_b64 s[54:55], s[46:47]
	s_mov_b64 s[70:71], s[42:43]
	s_mov_b32 s80, s96
	s_mov_b64 s[98:99], s[58:59]
	s_mov_b32 s85, s11
	s_mov_b32 s64, s33
	;; [unrolled: 1-line block ×3, first 2 shown]
	s_mov_b64 s[52:53], s[44:45]
	s_mov_b64 s[68:69], s[40:41]
	v_writelane_b32 v47, s7, 1
	s_mov_b64 s[96:97], s[56:57]
	s_swappc_b64 s[30:31], s[4:5]
	s_mov_b64 s[56:57], s[96:97]
	s_and_b32 s5, s80, 0xff
	v_add_co_u32 v4, s4, s56, v41
	v_add_co_ci_u32_e64 v5, null, s57, 0, s4
	s_mov_b64 s[58:59], s[98:99]
	s_mov_b32 s96, s80
	s_cmp_lt_i32 s5, 11
	s_cbranch_scc1 .LBB86_302
; %bb.295:
	s_and_b32 s6, 0xffff, s5
	s_mov_b32 s80, s84
	s_cmp_gt_i32 s6, 25
	s_cbranch_scc0 .LBB86_304
; %bb.296:
	s_mov_b64 s[40:41], s[68:69]
	s_mov_b64 s[44:45], s[52:53]
	s_cmp_gt_i32 s6, 28
	s_mov_b64 s[42:43], s[70:71]
	s_mov_b64 s[46:47], s[54:55]
	;; [unrolled: 1-line block ×3, first 2 shown]
	s_cbranch_scc0 .LBB86_306
; %bb.297:
	v_readlane_b32 s98, v47, 0
	v_readlane_b32 s99, v47, 1
	s_cmp_gt_i32 s6, 43
	s_mov_b32 s69, 0
	s_mov_b32 s52, s87
	s_mov_b32 s54, s39
	s_mov_b64 s[48:49], s[50:51]
	s_mov_b32 s11, s85
	s_cbranch_scc0 .LBB86_310
; %bb.298:
	s_cmp_gt_i32 s6, 45
	s_mov_b32 s97, s81
	s_mov_b32 s34, s33
	;; [unrolled: 1-line block ×4, first 2 shown]
	s_mov_b64 s[50:51], s[66:67]
	s_cbranch_scc0 .LBB86_318
; %bb.299:
	s_mov_b32 s8, 0
	s_mov_b32 s4, -1
	s_cmp_eq_u32 s6, 46
	s_mov_b32 s7, 0
	s_mov_b32 s33, s64
	;; [unrolled: 1-line block ×3, first 2 shown]
	s_cbranch_scc0 .LBB86_319
; %bb.300:
	v_cvt_f32_f64_e32 v2, v[0:1]
	s_mov_b32 s7, -1
	s_mov_b32 s4, 0
	v_bfe_u32 v3, v2, 16, 1
	v_cmp_o_f32_e32 vcc_lo, v2, v2
	v_add3_u32 v2, v2, v3, 0x7fff
	v_mov_b32_e32 v3, 0x7fc0
	v_cndmask_b32_sdwa v2, v3, v2, vcc_lo dst_sel:DWORD dst_unused:UNUSED_PAD src0_sel:DWORD src1_sel:WORD_1
	global_store_dword v[4:5], v2, off
	s_branch .LBB86_319
.LBB86_301:
	s_mov_b32 s6, -1
	s_mov_b32 s5, 0
	s_mov_b32 s11, s103
                                        ; implicit-def: $vgpr2_vgpr3
	s_branch .LBB86_459
.LBB86_302:
	s_mov_b64 s[8:9], s[48:49]
	s_mov_b64 s[40:41], s[68:69]
	v_readlane_b32 s98, v47, 0
	s_mov_b64 s[44:45], s[52:53]
	s_mov_b32 s6, -1
	s_mov_b32 s7, 0
	s_mov_b32 s80, s84
	;; [unrolled: 1-line block ×3, first 2 shown]
	s_mov_b64 s[42:43], s[70:71]
	v_readlane_b32 s99, v47, 1
	s_mov_b64 s[46:47], s[54:55]
	s_mov_b32 s97, s81
	s_mov_b32 s34, s33
	;; [unrolled: 1-line block ×9, first 2 shown]
	s_mov_b64 s[48:49], s[50:51]
	s_mov_b64 s[50:51], s[66:67]
	s_mov_b32 s67, s83
	s_mov_b32 s11, s85
	s_mov_b64 s[84:85], s[8:9]
	s_branch .LBB86_389
.LBB86_303:
	s_mov_b32 s6, -1
	s_mov_b32 s5, 0
	s_mov_b32 s11, s103
                                        ; implicit-def: $vgpr2_vgpr3
	s_branch .LBB86_438
.LBB86_304:
	v_readlane_b32 s98, v47, 0
	v_readlane_b32 s99, v47, 1
	s_mov_b64 s[40:41], s[68:69]
	s_mov_b64 s[44:45], s[52:53]
	s_mov_b32 s8, -1
	s_mov_b32 s7, 0
	s_mov_b32 s4, s80
	s_mov_b64 s[42:43], s[70:71]
	s_mov_b64 s[46:47], s[54:55]
	s_mov_b32 s97, s81
	s_mov_b32 s34, s33
	;; [unrolled: 1-line block ×9, first 2 shown]
	s_mov_b64 s[12:13], s[48:49]
	s_mov_b64 s[48:49], s[50:51]
	;; [unrolled: 1-line block ×3, first 2 shown]
	s_mov_b32 s11, s85
	s_branch .LBB86_346
.LBB86_305:
	s_mov_b32 s6, -1
	s_mov_b32 s5, 0
	s_mov_b32 s11, s103
                                        ; implicit-def: $vgpr2_vgpr3
	s_branch .LBB86_433
.LBB86_306:
	v_readlane_b32 s98, v47, 0
	v_readlane_b32 s99, v47, 1
	s_mov_b32 s8, -1
	s_mov_b32 s7, 0
	s_mov_b32 s4, s80
	;; [unrolled: 1-line block ×11, first 2 shown]
	s_mov_b64 s[48:49], s[50:51]
	s_mov_b64 s[50:51], s[66:67]
	s_mov_b32 s11, s85
	s_branch .LBB86_329
.LBB86_307:
	s_andn2_saveexec_b32 s9, s9
	s_cbranch_execz .LBB86_68
.LBB86_308:
	v_add_f32_e64 v3, 0x46000000, |v2|
	s_andn2_b32 s8, s8, exec_lo
	v_and_b32_e32 v3, 0xff, v3
	v_cmp_ne_u32_e32 vcc_lo, 0, v3
	s_and_b32 s10, vcc_lo, exec_lo
	s_or_b32 s8, s8, s10
	s_or_b32 exec_lo, exec_lo, s9
	v_mov_b32_e32 v6, 0
	s_and_saveexec_b32 s9, s8
	s_cbranch_execnz .LBB86_69
	s_branch .LBB86_70
.LBB86_309:
	s_mov_b32 s6, -1
	s_mov_b32 s5, 0
	s_mov_b32 s11, s103
	s_branch .LBB86_314
.LBB86_310:
	s_mov_b32 s8, -1
	s_mov_b32 s7, 0
	s_mov_b32 s4, s80
	;; [unrolled: 1-line block ×8, first 2 shown]
	s_mov_b64 s[50:51], s[66:67]
	s_branch .LBB86_325
.LBB86_311:
	s_andn2_saveexec_b32 s9, s9
	s_cbranch_execz .LBB86_81
.LBB86_312:
	v_add_f32_e64 v3, 0x42800000, |v2|
	s_andn2_b32 s8, s8, exec_lo
	v_and_b32_e32 v3, 0xff, v3
	v_cmp_ne_u32_e32 vcc_lo, 0, v3
	s_and_b32 s10, vcc_lo, exec_lo
	s_or_b32 s8, s8, s10
	s_or_b32 exec_lo, exec_lo, s9
	v_mov_b32_e32 v6, 0
	s_and_saveexec_b32 s9, s8
	s_cbranch_execnz .LBB86_82
	s_branch .LBB86_83
.LBB86_313:
	s_mov_b32 s11, -1
	s_mov_b32 s5, 0
.LBB86_314:
                                        ; implicit-def: $vgpr2_vgpr3
.LBB86_315:
	s_and_b32 vcc_lo, exec_lo, s6
	s_cbranch_vccz .LBB86_432
; %bb.316:
	s_cmp_eq_u32 s4, 44
	s_cbranch_scc0 .LBB86_431
; %bb.317:
	global_load_ubyte v4, v[0:1], off
	s_mov_b32 s11, 0
	s_mov_b32 s5, -1
	s_waitcnt vmcnt(0)
	v_lshlrev_b32_e32 v2, 23, v4
	v_cmp_ne_u32_e32 vcc_lo, 0xff, v4
	v_cvt_f64_f32_e32 v[2:3], v2
	v_cndmask_b32_e32 v2, 0x20000000, v2, vcc_lo
	v_cndmask_b32_e32 v3, 0x7ff80000, v3, vcc_lo
	v_cmp_ne_u32_e32 vcc_lo, 0, v4
	v_cndmask_b32_e32 v3, 0x38000000, v3, vcc_lo
	v_cndmask_b32_e32 v2, 0, v2, vcc_lo
	s_branch .LBB86_432
.LBB86_318:
	s_mov_b32 s8, -1
	s_mov_b32 s7, 0
	s_mov_b32 s4, s80
	;; [unrolled: 1-line block ×4, first 2 shown]
.LBB86_319:
	s_and_b32 vcc_lo, exec_lo, s8
	s_cbranch_vccz .LBB86_324
; %bb.320:
	s_cmp_eq_u32 s6, 44
	s_mov_b32 s4, -1
	s_cbranch_scc0 .LBB86_324
; %bb.321:
	v_cvt_f32_f64_e32 v2, v[0:1]
	v_mov_b32_e32 v3, 0xff
	s_mov_b32 s7, exec_lo
	v_bfe_u32 v6, v2, 23, 8
	v_cmpx_ne_u32_e32 0xff, v6
	s_cbranch_execz .LBB86_323
; %bb.322:
	v_and_b32_e32 v3, 0x400000, v2
	v_and_or_b32 v6, 0x3fffff, v2, v6
	v_lshrrev_b32_e32 v2, 23, v2
	v_cmp_ne_u32_e32 vcc_lo, 0, v3
	v_cmp_ne_u32_e64 s4, 0, v6
	s_and_b32 s4, vcc_lo, s4
	v_cndmask_b32_e64 v3, 0, 1, s4
	v_add_nc_u32_e32 v3, v2, v3
.LBB86_323:
	s_or_b32 exec_lo, exec_lo, s7
	s_mov_b32 s7, -1
	s_mov_b32 s4, 0
	global_store_byte v[4:5], v3, off
.LBB86_324:
	s_mov_b32 s8, 0
.LBB86_325:
	s_and_b32 vcc_lo, exec_lo, s8
	s_cbranch_vccz .LBB86_328
; %bb.326:
	s_cmp_eq_u32 s6, 29
	s_mov_b32 s4, -1
	s_cbranch_scc0 .LBB86_328
; %bb.327:
	v_trunc_f64_e32 v[2:3], v[0:1]
	s_mov_b32 s7, -1
	s_mov_b32 s4, 0
	s_mov_b32 s8, 0
	v_ldexp_f64 v[6:7], v[2:3], 0xffffffe0
	v_floor_f64_e32 v[6:7], v[6:7]
	v_fma_f64 v[2:3], 0xc1f00000, v[6:7], v[2:3]
	v_cvt_u32_f64_e32 v7, v[6:7]
	v_cvt_u32_f64_e32 v6, v[2:3]
	global_store_dwordx2 v[4:5], v[6:7], off
	s_branch .LBB86_329
.LBB86_328:
	s_mov_b32 s8, 0
.LBB86_329:
	s_and_b32 vcc_lo, exec_lo, s8
	s_cbranch_vccz .LBB86_345
; %bb.330:
	s_cmp_lt_i32 s6, 27
	s_mov_b32 s7, -1
	s_cbranch_scc1 .LBB86_336
; %bb.331:
	v_cvt_u32_f64_e32 v2, v[0:1]
	s_cmp_gt_i32 s6, 27
	s_cbranch_scc0 .LBB86_333
; %bb.332:
	s_mov_b32 s7, 0
	global_store_dword v[4:5], v2, off
.LBB86_333:
	s_andn2_b32 vcc_lo, exec_lo, s7
	s_cbranch_vccnz .LBB86_335
; %bb.334:
	global_store_short v[4:5], v2, off
.LBB86_335:
	s_mov_b32 s7, 0
.LBB86_336:
	s_andn2_b32 vcc_lo, exec_lo, s7
	s_cbranch_vccnz .LBB86_344
; %bb.337:
	v_cvt_f32_f64_e32 v2, v[0:1]
	v_mov_b32_e32 v6, 0x80
	s_mov_b32 s7, exec_lo
	v_and_b32_e32 v3, 0x7fffffff, v2
	v_cmpx_gt_u32_e32 0x43800000, v3
	s_cbranch_execz .LBB86_343
; %bb.338:
	v_cmp_lt_u32_e32 vcc_lo, 0x3bffffff, v3
	s_mov_b32 s8, 0
                                        ; implicit-def: $vgpr3
	s_and_saveexec_b32 s9, vcc_lo
	s_xor_b32 s9, exec_lo, s9
	s_cbranch_execz .LBB86_572
; %bb.339:
	v_bfe_u32 v3, v2, 20, 1
	s_mov_b32 s8, exec_lo
	v_add3_u32 v3, v2, v3, 0x487ffff
	v_lshrrev_b32_e32 v3, 20, v3
	s_andn2_saveexec_b32 s9, s9
	s_cbranch_execnz .LBB86_573
.LBB86_340:
	s_or_b32 exec_lo, exec_lo, s9
	v_mov_b32_e32 v6, 0
	s_and_saveexec_b32 s9, s8
.LBB86_341:
	v_lshrrev_b32_e32 v2, 24, v2
	v_and_or_b32 v6, 0x80, v2, v3
.LBB86_342:
	s_or_b32 exec_lo, exec_lo, s9
.LBB86_343:
	s_or_b32 exec_lo, exec_lo, s7
	global_store_byte v[4:5], v6, off
.LBB86_344:
	s_mov_b32 s7, -1
.LBB86_345:
	s_mov_b32 s8, 0
.LBB86_346:
	s_and_b32 vcc_lo, exec_lo, s8
	s_cbranch_vccz .LBB86_387
; %bb.347:
	s_cmp_gt_i32 s6, 22
	s_mov_b32 s8, -1
	s_mov_b32 s67, s83
	s_mov_b64 s[84:85], s[12:13]
	s_cbranch_scc0 .LBB86_379
; %bb.348:
	s_cmp_lt_i32 s6, 24
	s_mov_b32 s7, -1
	s_cbranch_scc1 .LBB86_368
; %bb.349:
	s_cmp_gt_i32 s6, 24
	s_cbranch_scc0 .LBB86_357
; %bb.350:
	v_cvt_f32_f64_e32 v2, v[0:1]
	v_mov_b32_e32 v6, 0x80
	s_mov_b32 s7, exec_lo
	v_and_b32_e32 v3, 0x7fffffff, v2
	v_cmpx_gt_u32_e32 0x47800000, v3
	s_cbranch_execz .LBB86_356
; %bb.351:
	v_cmp_lt_u32_e32 vcc_lo, 0x37ffffff, v3
	s_mov_b32 s8, 0
                                        ; implicit-def: $vgpr3
	s_and_saveexec_b32 s9, vcc_lo
	s_xor_b32 s9, exec_lo, s9
	s_cbranch_execz .LBB86_575
; %bb.352:
	v_bfe_u32 v3, v2, 21, 1
	s_mov_b32 s8, exec_lo
	v_add3_u32 v3, v2, v3, 0x88fffff
	v_lshrrev_b32_e32 v3, 21, v3
	s_andn2_saveexec_b32 s9, s9
	s_cbranch_execnz .LBB86_576
.LBB86_353:
	s_or_b32 exec_lo, exec_lo, s9
	v_mov_b32_e32 v6, 0
	s_and_saveexec_b32 s9, s8
.LBB86_354:
	v_lshrrev_b32_e32 v2, 24, v2
	v_and_or_b32 v6, 0x80, v2, v3
.LBB86_355:
	s_or_b32 exec_lo, exec_lo, s9
.LBB86_356:
	s_or_b32 exec_lo, exec_lo, s7
	s_mov_b32 s7, 0
	global_store_byte v[4:5], v6, off
.LBB86_357:
	s_and_b32 vcc_lo, exec_lo, s7
	s_cbranch_vccz .LBB86_367
; %bb.358:
	v_cvt_f32_f64_e32 v2, v[0:1]
	s_mov_b32 s7, exec_lo
                                        ; implicit-def: $vgpr3
	v_and_b32_e32 v6, 0x7fffffff, v2
	v_cmpx_gt_u32_e32 0x43f00000, v6
	s_xor_b32 s7, exec_lo, s7
	s_cbranch_execz .LBB86_364
; %bb.359:
	s_mov_b32 s8, exec_lo
                                        ; implicit-def: $vgpr3
	v_cmpx_lt_u32_e32 0x3c7fffff, v6
	s_xor_b32 s8, exec_lo, s8
; %bb.360:
	v_bfe_u32 v3, v2, 20, 1
	v_add3_u32 v3, v2, v3, 0x407ffff
	v_and_b32_e32 v6, 0xff00000, v3
	v_lshrrev_b32_e32 v3, 20, v3
	v_cmp_ne_u32_e32 vcc_lo, 0x7f00000, v6
	v_cndmask_b32_e32 v3, 0x7e, v3, vcc_lo
; %bb.361:
	s_andn2_saveexec_b32 s8, s8
; %bb.362:
	v_add_f32_e64 v3, 0x46800000, |v2|
; %bb.363:
	s_or_b32 exec_lo, exec_lo, s8
                                        ; implicit-def: $vgpr6
.LBB86_364:
	s_andn2_saveexec_b32 s7, s7
; %bb.365:
	v_mov_b32_e32 v3, 0x7f
	v_cmp_lt_u32_e32 vcc_lo, 0x7f800000, v6
	v_cndmask_b32_e32 v3, 0x7e, v3, vcc_lo
; %bb.366:
	s_or_b32 exec_lo, exec_lo, s7
	v_lshrrev_b32_e32 v2, 24, v2
	v_and_or_b32 v2, 0x80, v2, v3
	global_store_byte v[4:5], v2, off
.LBB86_367:
	s_mov_b32 s7, 0
.LBB86_368:
	s_andn2_b32 vcc_lo, exec_lo, s7
	s_cbranch_vccnz .LBB86_378
; %bb.369:
	v_cvt_f32_f64_e32 v2, v[0:1]
	s_mov_b32 s7, exec_lo
                                        ; implicit-def: $vgpr3
	v_and_b32_e32 v6, 0x7fffffff, v2
	v_cmpx_gt_u32_e32 0x47800000, v6
	s_xor_b32 s7, exec_lo, s7
	s_cbranch_execz .LBB86_375
; %bb.370:
	s_mov_b32 s8, exec_lo
                                        ; implicit-def: $vgpr3
	v_cmpx_lt_u32_e32 0x387fffff, v6
	s_xor_b32 s8, exec_lo, s8
; %bb.371:
	v_bfe_u32 v3, v2, 21, 1
	v_add3_u32 v3, v2, v3, 0x80fffff
	v_lshrrev_b32_e32 v3, 21, v3
; %bb.372:
	s_andn2_saveexec_b32 s8, s8
; %bb.373:
	v_add_f32_e64 v3, 0x43000000, |v2|
; %bb.374:
	s_or_b32 exec_lo, exec_lo, s8
                                        ; implicit-def: $vgpr6
.LBB86_375:
	s_andn2_saveexec_b32 s7, s7
; %bb.376:
	v_mov_b32_e32 v3, 0x7f
	v_cmp_lt_u32_e32 vcc_lo, 0x7f800000, v6
	v_cndmask_b32_e32 v3, 0x7c, v3, vcc_lo
; %bb.377:
	s_or_b32 exec_lo, exec_lo, s7
	v_lshrrev_b32_e32 v2, 24, v2
	v_and_or_b32 v2, 0x80, v2, v3
	global_store_byte v[4:5], v2, off
.LBB86_378:
	s_mov_b32 s8, 0
	s_mov_b32 s7, -1
.LBB86_379:
	s_andn2_b32 vcc_lo, exec_lo, s8
	s_cbranch_vccnz .LBB86_388
; %bb.380:
	s_cmp_gt_i32 s6, 14
	s_mov_b32 s8, -1
	s_cbranch_scc0 .LBB86_384
; %bb.381:
	s_cmp_eq_u32 s6, 15
	s_mov_b32 s4, -1
	s_cbranch_scc0 .LBB86_383
; %bb.382:
	v_cvt_f32_f64_e32 v2, v[0:1]
	s_mov_b32 s7, -1
	s_mov_b32 s4, 0
	v_bfe_u32 v3, v2, 16, 1
	v_cmp_o_f32_e32 vcc_lo, v2, v2
	v_add3_u32 v2, v2, v3, 0x7fff
	v_mov_b32_e32 v3, 0x7fc0
	v_cndmask_b32_sdwa v2, v3, v2, vcc_lo dst_sel:DWORD dst_unused:UNUSED_PAD src0_sel:DWORD src1_sel:WORD_1
	global_store_short v[4:5], v2, off
.LBB86_383:
	s_mov_b32 s8, 0
.LBB86_384:
	s_and_b32 vcc_lo, exec_lo, s8
	s_cbranch_vccz .LBB86_388
; %bb.385:
	s_cmp_eq_u32 s6, 11
	s_mov_b32 s4, -1
	s_cbranch_scc0 .LBB86_388
; %bb.386:
	v_cmp_neq_f64_e32 vcc_lo, 0, v[0:1]
	s_mov_b32 s7, -1
	s_mov_b32 s4, 0
	v_cndmask_b32_e64 v2, 0, 1, vcc_lo
	global_store_byte v[4:5], v2, off
	s_branch .LBB86_388
.LBB86_387:
	s_mov_b32 s67, s83
	s_mov_b64 s[84:85], s[12:13]
.LBB86_388:
	s_mov_b32 s6, 0
.LBB86_389:
	s_and_b32 vcc_lo, exec_lo, s6
	s_cbranch_vccz .LBB86_428
; %bb.390:
	s_and_b32 s5, 0xffff, s5
	s_mov_b32 s6, -1
	s_cmp_lt_i32 s5, 5
	s_cbranch_scc1 .LBB86_411
; %bb.391:
	s_cmp_lt_i32 s5, 8
	s_cbranch_scc1 .LBB86_401
; %bb.392:
	;; [unrolled: 3-line block ×3, first 2 shown]
	s_cmp_gt_i32 s5, 9
	s_cbranch_scc0 .LBB86_395
; %bb.394:
	v_mov_b32_e32 v2, 0
	s_mov_b32 s6, 0
	v_mov_b32_e32 v3, v2
	global_store_dwordx4 v[4:5], v[0:3], off
.LBB86_395:
	s_andn2_b32 vcc_lo, exec_lo, s6
	s_cbranch_vccnz .LBB86_397
; %bb.396:
	v_cvt_f32_f64_e32 v2, v[0:1]
	v_mov_b32_e32 v3, 0
	global_store_dwordx2 v[4:5], v[2:3], off
.LBB86_397:
	s_mov_b32 s6, 0
.LBB86_398:
	s_andn2_b32 vcc_lo, exec_lo, s6
	s_cbranch_vccnz .LBB86_400
; %bb.399:
	v_and_or_b32 v2, 0x1ff, v1, v0
	v_lshrrev_b32_e32 v3, 8, v1
	v_bfe_u32 v6, v1, 20, 11
	v_cmp_ne_u32_e32 vcc_lo, 0, v2
	v_sub_nc_u32_e32 v7, 0x3f1, v6
	v_add_nc_u32_e32 v6, 0xfffffc10, v6
	v_cndmask_b32_e64 v2, 0, 1, vcc_lo
	v_and_or_b32 v2, 0xffe, v3, v2
	v_med3_i32 v3, v7, 0, 13
	v_or_b32_e32 v7, 0x1000, v2
	v_lshrrev_b32_e32 v8, v3, v7
	v_lshlrev_b32_e32 v3, v3, v8
	v_cmp_ne_u32_e32 vcc_lo, v3, v7
	v_lshl_or_b32 v7, v6, 12, v2
	v_cndmask_b32_e64 v3, 0, 1, vcc_lo
	v_cmp_gt_i32_e32 vcc_lo, 1, v6
	v_or_b32_e32 v3, v8, v3
	v_cndmask_b32_e32 v3, v7, v3, vcc_lo
	v_and_b32_e32 v7, 7, v3
	v_lshrrev_b32_e32 v3, 2, v3
	v_cmp_lt_i32_e32 vcc_lo, 5, v7
	v_cndmask_b32_e64 v8, 0, 1, vcc_lo
	v_cmp_eq_u32_e32 vcc_lo, 3, v7
	v_cndmask_b32_e64 v7, 0, 1, vcc_lo
	v_cmp_ne_u32_e32 vcc_lo, 0, v2
	v_or_b32_e32 v7, v7, v8
	v_mov_b32_e32 v8, 0x7e00
	v_add_nc_u32_e32 v3, v3, v7
	v_cndmask_b32_e32 v2, 0x7c00, v8, vcc_lo
	v_cmp_gt_i32_e32 vcc_lo, 31, v6
	v_cndmask_b32_e32 v3, 0x7c00, v3, vcc_lo
	v_cmp_eq_u32_e32 vcc_lo, 0x40f, v6
	v_cndmask_b32_e32 v2, v3, v2, vcc_lo
	v_lshrrev_b32_e32 v3, 16, v1
	v_and_or_b32 v2, 0x8000, v3, v2
	v_and_b32_e32 v2, 0xffff, v2
	global_store_dword v[4:5], v2, off
.LBB86_400:
	s_mov_b32 s6, 0
.LBB86_401:
	s_andn2_b32 vcc_lo, exec_lo, s6
	s_cbranch_vccnz .LBB86_410
; %bb.402:
	s_cmp_lt_i32 s5, 6
	s_mov_b32 s6, -1
	s_cbranch_scc1 .LBB86_408
; %bb.403:
	s_cmp_gt_i32 s5, 6
	s_cbranch_scc0 .LBB86_405
; %bb.404:
	s_mov_b32 s6, 0
	global_store_dwordx2 v[4:5], v[0:1], off
.LBB86_405:
	s_andn2_b32 vcc_lo, exec_lo, s6
	s_cbranch_vccnz .LBB86_407
; %bb.406:
	v_cvt_f32_f64_e32 v2, v[0:1]
	global_store_dword v[4:5], v2, off
.LBB86_407:
	s_mov_b32 s6, 0
.LBB86_408:
	s_andn2_b32 vcc_lo, exec_lo, s6
	s_cbranch_vccnz .LBB86_410
; %bb.409:
	v_and_or_b32 v2, 0x1ff, v1, v0
	v_lshrrev_b32_e32 v3, 8, v1
	v_bfe_u32 v6, v1, 20, 11
	v_cmp_ne_u32_e32 vcc_lo, 0, v2
	v_sub_nc_u32_e32 v7, 0x3f1, v6
	v_add_nc_u32_e32 v6, 0xfffffc10, v6
	v_cndmask_b32_e64 v2, 0, 1, vcc_lo
	v_and_or_b32 v2, 0xffe, v3, v2
	v_med3_i32 v3, v7, 0, 13
	v_or_b32_e32 v7, 0x1000, v2
	v_lshrrev_b32_e32 v8, v3, v7
	v_lshlrev_b32_e32 v3, v3, v8
	v_cmp_ne_u32_e32 vcc_lo, v3, v7
	v_lshl_or_b32 v7, v6, 12, v2
	v_cndmask_b32_e64 v3, 0, 1, vcc_lo
	v_cmp_gt_i32_e32 vcc_lo, 1, v6
	v_or_b32_e32 v3, v8, v3
	v_cndmask_b32_e32 v3, v7, v3, vcc_lo
	v_and_b32_e32 v7, 7, v3
	v_lshrrev_b32_e32 v3, 2, v3
	v_cmp_lt_i32_e32 vcc_lo, 5, v7
	v_cndmask_b32_e64 v8, 0, 1, vcc_lo
	v_cmp_eq_u32_e32 vcc_lo, 3, v7
	v_cndmask_b32_e64 v7, 0, 1, vcc_lo
	v_cmp_ne_u32_e32 vcc_lo, 0, v2
	v_or_b32_e32 v7, v7, v8
	v_mov_b32_e32 v8, 0x7e00
	v_add_nc_u32_e32 v3, v3, v7
	v_cndmask_b32_e32 v2, 0x7c00, v8, vcc_lo
	v_cmp_gt_i32_e32 vcc_lo, 31, v6
	v_cndmask_b32_e32 v3, 0x7c00, v3, vcc_lo
	v_cmp_eq_u32_e32 vcc_lo, 0x40f, v6
	v_cndmask_b32_e32 v2, v3, v2, vcc_lo
	v_lshrrev_b32_e32 v3, 16, v1
	v_and_or_b32 v2, 0x8000, v3, v2
	global_store_short v[4:5], v2, off
.LBB86_410:
	s_mov_b32 s6, 0
.LBB86_411:
	s_andn2_b32 vcc_lo, exec_lo, s6
	s_cbranch_vccnz .LBB86_427
; %bb.412:
	s_cmp_lt_i32 s5, 2
	s_mov_b32 s6, -1
	s_cbranch_scc1 .LBB86_422
; %bb.413:
	s_cmp_lt_i32 s5, 3
	s_cbranch_scc1 .LBB86_419
; %bb.414:
	s_cmp_gt_i32 s5, 3
	s_cbranch_scc0 .LBB86_416
; %bb.415:
	v_trunc_f64_e32 v[2:3], v[0:1]
	s_mov_b32 s6, 0
	v_ldexp_f64 v[6:7], v[2:3], 0xffffffe0
	v_floor_f64_e32 v[6:7], v[6:7]
	v_fma_f64 v[2:3], 0xc1f00000, v[6:7], v[2:3]
	v_cvt_i32_f64_e32 v7, v[6:7]
	v_cvt_u32_f64_e32 v6, v[2:3]
	global_store_dwordx2 v[4:5], v[6:7], off
.LBB86_416:
	s_andn2_b32 vcc_lo, exec_lo, s6
	s_cbranch_vccnz .LBB86_418
; %bb.417:
	v_cvt_i32_f64_e32 v2, v[0:1]
	global_store_dword v[4:5], v2, off
.LBB86_418:
	s_mov_b32 s6, 0
.LBB86_419:
	s_andn2_b32 vcc_lo, exec_lo, s6
	s_cbranch_vccnz .LBB86_421
; %bb.420:
	v_cvt_i32_f64_e32 v2, v[0:1]
	global_store_short v[4:5], v2, off
.LBB86_421:
	s_mov_b32 s6, 0
.LBB86_422:
	s_andn2_b32 vcc_lo, exec_lo, s6
	s_cbranch_vccnz .LBB86_427
; %bb.423:
	s_cmp_gt_i32 s5, 0
	s_mov_b32 s5, -1
	s_cbranch_scc0 .LBB86_425
; %bb.424:
	v_cvt_i32_f64_e32 v2, v[0:1]
	s_mov_b32 s5, 0
	global_store_byte v[4:5], v2, off
.LBB86_425:
	s_andn2_b32 vcc_lo, exec_lo, s5
	s_cbranch_vccnz .LBB86_427
; %bb.426:
	v_trunc_f64_e32 v[0:1], v[0:1]
	v_ldexp_f64 v[2:3], v[0:1], 0xffffffe0
	v_floor_f64_e32 v[2:3], v[2:3]
	v_fma_f64 v[0:1], 0xc1f00000, v[2:3], v[0:1]
	v_cvt_u32_f64_e32 v0, v[0:1]
	global_store_byte v[4:5], v0, off
.LBB86_427:
	s_mov_b32 s7, -1
.LBB86_428:
	s_andn2_b32 vcc_lo, exec_lo, s7
	s_cbranch_vccnz .LBB86_430
; %bb.429:
	v_add_nc_u32_e32 v43, 0x80, v43
	s_mov_b32 s5, -1
	s_branch .LBB86_543
.LBB86_430:
	s_mov_b32 s5, 0
	s_branch .LBB86_542
.LBB86_431:
	s_mov_b32 s11, -1
                                        ; implicit-def: $vgpr2_vgpr3
.LBB86_432:
	s_mov_b32 s6, 0
.LBB86_433:
	s_and_b32 vcc_lo, exec_lo, s6
	s_cbranch_vccz .LBB86_437
; %bb.434:
	s_cmp_eq_u32 s4, 29
	s_cbranch_scc0 .LBB86_436
; %bb.435:
	global_load_dwordx2 v[2:3], v[0:1], off
	s_mov_b32 s5, -1
	s_mov_b32 s11, 0
	s_mov_b32 s6, 0
	s_waitcnt vmcnt(0)
	v_cvt_f64_u32_e32 v[3:4], v3
	v_cvt_f64_u32_e32 v[5:6], v2
	v_ldexp_f64 v[3:4], v[3:4], 32
	v_add_f64 v[2:3], v[3:4], v[5:6]
	s_branch .LBB86_438
.LBB86_436:
	s_mov_b32 s11, -1
                                        ; implicit-def: $vgpr2_vgpr3
.LBB86_437:
	s_mov_b32 s6, 0
.LBB86_438:
	s_and_b32 vcc_lo, exec_lo, s6
	s_cbranch_vccz .LBB86_458
; %bb.439:
	s_cmp_lt_i32 s4, 27
	s_cbranch_scc1 .LBB86_442
; %bb.440:
	s_cmp_gt_i32 s4, 27
	s_cbranch_scc0 .LBB86_443
; %bb.441:
	global_load_dword v2, v[0:1], off
	s_mov_b32 s5, 0
	s_waitcnt vmcnt(0)
	v_cvt_f64_u32_e32 v[2:3], v2
	s_branch .LBB86_444
.LBB86_442:
	s_mov_b32 s5, -1
                                        ; implicit-def: $vgpr2_vgpr3
	s_branch .LBB86_447
.LBB86_443:
	s_mov_b32 s5, -1
                                        ; implicit-def: $vgpr2_vgpr3
.LBB86_444:
	s_andn2_b32 vcc_lo, exec_lo, s5
	s_cbranch_vccnz .LBB86_446
; %bb.445:
	global_load_ushort v2, v[0:1], off
	s_waitcnt vmcnt(0)
	v_cvt_f64_u32_e32 v[2:3], v2
.LBB86_446:
	s_mov_b32 s5, 0
.LBB86_447:
	s_andn2_b32 vcc_lo, exec_lo, s5
	s_cbranch_vccnz .LBB86_457
; %bb.448:
	global_load_ubyte v4, v[0:1], off
	s_mov_b32 s5, 0
	s_mov_b32 s6, exec_lo
	s_waitcnt vmcnt(0)
	v_cmpx_lt_i16_e32 0x7f, v4
	s_xor_b32 s6, exec_lo, s6
	s_cbranch_execz .LBB86_452
; %bb.449:
	s_mov_b32 s5, -1
	s_mov_b32 s7, exec_lo
	v_cmpx_eq_u16_e32 0x80, v4
; %bb.450:
	s_xor_b32 s5, exec_lo, -1
; %bb.451:
	s_or_b32 exec_lo, exec_lo, s7
	s_and_b32 s5, s5, exec_lo
.LBB86_452:
	s_or_saveexec_b32 s6, s6
	v_bfrev_b32_e32 v2, 4
	v_mov_b32_e32 v3, 0x7ff80000
	s_xor_b32 exec_lo, exec_lo, s6
; %bb.453:
	v_cmp_ne_u16_e32 vcc_lo, 0, v4
	v_mov_b32_e32 v2, 0
	v_mov_b32_e32 v3, 0
	s_andn2_b32 s5, s5, exec_lo
	s_and_b32 s7, vcc_lo, exec_lo
	s_or_b32 s5, s5, s7
; %bb.454:
	s_or_b32 exec_lo, exec_lo, s6
	s_and_saveexec_b32 s6, s5
	s_cbranch_execz .LBB86_456
; %bb.455:
	v_and_b32_e32 v2, 0xffff, v4
	v_lshlrev_b32_e32 v4, 24, v4
	v_and_b32_e32 v3, 7, v2
	v_bfe_u32 v7, v2, 3, 4
	v_ffbh_u32_e32 v5, v3
	v_cmp_eq_u32_e32 vcc_lo, 0, v7
	v_min_u32_e32 v5, 32, v5
	v_subrev_nc_u32_e32 v6, 28, v5
	v_sub_nc_u32_e32 v5, 29, v5
	v_lshlrev_b32_e32 v2, v6, v2
	v_cndmask_b32_e32 v5, v7, v5, vcc_lo
	v_and_b32_e32 v2, 7, v2
	v_cndmask_b32_e32 v2, v3, v2, vcc_lo
	v_and_b32_e32 v3, 0x80000000, v4
	v_lshl_add_u32 v4, v5, 23, 0x3b800000
	v_lshlrev_b32_e32 v2, 20, v2
	v_or3_b32 v2, v3, v4, v2
	v_cvt_f64_f32_e32 v[2:3], v2
.LBB86_456:
	s_or_b32 exec_lo, exec_lo, s6
.LBB86_457:
	s_mov_b32 s5, -1
.LBB86_458:
	s_mov_b32 s6, 0
.LBB86_459:
	s_and_b32 vcc_lo, exec_lo, s6
	s_cbranch_vccz .LBB86_492
; %bb.460:
	s_cmp_gt_i32 s4, 22
	s_cbranch_scc0 .LBB86_472
; %bb.461:
	s_cmp_lt_i32 s4, 24
	s_cbranch_scc1 .LBB86_473
; %bb.462:
	s_cmp_gt_i32 s4, 24
	s_cbranch_scc0 .LBB86_474
; %bb.463:
	global_load_ubyte v4, v[0:1], off
	s_mov_b32 s5, 0
	s_mov_b32 s6, exec_lo
	s_waitcnt vmcnt(0)
	v_cmpx_lt_i16_e32 0x7f, v4
	s_xor_b32 s6, exec_lo, s6
	s_cbranch_execz .LBB86_467
; %bb.464:
	s_mov_b32 s5, -1
	s_mov_b32 s7, exec_lo
	v_cmpx_eq_u16_e32 0x80, v4
; %bb.465:
	s_xor_b32 s5, exec_lo, -1
; %bb.466:
	s_or_b32 exec_lo, exec_lo, s7
	s_and_b32 s5, s5, exec_lo
.LBB86_467:
	s_or_saveexec_b32 s6, s6
	v_bfrev_b32_e32 v2, 4
	v_mov_b32_e32 v3, 0x7ff80000
	s_xor_b32 exec_lo, exec_lo, s6
; %bb.468:
	v_cmp_ne_u16_e32 vcc_lo, 0, v4
	v_mov_b32_e32 v2, 0
	v_mov_b32_e32 v3, 0
	s_andn2_b32 s5, s5, exec_lo
	s_and_b32 s7, vcc_lo, exec_lo
	s_or_b32 s5, s5, s7
; %bb.469:
	s_or_b32 exec_lo, exec_lo, s6
	s_and_saveexec_b32 s6, s5
	s_cbranch_execz .LBB86_471
; %bb.470:
	v_and_b32_e32 v2, 0xffff, v4
	v_lshlrev_b32_e32 v4, 24, v4
	v_and_b32_e32 v3, 3, v2
	v_bfe_u32 v7, v2, 2, 5
	v_ffbh_u32_e32 v5, v3
	v_cmp_eq_u32_e32 vcc_lo, 0, v7
	v_min_u32_e32 v5, 32, v5
	v_subrev_nc_u32_e32 v6, 29, v5
	v_sub_nc_u32_e32 v5, 30, v5
	v_lshlrev_b32_e32 v2, v6, v2
	v_cndmask_b32_e32 v5, v7, v5, vcc_lo
	v_and_b32_e32 v2, 3, v2
	v_cndmask_b32_e32 v2, v3, v2, vcc_lo
	v_and_b32_e32 v3, 0x80000000, v4
	v_lshl_add_u32 v4, v5, 23, 0x37800000
	v_lshlrev_b32_e32 v2, 21, v2
	v_or3_b32 v2, v3, v4, v2
	v_cvt_f64_f32_e32 v[2:3], v2
.LBB86_471:
	s_or_b32 exec_lo, exec_lo, s6
	s_mov_b32 s5, 0
	s_branch .LBB86_475
.LBB86_472:
	s_mov_b32 s6, -1
                                        ; implicit-def: $vgpr2_vgpr3
	s_branch .LBB86_481
.LBB86_473:
	s_mov_b32 s5, -1
                                        ; implicit-def: $vgpr2_vgpr3
	s_branch .LBB86_478
.LBB86_474:
	s_mov_b32 s5, -1
                                        ; implicit-def: $vgpr2_vgpr3
.LBB86_475:
	s_and_b32 vcc_lo, exec_lo, s5
	s_cbranch_vccz .LBB86_477
; %bb.476:
	global_load_ubyte v2, v[0:1], off
	s_waitcnt vmcnt(0)
	v_lshlrev_b32_e32 v2, 24, v2
	v_and_b32_e32 v3, 0x7f000000, v2
	v_ffbh_u32_e32 v4, v3
	v_add_nc_u32_e32 v6, 0x1000000, v3
	v_cmp_ne_u32_e32 vcc_lo, 0, v3
	v_min_u32_e32 v4, 32, v4
	v_sub_nc_u32_e64 v4, v4, 4 clamp
	v_lshlrev_b32_e32 v5, v4, v3
	v_lshlrev_b32_e32 v4, 23, v4
	v_lshrrev_b32_e32 v5, 4, v5
	v_sub_nc_u32_e32 v4, v5, v4
	v_ashrrev_i32_e32 v5, 8, v6
	v_add_nc_u32_e32 v4, 0x3c000000, v4
	v_and_or_b32 v4, 0x7f800000, v5, v4
	v_cndmask_b32_e32 v3, 0, v4, vcc_lo
	v_and_or_b32 v2, 0x80000000, v2, v3
	v_cvt_f64_f32_e32 v[2:3], v2
.LBB86_477:
	s_mov_b32 s5, 0
.LBB86_478:
	s_andn2_b32 vcc_lo, exec_lo, s5
	s_cbranch_vccnz .LBB86_480
; %bb.479:
	global_load_ubyte v2, v[0:1], off
	s_waitcnt vmcnt(0)
	v_lshlrev_b32_e32 v3, 25, v2
	v_lshlrev_b16 v2, 8, v2
	v_lshrrev_b32_e32 v4, 4, v3
	v_and_or_b32 v5, 0x7f00, v2, 0.5
	v_cmp_gt_u32_e32 vcc_lo, 0x8000000, v3
	v_bfe_i32 v2, v2, 0, 16
	v_or_b32_e32 v4, 0x70000000, v4
	v_add_f32_e32 v5, -0.5, v5
	v_mul_f32_e32 v4, 0x7800000, v4
	v_cndmask_b32_e32 v3, v4, v5, vcc_lo
	v_and_or_b32 v2, 0x80000000, v2, v3
	v_cvt_f64_f32_e32 v[2:3], v2
.LBB86_480:
	s_mov_b32 s6, 0
	s_mov_b32 s5, -1
.LBB86_481:
	s_andn2_b32 vcc_lo, exec_lo, s6
	s_cbranch_vccnz .LBB86_492
; %bb.482:
	s_cmp_gt_i32 s4, 14
	s_cbranch_scc0 .LBB86_485
; %bb.483:
	s_cmp_eq_u32 s4, 15
	s_cbranch_scc0 .LBB86_486
; %bb.484:
	global_load_ushort v2, v[0:1], off
	s_mov_b32 s5, -1
	s_mov_b32 s11, 0
	s_waitcnt vmcnt(0)
	v_lshlrev_b32_e32 v2, 16, v2
	v_cvt_f64_f32_e32 v[2:3], v2
	s_branch .LBB86_487
.LBB86_485:
	s_mov_b32 s6, -1
                                        ; implicit-def: $vgpr2_vgpr3
	s_branch .LBB86_488
.LBB86_486:
	s_mov_b32 s11, -1
                                        ; implicit-def: $vgpr2_vgpr3
.LBB86_487:
	s_mov_b32 s6, 0
.LBB86_488:
	s_and_b32 vcc_lo, exec_lo, s6
	s_cbranch_vccz .LBB86_492
; %bb.489:
	s_cmp_eq_u32 s4, 11
	s_cbranch_scc0 .LBB86_491
; %bb.490:
	global_load_ubyte v2, v[0:1], off
	s_mov_b32 s11, 0
	s_mov_b32 s5, -1
	s_waitcnt vmcnt(0)
	v_cmp_ne_u16_e32 vcc_lo, 0, v2
	v_mov_b32_e32 v2, 0
	v_cndmask_b32_e64 v3, 0, 0x3ff00000, vcc_lo
	s_branch .LBB86_492
.LBB86_491:
	s_mov_b32 s11, -1
                                        ; implicit-def: $vgpr2_vgpr3
.LBB86_492:
	s_branch .LBB86_293
.LBB86_493:
	s_cmp_lt_i32 s4, 5
	s_cbranch_scc1 .LBB86_498
; %bb.494:
	s_cmp_lt_i32 s4, 8
	s_cbranch_scc1 .LBB86_499
; %bb.495:
	;; [unrolled: 3-line block ×3, first 2 shown]
	s_cmp_gt_i32 s4, 9
	s_cbranch_scc0 .LBB86_501
; %bb.497:
	global_load_dwordx2 v[2:3], v[0:1], off
	s_mov_b32 s5, 0
	s_branch .LBB86_502
.LBB86_498:
	s_mov_b32 s5, -1
                                        ; implicit-def: $vgpr2_vgpr3
	s_branch .LBB86_520
.LBB86_499:
	s_mov_b32 s5, -1
                                        ; implicit-def: $vgpr2_vgpr3
	s_branch .LBB86_508
.LBB86_500:
	s_mov_b32 s5, -1
                                        ; implicit-def: $vgpr2_vgpr3
	s_branch .LBB86_505
.LBB86_501:
	s_mov_b32 s5, -1
                                        ; implicit-def: $vgpr2_vgpr3
.LBB86_502:
	s_andn2_b32 vcc_lo, exec_lo, s5
	s_cbranch_vccnz .LBB86_504
; %bb.503:
	global_load_dword v2, v[0:1], off
	s_waitcnt vmcnt(0)
	v_cvt_f64_f32_e32 v[2:3], v2
.LBB86_504:
	s_mov_b32 s5, 0
.LBB86_505:
	s_andn2_b32 vcc_lo, exec_lo, s5
	s_cbranch_vccnz .LBB86_507
; %bb.506:
	global_load_dword v2, v[0:1], off
	s_waitcnt vmcnt(0)
	v_cvt_f32_f16_e32 v2, v2
	v_cvt_f64_f32_e32 v[2:3], v2
.LBB86_507:
	s_mov_b32 s5, 0
.LBB86_508:
	s_andn2_b32 vcc_lo, exec_lo, s5
	s_cbranch_vccnz .LBB86_519
; %bb.509:
	s_cmp_lt_i32 s4, 6
	s_cbranch_scc1 .LBB86_512
; %bb.510:
	s_cmp_gt_i32 s4, 6
	s_cbranch_scc0 .LBB86_513
; %bb.511:
	global_load_dwordx2 v[2:3], v[0:1], off
	s_mov_b32 s5, 0
	s_branch .LBB86_514
.LBB86_512:
	s_mov_b32 s5, -1
                                        ; implicit-def: $vgpr2_vgpr3
	s_branch .LBB86_517
.LBB86_513:
	s_mov_b32 s5, -1
                                        ; implicit-def: $vgpr2_vgpr3
.LBB86_514:
	s_andn2_b32 vcc_lo, exec_lo, s5
	s_cbranch_vccnz .LBB86_516
; %bb.515:
	global_load_dword v2, v[0:1], off
	s_waitcnt vmcnt(0)
	v_cvt_f64_f32_e32 v[2:3], v2
.LBB86_516:
	s_mov_b32 s5, 0
.LBB86_517:
	s_andn2_b32 vcc_lo, exec_lo, s5
	s_cbranch_vccnz .LBB86_519
; %bb.518:
	global_load_ushort v2, v[0:1], off
	s_waitcnt vmcnt(0)
	v_cvt_f32_f16_e32 v2, v2
	v_cvt_f64_f32_e32 v[2:3], v2
.LBB86_519:
	s_mov_b32 s5, 0
.LBB86_520:
	s_andn2_b32 vcc_lo, exec_lo, s5
	s_cbranch_vccnz .LBB86_540
; %bb.521:
	s_cmp_lt_i32 s4, 2
	s_cbranch_scc1 .LBB86_525
; %bb.522:
	s_cmp_lt_i32 s4, 3
	s_cbranch_scc1 .LBB86_526
; %bb.523:
	s_cmp_gt_i32 s4, 3
	s_cbranch_scc0 .LBB86_527
; %bb.524:
	global_load_dwordx2 v[2:3], v[0:1], off
	s_mov_b32 s5, 0
	s_waitcnt vmcnt(0)
	v_cvt_f64_i32_e32 v[3:4], v3
	v_cvt_f64_u32_e32 v[5:6], v2
	v_ldexp_f64 v[3:4], v[3:4], 32
	v_add_f64 v[2:3], v[3:4], v[5:6]
	s_branch .LBB86_528
.LBB86_525:
	s_mov_b32 s5, -1
                                        ; implicit-def: $vgpr2_vgpr3
	s_branch .LBB86_534
.LBB86_526:
	s_mov_b32 s5, -1
                                        ; implicit-def: $vgpr2_vgpr3
	s_branch .LBB86_531
.LBB86_527:
	s_mov_b32 s5, -1
                                        ; implicit-def: $vgpr2_vgpr3
.LBB86_528:
	s_andn2_b32 vcc_lo, exec_lo, s5
	s_cbranch_vccnz .LBB86_530
; %bb.529:
	global_load_dword v2, v[0:1], off
	s_waitcnt vmcnt(0)
	v_cvt_f64_i32_e32 v[2:3], v2
.LBB86_530:
	s_mov_b32 s5, 0
.LBB86_531:
	s_andn2_b32 vcc_lo, exec_lo, s5
	s_cbranch_vccnz .LBB86_533
; %bb.532:
	global_load_sshort v2, v[0:1], off
	s_waitcnt vmcnt(0)
	v_cvt_f64_i32_e32 v[2:3], v2
.LBB86_533:
	s_mov_b32 s5, 0
.LBB86_534:
	s_andn2_b32 vcc_lo, exec_lo, s5
	s_cbranch_vccnz .LBB86_540
; %bb.535:
	s_cmp_gt_i32 s4, 0
	s_mov_b32 s4, 0
	s_cbranch_scc0 .LBB86_537
; %bb.536:
	global_load_sbyte v2, v[0:1], off
	s_waitcnt vmcnt(0)
	v_cvt_f64_i32_e32 v[2:3], v2
	s_branch .LBB86_538
.LBB86_537:
	s_mov_b32 s4, -1
                                        ; implicit-def: $vgpr2_vgpr3
.LBB86_538:
	s_andn2_b32 vcc_lo, exec_lo, s4
	s_cbranch_vccnz .LBB86_540
; %bb.539:
	global_load_ubyte v0, v[0:1], off
	s_waitcnt vmcnt(0)
	v_cvt_f64_u32_e32 v[2:3], v0
.LBB86_540:
	s_branch .LBB86_294
.LBB86_541:
	s_mov_b32 s5, 0
	s_mov_b32 s4, s80
.LBB86_542:
                                        ; implicit-def: $vgpr43
.LBB86_543:
	s_andn2_b32 s6, s80, exec_lo
	s_and_b32 s4, s4, exec_lo
	s_andn2_b32 s7, s103, exec_lo
	s_and_b32 s8, s11, exec_lo
	s_or_b32 s4, s6, s4
	s_or_b32 s53, s7, s8
	v_writelane_b32 v47, s4, 0
	s_orn2_b32 s4, s5, exec_lo
.LBB86_544:
	s_or_b32 exec_lo, exec_lo, s54
	s_mov_b32 s5, 0
	s_mov_b32 s6, 0
	;; [unrolled: 1-line block ×3, first 2 shown]
                                        ; implicit-def: $vgpr0_vgpr1
                                        ; implicit-def: $vgpr41
                                        ; implicit-def: $vgpr2_vgpr3
	s_and_saveexec_b32 s11, s4
	s_cbranch_execz .LBB86_921
; %bb.545:
	v_writelane_b32 v47, s11, 2
	s_mov_b32 s7, -1
	s_mov_b32 s8, s53
	s_mov_b32 s5, exec_lo
	v_readlane_b32 s9, v47, 0
	v_cmpx_gt_i32_e64 s34, v43
	s_cbranch_execz .LBB86_820
; %bb.546:
	s_andn2_b32 vcc_lo, exec_lo, s86
	v_writelane_b32 v47, s5, 3
	s_cbranch_vccnz .LBB86_551
; %bb.547:
	s_andn2_b32 vcc_lo, exec_lo, s102
	s_cbranch_vccnz .LBB86_552
; %bb.548:
	s_add_i32 s9, s82, 1
	s_cmp_eq_u32 s39, 2
	s_cbranch_scc1 .LBB86_553
; %bb.549:
	v_mov_b32_e32 v0, 0
	v_mov_b32_e32 v41, 0
	;; [unrolled: 1-line block ×3, first 2 shown]
	s_and_b32 s8, s9, 28
	s_mov_b32 s10, 0
	s_mov_b64 s[4:5], s[50:51]
	s_mov_b64 s[6:7], s[84:85]
.LBB86_550:                             ; =>This Inner Loop Header: Depth=1
	s_clause 0x1
	s_load_dwordx8 s[12:19], s[4:5], 0x4
	s_load_dwordx4 s[28:31], s[4:5], 0x24
	s_load_dwordx8 s[20:27], s[6:7], 0x0
	s_add_u32 s4, s4, 48
	s_addc_u32 s5, s5, 0
	s_add_i32 s10, s10, 4
	s_add_u32 s6, s6, 32
	s_addc_u32 s7, s7, 0
	s_cmp_eq_u32 s8, s10
	s_waitcnt vmcnt(0) lgkmcnt(0)
	v_mul_hi_u32 v2, s13, v1
	v_add_nc_u32_e32 v2, v1, v2
	v_lshrrev_b32_e32 v2, s14, v2
	v_mul_hi_u32 v3, s16, v2
	v_mul_lo_u32 v5, v2, s12
	v_add_nc_u32_e32 v3, v2, v3
	v_sub_nc_u32_e32 v1, v1, v5
	v_lshrrev_b32_e32 v3, s17, v3
	v_mul_lo_u32 v5, v1, s20
	v_mul_lo_u32 v7, v1, s21
	v_mul_hi_u32 v4, s19, v3
	v_add_nc_u32_e32 v4, v3, v4
	v_lshrrev_b32_e32 v4, s28, v4
	v_mul_hi_u32 v6, s30, v4
	v_mul_lo_u32 v8, v4, s18
	v_add_nc_u32_e32 v1, v4, v6
	v_mul_lo_u32 v6, v3, s15
	v_sub_nc_u32_e32 v3, v3, v8
	v_lshrrev_b32_e32 v1, s31, v1
	v_mul_lo_u32 v8, v3, s24
	v_mul_lo_u32 v3, v3, s25
	v_sub_nc_u32_e32 v2, v2, v6
	v_mul_lo_u32 v9, v1, s29
	v_mul_lo_u32 v6, v2, s22
	;; [unrolled: 1-line block ×3, first 2 shown]
	v_sub_nc_u32_e32 v4, v4, v9
	v_add3_u32 v5, v5, v41, v6
	v_mul_lo_u32 v9, v4, s26
	v_mul_lo_u32 v4, v4, s27
	v_add3_u32 v0, v7, v0, v2
	v_add3_u32 v41, v8, v5, v9
	;; [unrolled: 1-line block ×3, first 2 shown]
	s_cbranch_scc0 .LBB86_550
	s_branch .LBB86_554
.LBB86_551:
	s_mov_b32 s4, -1
                                        ; implicit-def: $vgpr41
                                        ; implicit-def: $vgpr0
	s_branch .LBB86_558
.LBB86_552:
	v_mov_b32_e32 v41, 0
	v_mov_b32_e32 v0, 0
	s_branch .LBB86_557
.LBB86_553:
	v_mov_b32_e32 v41, 0
	v_mov_b32_e32 v0, 0
	v_mov_b32_e32 v1, v43
	s_mov_b32 s8, 0
.LBB86_554:
	s_and_b32 s9, s9, 3
	s_cmp_eq_u32 s9, 0
	s_cbranch_scc1 .LBB86_557
; %bb.555:
	s_lshl_b32 s4, s8, 3
	s_mul_i32 s6, s8, 12
	s_add_u32 s4, s50, s4
	s_addc_u32 s5, s51, 0
	s_add_u32 s4, s4, 0xc4
	s_addc_u32 s5, s5, 0
	;; [unrolled: 2-line block ×3, first 2 shown]
	.p2align	6
.LBB86_556:                             ; =>This Inner Loop Header: Depth=1
	s_clause 0x1
	s_load_dwordx2 s[10:11], s[6:7], 0x4
	s_load_dword s8, s[6:7], 0xc
	s_load_dwordx2 s[12:13], s[4:5], 0x0
	s_add_u32 s6, s6, 12
	s_addc_u32 s7, s7, 0
	s_add_u32 s4, s4, 8
	s_addc_u32 s5, s5, 0
	s_add_i32 s9, s9, -1
	s_cmp_lg_u32 s9, 0
	s_waitcnt vmcnt(0) lgkmcnt(0)
	v_mul_hi_u32 v2, s11, v1
	v_add_nc_u32_e32 v2, v1, v2
	v_lshrrev_b32_e32 v2, s8, v2
	v_mul_lo_u32 v3, v2, s10
	v_sub_nc_u32_e32 v1, v1, v3
	v_mad_u64_u32 v[41:42], null, v1, s12, v[41:42]
	v_mad_u64_u32 v[0:1], null, v1, s13, v[0:1]
	v_mov_b32_e32 v1, v2
	s_cbranch_scc1 .LBB86_556
.LBB86_557:
	s_mov_b32 s4, 0
.LBB86_558:
	s_andn2_b32 vcc_lo, exec_lo, s4
	s_cbranch_vccnz .LBB86_561
; %bb.559:
	v_mul_hi_u32 v0, s45, v43
	s_andn2_b32 vcc_lo, exec_lo, s67
	v_add_nc_u32_e32 v0, v43, v0
	v_lshrrev_b32_e32 v1, s46, v0
	v_mul_lo_u32 v0, v1, s44
	v_sub_nc_u32_e32 v0, v43, v0
	v_mul_lo_u32 v41, v0, s40
	v_mul_lo_u32 v0, v0, s41
	s_cbranch_vccnz .LBB86_561
; %bb.560:
	s_waitcnt vmcnt(0)
	v_mul_hi_u32 v2, s100, v1
	v_add_nc_u32_e32 v2, v1, v2
	v_lshrrev_b32_e32 v2, s101, v2
	v_mul_lo_u32 v2, v2, s47
	v_sub_nc_u32_e32 v1, v1, v2
	v_mad_u64_u32 v[41:42], null, v1, s42, v[41:42]
	v_mad_u64_u32 v[0:1], null, v1, s43, v[0:1]
.LBB86_561:
	v_add_co_u32 v0, s4, s58, v0
	v_add_co_ci_u32_e64 v1, null, s59, 0, s4
	s_and_b32 s4, 0xffff, s97
	s_cmp_lt_i32 s4, 11
	s_cbranch_scc1 .LBB86_568
; %bb.562:
	s_cmp_gt_i32 s4, 25
	s_cbranch_scc0 .LBB86_569
; %bb.563:
	s_cmp_gt_i32 s4, 28
	s_cbranch_scc0 .LBB86_570
	;; [unrolled: 3-line block ×4, first 2 shown]
; %bb.566:
	s_cmp_eq_u32 s4, 46
	s_mov_b32 s6, 0
	s_cbranch_scc0 .LBB86_577
; %bb.567:
	global_load_dword v2, v[0:1], off
	s_mov_b32 s7, 0
	s_mov_b32 s5, -1
	v_writelane_b32 v47, s7, 4
	s_waitcnt vmcnt(0)
	v_lshlrev_b32_e32 v2, 16, v2
	v_cvt_f64_f32_e32 v[2:3], v2
	s_branch .LBB86_579
.LBB86_568:
	s_mov_b32 s6, -1
	s_mov_b32 s5, 0
	v_writelane_b32 v47, s53, 4
                                        ; implicit-def: $vgpr2_vgpr3
	s_branch .LBB86_644
.LBB86_569:
	s_mov_b32 s6, -1
	s_mov_b32 s5, 0
	v_writelane_b32 v47, s53, 4
                                        ; implicit-def: $vgpr2_vgpr3
	s_branch .LBB86_610
.LBB86_570:
	s_mov_b32 s6, -1
	s_mov_b32 s5, 0
	v_writelane_b32 v47, s53, 4
                                        ; implicit-def: $vgpr2_vgpr3
	s_branch .LBB86_589
.LBB86_571:
	s_mov_b32 s6, -1
	s_mov_b32 s5, 0
	v_writelane_b32 v47, s53, 4
                                        ; implicit-def: $vgpr2_vgpr3
	s_branch .LBB86_584
.LBB86_572:
	s_andn2_saveexec_b32 s9, s9
	s_cbranch_execz .LBB86_340
.LBB86_573:
	v_add_f32_e64 v3, 0x46000000, |v2|
	s_andn2_b32 s8, s8, exec_lo
	v_and_b32_e32 v3, 0xff, v3
	v_cmp_ne_u32_e32 vcc_lo, 0, v3
	s_and_b32 s10, vcc_lo, exec_lo
	s_or_b32 s8, s8, s10
	s_or_b32 exec_lo, exec_lo, s9
	v_mov_b32_e32 v6, 0
	s_and_saveexec_b32 s9, s8
	s_cbranch_execnz .LBB86_341
	s_branch .LBB86_342
.LBB86_574:
	s_mov_b32 s6, -1
	s_mov_b32 s5, 0
	v_writelane_b32 v47, s53, 4
	s_branch .LBB86_578
.LBB86_575:
	s_andn2_saveexec_b32 s9, s9
	s_cbranch_execz .LBB86_353
.LBB86_576:
	v_add_f32_e64 v3, 0x42800000, |v2|
	s_andn2_b32 s8, s8, exec_lo
	v_and_b32_e32 v3, 0xff, v3
	v_cmp_ne_u32_e32 vcc_lo, 0, v3
	s_and_b32 s10, vcc_lo, exec_lo
	s_or_b32 s8, s8, s10
	s_or_b32 exec_lo, exec_lo, s9
	v_mov_b32_e32 v6, 0
	s_and_saveexec_b32 s9, s8
	s_cbranch_execnz .LBB86_354
	s_branch .LBB86_355
.LBB86_577:
	s_mov_b32 s5, -1
	v_writelane_b32 v47, s5, 4
	s_mov_b32 s5, 0
.LBB86_578:
                                        ; implicit-def: $vgpr2_vgpr3
.LBB86_579:
	s_and_b32 vcc_lo, exec_lo, s6
	s_cbranch_vccz .LBB86_583
; %bb.580:
	s_cmp_eq_u32 s4, 44
	s_cbranch_scc0 .LBB86_582
; %bb.581:
	global_load_ubyte v4, v[0:1], off
	s_mov_b32 s5, 0
	v_writelane_b32 v47, s5, 4
	s_mov_b32 s5, -1
	s_waitcnt vmcnt(0)
	v_lshlrev_b32_e32 v2, 23, v4
	v_cmp_ne_u32_e32 vcc_lo, 0xff, v4
	v_cvt_f64_f32_e32 v[2:3], v2
	v_cndmask_b32_e32 v2, 0x20000000, v2, vcc_lo
	v_cndmask_b32_e32 v3, 0x7ff80000, v3, vcc_lo
	v_cmp_ne_u32_e32 vcc_lo, 0, v4
	v_cndmask_b32_e32 v3, 0x38000000, v3, vcc_lo
	v_cndmask_b32_e32 v2, 0, v2, vcc_lo
	s_branch .LBB86_583
.LBB86_582:
	s_mov_b32 s6, -1
                                        ; implicit-def: $vgpr2_vgpr3
	v_writelane_b32 v47, s6, 4
.LBB86_583:
	s_mov_b32 s6, 0
.LBB86_584:
	s_and_b32 vcc_lo, exec_lo, s6
	s_cbranch_vccz .LBB86_588
; %bb.585:
	s_cmp_eq_u32 s4, 29
	s_cbranch_scc0 .LBB86_587
; %bb.586:
	global_load_dwordx2 v[2:3], v[0:1], off
	s_mov_b32 s6, 0
	s_mov_b32 s5, -1
	v_writelane_b32 v47, s6, 4
	s_mov_b32 s6, 0
	s_waitcnt vmcnt(0)
	v_cvt_f64_u32_e32 v[3:4], v3
	v_cvt_f64_u32_e32 v[5:6], v2
	v_ldexp_f64 v[3:4], v[3:4], 32
	v_add_f64 v[2:3], v[3:4], v[5:6]
	s_branch .LBB86_589
.LBB86_587:
	s_mov_b32 s6, -1
                                        ; implicit-def: $vgpr2_vgpr3
	v_writelane_b32 v47, s6, 4
.LBB86_588:
	s_mov_b32 s6, 0
.LBB86_589:
	s_and_b32 vcc_lo, exec_lo, s6
	s_cbranch_vccz .LBB86_609
; %bb.590:
	s_cmp_lt_i32 s4, 27
	s_cbranch_scc1 .LBB86_593
; %bb.591:
	s_cmp_gt_i32 s4, 27
	s_cbranch_scc0 .LBB86_594
; %bb.592:
	global_load_dword v2, v[0:1], off
	s_mov_b32 s5, 0
	s_waitcnt vmcnt(0)
	v_cvt_f64_u32_e32 v[2:3], v2
	s_branch .LBB86_595
.LBB86_593:
	s_mov_b32 s5, -1
                                        ; implicit-def: $vgpr2_vgpr3
	s_branch .LBB86_598
.LBB86_594:
	s_mov_b32 s5, -1
                                        ; implicit-def: $vgpr2_vgpr3
.LBB86_595:
	s_andn2_b32 vcc_lo, exec_lo, s5
	s_cbranch_vccnz .LBB86_597
; %bb.596:
	global_load_ushort v2, v[0:1], off
	s_waitcnt vmcnt(0)
	v_cvt_f64_u32_e32 v[2:3], v2
.LBB86_597:
	s_mov_b32 s5, 0
.LBB86_598:
	s_andn2_b32 vcc_lo, exec_lo, s5
	s_cbranch_vccnz .LBB86_608
; %bb.599:
	global_load_ubyte v4, v[0:1], off
	s_mov_b32 s5, 0
	s_mov_b32 s6, exec_lo
	s_waitcnt vmcnt(0)
	v_cmpx_lt_i16_e32 0x7f, v4
	s_xor_b32 s6, exec_lo, s6
	s_cbranch_execz .LBB86_603
; %bb.600:
	s_mov_b32 s5, -1
	s_mov_b32 s7, exec_lo
	v_cmpx_eq_u16_e32 0x80, v4
; %bb.601:
	s_xor_b32 s5, exec_lo, -1
; %bb.602:
	s_or_b32 exec_lo, exec_lo, s7
	s_and_b32 s5, s5, exec_lo
.LBB86_603:
	s_or_saveexec_b32 s6, s6
	v_bfrev_b32_e32 v2, 4
	v_mov_b32_e32 v3, 0x7ff80000
	s_xor_b32 exec_lo, exec_lo, s6
; %bb.604:
	v_cmp_ne_u16_e32 vcc_lo, 0, v4
	v_mov_b32_e32 v2, 0
	v_mov_b32_e32 v3, 0
	s_andn2_b32 s5, s5, exec_lo
	s_and_b32 s7, vcc_lo, exec_lo
	s_or_b32 s5, s5, s7
; %bb.605:
	s_or_b32 exec_lo, exec_lo, s6
	s_and_saveexec_b32 s6, s5
	s_cbranch_execz .LBB86_607
; %bb.606:
	v_and_b32_e32 v2, 0xffff, v4
	v_lshlrev_b32_e32 v4, 24, v4
	v_and_b32_e32 v3, 7, v2
	v_bfe_u32 v7, v2, 3, 4
	v_ffbh_u32_e32 v5, v3
	v_cmp_eq_u32_e32 vcc_lo, 0, v7
	v_min_u32_e32 v5, 32, v5
	v_subrev_nc_u32_e32 v6, 28, v5
	v_sub_nc_u32_e32 v5, 29, v5
	v_lshlrev_b32_e32 v2, v6, v2
	v_cndmask_b32_e32 v5, v7, v5, vcc_lo
	v_and_b32_e32 v2, 7, v2
	v_cndmask_b32_e32 v2, v3, v2, vcc_lo
	v_and_b32_e32 v3, 0x80000000, v4
	v_lshl_add_u32 v4, v5, 23, 0x3b800000
	v_lshlrev_b32_e32 v2, 20, v2
	v_or3_b32 v2, v3, v4, v2
	v_cvt_f64_f32_e32 v[2:3], v2
.LBB86_607:
	s_or_b32 exec_lo, exec_lo, s6
.LBB86_608:
	s_mov_b32 s5, -1
.LBB86_609:
	s_mov_b32 s6, 0
.LBB86_610:
	s_and_b32 vcc_lo, exec_lo, s6
	s_cbranch_vccz .LBB86_643
; %bb.611:
	s_cmp_gt_i32 s4, 22
	s_cbranch_scc0 .LBB86_623
; %bb.612:
	s_cmp_lt_i32 s4, 24
	s_cbranch_scc1 .LBB86_624
; %bb.613:
	s_cmp_gt_i32 s4, 24
	s_cbranch_scc0 .LBB86_625
; %bb.614:
	global_load_ubyte v4, v[0:1], off
	s_mov_b32 s5, 0
	s_mov_b32 s6, exec_lo
	s_waitcnt vmcnt(0)
	v_cmpx_lt_i16_e32 0x7f, v4
	s_xor_b32 s6, exec_lo, s6
	s_cbranch_execz .LBB86_618
; %bb.615:
	s_mov_b32 s5, -1
	s_mov_b32 s7, exec_lo
	v_cmpx_eq_u16_e32 0x80, v4
; %bb.616:
	s_xor_b32 s5, exec_lo, -1
; %bb.617:
	s_or_b32 exec_lo, exec_lo, s7
	s_and_b32 s5, s5, exec_lo
.LBB86_618:
	s_or_saveexec_b32 s6, s6
	v_bfrev_b32_e32 v2, 4
	v_mov_b32_e32 v3, 0x7ff80000
	s_xor_b32 exec_lo, exec_lo, s6
; %bb.619:
	v_cmp_ne_u16_e32 vcc_lo, 0, v4
	v_mov_b32_e32 v2, 0
	v_mov_b32_e32 v3, 0
	s_andn2_b32 s5, s5, exec_lo
	s_and_b32 s7, vcc_lo, exec_lo
	s_or_b32 s5, s5, s7
; %bb.620:
	s_or_b32 exec_lo, exec_lo, s6
	s_and_saveexec_b32 s6, s5
	s_cbranch_execz .LBB86_622
; %bb.621:
	v_and_b32_e32 v2, 0xffff, v4
	v_lshlrev_b32_e32 v4, 24, v4
	v_and_b32_e32 v3, 3, v2
	v_bfe_u32 v7, v2, 2, 5
	v_ffbh_u32_e32 v5, v3
	v_cmp_eq_u32_e32 vcc_lo, 0, v7
	v_min_u32_e32 v5, 32, v5
	v_subrev_nc_u32_e32 v6, 29, v5
	v_sub_nc_u32_e32 v5, 30, v5
	v_lshlrev_b32_e32 v2, v6, v2
	v_cndmask_b32_e32 v5, v7, v5, vcc_lo
	v_and_b32_e32 v2, 3, v2
	v_cndmask_b32_e32 v2, v3, v2, vcc_lo
	v_and_b32_e32 v3, 0x80000000, v4
	v_lshl_add_u32 v4, v5, 23, 0x37800000
	v_lshlrev_b32_e32 v2, 21, v2
	v_or3_b32 v2, v3, v4, v2
	v_cvt_f64_f32_e32 v[2:3], v2
.LBB86_622:
	s_or_b32 exec_lo, exec_lo, s6
	s_mov_b32 s5, 0
	s_branch .LBB86_626
.LBB86_623:
	s_mov_b32 s6, -1
                                        ; implicit-def: $vgpr2_vgpr3
	s_branch .LBB86_632
.LBB86_624:
	s_mov_b32 s5, -1
                                        ; implicit-def: $vgpr2_vgpr3
	s_branch .LBB86_629
.LBB86_625:
	s_mov_b32 s5, -1
                                        ; implicit-def: $vgpr2_vgpr3
.LBB86_626:
	s_and_b32 vcc_lo, exec_lo, s5
	s_cbranch_vccz .LBB86_628
; %bb.627:
	global_load_ubyte v2, v[0:1], off
	s_waitcnt vmcnt(0)
	v_lshlrev_b32_e32 v2, 24, v2
	v_and_b32_e32 v3, 0x7f000000, v2
	v_ffbh_u32_e32 v4, v3
	v_add_nc_u32_e32 v6, 0x1000000, v3
	v_cmp_ne_u32_e32 vcc_lo, 0, v3
	v_min_u32_e32 v4, 32, v4
	v_sub_nc_u32_e64 v4, v4, 4 clamp
	v_lshlrev_b32_e32 v5, v4, v3
	v_lshlrev_b32_e32 v4, 23, v4
	v_lshrrev_b32_e32 v5, 4, v5
	v_sub_nc_u32_e32 v4, v5, v4
	v_ashrrev_i32_e32 v5, 8, v6
	v_add_nc_u32_e32 v4, 0x3c000000, v4
	v_and_or_b32 v4, 0x7f800000, v5, v4
	v_cndmask_b32_e32 v3, 0, v4, vcc_lo
	v_and_or_b32 v2, 0x80000000, v2, v3
	v_cvt_f64_f32_e32 v[2:3], v2
.LBB86_628:
	s_mov_b32 s5, 0
.LBB86_629:
	s_andn2_b32 vcc_lo, exec_lo, s5
	s_cbranch_vccnz .LBB86_631
; %bb.630:
	global_load_ubyte v2, v[0:1], off
	s_waitcnt vmcnt(0)
	v_lshlrev_b32_e32 v3, 25, v2
	v_lshlrev_b16 v2, 8, v2
	v_lshrrev_b32_e32 v4, 4, v3
	v_and_or_b32 v5, 0x7f00, v2, 0.5
	v_cmp_gt_u32_e32 vcc_lo, 0x8000000, v3
	v_bfe_i32 v2, v2, 0, 16
	v_or_b32_e32 v4, 0x70000000, v4
	v_add_f32_e32 v5, -0.5, v5
	v_mul_f32_e32 v4, 0x7800000, v4
	v_cndmask_b32_e32 v3, v4, v5, vcc_lo
	v_and_or_b32 v2, 0x80000000, v2, v3
	v_cvt_f64_f32_e32 v[2:3], v2
.LBB86_631:
	s_mov_b32 s6, 0
	s_mov_b32 s5, -1
.LBB86_632:
	s_andn2_b32 vcc_lo, exec_lo, s6
	s_cbranch_vccnz .LBB86_643
; %bb.633:
	s_cmp_gt_i32 s4, 14
	s_cbranch_scc0 .LBB86_636
; %bb.634:
	s_cmp_eq_u32 s4, 15
	s_cbranch_scc0 .LBB86_637
; %bb.635:
	global_load_ushort v2, v[0:1], off
	s_mov_b32 s6, 0
	s_mov_b32 s5, -1
	v_writelane_b32 v47, s6, 4
	s_waitcnt vmcnt(0)
	v_lshlrev_b32_e32 v2, 16, v2
	v_cvt_f64_f32_e32 v[2:3], v2
	s_branch .LBB86_638
.LBB86_636:
	s_mov_b32 s6, -1
                                        ; implicit-def: $vgpr2_vgpr3
	s_branch .LBB86_639
.LBB86_637:
	s_mov_b32 s6, -1
                                        ; implicit-def: $vgpr2_vgpr3
	v_writelane_b32 v47, s6, 4
.LBB86_638:
	s_mov_b32 s6, 0
.LBB86_639:
	s_and_b32 vcc_lo, exec_lo, s6
	s_cbranch_vccz .LBB86_643
; %bb.640:
	s_cmp_eq_u32 s4, 11
	s_cbranch_scc0 .LBB86_642
; %bb.641:
	global_load_ubyte v2, v[0:1], off
	s_mov_b32 s5, 0
	v_writelane_b32 v47, s5, 4
	s_mov_b32 s5, -1
	s_waitcnt vmcnt(0)
	v_cmp_ne_u16_e32 vcc_lo, 0, v2
	v_mov_b32_e32 v2, 0
	v_cndmask_b32_e64 v3, 0, 0x3ff00000, vcc_lo
	s_branch .LBB86_643
.LBB86_642:
	s_mov_b32 s6, -1
                                        ; implicit-def: $vgpr2_vgpr3
	v_writelane_b32 v47, s6, 4
.LBB86_643:
	s_mov_b32 s6, 0
.LBB86_644:
	s_and_b32 vcc_lo, exec_lo, s6
	s_cbranch_vccz .LBB86_693
; %bb.645:
	s_cmp_lt_i32 s4, 5
	s_cbranch_scc1 .LBB86_650
; %bb.646:
	s_cmp_lt_i32 s4, 8
	s_cbranch_scc1 .LBB86_651
	;; [unrolled: 3-line block ×3, first 2 shown]
; %bb.648:
	s_cmp_gt_i32 s4, 9
	s_cbranch_scc0 .LBB86_653
; %bb.649:
	global_load_dwordx2 v[2:3], v[0:1], off
	s_mov_b32 s5, 0
	s_branch .LBB86_654
.LBB86_650:
	s_mov_b32 s5, -1
                                        ; implicit-def: $vgpr2_vgpr3
	s_branch .LBB86_672
.LBB86_651:
	s_mov_b32 s5, -1
                                        ; implicit-def: $vgpr2_vgpr3
	s_branch .LBB86_660
.LBB86_652:
	s_mov_b32 s5, -1
                                        ; implicit-def: $vgpr2_vgpr3
	s_branch .LBB86_657
.LBB86_653:
	s_mov_b32 s5, -1
                                        ; implicit-def: $vgpr2_vgpr3
.LBB86_654:
	s_andn2_b32 vcc_lo, exec_lo, s5
	s_cbranch_vccnz .LBB86_656
; %bb.655:
	global_load_dword v2, v[0:1], off
	s_waitcnt vmcnt(0)
	v_cvt_f64_f32_e32 v[2:3], v2
.LBB86_656:
	s_mov_b32 s5, 0
.LBB86_657:
	s_andn2_b32 vcc_lo, exec_lo, s5
	s_cbranch_vccnz .LBB86_659
; %bb.658:
	global_load_dword v2, v[0:1], off
	s_waitcnt vmcnt(0)
	v_cvt_f32_f16_e32 v2, v2
	v_cvt_f64_f32_e32 v[2:3], v2
.LBB86_659:
	s_mov_b32 s5, 0
.LBB86_660:
	s_andn2_b32 vcc_lo, exec_lo, s5
	s_cbranch_vccnz .LBB86_671
; %bb.661:
	s_cmp_lt_i32 s4, 6
	s_cbranch_scc1 .LBB86_664
; %bb.662:
	s_cmp_gt_i32 s4, 6
	s_cbranch_scc0 .LBB86_665
; %bb.663:
	global_load_dwordx2 v[2:3], v[0:1], off
	s_mov_b32 s5, 0
	s_branch .LBB86_666
.LBB86_664:
	s_mov_b32 s5, -1
                                        ; implicit-def: $vgpr2_vgpr3
	s_branch .LBB86_669
.LBB86_665:
	s_mov_b32 s5, -1
                                        ; implicit-def: $vgpr2_vgpr3
.LBB86_666:
	s_andn2_b32 vcc_lo, exec_lo, s5
	s_cbranch_vccnz .LBB86_668
; %bb.667:
	global_load_dword v2, v[0:1], off
	s_waitcnt vmcnt(0)
	v_cvt_f64_f32_e32 v[2:3], v2
.LBB86_668:
	s_mov_b32 s5, 0
.LBB86_669:
	s_andn2_b32 vcc_lo, exec_lo, s5
	s_cbranch_vccnz .LBB86_671
; %bb.670:
	global_load_ushort v2, v[0:1], off
	s_waitcnt vmcnt(0)
	v_cvt_f32_f16_e32 v2, v2
	v_cvt_f64_f32_e32 v[2:3], v2
.LBB86_671:
	s_mov_b32 s5, 0
.LBB86_672:
	s_andn2_b32 vcc_lo, exec_lo, s5
	s_cbranch_vccnz .LBB86_692
; %bb.673:
	s_cmp_lt_i32 s4, 2
	s_cbranch_scc1 .LBB86_677
; %bb.674:
	s_cmp_lt_i32 s4, 3
	s_cbranch_scc1 .LBB86_678
; %bb.675:
	s_cmp_gt_i32 s4, 3
	s_cbranch_scc0 .LBB86_679
; %bb.676:
	global_load_dwordx2 v[2:3], v[0:1], off
	s_mov_b32 s5, 0
	s_waitcnt vmcnt(0)
	v_cvt_f64_i32_e32 v[3:4], v3
	v_cvt_f64_u32_e32 v[5:6], v2
	v_ldexp_f64 v[3:4], v[3:4], 32
	v_add_f64 v[2:3], v[3:4], v[5:6]
	s_branch .LBB86_680
.LBB86_677:
	s_mov_b32 s5, -1
                                        ; implicit-def: $vgpr2_vgpr3
	s_branch .LBB86_686
.LBB86_678:
	s_mov_b32 s5, -1
                                        ; implicit-def: $vgpr2_vgpr3
	s_branch .LBB86_683
.LBB86_679:
	s_mov_b32 s5, -1
                                        ; implicit-def: $vgpr2_vgpr3
.LBB86_680:
	s_andn2_b32 vcc_lo, exec_lo, s5
	s_cbranch_vccnz .LBB86_682
; %bb.681:
	global_load_dword v2, v[0:1], off
	s_waitcnt vmcnt(0)
	v_cvt_f64_i32_e32 v[2:3], v2
.LBB86_682:
	s_mov_b32 s5, 0
.LBB86_683:
	s_andn2_b32 vcc_lo, exec_lo, s5
	s_cbranch_vccnz .LBB86_685
; %bb.684:
	global_load_sshort v2, v[0:1], off
	s_waitcnt vmcnt(0)
	v_cvt_f64_i32_e32 v[2:3], v2
.LBB86_685:
	s_mov_b32 s5, 0
.LBB86_686:
	s_andn2_b32 vcc_lo, exec_lo, s5
	s_cbranch_vccnz .LBB86_692
; %bb.687:
	s_cmp_gt_i32 s4, 0
	s_mov_b32 s4, 0
	s_cbranch_scc0 .LBB86_689
; %bb.688:
	global_load_sbyte v2, v[0:1], off
	s_waitcnt vmcnt(0)
	v_cvt_f64_i32_e32 v[2:3], v2
	s_branch .LBB86_690
.LBB86_689:
	s_mov_b32 s4, -1
                                        ; implicit-def: $vgpr2_vgpr3
.LBB86_690:
	s_andn2_b32 vcc_lo, exec_lo, s4
	s_cbranch_vccnz .LBB86_692
; %bb.691:
	global_load_ubyte v0, v[0:1], off
	s_waitcnt vmcnt(0)
	v_cvt_f64_u32_e32 v[2:3], v0
.LBB86_692:
	s_mov_b32 s5, -1
.LBB86_693:
	s_andn2_b32 vcc_lo, exec_lo, s5
	s_cbranch_vccnz .LBB86_701
; %bb.694:
	s_mov_b64 s[6:7], s[98:99]
	s_getpc_b64 s[4:5]
	s_add_u32 s4, s4, _ZZZZN2at6native21polygamma_kernel_cudaERNS_18TensorIteratorBaseElENKUlvE_clEvENKUlvE_clEvENKUldE_clEd@rel32@lo+4
	s_addc_u32 s5, s5, _ZZZZN2at6native21polygamma_kernel_cudaERNS_18TensorIteratorBaseElENKUlvE_clEvENKUlvE_clEvENKUldE_clEd@rel32@hi+12
	v_mov_b32_e32 v0, s6
	v_mov_b32_e32 v1, s7
	v_writelane_b32 v47, s80, 5
	s_mov_b32 s104, s39
	s_mov_b32 s39, s53
	;; [unrolled: 1-line block ×7, first 2 shown]
	s_mov_b64 s[54:55], s[46:47]
	s_mov_b64 s[70:71], s[42:43]
	;; [unrolled: 1-line block ×3, first 2 shown]
	s_mov_b32 s67, s96
	s_mov_b64 s[98:99], s[58:59]
	s_mov_b32 s87, s33
	s_mov_b32 s33, s34
	s_mov_b64 s[52:53], s[44:45]
	s_mov_b64 s[68:69], s[40:41]
	;; [unrolled: 1-line block ×3, first 2 shown]
	s_swappc_b64 s[30:31], s[4:5]
	s_mov_b64 s[56:57], s[96:97]
	s_and_b32 s5, s67, 0xff
	v_add_co_u32 v4, s4, s56, v41
	v_add_co_ci_u32_e64 v5, null, s57, 0, s4
	s_mov_b64 s[58:59], s[98:99]
	s_mov_b32 s96, s67
	s_cmp_lt_i32 s5, 11
	s_cbranch_scc1 .LBB86_702
; %bb.695:
	s_and_b32 s6, 0xffff, s5
	s_cmp_gt_i32 s6, 25
	s_cbranch_scc0 .LBB86_703
; %bb.696:
	s_mov_b64 s[40:41], s[68:69]
	s_mov_b64 s[44:45], s[52:53]
	s_cmp_gt_i32 s6, 28
	s_mov_b64 s[42:43], s[70:71]
	s_mov_b64 s[46:47], s[54:55]
	s_mov_b32 s97, s66
	s_mov_b32 s67, s102
	s_cbranch_scc0 .LBB86_704
; %bb.697:
	v_readlane_b32 s4, v47, 0
	s_cmp_gt_i32 s6, 43
	s_mov_b64 s[98:99], s[80:81]
	s_mov_b32 s68, s65
	s_mov_b32 s52, s64
	;; [unrolled: 1-line block ×3, first 2 shown]
	s_cbranch_scc0 .LBB86_705
; %bb.698:
	s_cmp_gt_i32 s6, 45
	s_mov_b32 s34, s33
	s_mov_b32 s102, s83
	;; [unrolled: 1-line block ×3, first 2 shown]
	s_cbranch_scc0 .LBB86_706
; %bb.699:
	s_mov_b32 s8, 0
	s_mov_b32 s4, -1
	s_cmp_eq_u32 s6, 46
	s_mov_b32 s7, 0
	s_mov_b32 s33, s87
	s_cbranch_scc0 .LBB86_707
; %bb.700:
	v_cvt_f32_f64_e32 v2, v[0:1]
	s_mov_b32 s7, -1
	s_mov_b32 s4, 0
	v_bfe_u32 v3, v2, 16, 1
	v_cmp_o_f32_e32 vcc_lo, v2, v2
	v_add3_u32 v2, v2, v3, 0x7fff
	v_mov_b32_e32 v3, 0x7fc0
	v_cndmask_b32_sdwa v2, v3, v2, vcc_lo dst_sel:DWORD dst_unused:UNUSED_PAD src0_sel:DWORD src1_sel:WORD_1
	global_store_dword v[4:5], v2, off
	s_branch .LBB86_707
.LBB86_701:
	v_readlane_b32 s6, v47, 0
	s_mov_b32 s5, 0
                                        ; implicit-def: $vgpr43
	s_mov_b32 s4, s6
	s_branch .LBB86_819
.LBB86_702:
	s_mov_b64 s[40:41], s[68:69]
	s_mov_b64 s[44:45], s[52:53]
	s_mov_b32 s6, -1
	s_mov_b32 s7, 0
	v_readlane_b32 s4, v47, 0
	s_mov_b64 s[42:43], s[70:71]
	s_mov_b64 s[98:99], s[80:81]
	;; [unrolled: 1-line block ×3, first 2 shown]
	s_mov_b32 s97, s66
	s_mov_b32 s67, s102
	;; [unrolled: 1-line block ×10, first 2 shown]
	v_readlane_b32 s80, v47, 5
	s_branch .LBB86_776
.LBB86_703:
	v_readlane_b32 s4, v47, 0
	s_mov_b64 s[98:99], s[80:81]
	v_readlane_b32 s80, v47, 5
	s_mov_b64 s[40:41], s[68:69]
	s_mov_b64 s[44:45], s[52:53]
	s_mov_b32 s8, -1
	s_mov_b32 s7, 0
	s_mov_b64 s[42:43], s[70:71]
	s_mov_b64 s[46:47], s[54:55]
	s_mov_b32 s97, s66
	s_mov_b32 s67, s102
	;; [unrolled: 1-line block ×10, first 2 shown]
	s_branch .LBB86_734
.LBB86_704:
	v_readlane_b32 s4, v47, 0
	s_mov_b64 s[98:99], s[80:81]
	v_readlane_b32 s80, v47, 5
	s_mov_b32 s8, -1
	s_mov_b32 s7, 0
	s_mov_b32 s68, s65
	;; [unrolled: 1-line block ×9, first 2 shown]
	s_branch .LBB86_717
.LBB86_705:
	v_readlane_b32 s80, v47, 5
	s_mov_b32 s8, -1
	s_mov_b32 s7, 0
	s_mov_b32 s34, s33
	;; [unrolled: 1-line block ×6, first 2 shown]
	s_branch .LBB86_713
.LBB86_706:
	s_mov_b32 s8, -1
	s_mov_b32 s7, 0
	s_mov_b32 s33, s87
.LBB86_707:
	v_readlane_b32 s80, v47, 5
	s_and_b32 vcc_lo, exec_lo, s8
	s_mov_b32 s69, 0
	s_cbranch_vccz .LBB86_712
; %bb.708:
	s_cmp_eq_u32 s6, 44
	s_mov_b32 s4, -1
	s_cbranch_scc0 .LBB86_712
; %bb.709:
	v_cvt_f32_f64_e32 v2, v[0:1]
	v_mov_b32_e32 v3, 0xff
	s_mov_b32 s7, exec_lo
	v_bfe_u32 v6, v2, 23, 8
	v_cmpx_ne_u32_e32 0xff, v6
	s_cbranch_execz .LBB86_711
; %bb.710:
	v_and_b32_e32 v3, 0x400000, v2
	v_and_or_b32 v6, 0x3fffff, v2, v6
	v_lshrrev_b32_e32 v2, 23, v2
	v_cmp_ne_u32_e32 vcc_lo, 0, v3
	v_cmp_ne_u32_e64 s4, 0, v6
	s_and_b32 s4, vcc_lo, s4
	v_cndmask_b32_e64 v3, 0, 1, s4
	v_add_nc_u32_e32 v3, v2, v3
.LBB86_711:
	s_or_b32 exec_lo, exec_lo, s7
	s_mov_b32 s7, -1
	s_mov_b32 s4, 0
	global_store_byte v[4:5], v3, off
.LBB86_712:
	s_mov_b32 s8, 0
.LBB86_713:
	s_and_b32 vcc_lo, exec_lo, s8
	s_cbranch_vccz .LBB86_716
; %bb.714:
	s_cmp_eq_u32 s6, 29
	s_mov_b32 s4, -1
	s_cbranch_scc0 .LBB86_716
; %bb.715:
	v_trunc_f64_e32 v[2:3], v[0:1]
	s_mov_b32 s7, -1
	s_mov_b32 s4, 0
	s_mov_b32 s8, 0
	v_ldexp_f64 v[6:7], v[2:3], 0xffffffe0
	v_floor_f64_e32 v[6:7], v[6:7]
	v_fma_f64 v[2:3], 0xc1f00000, v[6:7], v[2:3]
	v_cvt_u32_f64_e32 v7, v[6:7]
	v_cvt_u32_f64_e32 v6, v[2:3]
	global_store_dwordx2 v[4:5], v[6:7], off
	s_branch .LBB86_717
.LBB86_716:
	s_mov_b32 s8, 0
.LBB86_717:
	s_and_b32 vcc_lo, exec_lo, s8
	s_cbranch_vccz .LBB86_733
; %bb.718:
	s_cmp_lt_i32 s6, 27
	s_mov_b32 s7, -1
	s_cbranch_scc1 .LBB86_724
; %bb.719:
	v_cvt_u32_f64_e32 v2, v[0:1]
	s_cmp_gt_i32 s6, 27
	s_cbranch_scc0 .LBB86_721
; %bb.720:
	s_mov_b32 s7, 0
	global_store_dword v[4:5], v2, off
.LBB86_721:
	s_andn2_b32 vcc_lo, exec_lo, s7
	s_cbranch_vccnz .LBB86_723
; %bb.722:
	global_store_short v[4:5], v2, off
.LBB86_723:
	s_mov_b32 s7, 0
.LBB86_724:
	s_andn2_b32 vcc_lo, exec_lo, s7
	s_cbranch_vccnz .LBB86_732
; %bb.725:
	v_cvt_f32_f64_e32 v2, v[0:1]
	v_mov_b32_e32 v6, 0x80
	s_mov_b32 s7, exec_lo
	v_and_b32_e32 v3, 0x7fffffff, v2
	v_cmpx_gt_u32_e32 0x43800000, v3
	s_cbranch_execz .LBB86_731
; %bb.726:
	v_cmp_lt_u32_e32 vcc_lo, 0x3bffffff, v3
	s_mov_b32 s8, 0
                                        ; implicit-def: $vgpr3
	s_and_saveexec_b32 s9, vcc_lo
	s_xor_b32 s9, exec_lo, s9
	s_cbranch_execz .LBB86_848
; %bb.727:
	v_bfe_u32 v3, v2, 20, 1
	s_mov_b32 s8, exec_lo
	v_add3_u32 v3, v2, v3, 0x487ffff
	v_lshrrev_b32_e32 v3, 20, v3
	s_andn2_saveexec_b32 s9, s9
	s_cbranch_execnz .LBB86_849
.LBB86_728:
	s_or_b32 exec_lo, exec_lo, s9
	v_mov_b32_e32 v6, 0
	s_and_saveexec_b32 s9, s8
.LBB86_729:
	v_lshrrev_b32_e32 v2, 24, v2
	v_and_or_b32 v6, 0x80, v2, v3
.LBB86_730:
	s_or_b32 exec_lo, exec_lo, s9
.LBB86_731:
	s_or_b32 exec_lo, exec_lo, s7
	global_store_byte v[4:5], v6, off
.LBB86_732:
	s_mov_b32 s7, -1
.LBB86_733:
	s_mov_b32 s8, 0
.LBB86_734:
	s_and_b32 vcc_lo, exec_lo, s8
	s_cbranch_vccz .LBB86_775
; %bb.735:
	s_cmp_gt_i32 s6, 22
	s_mov_b32 s8, -1
	s_cbranch_scc0 .LBB86_767
; %bb.736:
	s_cmp_lt_i32 s6, 24
	s_mov_b32 s7, -1
	s_cbranch_scc1 .LBB86_756
; %bb.737:
	s_cmp_gt_i32 s6, 24
	s_cbranch_scc0 .LBB86_745
; %bb.738:
	v_cvt_f32_f64_e32 v2, v[0:1]
	v_mov_b32_e32 v6, 0x80
	s_mov_b32 s7, exec_lo
	v_and_b32_e32 v3, 0x7fffffff, v2
	v_cmpx_gt_u32_e32 0x47800000, v3
	s_cbranch_execz .LBB86_744
; %bb.739:
	v_cmp_lt_u32_e32 vcc_lo, 0x37ffffff, v3
	s_mov_b32 s8, 0
                                        ; implicit-def: $vgpr3
	s_and_saveexec_b32 s9, vcc_lo
	s_xor_b32 s9, exec_lo, s9
	s_cbranch_execz .LBB86_851
; %bb.740:
	v_bfe_u32 v3, v2, 21, 1
	s_mov_b32 s8, exec_lo
	v_add3_u32 v3, v2, v3, 0x88fffff
	v_lshrrev_b32_e32 v3, 21, v3
	s_andn2_saveexec_b32 s9, s9
	s_cbranch_execnz .LBB86_852
.LBB86_741:
	s_or_b32 exec_lo, exec_lo, s9
	v_mov_b32_e32 v6, 0
	s_and_saveexec_b32 s9, s8
.LBB86_742:
	v_lshrrev_b32_e32 v2, 24, v2
	v_and_or_b32 v6, 0x80, v2, v3
.LBB86_743:
	s_or_b32 exec_lo, exec_lo, s9
.LBB86_744:
	s_or_b32 exec_lo, exec_lo, s7
	s_mov_b32 s7, 0
	global_store_byte v[4:5], v6, off
.LBB86_745:
	s_and_b32 vcc_lo, exec_lo, s7
	s_cbranch_vccz .LBB86_755
; %bb.746:
	v_cvt_f32_f64_e32 v2, v[0:1]
	s_mov_b32 s7, exec_lo
                                        ; implicit-def: $vgpr3
	v_and_b32_e32 v6, 0x7fffffff, v2
	v_cmpx_gt_u32_e32 0x43f00000, v6
	s_xor_b32 s7, exec_lo, s7
	s_cbranch_execz .LBB86_752
; %bb.747:
	s_mov_b32 s8, exec_lo
                                        ; implicit-def: $vgpr3
	v_cmpx_lt_u32_e32 0x3c7fffff, v6
	s_xor_b32 s8, exec_lo, s8
; %bb.748:
	v_bfe_u32 v3, v2, 20, 1
	v_add3_u32 v3, v2, v3, 0x407ffff
	v_and_b32_e32 v6, 0xff00000, v3
	v_lshrrev_b32_e32 v3, 20, v3
	v_cmp_ne_u32_e32 vcc_lo, 0x7f00000, v6
	v_cndmask_b32_e32 v3, 0x7e, v3, vcc_lo
; %bb.749:
	s_andn2_saveexec_b32 s8, s8
; %bb.750:
	v_add_f32_e64 v3, 0x46800000, |v2|
; %bb.751:
	s_or_b32 exec_lo, exec_lo, s8
                                        ; implicit-def: $vgpr6
.LBB86_752:
	s_andn2_saveexec_b32 s7, s7
; %bb.753:
	v_mov_b32_e32 v3, 0x7f
	v_cmp_lt_u32_e32 vcc_lo, 0x7f800000, v6
	v_cndmask_b32_e32 v3, 0x7e, v3, vcc_lo
; %bb.754:
	s_or_b32 exec_lo, exec_lo, s7
	v_lshrrev_b32_e32 v2, 24, v2
	v_and_or_b32 v2, 0x80, v2, v3
	global_store_byte v[4:5], v2, off
.LBB86_755:
	s_mov_b32 s7, 0
.LBB86_756:
	s_andn2_b32 vcc_lo, exec_lo, s7
	s_cbranch_vccnz .LBB86_766
; %bb.757:
	v_cvt_f32_f64_e32 v2, v[0:1]
	s_mov_b32 s7, exec_lo
                                        ; implicit-def: $vgpr3
	v_and_b32_e32 v6, 0x7fffffff, v2
	v_cmpx_gt_u32_e32 0x47800000, v6
	s_xor_b32 s7, exec_lo, s7
	s_cbranch_execz .LBB86_763
; %bb.758:
	s_mov_b32 s8, exec_lo
                                        ; implicit-def: $vgpr3
	v_cmpx_lt_u32_e32 0x387fffff, v6
	s_xor_b32 s8, exec_lo, s8
; %bb.759:
	v_bfe_u32 v3, v2, 21, 1
	v_add3_u32 v3, v2, v3, 0x80fffff
	v_lshrrev_b32_e32 v3, 21, v3
; %bb.760:
	s_andn2_saveexec_b32 s8, s8
; %bb.761:
	v_add_f32_e64 v3, 0x43000000, |v2|
; %bb.762:
	s_or_b32 exec_lo, exec_lo, s8
                                        ; implicit-def: $vgpr6
.LBB86_763:
	s_andn2_saveexec_b32 s7, s7
; %bb.764:
	v_mov_b32_e32 v3, 0x7f
	v_cmp_lt_u32_e32 vcc_lo, 0x7f800000, v6
	v_cndmask_b32_e32 v3, 0x7c, v3, vcc_lo
; %bb.765:
	s_or_b32 exec_lo, exec_lo, s7
	v_lshrrev_b32_e32 v2, 24, v2
	v_and_or_b32 v2, 0x80, v2, v3
	global_store_byte v[4:5], v2, off
.LBB86_766:
	s_mov_b32 s8, 0
	s_mov_b32 s7, -1
.LBB86_767:
	s_andn2_b32 vcc_lo, exec_lo, s8
	s_cbranch_vccnz .LBB86_775
; %bb.768:
	s_cmp_gt_i32 s6, 14
	s_mov_b32 s8, -1
	s_cbranch_scc0 .LBB86_772
; %bb.769:
	s_cmp_eq_u32 s6, 15
	s_mov_b32 s4, -1
	s_cbranch_scc0 .LBB86_771
; %bb.770:
	v_cvt_f32_f64_e32 v2, v[0:1]
	s_mov_b32 s7, -1
	s_mov_b32 s4, 0
	v_bfe_u32 v3, v2, 16, 1
	v_cmp_o_f32_e32 vcc_lo, v2, v2
	v_add3_u32 v2, v2, v3, 0x7fff
	v_mov_b32_e32 v3, 0x7fc0
	v_cndmask_b32_sdwa v2, v3, v2, vcc_lo dst_sel:DWORD dst_unused:UNUSED_PAD src0_sel:DWORD src1_sel:WORD_1
	global_store_short v[4:5], v2, off
.LBB86_771:
	s_mov_b32 s8, 0
.LBB86_772:
	s_and_b32 vcc_lo, exec_lo, s8
	s_cbranch_vccz .LBB86_775
; %bb.773:
	s_cmp_eq_u32 s6, 11
	s_mov_b32 s4, -1
	s_cbranch_scc0 .LBB86_775
; %bb.774:
	v_cmp_neq_f64_e32 vcc_lo, 0, v[0:1]
	s_mov_b32 s7, -1
	s_mov_b32 s4, 0
	v_cndmask_b32_e64 v2, 0, 1, vcc_lo
	global_store_byte v[4:5], v2, off
.LBB86_775:
	s_mov_b32 s6, 0
.LBB86_776:
	s_and_b32 vcc_lo, exec_lo, s6
	s_cbranch_vccz .LBB86_815
; %bb.777:
	s_and_b32 s5, 0xffff, s5
	s_mov_b32 s6, -1
	s_cmp_lt_i32 s5, 5
	s_cbranch_scc1 .LBB86_798
; %bb.778:
	s_cmp_lt_i32 s5, 8
	s_cbranch_scc1 .LBB86_788
; %bb.779:
	;; [unrolled: 3-line block ×3, first 2 shown]
	s_cmp_gt_i32 s5, 9
	s_cbranch_scc0 .LBB86_782
; %bb.781:
	v_mov_b32_e32 v2, 0
	s_mov_b32 s6, 0
	v_mov_b32_e32 v3, v2
	global_store_dwordx4 v[4:5], v[0:3], off
.LBB86_782:
	s_andn2_b32 vcc_lo, exec_lo, s6
	s_cbranch_vccnz .LBB86_784
; %bb.783:
	v_cvt_f32_f64_e32 v2, v[0:1]
	v_mov_b32_e32 v3, 0
	global_store_dwordx2 v[4:5], v[2:3], off
.LBB86_784:
	s_mov_b32 s6, 0
.LBB86_785:
	s_andn2_b32 vcc_lo, exec_lo, s6
	s_cbranch_vccnz .LBB86_787
; %bb.786:
	v_and_or_b32 v2, 0x1ff, v1, v0
	v_lshrrev_b32_e32 v3, 8, v1
	v_bfe_u32 v6, v1, 20, 11
	v_cmp_ne_u32_e32 vcc_lo, 0, v2
	v_sub_nc_u32_e32 v7, 0x3f1, v6
	v_add_nc_u32_e32 v6, 0xfffffc10, v6
	v_cndmask_b32_e64 v2, 0, 1, vcc_lo
	v_and_or_b32 v2, 0xffe, v3, v2
	v_med3_i32 v3, v7, 0, 13
	v_or_b32_e32 v7, 0x1000, v2
	v_lshrrev_b32_e32 v8, v3, v7
	v_lshlrev_b32_e32 v3, v3, v8
	v_cmp_ne_u32_e32 vcc_lo, v3, v7
	v_lshl_or_b32 v7, v6, 12, v2
	v_cndmask_b32_e64 v3, 0, 1, vcc_lo
	v_cmp_gt_i32_e32 vcc_lo, 1, v6
	v_or_b32_e32 v3, v8, v3
	v_cndmask_b32_e32 v3, v7, v3, vcc_lo
	v_and_b32_e32 v7, 7, v3
	v_lshrrev_b32_e32 v3, 2, v3
	v_cmp_lt_i32_e32 vcc_lo, 5, v7
	v_cndmask_b32_e64 v8, 0, 1, vcc_lo
	v_cmp_eq_u32_e32 vcc_lo, 3, v7
	v_cndmask_b32_e64 v7, 0, 1, vcc_lo
	v_cmp_ne_u32_e32 vcc_lo, 0, v2
	v_or_b32_e32 v7, v7, v8
	v_mov_b32_e32 v8, 0x7e00
	v_add_nc_u32_e32 v3, v3, v7
	v_cndmask_b32_e32 v2, 0x7c00, v8, vcc_lo
	v_cmp_gt_i32_e32 vcc_lo, 31, v6
	v_cndmask_b32_e32 v3, 0x7c00, v3, vcc_lo
	v_cmp_eq_u32_e32 vcc_lo, 0x40f, v6
	v_cndmask_b32_e32 v2, v3, v2, vcc_lo
	v_lshrrev_b32_e32 v3, 16, v1
	v_and_or_b32 v2, 0x8000, v3, v2
	v_and_b32_e32 v2, 0xffff, v2
	global_store_dword v[4:5], v2, off
.LBB86_787:
	s_mov_b32 s6, 0
.LBB86_788:
	s_andn2_b32 vcc_lo, exec_lo, s6
	s_cbranch_vccnz .LBB86_797
; %bb.789:
	s_cmp_lt_i32 s5, 6
	s_mov_b32 s6, -1
	s_cbranch_scc1 .LBB86_795
; %bb.790:
	s_cmp_gt_i32 s5, 6
	s_cbranch_scc0 .LBB86_792
; %bb.791:
	s_mov_b32 s6, 0
	global_store_dwordx2 v[4:5], v[0:1], off
.LBB86_792:
	s_andn2_b32 vcc_lo, exec_lo, s6
	s_cbranch_vccnz .LBB86_794
; %bb.793:
	v_cvt_f32_f64_e32 v2, v[0:1]
	global_store_dword v[4:5], v2, off
.LBB86_794:
	s_mov_b32 s6, 0
.LBB86_795:
	s_andn2_b32 vcc_lo, exec_lo, s6
	s_cbranch_vccnz .LBB86_797
; %bb.796:
	v_and_or_b32 v2, 0x1ff, v1, v0
	v_lshrrev_b32_e32 v3, 8, v1
	v_bfe_u32 v6, v1, 20, 11
	v_cmp_ne_u32_e32 vcc_lo, 0, v2
	v_sub_nc_u32_e32 v7, 0x3f1, v6
	v_add_nc_u32_e32 v6, 0xfffffc10, v6
	v_cndmask_b32_e64 v2, 0, 1, vcc_lo
	v_and_or_b32 v2, 0xffe, v3, v2
	v_med3_i32 v3, v7, 0, 13
	v_or_b32_e32 v7, 0x1000, v2
	v_lshrrev_b32_e32 v8, v3, v7
	v_lshlrev_b32_e32 v3, v3, v8
	v_cmp_ne_u32_e32 vcc_lo, v3, v7
	v_lshl_or_b32 v7, v6, 12, v2
	v_cndmask_b32_e64 v3, 0, 1, vcc_lo
	v_cmp_gt_i32_e32 vcc_lo, 1, v6
	v_or_b32_e32 v3, v8, v3
	v_cndmask_b32_e32 v3, v7, v3, vcc_lo
	v_and_b32_e32 v7, 7, v3
	v_lshrrev_b32_e32 v3, 2, v3
	v_cmp_lt_i32_e32 vcc_lo, 5, v7
	v_cndmask_b32_e64 v8, 0, 1, vcc_lo
	v_cmp_eq_u32_e32 vcc_lo, 3, v7
	v_cndmask_b32_e64 v7, 0, 1, vcc_lo
	v_cmp_ne_u32_e32 vcc_lo, 0, v2
	v_or_b32_e32 v7, v7, v8
	v_mov_b32_e32 v8, 0x7e00
	v_add_nc_u32_e32 v3, v3, v7
	v_cndmask_b32_e32 v2, 0x7c00, v8, vcc_lo
	v_cmp_gt_i32_e32 vcc_lo, 31, v6
	v_cndmask_b32_e32 v3, 0x7c00, v3, vcc_lo
	v_cmp_eq_u32_e32 vcc_lo, 0x40f, v6
	v_cndmask_b32_e32 v2, v3, v2, vcc_lo
	v_lshrrev_b32_e32 v3, 16, v1
	v_and_or_b32 v2, 0x8000, v3, v2
	global_store_short v[4:5], v2, off
.LBB86_797:
	s_mov_b32 s6, 0
.LBB86_798:
	s_andn2_b32 vcc_lo, exec_lo, s6
	s_cbranch_vccnz .LBB86_814
; %bb.799:
	s_cmp_lt_i32 s5, 2
	s_mov_b32 s6, -1
	s_cbranch_scc1 .LBB86_809
; %bb.800:
	s_cmp_lt_i32 s5, 3
	s_cbranch_scc1 .LBB86_806
; %bb.801:
	s_cmp_gt_i32 s5, 3
	s_cbranch_scc0 .LBB86_803
; %bb.802:
	v_trunc_f64_e32 v[2:3], v[0:1]
	s_mov_b32 s6, 0
	v_ldexp_f64 v[6:7], v[2:3], 0xffffffe0
	v_floor_f64_e32 v[6:7], v[6:7]
	v_fma_f64 v[2:3], 0xc1f00000, v[6:7], v[2:3]
	v_cvt_i32_f64_e32 v7, v[6:7]
	v_cvt_u32_f64_e32 v6, v[2:3]
	global_store_dwordx2 v[4:5], v[6:7], off
.LBB86_803:
	s_andn2_b32 vcc_lo, exec_lo, s6
	s_cbranch_vccnz .LBB86_805
; %bb.804:
	v_cvt_i32_f64_e32 v2, v[0:1]
	global_store_dword v[4:5], v2, off
.LBB86_805:
	s_mov_b32 s6, 0
.LBB86_806:
	s_andn2_b32 vcc_lo, exec_lo, s6
	s_cbranch_vccnz .LBB86_808
; %bb.807:
	v_cvt_i32_f64_e32 v2, v[0:1]
	global_store_short v[4:5], v2, off
.LBB86_808:
	s_mov_b32 s6, 0
.LBB86_809:
	s_andn2_b32 vcc_lo, exec_lo, s6
	s_cbranch_vccnz .LBB86_814
; %bb.810:
	s_cmp_gt_i32 s5, 0
	s_mov_b32 s5, -1
	s_cbranch_scc0 .LBB86_812
; %bb.811:
	v_cvt_i32_f64_e32 v2, v[0:1]
	s_mov_b32 s5, 0
	global_store_byte v[4:5], v2, off
.LBB86_812:
	s_andn2_b32 vcc_lo, exec_lo, s5
	s_cbranch_vccnz .LBB86_814
; %bb.813:
	v_trunc_f64_e32 v[0:1], v[0:1]
	v_ldexp_f64 v[2:3], v[0:1], 0xffffffe0
	v_floor_f64_e32 v[2:3], v[2:3]
	v_fma_f64 v[0:1], 0xc1f00000, v[2:3], v[0:1]
	v_cvt_u32_f64_e32 v0, v[0:1]
	global_store_byte v[4:5], v0, off
.LBB86_814:
	s_mov_b32 s7, -1
.LBB86_815:
	s_andn2_b32 vcc_lo, exec_lo, s7
	s_cbranch_vccnz .LBB86_817
; %bb.816:
	v_add_nc_u32_e32 v43, 0x80, v43
	s_mov_b32 s5, -1
	s_branch .LBB86_818
.LBB86_817:
	s_mov_b32 s5, 0
                                        ; implicit-def: $vgpr43
.LBB86_818:
	v_readlane_b32 s6, v47, 0
.LBB86_819:
	v_readlane_b32 s8, v47, 4
	s_andn2_b32 s7, s53, exec_lo
	s_andn2_b32 s6, s6, exec_lo
	s_and_b32 s4, s4, exec_lo
	s_or_b32 s9, s6, s4
	s_and_b32 s8, s8, exec_lo
	s_or_b32 s8, s7, s8
	s_orn2_b32 s7, s5, exec_lo
	v_readlane_b32 s5, v47, 3
.LBB86_820:
	s_or_b32 exec_lo, exec_lo, s5
	s_mov_b32 s4, 0
	s_mov_b32 s5, 0
	;; [unrolled: 1-line block ×3, first 2 shown]
                                        ; implicit-def: $vgpr0_vgpr1
                                        ; implicit-def: $vgpr41
                                        ; implicit-def: $vgpr2_vgpr3
	s_and_saveexec_b32 s10, s7
	v_readlane_b32 s11, v47, 2
	s_cbranch_execz .LBB86_920
; %bb.821:
	s_mov_b32 s12, s8
	s_mov_b32 s7, 0
	;; [unrolled: 1-line block ×3, first 2 shown]
	s_mov_b32 s11, exec_lo
                                        ; implicit-def: $vgpr0_vgpr1
                                        ; implicit-def: $vgpr41
                                        ; implicit-def: $vgpr2_vgpr3
	v_cmpx_gt_i32_e64 s34, v43
	s_cbranch_execz .LBB86_919
; %bb.822:
	s_andn2_b32 vcc_lo, exec_lo, s86
	s_cbranch_vccnz .LBB86_827
; %bb.823:
	s_andn2_b32 vcc_lo, exec_lo, s102
	s_cbranch_vccnz .LBB86_828
; %bb.824:
	s_add_i32 s34, s82, 1
	s_cmp_eq_u32 s39, 2
	s_cbranch_scc1 .LBB86_829
; %bb.825:
	v_mov_b32_e32 v0, 0
	v_mov_b32_e32 v41, 0
	;; [unrolled: 1-line block ×3, first 2 shown]
	s_and_b32 s6, s34, 28
	s_mov_b64 s[4:5], s[50:51]
.LBB86_826:                             ; =>This Inner Loop Header: Depth=1
	s_clause 0x1
	s_load_dwordx8 s[12:19], s[4:5], 0x4
	s_load_dwordx4 s[28:31], s[4:5], 0x24
	s_load_dwordx8 s[20:27], s[84:85], 0x0
	s_add_u32 s4, s4, 48
	s_addc_u32 s5, s5, 0
	s_add_i32 s7, s7, 4
	s_add_u32 s84, s84, 32
	s_addc_u32 s85, s85, 0
	s_cmp_eq_u32 s6, s7
	s_waitcnt vmcnt(0) lgkmcnt(0)
	v_mul_hi_u32 v2, s13, v1
	v_add_nc_u32_e32 v2, v1, v2
	v_lshrrev_b32_e32 v2, s14, v2
	v_mul_hi_u32 v3, s16, v2
	v_mul_lo_u32 v5, v2, s12
	v_add_nc_u32_e32 v3, v2, v3
	v_sub_nc_u32_e32 v1, v1, v5
	v_lshrrev_b32_e32 v3, s17, v3
	v_mul_lo_u32 v5, v1, s20
	v_mul_lo_u32 v7, v1, s21
	v_mul_hi_u32 v4, s19, v3
	v_add_nc_u32_e32 v4, v3, v4
	v_lshrrev_b32_e32 v4, s28, v4
	v_mul_hi_u32 v6, s30, v4
	v_mul_lo_u32 v8, v4, s18
	v_add_nc_u32_e32 v1, v4, v6
	v_mul_lo_u32 v6, v3, s15
	v_sub_nc_u32_e32 v3, v3, v8
	v_lshrrev_b32_e32 v1, s31, v1
	v_mul_lo_u32 v8, v3, s24
	v_mul_lo_u32 v3, v3, s25
	v_sub_nc_u32_e32 v2, v2, v6
	v_mul_lo_u32 v9, v1, s29
	v_mul_lo_u32 v6, v2, s22
	;; [unrolled: 1-line block ×3, first 2 shown]
	v_sub_nc_u32_e32 v4, v4, v9
	v_add3_u32 v5, v5, v41, v6
	v_mul_lo_u32 v9, v4, s26
	v_mul_lo_u32 v4, v4, s27
	v_add3_u32 v0, v7, v0, v2
	v_add3_u32 v41, v8, v5, v9
	;; [unrolled: 1-line block ×3, first 2 shown]
	s_cbranch_scc0 .LBB86_826
	s_branch .LBB86_830
.LBB86_827:
	s_mov_b32 s4, -1
                                        ; implicit-def: $vgpr41
                                        ; implicit-def: $vgpr0
	s_branch .LBB86_834
.LBB86_828:
	v_mov_b32_e32 v41, 0
	v_mov_b32_e32 v0, 0
	s_branch .LBB86_833
.LBB86_829:
	v_mov_b32_e32 v41, 0
	v_mov_b32_e32 v0, 0
	;; [unrolled: 1-line block ×3, first 2 shown]
.LBB86_830:
	s_and_b32 s12, s34, 3
	s_cmp_eq_u32 s12, 0
	s_cbranch_scc1 .LBB86_833
; %bb.831:
	s_lshl_b32 s4, s6, 3
	s_mul_i32 s6, s6, 12
	s_add_u32 s4, s50, s4
	s_addc_u32 s5, s51, 0
	s_add_u32 s4, s4, 0xc4
	s_addc_u32 s5, s5, 0
	;; [unrolled: 2-line block ×3, first 2 shown]
.LBB86_832:                             ; =>This Inner Loop Header: Depth=1
	s_clause 0x1
	s_load_dwordx2 s[14:15], s[6:7], 0x4
	s_load_dword s13, s[6:7], 0xc
	s_load_dwordx2 s[16:17], s[4:5], 0x0
	s_add_u32 s6, s6, 12
	s_addc_u32 s7, s7, 0
	s_add_u32 s4, s4, 8
	s_addc_u32 s5, s5, 0
	s_add_i32 s12, s12, -1
	s_cmp_lg_u32 s12, 0
	s_waitcnt vmcnt(0) lgkmcnt(0)
	v_mul_hi_u32 v2, s15, v1
	v_add_nc_u32_e32 v2, v1, v2
	v_lshrrev_b32_e32 v2, s13, v2
	v_mul_lo_u32 v3, v2, s14
	v_sub_nc_u32_e32 v1, v1, v3
	v_mad_u64_u32 v[41:42], null, v1, s16, v[41:42]
	v_mad_u64_u32 v[0:1], null, v1, s17, v[0:1]
	v_mov_b32_e32 v1, v2
	s_cbranch_scc1 .LBB86_832
.LBB86_833:
	s_mov_b32 s4, 0
.LBB86_834:
	s_andn2_b32 vcc_lo, exec_lo, s4
	s_cbranch_vccnz .LBB86_837
; %bb.835:
	v_mul_hi_u32 v0, s45, v43
	s_andn2_b32 vcc_lo, exec_lo, s67
	v_add_nc_u32_e32 v0, v43, v0
	v_lshrrev_b32_e32 v1, s46, v0
	v_mul_lo_u32 v0, v1, s44
	v_sub_nc_u32_e32 v0, v43, v0
	v_mul_lo_u32 v41, v0, s40
	v_mul_lo_u32 v0, v0, s41
	s_cbranch_vccnz .LBB86_837
; %bb.836:
	s_waitcnt vmcnt(0)
	v_mul_hi_u32 v2, s100, v1
	v_add_nc_u32_e32 v2, v1, v2
	v_lshrrev_b32_e32 v2, s101, v2
	v_mul_lo_u32 v2, v2, s47
	v_sub_nc_u32_e32 v1, v1, v2
	v_mad_u64_u32 v[41:42], null, v1, s42, v[41:42]
	v_mad_u64_u32 v[0:1], null, v1, s43, v[0:1]
.LBB86_837:
	v_add_co_u32 v0, s4, s58, v0
	v_add_co_ci_u32_e64 v1, null, s59, 0, s4
	s_and_b32 s4, 0xffff, s97
	s_cmp_lt_i32 s4, 11
	s_cbranch_scc1 .LBB86_844
; %bb.838:
	s_cmp_gt_i32 s4, 25
	s_mov_b32 s6, 0
	s_cbranch_scc0 .LBB86_845
; %bb.839:
	s_cmp_gt_i32 s4, 28
	s_cbranch_scc0 .LBB86_846
; %bb.840:
	s_cmp_gt_i32 s4, 43
	;; [unrolled: 3-line block ×3, first 2 shown]
	s_cbranch_scc0 .LBB86_850
; %bb.842:
	s_cmp_eq_u32 s4, 46
	s_mov_b32 s12, 0
	s_cbranch_scc0 .LBB86_853
; %bb.843:
	global_load_dword v2, v[0:1], off
	s_mov_b32 s5, 0
	s_mov_b32 s7, -1
	s_waitcnt vmcnt(0)
	v_lshlrev_b32_e32 v2, 16, v2
	v_cvt_f64_f32_e32 v[2:3], v2
	s_branch .LBB86_855
.LBB86_844:
	s_mov_b32 s4, -1
	s_mov_b32 s7, 0
	s_mov_b32 s6, 0
	;; [unrolled: 1-line block ×3, first 2 shown]
                                        ; implicit-def: $vgpr2_vgpr3
	s_branch .LBB86_918
.LBB86_845:
	s_mov_b32 s12, -1
	s_mov_b32 s7, 0
	s_mov_b32 s5, s8
                                        ; implicit-def: $vgpr2_vgpr3
	s_branch .LBB86_886
.LBB86_846:
	s_mov_b32 s12, -1
	s_mov_b32 s7, 0
	s_mov_b32 s5, s8
                                        ; implicit-def: $vgpr2_vgpr3
	s_branch .LBB86_865
.LBB86_847:
	s_mov_b32 s12, -1
	s_mov_b32 s7, 0
	s_mov_b32 s5, s8
                                        ; implicit-def: $vgpr2_vgpr3
	s_branch .LBB86_860
.LBB86_848:
	s_andn2_saveexec_b32 s9, s9
	s_cbranch_execz .LBB86_728
.LBB86_849:
	v_add_f32_e64 v3, 0x46000000, |v2|
	s_andn2_b32 s8, s8, exec_lo
	v_and_b32_e32 v3, 0xff, v3
	v_cmp_ne_u32_e32 vcc_lo, 0, v3
	s_and_b32 s10, vcc_lo, exec_lo
	s_or_b32 s8, s8, s10
	s_or_b32 exec_lo, exec_lo, s9
	v_mov_b32_e32 v6, 0
	s_and_saveexec_b32 s9, s8
	s_cbranch_execnz .LBB86_729
	s_branch .LBB86_730
.LBB86_850:
	s_mov_b32 s12, -1
	s_mov_b32 s7, 0
	s_mov_b32 s5, s8
	s_branch .LBB86_854
.LBB86_851:
	s_andn2_saveexec_b32 s9, s9
	s_cbranch_execz .LBB86_741
.LBB86_852:
	v_add_f32_e64 v3, 0x42800000, |v2|
	s_andn2_b32 s8, s8, exec_lo
	v_and_b32_e32 v3, 0xff, v3
	v_cmp_ne_u32_e32 vcc_lo, 0, v3
	s_and_b32 s10, vcc_lo, exec_lo
	s_or_b32 s8, s8, s10
	s_or_b32 exec_lo, exec_lo, s9
	v_mov_b32_e32 v6, 0
	s_and_saveexec_b32 s9, s8
	s_cbranch_execnz .LBB86_742
	s_branch .LBB86_743
.LBB86_853:
	s_mov_b32 s5, -1
	s_mov_b32 s7, 0
.LBB86_854:
                                        ; implicit-def: $vgpr2_vgpr3
.LBB86_855:
	s_and_b32 vcc_lo, exec_lo, s12
	s_cbranch_vccz .LBB86_859
; %bb.856:
	s_cmp_eq_u32 s4, 44
	s_cbranch_scc0 .LBB86_858
; %bb.857:
	global_load_ubyte v4, v[0:1], off
	s_mov_b32 s5, 0
	s_mov_b32 s7, -1
	s_waitcnt vmcnt(0)
	v_lshlrev_b32_e32 v2, 23, v4
	v_cmp_ne_u32_e32 vcc_lo, 0xff, v4
	v_cvt_f64_f32_e32 v[2:3], v2
	v_cndmask_b32_e32 v2, 0x20000000, v2, vcc_lo
	v_cndmask_b32_e32 v3, 0x7ff80000, v3, vcc_lo
	v_cmp_ne_u32_e32 vcc_lo, 0, v4
	v_cndmask_b32_e32 v3, 0x38000000, v3, vcc_lo
	v_cndmask_b32_e32 v2, 0, v2, vcc_lo
	s_branch .LBB86_859
.LBB86_858:
	s_mov_b32 s5, -1
                                        ; implicit-def: $vgpr2_vgpr3
.LBB86_859:
	s_mov_b32 s12, 0
.LBB86_860:
	s_and_b32 vcc_lo, exec_lo, s12
	s_cbranch_vccz .LBB86_864
; %bb.861:
	s_cmp_eq_u32 s4, 29
	s_cbranch_scc0 .LBB86_863
; %bb.862:
	global_load_dwordx2 v[2:3], v[0:1], off
	s_mov_b32 s5, 0
	s_mov_b32 s7, -1
	s_mov_b32 s12, 0
	s_waitcnt vmcnt(0)
	v_cvt_f64_u32_e32 v[3:4], v3
	v_cvt_f64_u32_e32 v[5:6], v2
	v_ldexp_f64 v[3:4], v[3:4], 32
	v_add_f64 v[2:3], v[3:4], v[5:6]
	s_branch .LBB86_865
.LBB86_863:
	s_mov_b32 s5, -1
                                        ; implicit-def: $vgpr2_vgpr3
.LBB86_864:
	s_mov_b32 s12, 0
.LBB86_865:
	s_and_b32 vcc_lo, exec_lo, s12
	s_cbranch_vccz .LBB86_885
; %bb.866:
	s_cmp_lt_i32 s4, 27
	s_cbranch_scc1 .LBB86_869
; %bb.867:
	s_cmp_gt_i32 s4, 27
	s_cbranch_scc0 .LBB86_870
; %bb.868:
	global_load_dword v2, v[0:1], off
	s_mov_b32 s7, 0
	s_waitcnt vmcnt(0)
	v_cvt_f64_u32_e32 v[2:3], v2
	s_branch .LBB86_871
.LBB86_869:
	s_mov_b32 s7, -1
                                        ; implicit-def: $vgpr2_vgpr3
	s_branch .LBB86_874
.LBB86_870:
	s_mov_b32 s7, -1
                                        ; implicit-def: $vgpr2_vgpr3
.LBB86_871:
	s_andn2_b32 vcc_lo, exec_lo, s7
	s_cbranch_vccnz .LBB86_873
; %bb.872:
	global_load_ushort v2, v[0:1], off
	s_waitcnt vmcnt(0)
	v_cvt_f64_u32_e32 v[2:3], v2
.LBB86_873:
	s_mov_b32 s7, 0
.LBB86_874:
	s_andn2_b32 vcc_lo, exec_lo, s7
	s_cbranch_vccnz .LBB86_884
; %bb.875:
	global_load_ubyte v4, v[0:1], off
	s_mov_b32 s7, 0
	s_mov_b32 s12, exec_lo
	s_waitcnt vmcnt(0)
	v_cmpx_lt_i16_e32 0x7f, v4
	s_xor_b32 s12, exec_lo, s12
	s_cbranch_execz .LBB86_879
; %bb.876:
	s_mov_b32 s7, -1
	s_mov_b32 s13, exec_lo
	v_cmpx_eq_u16_e32 0x80, v4
; %bb.877:
	s_xor_b32 s7, exec_lo, -1
; %bb.878:
	s_or_b32 exec_lo, exec_lo, s13
	s_and_b32 s7, s7, exec_lo
.LBB86_879:
	s_or_saveexec_b32 s12, s12
	v_bfrev_b32_e32 v2, 4
	v_mov_b32_e32 v3, 0x7ff80000
	s_xor_b32 exec_lo, exec_lo, s12
; %bb.880:
	v_cmp_ne_u16_e32 vcc_lo, 0, v4
	v_mov_b32_e32 v2, 0
	v_mov_b32_e32 v3, 0
	s_andn2_b32 s7, s7, exec_lo
	s_and_b32 s13, vcc_lo, exec_lo
	s_or_b32 s7, s7, s13
; %bb.881:
	s_or_b32 exec_lo, exec_lo, s12
	s_and_saveexec_b32 s12, s7
	s_cbranch_execz .LBB86_883
; %bb.882:
	v_and_b32_e32 v2, 0xffff, v4
	v_lshlrev_b32_e32 v4, 24, v4
	v_and_b32_e32 v3, 7, v2
	v_bfe_u32 v7, v2, 3, 4
	v_ffbh_u32_e32 v5, v3
	v_cmp_eq_u32_e32 vcc_lo, 0, v7
	v_min_u32_e32 v5, 32, v5
	v_subrev_nc_u32_e32 v6, 28, v5
	v_sub_nc_u32_e32 v5, 29, v5
	v_lshlrev_b32_e32 v2, v6, v2
	v_cndmask_b32_e32 v5, v7, v5, vcc_lo
	v_and_b32_e32 v2, 7, v2
	v_cndmask_b32_e32 v2, v3, v2, vcc_lo
	v_and_b32_e32 v3, 0x80000000, v4
	v_lshl_add_u32 v4, v5, 23, 0x3b800000
	v_lshlrev_b32_e32 v2, 20, v2
	v_or3_b32 v2, v3, v4, v2
	v_cvt_f64_f32_e32 v[2:3], v2
.LBB86_883:
	s_or_b32 exec_lo, exec_lo, s12
.LBB86_884:
	s_mov_b32 s7, -1
.LBB86_885:
	s_mov_b32 s12, 0
.LBB86_886:
	s_and_b32 vcc_lo, exec_lo, s12
	s_cbranch_vccz .LBB86_917
; %bb.887:
	s_cmp_gt_i32 s4, 22
	s_cbranch_scc0 .LBB86_899
; %bb.888:
	s_cmp_lt_i32 s4, 24
	s_cbranch_scc1 .LBB86_900
; %bb.889:
	s_cmp_gt_i32 s4, 24
	s_cbranch_scc0 .LBB86_901
; %bb.890:
	global_load_ubyte v4, v[0:1], off
	s_mov_b32 s7, exec_lo
	s_waitcnt vmcnt(0)
	v_cmpx_lt_i16_e32 0x7f, v4
	s_xor_b32 s7, exec_lo, s7
	s_cbranch_execz .LBB86_894
; %bb.891:
	s_mov_b32 s6, -1
	s_mov_b32 s12, exec_lo
	v_cmpx_eq_u16_e32 0x80, v4
; %bb.892:
	s_xor_b32 s6, exec_lo, -1
; %bb.893:
	s_or_b32 exec_lo, exec_lo, s12
	s_and_b32 s6, s6, exec_lo
.LBB86_894:
	s_or_saveexec_b32 s7, s7
	v_bfrev_b32_e32 v2, 4
	v_mov_b32_e32 v3, 0x7ff80000
	s_xor_b32 exec_lo, exec_lo, s7
; %bb.895:
	v_cmp_ne_u16_e32 vcc_lo, 0, v4
	v_mov_b32_e32 v2, 0
	v_mov_b32_e32 v3, 0
	s_andn2_b32 s6, s6, exec_lo
	s_and_b32 s12, vcc_lo, exec_lo
	s_or_b32 s6, s6, s12
; %bb.896:
	s_or_b32 exec_lo, exec_lo, s7
	s_and_saveexec_b32 s7, s6
	s_cbranch_execz .LBB86_898
; %bb.897:
	v_and_b32_e32 v2, 0xffff, v4
	v_lshlrev_b32_e32 v4, 24, v4
	v_and_b32_e32 v3, 3, v2
	v_bfe_u32 v7, v2, 2, 5
	v_ffbh_u32_e32 v5, v3
	v_cmp_eq_u32_e32 vcc_lo, 0, v7
	v_min_u32_e32 v5, 32, v5
	v_subrev_nc_u32_e32 v6, 29, v5
	v_sub_nc_u32_e32 v5, 30, v5
	v_lshlrev_b32_e32 v2, v6, v2
	v_cndmask_b32_e32 v5, v7, v5, vcc_lo
	v_and_b32_e32 v2, 3, v2
	v_cndmask_b32_e32 v2, v3, v2, vcc_lo
	v_and_b32_e32 v3, 0x80000000, v4
	v_lshl_add_u32 v4, v5, 23, 0x37800000
	v_lshlrev_b32_e32 v2, 21, v2
	v_or3_b32 v2, v3, v4, v2
	v_cvt_f64_f32_e32 v[2:3], v2
.LBB86_898:
	s_or_b32 exec_lo, exec_lo, s7
	s_mov_b32 s6, 0
	s_branch .LBB86_902
.LBB86_899:
	s_mov_b32 s6, -1
                                        ; implicit-def: $vgpr2_vgpr3
	s_branch .LBB86_908
.LBB86_900:
	s_mov_b32 s6, -1
                                        ; implicit-def: $vgpr2_vgpr3
	s_branch .LBB86_905
.LBB86_901:
	s_mov_b32 s6, -1
                                        ; implicit-def: $vgpr2_vgpr3
.LBB86_902:
	s_and_b32 vcc_lo, exec_lo, s6
	s_cbranch_vccz .LBB86_904
; %bb.903:
	global_load_ubyte v2, v[0:1], off
	s_waitcnt vmcnt(0)
	v_lshlrev_b32_e32 v2, 24, v2
	v_and_b32_e32 v3, 0x7f000000, v2
	v_ffbh_u32_e32 v4, v3
	v_add_nc_u32_e32 v6, 0x1000000, v3
	v_cmp_ne_u32_e32 vcc_lo, 0, v3
	v_min_u32_e32 v4, 32, v4
	v_sub_nc_u32_e64 v4, v4, 4 clamp
	v_lshlrev_b32_e32 v5, v4, v3
	v_lshlrev_b32_e32 v4, 23, v4
	v_lshrrev_b32_e32 v5, 4, v5
	v_sub_nc_u32_e32 v4, v5, v4
	v_ashrrev_i32_e32 v5, 8, v6
	v_add_nc_u32_e32 v4, 0x3c000000, v4
	v_and_or_b32 v4, 0x7f800000, v5, v4
	v_cndmask_b32_e32 v3, 0, v4, vcc_lo
	v_and_or_b32 v2, 0x80000000, v2, v3
	v_cvt_f64_f32_e32 v[2:3], v2
.LBB86_904:
	s_mov_b32 s6, 0
.LBB86_905:
	s_andn2_b32 vcc_lo, exec_lo, s6
	s_cbranch_vccnz .LBB86_907
; %bb.906:
	global_load_ubyte v2, v[0:1], off
	s_waitcnt vmcnt(0)
	v_lshlrev_b32_e32 v3, 25, v2
	v_lshlrev_b16 v2, 8, v2
	v_lshrrev_b32_e32 v4, 4, v3
	v_and_or_b32 v5, 0x7f00, v2, 0.5
	v_cmp_gt_u32_e32 vcc_lo, 0x8000000, v3
	v_bfe_i32 v2, v2, 0, 16
	v_or_b32_e32 v4, 0x70000000, v4
	v_add_f32_e32 v5, -0.5, v5
	v_mul_f32_e32 v4, 0x7800000, v4
	v_cndmask_b32_e32 v3, v4, v5, vcc_lo
	v_and_or_b32 v2, 0x80000000, v2, v3
	v_cvt_f64_f32_e32 v[2:3], v2
.LBB86_907:
	s_mov_b32 s6, 0
	s_mov_b32 s7, -1
.LBB86_908:
	s_andn2_b32 vcc_lo, exec_lo, s6
	s_mov_b32 s6, 0
	s_cbranch_vccnz .LBB86_917
; %bb.909:
	s_cmp_gt_i32 s4, 14
	s_cbranch_scc0 .LBB86_912
; %bb.910:
	s_cmp_eq_u32 s4, 15
	s_cbranch_scc0 .LBB86_913
; %bb.911:
	global_load_ushort v2, v[0:1], off
	s_mov_b32 s5, 0
	s_mov_b32 s7, -1
	s_waitcnt vmcnt(0)
	v_lshlrev_b32_e32 v2, 16, v2
	v_cvt_f64_f32_e32 v[2:3], v2
	s_branch .LBB86_915
.LBB86_912:
	s_mov_b32 s6, -1
	s_branch .LBB86_914
.LBB86_913:
	s_mov_b32 s5, -1
.LBB86_914:
                                        ; implicit-def: $vgpr2_vgpr3
.LBB86_915:
	s_and_b32 vcc_lo, exec_lo, s6
	s_mov_b32 s6, 0
	s_cbranch_vccz .LBB86_917
; %bb.916:
	s_cmp_lg_u32 s4, 11
	s_mov_b32 s6, -1
	s_cselect_b32 s4, -1, 0
	s_andn2_b32 s5, s5, exec_lo
	s_and_b32 s4, s4, exec_lo
	s_or_b32 s5, s5, s4
.LBB86_917:
	s_mov_b32 s4, 0
.LBB86_918:
	s_andn2_b32 s12, s8, exec_lo
	s_and_b32 s5, s5, exec_lo
	s_and_b32 s13, s7, exec_lo
	;; [unrolled: 1-line block ×4, first 2 shown]
	s_or_b32 s12, s12, s5
.LBB86_919:
	s_or_b32 exec_lo, exec_lo, s11
	v_readlane_b32 s11, v47, 2
	s_and_b32 s5, s7, exec_lo
	s_andn2_b32 s7, s8, exec_lo
	s_and_b32 s8, s12, exec_lo
	s_and_b32 s6, s13, exec_lo
	;; [unrolled: 1-line block ×3, first 2 shown]
	s_or_b32 s8, s7, s8
.LBB86_920:
	s_or_b32 exec_lo, exec_lo, s10
	v_readlane_b32 s7, v47, 0
	s_and_b32 s9, s9, exec_lo
	s_and_b32 s8, s8, exec_lo
	s_andn2_b32 s7, s7, exec_lo
	s_or_b32 s7, s7, s9
	s_andn2_b32 s9, s53, exec_lo
	v_writelane_b32 v47, s7, 0
	s_and_b32 s7, s6, exec_lo
	s_and_b32 s6, s5, exec_lo
	;; [unrolled: 1-line block ×3, first 2 shown]
	s_or_b32 s53, s9, s8
.LBB86_921:
	s_or_b32 exec_lo, exec_lo, s11
	v_readlane_b32 s8, v47, 0
	s_andn2_b32 s4, s80, exec_lo
	s_and_b32 s6, s6, exec_lo
	s_and_b32 s64, s5, exec_lo
	s_and_b32 s8, s8, exec_lo
	s_or_b32 s80, s4, s8
	s_and_b32 s4, s7, exec_lo
	s_andn2_b32 s7, s103, exec_lo
	s_and_b32 s8, s53, exec_lo
	s_or_b32 s103, s7, s8
	s_or_b32 exec_lo, exec_lo, s52
	s_mov_b32 s54, 0
	s_and_saveexec_b32 s5, s103
	s_cbranch_execz .LBB86_274
.LBB86_922:
	s_mov_b32 s54, exec_lo
	s_andn2_b32 s64, s64, exec_lo
	s_trap 2
	s_or_b32 exec_lo, exec_lo, s5
	s_and_saveexec_b32 s5, s64
	s_xor_b32 s5, exec_lo, s5
	s_cbranch_execnz .LBB86_275
.LBB86_923:
	s_or_b32 exec_lo, exec_lo, s5
	s_and_saveexec_b32 s5, s6
	s_cbranch_execz .LBB86_969
.LBB86_924:
	s_sext_i32_i16 s6, s97
	s_cmp_lt_i32 s6, 5
	s_cbranch_scc1 .LBB86_929
; %bb.925:
	s_cmp_lt_i32 s6, 8
	s_cbranch_scc1 .LBB86_930
; %bb.926:
	;; [unrolled: 3-line block ×3, first 2 shown]
	s_cmp_gt_i32 s6, 9
	s_cbranch_scc0 .LBB86_932
; %bb.928:
	global_load_dwordx2 v[2:3], v[0:1], off
	s_mov_b32 s6, 0
	s_branch .LBB86_933
.LBB86_929:
                                        ; implicit-def: $vgpr2_vgpr3
	s_branch .LBB86_950
.LBB86_930:
                                        ; implicit-def: $vgpr2_vgpr3
	s_branch .LBB86_939
.LBB86_931:
	s_mov_b32 s6, -1
                                        ; implicit-def: $vgpr2_vgpr3
	s_branch .LBB86_936
.LBB86_932:
	s_mov_b32 s6, -1
                                        ; implicit-def: $vgpr2_vgpr3
.LBB86_933:
	s_andn2_b32 vcc_lo, exec_lo, s6
	s_cbranch_vccnz .LBB86_935
; %bb.934:
	global_load_dword v2, v[0:1], off
	s_waitcnt vmcnt(0)
	v_cvt_f64_f32_e32 v[2:3], v2
.LBB86_935:
	s_mov_b32 s6, 0
.LBB86_936:
	s_andn2_b32 vcc_lo, exec_lo, s6
	s_cbranch_vccnz .LBB86_938
; %bb.937:
	global_load_dword v2, v[0:1], off
	s_waitcnt vmcnt(0)
	v_cvt_f32_f16_e32 v2, v2
	v_cvt_f64_f32_e32 v[2:3], v2
.LBB86_938:
	s_cbranch_execnz .LBB86_949
.LBB86_939:
	s_sext_i32_i16 s6, s97
	s_cmp_lt_i32 s6, 6
	s_cbranch_scc1 .LBB86_942
; %bb.940:
	s_cmp_gt_i32 s6, 6
	s_cbranch_scc0 .LBB86_943
; %bb.941:
	global_load_dwordx2 v[2:3], v[0:1], off
	s_mov_b32 s6, 0
	s_branch .LBB86_944
.LBB86_942:
	s_mov_b32 s6, -1
                                        ; implicit-def: $vgpr2_vgpr3
	s_branch .LBB86_947
.LBB86_943:
	s_mov_b32 s6, -1
                                        ; implicit-def: $vgpr2_vgpr3
.LBB86_944:
	s_andn2_b32 vcc_lo, exec_lo, s6
	s_cbranch_vccnz .LBB86_946
; %bb.945:
	global_load_dword v2, v[0:1], off
	s_waitcnt vmcnt(0)
	v_cvt_f64_f32_e32 v[2:3], v2
.LBB86_946:
	s_mov_b32 s6, 0
.LBB86_947:
	s_andn2_b32 vcc_lo, exec_lo, s6
	s_cbranch_vccnz .LBB86_949
; %bb.948:
	global_load_ushort v2, v[0:1], off
	s_waitcnt vmcnt(0)
	v_cvt_f32_f16_e32 v2, v2
	v_cvt_f64_f32_e32 v[2:3], v2
.LBB86_949:
	s_cbranch_execnz .LBB86_968
.LBB86_950:
	s_sext_i32_i16 s6, s97
	s_cmp_lt_i32 s6, 2
	s_cbranch_scc1 .LBB86_954
; %bb.951:
	s_cmp_lt_i32 s6, 3
	s_cbranch_scc1 .LBB86_955
; %bb.952:
	s_cmp_gt_i32 s6, 3
	s_cbranch_scc0 .LBB86_956
; %bb.953:
	global_load_dwordx2 v[2:3], v[0:1], off
	s_mov_b32 s6, 0
	s_waitcnt vmcnt(0)
	v_cvt_f64_i32_e32 v[3:4], v3
	v_cvt_f64_u32_e32 v[5:6], v2
	v_ldexp_f64 v[3:4], v[3:4], 32
	v_add_f64 v[2:3], v[3:4], v[5:6]
	s_branch .LBB86_957
.LBB86_954:
                                        ; implicit-def: $vgpr2_vgpr3
	s_branch .LBB86_963
.LBB86_955:
	s_mov_b32 s6, -1
                                        ; implicit-def: $vgpr2_vgpr3
	s_branch .LBB86_960
.LBB86_956:
	s_mov_b32 s6, -1
                                        ; implicit-def: $vgpr2_vgpr3
.LBB86_957:
	s_andn2_b32 vcc_lo, exec_lo, s6
	s_cbranch_vccnz .LBB86_959
; %bb.958:
	global_load_dword v2, v[0:1], off
	s_waitcnt vmcnt(0)
	v_cvt_f64_i32_e32 v[2:3], v2
.LBB86_959:
	s_mov_b32 s6, 0
.LBB86_960:
	s_andn2_b32 vcc_lo, exec_lo, s6
	s_cbranch_vccnz .LBB86_962
; %bb.961:
	global_load_sshort v2, v[0:1], off
	s_waitcnt vmcnt(0)
	v_cvt_f64_i32_e32 v[2:3], v2
.LBB86_962:
	s_cbranch_execnz .LBB86_968
.LBB86_963:
	s_sext_i32_i16 s6, s97
	s_cmp_gt_i32 s6, 0
	s_mov_b32 s6, 0
	s_cbranch_scc0 .LBB86_965
; %bb.964:
	global_load_sbyte v2, v[0:1], off
	s_waitcnt vmcnt(0)
	v_cvt_f64_i32_e32 v[2:3], v2
	s_branch .LBB86_966
.LBB86_965:
	s_mov_b32 s6, -1
                                        ; implicit-def: $vgpr2_vgpr3
.LBB86_966:
	s_andn2_b32 vcc_lo, exec_lo, s6
	s_cbranch_vccnz .LBB86_968
; %bb.967:
	global_load_ubyte v0, v[0:1], off
	s_waitcnt vmcnt(0)
	v_cvt_f64_u32_e32 v[2:3], v0
.LBB86_968:
	s_or_b32 s4, s4, exec_lo
.LBB86_969:
	s_or_b32 exec_lo, exec_lo, s5
	s_mov_b32 s7, 0
	s_mov_b32 s6, 0
                                        ; implicit-def: $sgpr5
                                        ; implicit-def: $vgpr4_vgpr5
                                        ; implicit-def: $vgpr0_vgpr1
	s_and_saveexec_b32 s55, s4
	s_cbranch_execz .LBB86_977
; %bb.970:
	v_mov_b32_e32 v0, s98
	v_mov_b32_e32 v1, s99
	s_getpc_b64 s[4:5]
	s_add_u32 s4, s4, _ZZZZN2at6native21polygamma_kernel_cudaERNS_18TensorIteratorBaseElENKUlvE_clEvENKUlvE_clEvENKUldE_clEd@rel32@lo+4
	s_addc_u32 s5, s5, _ZZZZN2at6native21polygamma_kernel_cudaERNS_18TensorIteratorBaseElENKUlvE_clEvENKUlvE_clEvENKUldE_clEd@rel32@hi+12
	s_mov_b64 s[52:53], s[56:57]
	s_swappc_b64 s[30:31], s[4:5]
	v_add_co_u32 v4, s4, s52, v41
	v_add_co_ci_u32_e64 v5, null, s53, 0, s4
	s_and_b32 s5, s96, 0xff
	s_cmp_lt_i32 s5, 11
	s_cbranch_scc1 .LBB86_980
; %bb.971:
	s_and_b32 s6, 0xffff, s5
	s_mov_b32 s7, -1
	s_cmp_gt_i32 s6, 25
	s_mov_b32 s4, s80
	s_cbranch_scc0 .LBB86_1008
; %bb.972:
	s_cmp_gt_i32 s6, 28
	s_mov_b32 s4, s80
	s_cbranch_scc0 .LBB86_992
; %bb.973:
	;; [unrolled: 4-line block ×4, first 2 shown]
	s_cmp_eq_u32 s6, 46
	s_mov_b32 s4, -1
	s_cbranch_scc0 .LBB86_981
; %bb.976:
	v_cvt_f32_f64_e32 v2, v[0:1]
	s_mov_b32 s4, 0
	s_mov_b32 s7, 0
	v_bfe_u32 v3, v2, 16, 1
	v_cmp_o_f32_e32 vcc_lo, v2, v2
	v_add3_u32 v2, v2, v3, 0x7fff
	v_mov_b32_e32 v3, 0x7fc0
	v_cndmask_b32_sdwa v2, v3, v2, vcc_lo dst_sel:DWORD dst_unused:UNUSED_PAD src0_sel:DWORD src1_sel:WORD_1
	global_store_dword v[4:5], v2, off
	s_branch .LBB86_982
.LBB86_977:
	s_or_b32 exec_lo, exec_lo, s55
	s_and_saveexec_b32 s4, s80
	s_cbranch_execnz .LBB86_1050
.LBB86_978:
	s_or_b32 exec_lo, exec_lo, s4
	s_and_saveexec_b32 s4, s7
	s_xor_b32 s4, exec_lo, s4
	s_cbranch_execz .LBB86_1051
.LBB86_979:
	v_cmp_neq_f64_e32 vcc_lo, 0, v[0:1]
	s_waitcnt vmcnt(0)
	v_cndmask_b32_e64 v2, 0, 1, vcc_lo
	global_store_byte v[4:5], v2, off
	s_or_b32 exec_lo, exec_lo, s4
	s_and_saveexec_b32 s4, s6
	s_xor_b32 s4, exec_lo, s4
	s_cbranch_execz .LBB86_1089
	s_branch .LBB86_1052
.LBB86_980:
	s_mov_b32 s8, 0
	s_mov_b32 s7, -1
	s_mov_b32 s4, s80
	s_branch .LBB86_1049
.LBB86_981:
	s_mov_b32 s7, 0
.LBB86_982:
	s_and_b32 vcc_lo, exec_lo, s7
	s_cbranch_vccz .LBB86_987
; %bb.983:
	s_cmp_eq_u32 s6, 44
	s_mov_b32 s4, -1
	s_cbranch_scc0 .LBB86_987
; %bb.984:
	v_cvt_f32_f64_e32 v2, v[0:1]
	v_mov_b32_e32 v3, 0xff
	s_mov_b32 s7, exec_lo
	v_bfe_u32 v6, v2, 23, 8
	v_cmpx_ne_u32_e32 0xff, v6
	s_cbranch_execz .LBB86_986
; %bb.985:
	v_and_b32_e32 v3, 0x400000, v2
	v_and_or_b32 v6, 0x3fffff, v2, v6
	v_lshrrev_b32_e32 v2, 23, v2
	v_cmp_ne_u32_e32 vcc_lo, 0, v3
	v_cmp_ne_u32_e64 s4, 0, v6
	s_and_b32 s4, vcc_lo, s4
	v_cndmask_b32_e64 v3, 0, 1, s4
	v_add_nc_u32_e32 v3, v2, v3
.LBB86_986:
	s_or_b32 exec_lo, exec_lo, s7
	s_mov_b32 s4, 0
	global_store_byte v[4:5], v3, off
.LBB86_987:
	s_mov_b32 s7, 0
.LBB86_988:
	s_and_b32 vcc_lo, exec_lo, s7
	s_cbranch_vccz .LBB86_991
; %bb.989:
	s_cmp_eq_u32 s6, 29
	s_mov_b32 s4, -1
	s_cbranch_scc0 .LBB86_991
; %bb.990:
	v_trunc_f64_e32 v[2:3], v[0:1]
	s_mov_b32 s4, 0
	s_mov_b32 s7, 0
	v_ldexp_f64 v[6:7], v[2:3], 0xffffffe0
	v_floor_f64_e32 v[6:7], v[6:7]
	v_fma_f64 v[2:3], 0xc1f00000, v[6:7], v[2:3]
	v_cvt_u32_f64_e32 v7, v[6:7]
	v_cvt_u32_f64_e32 v6, v[2:3]
	global_store_dwordx2 v[4:5], v[6:7], off
	s_branch .LBB86_992
.LBB86_991:
	s_mov_b32 s7, 0
.LBB86_992:
	s_and_b32 vcc_lo, exec_lo, s7
	s_cbranch_vccz .LBB86_1007
; %bb.993:
	s_cmp_lt_i32 s6, 27
	s_mov_b32 s7, -1
	s_cbranch_scc1 .LBB86_999
; %bb.994:
	s_cmp_gt_i32 s6, 27
	s_cbranch_scc0 .LBB86_996
; %bb.995:
	v_cvt_u32_f64_e32 v2, v[0:1]
	s_mov_b32 s7, 0
	global_store_dword v[4:5], v2, off
.LBB86_996:
	s_andn2_b32 vcc_lo, exec_lo, s7
	s_cbranch_vccnz .LBB86_998
; %bb.997:
	v_cvt_u32_f64_e32 v2, v[0:1]
	global_store_short v[4:5], v2, off
.LBB86_998:
	s_mov_b32 s7, 0
.LBB86_999:
	s_andn2_b32 vcc_lo, exec_lo, s7
	s_cbranch_vccnz .LBB86_1007
; %bb.1000:
	v_cvt_f32_f64_e32 v2, v[0:1]
	v_mov_b32_e32 v6, 0x80
	s_mov_b32 s7, exec_lo
	v_and_b32_e32 v3, 0x7fffffff, v2
	v_cmpx_gt_u32_e32 0x43800000, v3
	s_cbranch_execz .LBB86_1006
; %bb.1001:
	v_cmp_lt_u32_e32 vcc_lo, 0x3bffffff, v3
	s_mov_b32 s8, 0
                                        ; implicit-def: $vgpr3
	s_and_saveexec_b32 s9, vcc_lo
	s_xor_b32 s9, exec_lo, s9
	s_cbranch_execz .LBB86_1160
; %bb.1002:
	v_bfe_u32 v3, v2, 20, 1
	s_mov_b32 s8, exec_lo
	v_add3_u32 v3, v2, v3, 0x487ffff
	v_lshrrev_b32_e32 v3, 20, v3
	s_andn2_saveexec_b32 s9, s9
	s_cbranch_execnz .LBB86_1161
.LBB86_1003:
	s_or_b32 exec_lo, exec_lo, s9
	v_mov_b32_e32 v6, 0
	s_and_saveexec_b32 s9, s8
.LBB86_1004:
	v_lshrrev_b32_e32 v2, 24, v2
	v_and_or_b32 v6, 0x80, v2, v3
.LBB86_1005:
	s_or_b32 exec_lo, exec_lo, s9
.LBB86_1006:
	s_or_b32 exec_lo, exec_lo, s7
	global_store_byte v[4:5], v6, off
.LBB86_1007:
	s_mov_b32 s7, 0
.LBB86_1008:
	s_and_b32 vcc_lo, exec_lo, s7
	s_mov_b32 s7, 0
	s_cbranch_vccz .LBB86_1048
; %bb.1009:
	s_cmp_gt_i32 s6, 22
	s_mov_b32 s8, -1
	s_cbranch_scc0 .LBB86_1041
; %bb.1010:
	s_cmp_lt_i32 s6, 24
	s_cbranch_scc1 .LBB86_1030
; %bb.1011:
	s_cmp_gt_i32 s6, 24
	s_cbranch_scc0 .LBB86_1019
; %bb.1012:
	v_cvt_f32_f64_e32 v2, v[0:1]
	v_mov_b32_e32 v6, 0x80
	s_mov_b32 s8, exec_lo
	v_and_b32_e32 v3, 0x7fffffff, v2
	v_cmpx_gt_u32_e32 0x47800000, v3
	s_cbranch_execz .LBB86_1018
; %bb.1013:
	v_cmp_lt_u32_e32 vcc_lo, 0x37ffffff, v3
	s_mov_b32 s9, 0
                                        ; implicit-def: $vgpr3
	s_and_saveexec_b32 s10, vcc_lo
	s_xor_b32 s10, exec_lo, s10
	s_cbranch_execz .LBB86_1286
; %bb.1014:
	v_bfe_u32 v3, v2, 21, 1
	s_mov_b32 s9, exec_lo
	v_add3_u32 v3, v2, v3, 0x88fffff
	v_lshrrev_b32_e32 v3, 21, v3
	s_andn2_saveexec_b32 s10, s10
	s_cbranch_execnz .LBB86_1287
.LBB86_1015:
	s_or_b32 exec_lo, exec_lo, s10
	v_mov_b32_e32 v6, 0
	s_and_saveexec_b32 s10, s9
.LBB86_1016:
	v_lshrrev_b32_e32 v2, 24, v2
	v_and_or_b32 v6, 0x80, v2, v3
.LBB86_1017:
	s_or_b32 exec_lo, exec_lo, s10
.LBB86_1018:
	s_or_b32 exec_lo, exec_lo, s8
	s_mov_b32 s8, 0
	global_store_byte v[4:5], v6, off
.LBB86_1019:
	s_and_b32 vcc_lo, exec_lo, s8
	s_cbranch_vccz .LBB86_1029
; %bb.1020:
	v_cvt_f32_f64_e32 v2, v[0:1]
	s_mov_b32 s8, exec_lo
                                        ; implicit-def: $vgpr3
	v_and_b32_e32 v6, 0x7fffffff, v2
	v_cmpx_gt_u32_e32 0x43f00000, v6
	s_xor_b32 s8, exec_lo, s8
	s_cbranch_execz .LBB86_1026
; %bb.1021:
	s_mov_b32 s9, exec_lo
                                        ; implicit-def: $vgpr3
	v_cmpx_lt_u32_e32 0x3c7fffff, v6
	s_xor_b32 s9, exec_lo, s9
; %bb.1022:
	v_bfe_u32 v3, v2, 20, 1
	v_add3_u32 v3, v2, v3, 0x407ffff
	v_and_b32_e32 v6, 0xff00000, v3
	v_lshrrev_b32_e32 v3, 20, v3
	v_cmp_ne_u32_e32 vcc_lo, 0x7f00000, v6
	v_cndmask_b32_e32 v3, 0x7e, v3, vcc_lo
; %bb.1023:
	s_andn2_saveexec_b32 s9, s9
; %bb.1024:
	v_add_f32_e64 v3, 0x46800000, |v2|
; %bb.1025:
	s_or_b32 exec_lo, exec_lo, s9
                                        ; implicit-def: $vgpr6
.LBB86_1026:
	s_andn2_saveexec_b32 s8, s8
; %bb.1027:
	v_mov_b32_e32 v3, 0x7f
	v_cmp_lt_u32_e32 vcc_lo, 0x7f800000, v6
	v_cndmask_b32_e32 v3, 0x7e, v3, vcc_lo
; %bb.1028:
	s_or_b32 exec_lo, exec_lo, s8
	v_lshrrev_b32_e32 v2, 24, v2
	v_and_or_b32 v2, 0x80, v2, v3
	global_store_byte v[4:5], v2, off
.LBB86_1029:
	s_mov_b32 s8, 0
.LBB86_1030:
	s_andn2_b32 vcc_lo, exec_lo, s8
	s_cbranch_vccnz .LBB86_1040
; %bb.1031:
	v_cvt_f32_f64_e32 v2, v[0:1]
	s_mov_b32 s8, exec_lo
                                        ; implicit-def: $vgpr3
	v_and_b32_e32 v6, 0x7fffffff, v2
	v_cmpx_gt_u32_e32 0x47800000, v6
	s_xor_b32 s8, exec_lo, s8
	s_cbranch_execz .LBB86_1037
; %bb.1032:
	s_mov_b32 s9, exec_lo
                                        ; implicit-def: $vgpr3
	v_cmpx_lt_u32_e32 0x387fffff, v6
	s_xor_b32 s9, exec_lo, s9
; %bb.1033:
	v_bfe_u32 v3, v2, 21, 1
	v_add3_u32 v3, v2, v3, 0x80fffff
	v_lshrrev_b32_e32 v3, 21, v3
; %bb.1034:
	s_andn2_saveexec_b32 s9, s9
; %bb.1035:
	v_add_f32_e64 v3, 0x43000000, |v2|
; %bb.1036:
	s_or_b32 exec_lo, exec_lo, s9
                                        ; implicit-def: $vgpr6
.LBB86_1037:
	s_andn2_saveexec_b32 s8, s8
; %bb.1038:
	v_mov_b32_e32 v3, 0x7f
	v_cmp_lt_u32_e32 vcc_lo, 0x7f800000, v6
	v_cndmask_b32_e32 v3, 0x7c, v3, vcc_lo
; %bb.1039:
	s_or_b32 exec_lo, exec_lo, s8
	v_lshrrev_b32_e32 v2, 24, v2
	v_and_or_b32 v2, 0x80, v2, v3
	global_store_byte v[4:5], v2, off
.LBB86_1040:
	s_mov_b32 s8, 0
.LBB86_1041:
	s_andn2_b32 vcc_lo, exec_lo, s8
	s_mov_b32 s8, 0
	s_cbranch_vccnz .LBB86_1049
; %bb.1042:
	s_cmp_gt_i32 s6, 14
	s_mov_b32 s8, -1
	s_cbranch_scc0 .LBB86_1046
; %bb.1043:
	s_cmp_eq_u32 s6, 15
	s_mov_b32 s4, -1
	s_cbranch_scc0 .LBB86_1045
; %bb.1044:
	v_cvt_f32_f64_e32 v2, v[0:1]
	s_mov_b32 s4, 0
	v_bfe_u32 v3, v2, 16, 1
	v_cmp_o_f32_e32 vcc_lo, v2, v2
	v_add3_u32 v2, v2, v3, 0x7fff
	v_mov_b32_e32 v3, 0x7fc0
	v_cndmask_b32_sdwa v2, v3, v2, vcc_lo dst_sel:DWORD dst_unused:UNUSED_PAD src0_sel:DWORD src1_sel:WORD_1
	global_store_short v[4:5], v2, off
.LBB86_1045:
	s_mov_b32 s8, 0
.LBB86_1046:
	s_and_b32 vcc_lo, exec_lo, s8
	s_mov_b32 s8, 0
	s_cbranch_vccz .LBB86_1049
; %bb.1047:
	s_cmp_lg_u32 s6, 11
	s_mov_b32 s8, -1
	s_cselect_b32 s6, -1, 0
	s_andn2_b32 s4, s4, exec_lo
	s_and_b32 s6, s6, exec_lo
	s_or_b32 s4, s4, s6
	s_branch .LBB86_1049
.LBB86_1048:
	s_mov_b32 s8, 0
.LBB86_1049:
	s_andn2_b32 s9, s80, exec_lo
	s_and_b32 s4, s4, exec_lo
	s_and_b32 s6, s7, exec_lo
	;; [unrolled: 1-line block ×3, first 2 shown]
	s_or_b32 s80, s9, s4
	s_or_b32 exec_lo, exec_lo, s55
	s_and_saveexec_b32 s4, s80
	s_cbranch_execz .LBB86_978
.LBB86_1050:
	s_or_b32 s54, s54, exec_lo
	s_andn2_b32 s7, s7, exec_lo
	s_trap 2
	s_or_b32 exec_lo, exec_lo, s4
	s_and_saveexec_b32 s4, s7
	s_xor_b32 s4, exec_lo, s4
	s_cbranch_execnz .LBB86_979
.LBB86_1051:
	s_or_b32 exec_lo, exec_lo, s4
	s_and_saveexec_b32 s4, s6
	s_xor_b32 s4, exec_lo, s4
	s_cbranch_execz .LBB86_1089
.LBB86_1052:
	s_sext_i32_i16 s7, s5
	s_mov_b32 s6, -1
	s_cmp_lt_i32 s7, 5
	s_cbranch_scc1 .LBB86_1073
; %bb.1053:
	s_cmp_lt_i32 s7, 8
	s_cbranch_scc1 .LBB86_1063
; %bb.1054:
	;; [unrolled: 3-line block ×3, first 2 shown]
	s_cmp_gt_i32 s7, 9
	s_cbranch_scc0 .LBB86_1057
; %bb.1056:
	s_waitcnt vmcnt(0)
	v_mov_b32_e32 v2, 0
	s_mov_b32 s6, 0
	v_mov_b32_e32 v3, v2
	global_store_dwordx4 v[4:5], v[0:3], off
.LBB86_1057:
	s_andn2_b32 vcc_lo, exec_lo, s6
	s_cbranch_vccnz .LBB86_1059
; %bb.1058:
	s_waitcnt vmcnt(0)
	v_cvt_f32_f64_e32 v2, v[0:1]
	v_mov_b32_e32 v3, 0
	global_store_dwordx2 v[4:5], v[2:3], off
.LBB86_1059:
	s_mov_b32 s6, 0
.LBB86_1060:
	s_andn2_b32 vcc_lo, exec_lo, s6
	s_cbranch_vccnz .LBB86_1062
; %bb.1061:
	s_waitcnt vmcnt(0)
	v_and_or_b32 v2, 0x1ff, v1, v0
	v_lshrrev_b32_e32 v3, 8, v1
	v_bfe_u32 v6, v1, 20, 11
	v_cmp_ne_u32_e32 vcc_lo, 0, v2
	v_sub_nc_u32_e32 v7, 0x3f1, v6
	v_add_nc_u32_e32 v6, 0xfffffc10, v6
	v_cndmask_b32_e64 v2, 0, 1, vcc_lo
	v_and_or_b32 v2, 0xffe, v3, v2
	v_med3_i32 v3, v7, 0, 13
	v_or_b32_e32 v7, 0x1000, v2
	v_lshrrev_b32_e32 v8, v3, v7
	v_lshlrev_b32_e32 v3, v3, v8
	v_cmp_ne_u32_e32 vcc_lo, v3, v7
	v_lshl_or_b32 v7, v6, 12, v2
	v_cndmask_b32_e64 v3, 0, 1, vcc_lo
	v_cmp_gt_i32_e32 vcc_lo, 1, v6
	v_or_b32_e32 v3, v8, v3
	v_cndmask_b32_e32 v3, v7, v3, vcc_lo
	v_and_b32_e32 v7, 7, v3
	v_lshrrev_b32_e32 v3, 2, v3
	v_cmp_lt_i32_e32 vcc_lo, 5, v7
	v_cndmask_b32_e64 v8, 0, 1, vcc_lo
	v_cmp_eq_u32_e32 vcc_lo, 3, v7
	v_cndmask_b32_e64 v7, 0, 1, vcc_lo
	v_cmp_ne_u32_e32 vcc_lo, 0, v2
	v_or_b32_e32 v7, v7, v8
	v_mov_b32_e32 v8, 0x7e00
	v_add_nc_u32_e32 v3, v3, v7
	v_cndmask_b32_e32 v2, 0x7c00, v8, vcc_lo
	v_cmp_gt_i32_e32 vcc_lo, 31, v6
	v_cndmask_b32_e32 v3, 0x7c00, v3, vcc_lo
	v_cmp_eq_u32_e32 vcc_lo, 0x40f, v6
	v_cndmask_b32_e32 v2, v3, v2, vcc_lo
	v_lshrrev_b32_e32 v3, 16, v1
	v_and_or_b32 v2, 0x8000, v3, v2
	v_and_b32_e32 v2, 0xffff, v2
	global_store_dword v[4:5], v2, off
.LBB86_1062:
	s_mov_b32 s6, 0
.LBB86_1063:
	s_andn2_b32 vcc_lo, exec_lo, s6
	s_cbranch_vccnz .LBB86_1072
; %bb.1064:
	s_sext_i32_i16 s7, s5
	s_mov_b32 s6, -1
	s_cmp_lt_i32 s7, 6
	s_cbranch_scc1 .LBB86_1070
; %bb.1065:
	s_cmp_gt_i32 s7, 6
	s_cbranch_scc0 .LBB86_1067
; %bb.1066:
	s_mov_b32 s6, 0
	global_store_dwordx2 v[4:5], v[0:1], off
.LBB86_1067:
	s_andn2_b32 vcc_lo, exec_lo, s6
	s_cbranch_vccnz .LBB86_1069
; %bb.1068:
	s_waitcnt vmcnt(0)
	v_cvt_f32_f64_e32 v2, v[0:1]
	global_store_dword v[4:5], v2, off
.LBB86_1069:
	s_mov_b32 s6, 0
.LBB86_1070:
	s_andn2_b32 vcc_lo, exec_lo, s6
	s_cbranch_vccnz .LBB86_1072
; %bb.1071:
	s_waitcnt vmcnt(0)
	v_and_or_b32 v2, 0x1ff, v1, v0
	v_lshrrev_b32_e32 v3, 8, v1
	v_bfe_u32 v6, v1, 20, 11
	v_cmp_ne_u32_e32 vcc_lo, 0, v2
	v_sub_nc_u32_e32 v7, 0x3f1, v6
	v_add_nc_u32_e32 v6, 0xfffffc10, v6
	v_cndmask_b32_e64 v2, 0, 1, vcc_lo
	v_and_or_b32 v2, 0xffe, v3, v2
	v_med3_i32 v3, v7, 0, 13
	v_or_b32_e32 v7, 0x1000, v2
	v_lshrrev_b32_e32 v8, v3, v7
	v_lshlrev_b32_e32 v3, v3, v8
	v_cmp_ne_u32_e32 vcc_lo, v3, v7
	v_lshl_or_b32 v7, v6, 12, v2
	v_cndmask_b32_e64 v3, 0, 1, vcc_lo
	v_cmp_gt_i32_e32 vcc_lo, 1, v6
	v_or_b32_e32 v3, v8, v3
	v_cndmask_b32_e32 v3, v7, v3, vcc_lo
	v_and_b32_e32 v7, 7, v3
	v_lshrrev_b32_e32 v3, 2, v3
	v_cmp_lt_i32_e32 vcc_lo, 5, v7
	v_cndmask_b32_e64 v8, 0, 1, vcc_lo
	v_cmp_eq_u32_e32 vcc_lo, 3, v7
	v_cndmask_b32_e64 v7, 0, 1, vcc_lo
	v_cmp_ne_u32_e32 vcc_lo, 0, v2
	v_or_b32_e32 v7, v7, v8
	v_mov_b32_e32 v8, 0x7e00
	v_add_nc_u32_e32 v3, v3, v7
	v_cndmask_b32_e32 v2, 0x7c00, v8, vcc_lo
	v_cmp_gt_i32_e32 vcc_lo, 31, v6
	v_cndmask_b32_e32 v3, 0x7c00, v3, vcc_lo
	v_cmp_eq_u32_e32 vcc_lo, 0x40f, v6
	v_cndmask_b32_e32 v2, v3, v2, vcc_lo
	v_lshrrev_b32_e32 v3, 16, v1
	v_and_or_b32 v2, 0x8000, v3, v2
	global_store_short v[4:5], v2, off
.LBB86_1072:
	s_mov_b32 s6, 0
.LBB86_1073:
	s_andn2_b32 vcc_lo, exec_lo, s6
	s_cbranch_vccnz .LBB86_1089
; %bb.1074:
	s_sext_i32_i16 s7, s5
	s_mov_b32 s6, -1
	s_cmp_lt_i32 s7, 2
	s_cbranch_scc1 .LBB86_1084
; %bb.1075:
	s_cmp_lt_i32 s7, 3
	s_cbranch_scc1 .LBB86_1081
; %bb.1076:
	s_cmp_gt_i32 s7, 3
	s_cbranch_scc0 .LBB86_1078
; %bb.1077:
	s_waitcnt vmcnt(0)
	v_trunc_f64_e32 v[2:3], v[0:1]
	s_mov_b32 s6, 0
	v_ldexp_f64 v[6:7], v[2:3], 0xffffffe0
	v_floor_f64_e32 v[6:7], v[6:7]
	v_fma_f64 v[2:3], 0xc1f00000, v[6:7], v[2:3]
	v_cvt_i32_f64_e32 v7, v[6:7]
	v_cvt_u32_f64_e32 v6, v[2:3]
	global_store_dwordx2 v[4:5], v[6:7], off
.LBB86_1078:
	s_andn2_b32 vcc_lo, exec_lo, s6
	s_cbranch_vccnz .LBB86_1080
; %bb.1079:
	s_waitcnt vmcnt(0)
	v_cvt_i32_f64_e32 v2, v[0:1]
	global_store_dword v[4:5], v2, off
.LBB86_1080:
	s_mov_b32 s6, 0
.LBB86_1081:
	s_andn2_b32 vcc_lo, exec_lo, s6
	s_cbranch_vccnz .LBB86_1083
; %bb.1082:
	s_waitcnt vmcnt(0)
	v_cvt_i32_f64_e32 v2, v[0:1]
	global_store_short v[4:5], v2, off
.LBB86_1083:
	s_mov_b32 s6, 0
.LBB86_1084:
	s_andn2_b32 vcc_lo, exec_lo, s6
	s_cbranch_vccnz .LBB86_1089
; %bb.1085:
	s_sext_i32_i16 s5, s5
	s_cmp_gt_i32 s5, 0
	s_mov_b32 s5, -1
	s_cbranch_scc0 .LBB86_1087
; %bb.1086:
	s_waitcnt vmcnt(0)
	v_cvt_i32_f64_e32 v2, v[0:1]
	s_mov_b32 s5, 0
	global_store_byte v[4:5], v2, off
.LBB86_1087:
	s_andn2_b32 vcc_lo, exec_lo, s5
	s_cbranch_vccnz .LBB86_1089
; %bb.1088:
	v_trunc_f64_e32 v[0:1], v[0:1]
	s_waitcnt vmcnt(0)
	v_ldexp_f64 v[2:3], v[0:1], 0xffffffe0
	v_floor_f64_e32 v[2:3], v[2:3]
	v_fma_f64 v[0:1], 0xc1f00000, v[2:3], v[0:1]
	v_cvt_u32_f64_e32 v0, v[0:1]
	global_store_byte v[4:5], v0, off
.LBB86_1089:
	s_or_b32 exec_lo, exec_lo, s4
	s_and_b32 s64, s54, exec_lo
                                        ; implicit-def: $vgpr8
                                        ; implicit-def: $vgpr43
.LBB86_1090:
	s_or_saveexec_b32 s65, s68
	s_mov_b32 s4, 0
                                        ; implicit-def: $vgpr4_vgpr5
                                        ; implicit-def: $sgpr54
                                        ; implicit-def: $vgpr0_vgpr1
	s_xor_b32 exec_lo, exec_lo, s65
	s_cbranch_execz .LBB86_2098
; %bb.1091:
	v_cndmask_b32_e64 v0, 0, 1, s86
	s_andn2_b32 vcc_lo, exec_lo, s86
	s_cbranch_vccnz .LBB86_1097
; %bb.1092:
	s_cmp_lg_u32 s33, 0
	s_mov_b32 s8, 0
	s_cbranch_scc0 .LBB86_1098
; %bb.1093:
	s_min_u32 s10, s39, 15
	s_add_i32 s10, s10, 1
	s_cmp_eq_u32 s39, 2
	s_cbranch_scc1 .LBB86_1099
; %bb.1094:
	s_waitcnt vmcnt(0)
	v_mov_b32_e32 v2, 0
	v_mov_b32_e32 v56, 0
	;; [unrolled: 1-line block ×3, first 2 shown]
	s_and_b32 s9, s10, 28
	s_add_u32 s4, s50, 0xc4
	s_addc_u32 s5, s51, 0
	s_mov_b32 s11, 0
	s_mov_b64 s[6:7], s[50:51]
.LBB86_1095:                            ; =>This Inner Loop Header: Depth=1
	s_clause 0x1
	s_load_dwordx8 s[12:19], s[6:7], 0x4
	s_load_dwordx4 s[28:31], s[6:7], 0x24
	s_load_dwordx8 s[20:27], s[4:5], 0x0
	s_add_u32 s6, s6, 48
	s_addc_u32 s7, s7, 0
	s_add_i32 s11, s11, 4
	s_add_u32 s4, s4, 32
	s_addc_u32 s5, s5, 0
	s_cmp_lg_u32 s9, s11
	s_waitcnt lgkmcnt(0)
	v_mul_hi_u32 v3, s13, v1
	v_add_nc_u32_e32 v3, v1, v3
	v_lshrrev_b32_e32 v3, s14, v3
	v_mul_hi_u32 v4, s16, v3
	v_mul_lo_u32 v6, v3, s12
	v_add_nc_u32_e32 v4, v3, v4
	v_sub_nc_u32_e32 v1, v1, v6
	v_lshrrev_b32_e32 v4, s17, v4
	v_mul_lo_u32 v6, v1, s20
	v_mul_lo_u32 v9, v1, s21
	v_mul_hi_u32 v5, s19, v4
	v_add_nc_u32_e32 v5, v4, v5
	v_lshrrev_b32_e32 v5, s28, v5
	v_mul_hi_u32 v7, s30, v5
	v_mul_lo_u32 v10, v5, s18
	v_add_nc_u32_e32 v1, v5, v7
	v_mul_lo_u32 v7, v4, s15
	v_sub_nc_u32_e32 v4, v4, v10
	v_lshrrev_b32_e32 v1, s31, v1
	v_mul_lo_u32 v10, v4, s24
	v_mul_lo_u32 v4, v4, s25
	v_sub_nc_u32_e32 v3, v3, v7
	v_mul_lo_u32 v11, v1, s29
	v_mul_lo_u32 v7, v3, s22
	;; [unrolled: 1-line block ×3, first 2 shown]
	v_sub_nc_u32_e32 v5, v5, v11
	v_add3_u32 v6, v6, v56, v7
	v_mul_lo_u32 v11, v5, s26
	v_mul_lo_u32 v5, v5, s27
	v_add3_u32 v2, v9, v2, v3
	v_add3_u32 v56, v10, v6, v11
	v_add3_u32 v2, v4, v2, v5
	s_cbranch_scc1 .LBB86_1095
; %bb.1096:
	s_and_b32 s10, s10, 3
	s_cmp_eq_u32 s10, 0
	s_cbranch_scc0 .LBB86_1100
	s_branch .LBB86_1102
.LBB86_1097:
	s_mov_b32 s8, -1
                                        ; implicit-def: $vgpr56
                                        ; implicit-def: $vgpr2
	s_branch .LBB86_1102
.LBB86_1098:
	v_mov_b32_e32 v56, 0
	s_waitcnt vmcnt(0)
	v_mov_b32_e32 v2, 0
	s_branch .LBB86_1102
.LBB86_1099:
	v_mov_b32_e32 v56, 0
	s_waitcnt vmcnt(0)
	v_mov_b32_e32 v2, 0
	v_mov_b32_e32 v1, v43
	s_mov_b32 s9, 0
	s_and_b32 s10, s10, 3
	s_cmp_eq_u32 s10, 0
	s_cbranch_scc1 .LBB86_1102
.LBB86_1100:
	s_lshl_b32 s4, s9, 3
	s_mul_i32 s6, s9, 12
	s_add_u32 s4, s50, s4
	s_addc_u32 s5, s51, 0
	s_add_u32 s4, s4, 0xc4
	s_addc_u32 s5, s5, 0
	;; [unrolled: 2-line block ×3, first 2 shown]
	.p2align	6
.LBB86_1101:                            ; =>This Inner Loop Header: Depth=1
	s_clause 0x1
	s_load_dwordx2 s[12:13], s[6:7], 0x4
	s_load_dword s9, s[6:7], 0xc
	s_load_dwordx2 s[14:15], s[4:5], 0x0
	s_add_u32 s6, s6, 12
	s_addc_u32 s7, s7, 0
	s_add_u32 s4, s4, 8
	s_addc_u32 s5, s5, 0
	s_add_i32 s10, s10, -1
	s_cmp_lg_u32 s10, 0
	s_waitcnt lgkmcnt(0)
	v_mul_hi_u32 v3, s13, v1
	v_add_nc_u32_e32 v3, v1, v3
	v_lshrrev_b32_e32 v4, s9, v3
	v_mul_lo_u32 v3, v4, s12
	v_sub_nc_u32_e32 v1, v1, v3
	v_mad_u64_u32 v[56:57], null, v1, s14, v[56:57]
	v_mad_u64_u32 v[2:3], null, v1, s15, v[2:3]
	v_mov_b32_e32 v1, v4
	s_cbranch_scc1 .LBB86_1101
.LBB86_1102:
	s_andn2_b32 vcc_lo, exec_lo, s8
	s_cbranch_vccnz .LBB86_1105
; %bb.1103:
	s_clause 0x1
	s_load_dwordx4 s[4:7], s[50:51], 0x4
	s_load_dwordx2 s[8:9], s[50:51], 0xc4
	s_cmp_lt_u32 s33, 2
	s_waitcnt lgkmcnt(0)
	v_mul_hi_u32 v1, s5, v43
	v_add_nc_u32_e32 v1, v43, v1
	v_lshrrev_b32_e32 v1, s6, v1
	s_waitcnt vmcnt(0)
	v_mul_lo_u32 v2, v1, s4
	v_sub_nc_u32_e32 v2, v43, v2
	v_mul_lo_u32 v56, v2, s8
	v_mul_lo_u32 v2, v2, s9
	s_cbranch_scc1 .LBB86_1105
; %bb.1104:
	s_clause 0x1
	s_load_dwordx4 s[4:7], s[50:51], 0x10
	s_load_dwordx2 s[8:9], s[50:51], 0xcc
	s_waitcnt lgkmcnt(0)
	v_mul_hi_u32 v3, s5, v1
	v_add_nc_u32_e32 v3, v1, v3
	v_lshrrev_b32_e32 v3, s6, v3
	v_mul_lo_u32 v3, v3, s4
	v_sub_nc_u32_e32 v1, v1, v3
	v_mad_u64_u32 v[56:57], null, v1, s8, v[56:57]
	v_mad_u64_u32 v[2:3], null, v1, s9, v[2:3]
.LBB86_1105:
	v_cmp_ne_u32_e32 vcc_lo, 1, v0
	v_add_nc_u32_e32 v1, 0x80, v43
	s_cbranch_vccnz .LBB86_1111
; %bb.1106:
	s_cmp_lg_u32 s33, 0
	s_mov_b32 s8, 0
	s_cbranch_scc0 .LBB86_1112
; %bb.1107:
	s_min_u32 s10, s39, 15
	s_add_i32 s10, s10, 1
	s_cmp_eq_u32 s39, 2
	s_cbranch_scc1 .LBB86_1113
; %bb.1108:
	v_mov_b32_e32 v6, 0
	v_mov_b32_e32 v54, 0
	s_waitcnt vmcnt(0)
	v_mov_b32_e32 v3, v1
	s_and_b32 s9, s10, 28
	s_add_u32 s4, s50, 0xc4
	s_addc_u32 s5, s51, 0
	s_mov_b32 s11, 0
	s_mov_b64 s[6:7], s[50:51]
.LBB86_1109:                            ; =>This Inner Loop Header: Depth=1
	s_clause 0x1
	s_load_dwordx8 s[12:19], s[6:7], 0x4
	s_load_dwordx4 s[28:31], s[6:7], 0x24
	s_load_dwordx8 s[20:27], s[4:5], 0x0
	s_add_u32 s6, s6, 48
	s_addc_u32 s7, s7, 0
	s_add_i32 s11, s11, 4
	s_add_u32 s4, s4, 32
	s_addc_u32 s5, s5, 0
	s_cmp_lg_u32 s9, s11
	s_waitcnt lgkmcnt(0)
	v_mul_hi_u32 v4, s13, v3
	v_add_nc_u32_e32 v4, v3, v4
	v_lshrrev_b32_e32 v4, s14, v4
	v_mul_hi_u32 v5, s16, v4
	v_mul_lo_u32 v9, v4, s12
	v_add_nc_u32_e32 v5, v4, v5
	v_sub_nc_u32_e32 v3, v3, v9
	v_lshrrev_b32_e32 v5, s17, v5
	v_mul_lo_u32 v9, v3, s20
	v_mul_lo_u32 v11, v3, s21
	v_mul_hi_u32 v7, s19, v5
	v_add_nc_u32_e32 v7, v5, v7
	v_lshrrev_b32_e32 v7, s28, v7
	v_mul_hi_u32 v10, s30, v7
	v_mul_lo_u32 v12, v7, s18
	v_add_nc_u32_e32 v3, v7, v10
	v_mul_lo_u32 v10, v5, s15
	v_sub_nc_u32_e32 v5, v5, v12
	v_lshrrev_b32_e32 v3, s31, v3
	v_mul_lo_u32 v12, v5, s24
	v_mul_lo_u32 v5, v5, s25
	v_sub_nc_u32_e32 v4, v4, v10
	v_mul_lo_u32 v13, v3, s29
	v_mul_lo_u32 v10, v4, s22
	;; [unrolled: 1-line block ×3, first 2 shown]
	v_sub_nc_u32_e32 v7, v7, v13
	v_add3_u32 v9, v9, v54, v10
	v_mul_lo_u32 v13, v7, s26
	v_mul_lo_u32 v7, v7, s27
	v_add3_u32 v4, v11, v6, v4
	v_add3_u32 v54, v12, v9, v13
	;; [unrolled: 1-line block ×3, first 2 shown]
	s_cbranch_scc1 .LBB86_1109
; %bb.1110:
	s_and_b32 s10, s10, 3
	s_cmp_eq_u32 s10, 0
	s_cbranch_scc0 .LBB86_1114
	s_branch .LBB86_1116
.LBB86_1111:
	s_mov_b32 s8, -1
                                        ; implicit-def: $vgpr54
                                        ; implicit-def: $vgpr6
	s_branch .LBB86_1116
.LBB86_1112:
	v_mov_b32_e32 v54, 0
	v_mov_b32_e32 v6, 0
	s_branch .LBB86_1116
.LBB86_1113:
	v_mov_b32_e32 v54, 0
	v_mov_b32_e32 v6, 0
	s_waitcnt vmcnt(0)
	v_mov_b32_e32 v3, v1
	s_mov_b32 s9, 0
	s_and_b32 s10, s10, 3
	s_cmp_eq_u32 s10, 0
	s_cbranch_scc1 .LBB86_1116
.LBB86_1114:
	s_lshl_b32 s4, s9, 3
	s_mul_i32 s6, s9, 12
	s_add_u32 s4, s50, s4
	s_addc_u32 s5, s51, 0
	s_add_u32 s4, s4, 0xc4
	s_addc_u32 s5, s5, 0
	;; [unrolled: 2-line block ×3, first 2 shown]
	.p2align	6
.LBB86_1115:                            ; =>This Inner Loop Header: Depth=1
	s_clause 0x1
	s_load_dwordx2 s[12:13], s[6:7], 0x4
	s_load_dword s9, s[6:7], 0xc
	s_load_dwordx2 s[14:15], s[4:5], 0x0
	s_add_u32 s6, s6, 12
	s_addc_u32 s7, s7, 0
	s_add_u32 s4, s4, 8
	s_addc_u32 s5, s5, 0
	s_add_i32 s10, s10, -1
	s_cmp_lg_u32 s10, 0
	s_waitcnt lgkmcnt(0)
	v_mul_hi_u32 v4, s13, v3
	v_add_nc_u32_e32 v4, v3, v4
	v_lshrrev_b32_e32 v4, s9, v4
	v_mul_lo_u32 v5, v4, s12
	v_sub_nc_u32_e32 v3, v3, v5
	v_mad_u64_u32 v[54:55], null, v3, s14, v[54:55]
	v_mad_u64_u32 v[6:7], null, v3, s15, v[6:7]
	v_mov_b32_e32 v3, v4
	s_cbranch_scc1 .LBB86_1115
.LBB86_1116:
	s_andn2_b32 vcc_lo, exec_lo, s8
	s_cbranch_vccnz .LBB86_1119
; %bb.1117:
	s_clause 0x1
	s_load_dwordx4 s[4:7], s[50:51], 0x4
	s_load_dwordx2 s[8:9], s[50:51], 0xc4
	s_cmp_lt_u32 s33, 2
	s_waitcnt vmcnt(0) lgkmcnt(0)
	v_mul_hi_u32 v3, s5, v1
	v_add_nc_u32_e32 v3, v1, v3
	v_lshrrev_b32_e32 v3, s6, v3
	v_mul_lo_u32 v4, v3, s4
	v_sub_nc_u32_e32 v1, v1, v4
	v_mul_lo_u32 v54, v1, s8
	v_mul_lo_u32 v6, v1, s9
	s_cbranch_scc1 .LBB86_1119
; %bb.1118:
	s_clause 0x1
	s_load_dwordx4 s[4:7], s[50:51], 0x10
	s_load_dwordx2 s[8:9], s[50:51], 0xcc
	s_waitcnt lgkmcnt(0)
	v_mul_hi_u32 v1, s5, v3
	v_add_nc_u32_e32 v1, v3, v1
	v_lshrrev_b32_e32 v1, s6, v1
	v_mul_lo_u32 v1, v1, s4
	v_sub_nc_u32_e32 v1, v3, v1
	v_mad_u64_u32 v[54:55], null, v1, s8, v[54:55]
	v_mad_u64_u32 v[6:7], null, v1, s9, v[6:7]
.LBB86_1119:
	v_cmp_ne_u32_e32 vcc_lo, 1, v0
	v_add_nc_u32_e32 v1, 0x100, v43
	s_cbranch_vccnz .LBB86_1125
; %bb.1120:
	s_cmp_lg_u32 s33, 0
	s_mov_b32 s8, 0
	s_cbranch_scc0 .LBB86_1126
; %bb.1121:
	s_min_u32 s10, s39, 15
	s_add_i32 s10, s10, 1
	s_cmp_eq_u32 s39, 2
	s_cbranch_scc1 .LBB86_1127
; %bb.1122:
	v_mov_b32_e32 v4, 0
	v_mov_b32_e32 v52, 0
	s_waitcnt vmcnt(0)
	v_mov_b32_e32 v3, v1
	s_and_b32 s9, s10, 28
	s_add_u32 s4, s50, 0xc4
	s_addc_u32 s5, s51, 0
	s_mov_b32 s11, 0
	s_mov_b64 s[6:7], s[50:51]
.LBB86_1123:                            ; =>This Inner Loop Header: Depth=1
	s_clause 0x1
	s_load_dwordx8 s[12:19], s[6:7], 0x4
	s_load_dwordx4 s[28:31], s[6:7], 0x24
	s_load_dwordx8 s[20:27], s[4:5], 0x0
	s_add_u32 s6, s6, 48
	s_addc_u32 s7, s7, 0
	s_add_i32 s11, s11, 4
	s_add_u32 s4, s4, 32
	s_addc_u32 s5, s5, 0
	s_cmp_lg_u32 s9, s11
	s_waitcnt lgkmcnt(0)
	v_mul_hi_u32 v5, s13, v3
	v_add_nc_u32_e32 v5, v3, v5
	v_lshrrev_b32_e32 v5, s14, v5
	v_mul_hi_u32 v7, s16, v5
	v_mul_lo_u32 v10, v5, s12
	v_add_nc_u32_e32 v7, v5, v7
	v_sub_nc_u32_e32 v3, v3, v10
	v_lshrrev_b32_e32 v7, s17, v7
	v_mul_lo_u32 v10, v3, s20
	v_mul_lo_u32 v12, v3, s21
	v_mul_hi_u32 v9, s19, v7
	v_add_nc_u32_e32 v9, v7, v9
	v_lshrrev_b32_e32 v9, s28, v9
	v_mul_hi_u32 v11, s30, v9
	v_mul_lo_u32 v13, v9, s18
	v_add_nc_u32_e32 v3, v9, v11
	v_mul_lo_u32 v11, v7, s15
	v_sub_nc_u32_e32 v7, v7, v13
	v_lshrrev_b32_e32 v3, s31, v3
	v_mul_lo_u32 v13, v7, s24
	v_mul_lo_u32 v7, v7, s25
	v_sub_nc_u32_e32 v5, v5, v11
	v_mul_lo_u32 v14, v3, s29
	v_mul_lo_u32 v11, v5, s22
	;; [unrolled: 1-line block ×3, first 2 shown]
	v_sub_nc_u32_e32 v9, v9, v14
	v_add3_u32 v10, v10, v52, v11
	v_mul_lo_u32 v14, v9, s26
	v_mul_lo_u32 v9, v9, s27
	v_add3_u32 v4, v12, v4, v5
	v_add3_u32 v52, v13, v10, v14
	;; [unrolled: 1-line block ×3, first 2 shown]
	s_cbranch_scc1 .LBB86_1123
; %bb.1124:
	s_and_b32 s10, s10, 3
	s_cmp_eq_u32 s10, 0
	s_cbranch_scc0 .LBB86_1128
	s_branch .LBB86_1130
.LBB86_1125:
	s_mov_b32 s8, -1
                                        ; implicit-def: $vgpr52
                                        ; implicit-def: $vgpr4
	s_branch .LBB86_1130
.LBB86_1126:
	v_mov_b32_e32 v52, 0
	v_mov_b32_e32 v4, 0
	s_branch .LBB86_1130
.LBB86_1127:
	v_mov_b32_e32 v52, 0
	v_mov_b32_e32 v4, 0
	s_waitcnt vmcnt(0)
	v_mov_b32_e32 v3, v1
	s_mov_b32 s9, 0
	s_and_b32 s10, s10, 3
	s_cmp_eq_u32 s10, 0
	s_cbranch_scc1 .LBB86_1130
.LBB86_1128:
	s_lshl_b32 s4, s9, 3
	s_mul_i32 s6, s9, 12
	s_add_u32 s4, s50, s4
	s_addc_u32 s5, s51, 0
	s_add_u32 s4, s4, 0xc4
	s_addc_u32 s5, s5, 0
	;; [unrolled: 2-line block ×3, first 2 shown]
	.p2align	6
.LBB86_1129:                            ; =>This Inner Loop Header: Depth=1
	s_clause 0x1
	s_load_dwordx2 s[12:13], s[6:7], 0x4
	s_load_dword s9, s[6:7], 0xc
	s_load_dwordx2 s[14:15], s[4:5], 0x0
	s_add_u32 s6, s6, 12
	s_addc_u32 s7, s7, 0
	s_add_u32 s4, s4, 8
	s_addc_u32 s5, s5, 0
	s_add_i32 s10, s10, -1
	s_cmp_lg_u32 s10, 0
	s_waitcnt lgkmcnt(0)
	v_mul_hi_u32 v5, s13, v3
	v_add_nc_u32_e32 v5, v3, v5
	v_lshrrev_b32_e32 v7, s9, v5
	v_mul_lo_u32 v5, v7, s12
	v_sub_nc_u32_e32 v3, v3, v5
	v_mad_u64_u32 v[52:53], null, v3, s14, v[52:53]
	v_mad_u64_u32 v[4:5], null, v3, s15, v[4:5]
	v_mov_b32_e32 v3, v7
	s_cbranch_scc1 .LBB86_1129
.LBB86_1130:
	s_andn2_b32 vcc_lo, exec_lo, s8
	s_cbranch_vccnz .LBB86_1133
; %bb.1131:
	s_clause 0x1
	s_load_dwordx4 s[4:7], s[50:51], 0x4
	s_load_dwordx2 s[8:9], s[50:51], 0xc4
	s_cmp_lt_u32 s33, 2
	s_waitcnt vmcnt(0) lgkmcnt(0)
	v_mul_hi_u32 v3, s5, v1
	v_add_nc_u32_e32 v3, v1, v3
	v_lshrrev_b32_e32 v3, s6, v3
	v_mul_lo_u32 v4, v3, s4
	v_sub_nc_u32_e32 v1, v1, v4
	v_mul_lo_u32 v52, v1, s8
	v_mul_lo_u32 v4, v1, s9
	s_cbranch_scc1 .LBB86_1133
; %bb.1132:
	s_clause 0x1
	s_load_dwordx4 s[4:7], s[50:51], 0x10
	s_load_dwordx2 s[8:9], s[50:51], 0xcc
	s_waitcnt lgkmcnt(0)
	v_mul_hi_u32 v1, s5, v3
	v_add_nc_u32_e32 v1, v3, v1
	v_lshrrev_b32_e32 v1, s6, v1
	v_mul_lo_u32 v1, v1, s4
	v_sub_nc_u32_e32 v1, v3, v1
	v_mad_u64_u32 v[52:53], null, v1, s8, v[52:53]
	v_mad_u64_u32 v[4:5], null, v1, s9, v[4:5]
.LBB86_1133:
	v_cmp_ne_u32_e32 vcc_lo, 1, v0
	s_cbranch_vccnz .LBB86_1139
; %bb.1134:
	s_cmp_lg_u32 s33, 0
	s_mov_b32 s8, 0
	s_cbranch_scc0 .LBB86_1140
; %bb.1135:
	s_min_u32 s10, s39, 15
	s_add_i32 s10, s10, 1
	s_cmp_eq_u32 s39, 2
	s_cbranch_scc1 .LBB86_1141
; %bb.1136:
	v_mov_b32_e32 v0, 0
	v_mov_b32_e32 v50, 0
	;; [unrolled: 1-line block ×3, first 2 shown]
	s_and_b32 s9, s10, 28
	s_add_u32 s4, s50, 0xc4
	s_addc_u32 s5, s51, 0
	s_mov_b32 s11, 0
	s_mov_b64 s[6:7], s[50:51]
.LBB86_1137:                            ; =>This Inner Loop Header: Depth=1
	s_clause 0x1
	s_load_dwordx8 s[12:19], s[6:7], 0x4
	s_load_dwordx4 s[28:31], s[6:7], 0x24
	s_load_dwordx8 s[20:27], s[4:5], 0x0
	s_add_u32 s6, s6, 48
	s_addc_u32 s7, s7, 0
	s_add_i32 s11, s11, 4
	s_add_u32 s4, s4, 32
	s_addc_u32 s5, s5, 0
	s_cmp_lg_u32 s9, s11
	s_waitcnt vmcnt(0) lgkmcnt(0)
	v_mul_hi_u32 v3, s13, v1
	v_add_nc_u32_e32 v3, v1, v3
	v_lshrrev_b32_e32 v3, s14, v3
	v_mul_hi_u32 v5, s16, v3
	v_mul_lo_u32 v9, v3, s12
	v_add_nc_u32_e32 v5, v3, v5
	v_sub_nc_u32_e32 v1, v1, v9
	v_lshrrev_b32_e32 v5, s17, v5
	v_mul_lo_u32 v9, v1, s20
	v_mul_lo_u32 v11, v1, s21
	v_mul_hi_u32 v7, s19, v5
	v_add_nc_u32_e32 v7, v5, v7
	v_lshrrev_b32_e32 v7, s28, v7
	v_mul_hi_u32 v10, s30, v7
	v_mul_lo_u32 v12, v7, s18
	v_add_nc_u32_e32 v1, v7, v10
	v_mul_lo_u32 v10, v5, s15
	v_sub_nc_u32_e32 v5, v5, v12
	v_lshrrev_b32_e32 v1, s31, v1
	v_mul_lo_u32 v12, v5, s24
	v_mul_lo_u32 v5, v5, s25
	v_sub_nc_u32_e32 v3, v3, v10
	v_mul_lo_u32 v13, v1, s29
	v_mul_lo_u32 v10, v3, s22
	;; [unrolled: 1-line block ×3, first 2 shown]
	v_sub_nc_u32_e32 v7, v7, v13
	v_add3_u32 v9, v9, v50, v10
	v_mul_lo_u32 v13, v7, s26
	v_mul_lo_u32 v7, v7, s27
	v_add3_u32 v0, v11, v0, v3
	v_add3_u32 v50, v12, v9, v13
	;; [unrolled: 1-line block ×3, first 2 shown]
	s_cbranch_scc1 .LBB86_1137
; %bb.1138:
	s_and_b32 s10, s10, 3
	s_cmp_eq_u32 s10, 0
	s_cbranch_scc0 .LBB86_1142
	s_branch .LBB86_1144
.LBB86_1139:
	s_mov_b32 s8, -1
                                        ; implicit-def: $vgpr50
                                        ; implicit-def: $vgpr0
	s_branch .LBB86_1144
.LBB86_1140:
	v_mov_b32_e32 v50, 0
	v_mov_b32_e32 v0, 0
	s_branch .LBB86_1144
.LBB86_1141:
	v_mov_b32_e32 v50, 0
	v_mov_b32_e32 v0, 0
	;; [unrolled: 1-line block ×3, first 2 shown]
	s_mov_b32 s9, 0
	s_and_b32 s10, s10, 3
	s_cmp_eq_u32 s10, 0
	s_cbranch_scc1 .LBB86_1144
.LBB86_1142:
	s_lshl_b32 s4, s9, 3
	s_mul_i32 s6, s9, 12
	s_add_u32 s4, s50, s4
	s_addc_u32 s5, s51, 0
	s_add_u32 s4, s4, 0xc4
	s_addc_u32 s5, s5, 0
	s_add_u32 s6, s50, s6
	s_addc_u32 s7, s51, 0
	.p2align	6
.LBB86_1143:                            ; =>This Inner Loop Header: Depth=1
	s_clause 0x1
	s_load_dwordx2 s[12:13], s[6:7], 0x4
	s_load_dword s9, s[6:7], 0xc
	s_load_dwordx2 s[14:15], s[4:5], 0x0
	s_add_u32 s6, s6, 12
	s_addc_u32 s7, s7, 0
	s_add_u32 s4, s4, 8
	s_addc_u32 s5, s5, 0
	s_add_i32 s10, s10, -1
	s_cmp_lg_u32 s10, 0
	s_waitcnt vmcnt(0) lgkmcnt(0)
	v_mul_hi_u32 v3, s13, v1
	v_add_nc_u32_e32 v3, v1, v3
	v_lshrrev_b32_e32 v3, s9, v3
	v_mul_lo_u32 v5, v3, s12
	v_sub_nc_u32_e32 v1, v1, v5
	v_mad_u64_u32 v[50:51], null, v1, s14, v[50:51]
	v_mad_u64_u32 v[0:1], null, v1, s15, v[0:1]
	v_mov_b32_e32 v1, v3
	s_cbranch_scc1 .LBB86_1143
.LBB86_1144:
	s_andn2_b32 vcc_lo, exec_lo, s8
	s_cbranch_vccnz .LBB86_1147
; %bb.1145:
	s_clause 0x1
	s_load_dwordx4 s[4:7], s[50:51], 0x4
	s_load_dwordx2 s[8:9], s[50:51], 0xc4
	s_cmp_lt_u32 s33, 2
	s_waitcnt lgkmcnt(0)
	v_mul_hi_u32 v0, s5, v8
	v_add_nc_u32_e32 v0, v8, v0
	v_lshrrev_b32_e32 v1, s6, v0
	v_mul_lo_u32 v0, v1, s4
	v_sub_nc_u32_e32 v0, v8, v0
	v_mul_lo_u32 v50, v0, s8
	v_mul_lo_u32 v0, v0, s9
	s_cbranch_scc1 .LBB86_1147
; %bb.1146:
	s_clause 0x1
	s_load_dwordx4 s[4:7], s[50:51], 0x10
	s_load_dwordx2 s[8:9], s[50:51], 0xcc
	s_waitcnt vmcnt(0) lgkmcnt(0)
	v_mul_hi_u32 v3, s5, v1
	v_add_nc_u32_e32 v3, v1, v3
	v_lshrrev_b32_e32 v3, s6, v3
	v_mul_lo_u32 v3, v3, s4
	v_sub_nc_u32_e32 v1, v1, v3
	v_mad_u64_u32 v[50:51], null, v1, s8, v[50:51]
	v_mad_u64_u32 v[0:1], null, v1, s9, v[0:1]
.LBB86_1147:
	s_clause 0x1
	s_load_dwordx4 s[52:55], s[50:51], 0x148
	s_load_dword s4, s[48:49], 0x168
	s_waitcnt vmcnt(0) lgkmcnt(0)
	v_add_co_u32 v7, s5, s54, v2
	v_add_co_ci_u32_e64 v8, null, s55, 0, s5
	s_bfe_u32 s5, s4, 0x80008
	s_cmp_lt_i32 s5, 11
	s_cbranch_scc1 .LBB86_1154
; %bb.1148:
	s_and_b32 s6, 0xffff, s5
	s_mov_b32 s8, 0
	s_cmp_gt_i32 s6, 25
	s_cbranch_scc0 .LBB86_1156
; %bb.1149:
	s_cmp_gt_i32 s6, 28
	s_cbranch_scc0 .LBB86_1157
; %bb.1150:
	;; [unrolled: 3-line block ×4, first 2 shown]
	s_cmp_eq_u32 s6, 46
	s_mov_b32 s10, 0
	s_cbranch_scc0 .LBB86_1162
; %bb.1153:
	global_load_dword v1, v[7:8], off
	s_mov_b32 s7, 0
	s_mov_b32 s9, -1
	s_waitcnt vmcnt(0)
	v_lshlrev_b32_e32 v1, 16, v1
	v_cvt_f64_f32_e32 v[2:3], v1
	s_branch .LBB86_1164
.LBB86_1154:
	s_mov_b32 s9, 0
	s_mov_b32 s33, s64
                                        ; implicit-def: $vgpr2_vgpr3
	s_cbranch_execnz .LBB86_1227
.LBB86_1155:
	s_andn2_b32 vcc_lo, exec_lo, s9
	s_cbranch_vccz .LBB86_1272
	s_branch .LBB86_2096
.LBB86_1156:
	s_mov_b32 s9, 0
	s_mov_b32 s7, 0
                                        ; implicit-def: $vgpr2_vgpr3
	s_cbranch_execnz .LBB86_1194
	s_branch .LBB86_1223
.LBB86_1157:
	s_mov_b32 s10, -1
	s_mov_b32 s9, 0
	s_mov_b32 s7, 0
                                        ; implicit-def: $vgpr2_vgpr3
	s_branch .LBB86_1173
.LBB86_1158:
	s_mov_b32 s9, 0
	s_mov_b32 s7, 0
                                        ; implicit-def: $vgpr2_vgpr3
	s_cbranch_execnz .LBB86_1169
	s_branch .LBB86_1172
.LBB86_1159:
	s_mov_b32 s10, -1
	s_mov_b32 s9, 0
	s_mov_b32 s7, 0
	s_branch .LBB86_1163
.LBB86_1160:
	s_andn2_saveexec_b32 s9, s9
	s_cbranch_execz .LBB86_1003
.LBB86_1161:
	v_add_f32_e64 v3, 0x46000000, |v2|
	s_andn2_b32 s8, s8, exec_lo
	v_and_b32_e32 v3, 0xff, v3
	v_cmp_ne_u32_e32 vcc_lo, 0, v3
	s_and_b32 s10, vcc_lo, exec_lo
	s_or_b32 s8, s8, s10
	s_or_b32 exec_lo, exec_lo, s9
	v_mov_b32_e32 v6, 0
	s_and_saveexec_b32 s9, s8
	s_cbranch_execnz .LBB86_1004
	s_branch .LBB86_1005
.LBB86_1162:
	s_mov_b32 s7, -1
	s_mov_b32 s9, 0
.LBB86_1163:
                                        ; implicit-def: $vgpr2_vgpr3
.LBB86_1164:
	s_and_b32 vcc_lo, exec_lo, s10
	s_cbranch_vccz .LBB86_1167
; %bb.1165:
	s_cmp_eq_u32 s6, 44
	s_cbranch_scc0 .LBB86_1168
; %bb.1166:
	global_load_ubyte v3, v[7:8], off
	s_mov_b32 s7, 0
	s_mov_b32 s9, -1
	s_waitcnt vmcnt(0)
	v_lshlrev_b32_e32 v1, 23, v3
	v_cmp_ne_u32_e32 vcc_lo, 0xff, v3
	v_cvt_f64_f32_e32 v[1:2], v1
	v_cndmask_b32_e32 v1, 0x20000000, v1, vcc_lo
	v_cndmask_b32_e32 v2, 0x7ff80000, v2, vcc_lo
	v_cmp_ne_u32_e32 vcc_lo, 0, v3
	v_cndmask_b32_e32 v3, 0x38000000, v2, vcc_lo
	v_cndmask_b32_e32 v2, 0, v1, vcc_lo
.LBB86_1167:
	s_branch .LBB86_1172
.LBB86_1168:
	s_mov_b32 s7, -1
                                        ; implicit-def: $vgpr2_vgpr3
	s_branch .LBB86_1172
.LBB86_1169:
	s_cmp_eq_u32 s6, 29
	s_cbranch_scc0 .LBB86_1171
; %bb.1170:
	global_load_dwordx2 v[1:2], v[7:8], off
	s_mov_b32 s7, 0
	s_mov_b32 s9, -1
	s_mov_b32 s10, 0
	s_waitcnt vmcnt(0)
	v_cvt_f64_u32_e32 v[2:3], v2
	v_cvt_f64_u32_e32 v[9:10], v1
	v_ldexp_f64 v[2:3], v[2:3], 32
	v_add_f64 v[2:3], v[2:3], v[9:10]
	s_branch .LBB86_1173
.LBB86_1171:
	s_mov_b32 s7, -1
                                        ; implicit-def: $vgpr2_vgpr3
.LBB86_1172:
	s_mov_b32 s10, 0
.LBB86_1173:
	s_and_b32 vcc_lo, exec_lo, s10
	s_cbranch_vccz .LBB86_1193
; %bb.1174:
	s_cmp_lt_i32 s6, 27
	s_cbranch_scc1 .LBB86_1177
; %bb.1175:
	s_cmp_gt_i32 s6, 27
	s_cbranch_scc0 .LBB86_1178
; %bb.1176:
	global_load_dword v1, v[7:8], off
	s_mov_b32 s9, 0
	s_waitcnt vmcnt(0)
	v_cvt_f64_u32_e32 v[2:3], v1
	s_branch .LBB86_1179
.LBB86_1177:
	s_mov_b32 s9, -1
                                        ; implicit-def: $vgpr2_vgpr3
	s_branch .LBB86_1182
.LBB86_1178:
	s_mov_b32 s9, -1
                                        ; implicit-def: $vgpr2_vgpr3
.LBB86_1179:
	s_andn2_b32 vcc_lo, exec_lo, s9
	s_cbranch_vccnz .LBB86_1181
; %bb.1180:
	global_load_ushort v1, v[7:8], off
	s_waitcnt vmcnt(0)
	v_cvt_f64_u32_e32 v[2:3], v1
.LBB86_1181:
	s_mov_b32 s9, 0
.LBB86_1182:
	s_andn2_b32 vcc_lo, exec_lo, s9
	s_cbranch_vccnz .LBB86_1192
; %bb.1183:
	global_load_ubyte v1, v[7:8], off
	s_mov_b32 s9, 0
	s_mov_b32 s10, exec_lo
	s_waitcnt vmcnt(0)
	v_cmpx_lt_i16_e32 0x7f, v1
	s_xor_b32 s10, exec_lo, s10
	s_cbranch_execz .LBB86_1187
; %bb.1184:
	s_mov_b32 s9, -1
	s_mov_b32 s11, exec_lo
	v_cmpx_eq_u16_e32 0x80, v1
; %bb.1185:
	s_xor_b32 s9, exec_lo, -1
; %bb.1186:
	s_or_b32 exec_lo, exec_lo, s11
	s_and_b32 s9, s9, exec_lo
.LBB86_1187:
	s_or_saveexec_b32 s10, s10
	v_bfrev_b32_e32 v2, 4
	v_mov_b32_e32 v3, 0x7ff80000
	s_xor_b32 exec_lo, exec_lo, s10
; %bb.1188:
	v_cmp_ne_u16_e32 vcc_lo, 0, v1
	v_mov_b32_e32 v2, 0
	v_mov_b32_e32 v3, 0
	s_andn2_b32 s9, s9, exec_lo
	s_and_b32 s11, vcc_lo, exec_lo
	s_or_b32 s9, s9, s11
; %bb.1189:
	s_or_b32 exec_lo, exec_lo, s10
	s_and_saveexec_b32 s10, s9
	s_cbranch_execz .LBB86_1191
; %bb.1190:
	v_and_b32_e32 v2, 0xffff, v1
	v_lshlrev_b32_e32 v1, 24, v1
	v_and_b32_e32 v3, 7, v2
	v_bfe_u32 v10, v2, 3, 4
	v_and_b32_e32 v1, 0x80000000, v1
	v_ffbh_u32_e32 v5, v3
	v_cmp_eq_u32_e32 vcc_lo, 0, v10
	v_min_u32_e32 v5, 32, v5
	v_subrev_nc_u32_e32 v9, 28, v5
	v_sub_nc_u32_e32 v5, 29, v5
	v_lshlrev_b32_e32 v2, v9, v2
	v_cndmask_b32_e32 v5, v10, v5, vcc_lo
	v_and_b32_e32 v2, 7, v2
	v_cndmask_b32_e32 v2, v3, v2, vcc_lo
	v_lshl_add_u32 v3, v5, 23, 0x3b800000
	v_lshlrev_b32_e32 v2, 20, v2
	v_or3_b32 v1, v1, v3, v2
	v_cvt_f64_f32_e32 v[2:3], v1
.LBB86_1191:
	s_or_b32 exec_lo, exec_lo, s10
.LBB86_1192:
	s_mov_b32 s9, -1
.LBB86_1193:
	s_branch .LBB86_1223
.LBB86_1194:
	s_cmp_gt_i32 s6, 22
	s_cbranch_scc0 .LBB86_1206
; %bb.1195:
	s_cmp_lt_i32 s6, 24
	s_cbranch_scc1 .LBB86_1207
; %bb.1196:
	s_cmp_gt_i32 s6, 24
	s_cbranch_scc0 .LBB86_1208
; %bb.1197:
	global_load_ubyte v1, v[7:8], off
	s_mov_b32 s9, exec_lo
	s_waitcnt vmcnt(0)
	v_cmpx_lt_i16_e32 0x7f, v1
	s_xor_b32 s9, exec_lo, s9
	s_cbranch_execz .LBB86_1201
; %bb.1198:
	s_mov_b32 s8, -1
	s_mov_b32 s10, exec_lo
	v_cmpx_eq_u16_e32 0x80, v1
; %bb.1199:
	s_xor_b32 s8, exec_lo, -1
; %bb.1200:
	s_or_b32 exec_lo, exec_lo, s10
	s_and_b32 s8, s8, exec_lo
.LBB86_1201:
	s_or_saveexec_b32 s9, s9
	v_bfrev_b32_e32 v2, 4
	v_mov_b32_e32 v3, 0x7ff80000
	s_xor_b32 exec_lo, exec_lo, s9
; %bb.1202:
	v_cmp_ne_u16_e32 vcc_lo, 0, v1
	v_mov_b32_e32 v2, 0
	v_mov_b32_e32 v3, 0
	s_andn2_b32 s8, s8, exec_lo
	s_and_b32 s10, vcc_lo, exec_lo
	s_or_b32 s8, s8, s10
; %bb.1203:
	s_or_b32 exec_lo, exec_lo, s9
	s_and_saveexec_b32 s9, s8
	s_cbranch_execz .LBB86_1205
; %bb.1204:
	v_and_b32_e32 v2, 0xffff, v1
	v_lshlrev_b32_e32 v1, 24, v1
	v_and_b32_e32 v3, 3, v2
	v_bfe_u32 v10, v2, 2, 5
	v_and_b32_e32 v1, 0x80000000, v1
	v_ffbh_u32_e32 v5, v3
	v_cmp_eq_u32_e32 vcc_lo, 0, v10
	v_min_u32_e32 v5, 32, v5
	v_subrev_nc_u32_e32 v9, 29, v5
	v_sub_nc_u32_e32 v5, 30, v5
	v_lshlrev_b32_e32 v2, v9, v2
	v_cndmask_b32_e32 v5, v10, v5, vcc_lo
	v_and_b32_e32 v2, 3, v2
	v_cndmask_b32_e32 v2, v3, v2, vcc_lo
	v_lshl_add_u32 v3, v5, 23, 0x37800000
	v_lshlrev_b32_e32 v2, 21, v2
	v_or3_b32 v1, v1, v3, v2
	v_cvt_f64_f32_e32 v[2:3], v1
.LBB86_1205:
	s_or_b32 exec_lo, exec_lo, s9
	s_mov_b32 s8, 0
	s_branch .LBB86_1209
.LBB86_1206:
                                        ; implicit-def: $vgpr2_vgpr3
	s_mov_b32 s8, 0
	s_branch .LBB86_1215
.LBB86_1207:
	s_mov_b32 s8, -1
                                        ; implicit-def: $vgpr2_vgpr3
	s_branch .LBB86_1212
.LBB86_1208:
	s_mov_b32 s8, -1
                                        ; implicit-def: $vgpr2_vgpr3
.LBB86_1209:
	s_and_b32 vcc_lo, exec_lo, s8
	s_cbranch_vccz .LBB86_1211
; %bb.1210:
	global_load_ubyte v1, v[7:8], off
	s_waitcnt vmcnt(0)
	v_lshlrev_b32_e32 v1, 24, v1
	v_and_b32_e32 v2, 0x7f000000, v1
	v_ffbh_u32_e32 v3, v2
	v_add_nc_u32_e32 v9, 0x1000000, v2
	v_cmp_ne_u32_e32 vcc_lo, 0, v2
	v_min_u32_e32 v3, 32, v3
	v_sub_nc_u32_e64 v3, v3, 4 clamp
	v_lshlrev_b32_e32 v5, v3, v2
	v_lshlrev_b32_e32 v3, 23, v3
	v_lshrrev_b32_e32 v5, 4, v5
	v_sub_nc_u32_e32 v3, v5, v3
	v_ashrrev_i32_e32 v5, 8, v9
	v_add_nc_u32_e32 v3, 0x3c000000, v3
	v_and_or_b32 v3, 0x7f800000, v5, v3
	v_cndmask_b32_e32 v2, 0, v3, vcc_lo
	v_and_or_b32 v1, 0x80000000, v1, v2
	v_cvt_f64_f32_e32 v[2:3], v1
.LBB86_1211:
	s_mov_b32 s8, 0
.LBB86_1212:
	s_andn2_b32 vcc_lo, exec_lo, s8
	s_cbranch_vccnz .LBB86_1214
; %bb.1213:
	global_load_ubyte v1, v[7:8], off
	s_waitcnt vmcnt(0)
	v_lshlrev_b32_e32 v2, 25, v1
	v_lshlrev_b16 v1, 8, v1
	v_lshrrev_b32_e32 v3, 4, v2
	v_and_or_b32 v5, 0x7f00, v1, 0.5
	v_cmp_gt_u32_e32 vcc_lo, 0x8000000, v2
	v_bfe_i32 v1, v1, 0, 16
	v_or_b32_e32 v3, 0x70000000, v3
	v_add_f32_e32 v5, -0.5, v5
	v_mul_f32_e32 v3, 0x7800000, v3
	v_cndmask_b32_e32 v2, v3, v5, vcc_lo
	v_and_or_b32 v1, 0x80000000, v1, v2
	v_cvt_f64_f32_e32 v[2:3], v1
.LBB86_1214:
	s_mov_b32 s9, -1
	s_mov_b32 s8, 0
	s_cbranch_execnz .LBB86_1223
.LBB86_1215:
	s_cmp_gt_i32 s6, 14
	s_cbranch_scc0 .LBB86_1218
; %bb.1216:
	s_cmp_eq_u32 s6, 15
	s_cbranch_scc0 .LBB86_1219
; %bb.1217:
	global_load_ushort v1, v[7:8], off
	s_mov_b32 s7, 0
	s_mov_b32 s9, -1
	s_waitcnt vmcnt(0)
	v_lshlrev_b32_e32 v1, 16, v1
	v_cvt_f64_f32_e32 v[2:3], v1
	s_branch .LBB86_1221
.LBB86_1218:
	s_mov_b32 s8, -1
	s_branch .LBB86_1220
.LBB86_1219:
	s_mov_b32 s7, -1
.LBB86_1220:
                                        ; implicit-def: $vgpr2_vgpr3
.LBB86_1221:
	s_and_b32 vcc_lo, exec_lo, s8
	s_mov_b32 s8, 0
	s_cbranch_vccz .LBB86_1223
; %bb.1222:
	s_cmp_lg_u32 s6, 11
	s_mov_b32 s8, -1
	s_cselect_b32 s7, -1, 0
.LBB86_1223:
	s_and_b32 vcc_lo, exec_lo, s7
	s_mov_b32 s33, s64
	s_cbranch_vccnz .LBB86_1284
; %bb.1224:
	s_andn2_b32 vcc_lo, exec_lo, s8
	s_cbranch_vccnz .LBB86_1226
.LBB86_1225:
	global_load_ubyte v1, v[7:8], off
	v_mov_b32_e32 v2, 0
	s_mov_b32 s9, -1
	s_waitcnt vmcnt(0)
	v_cmp_ne_u16_e32 vcc_lo, 0, v1
	v_cndmask_b32_e64 v3, 0, 0x3ff00000, vcc_lo
.LBB86_1226:
	s_branch .LBB86_1155
.LBB86_1227:
	s_and_b32 s5, 0xffff, s5
	s_cmp_lt_i32 s5, 5
	s_cbranch_scc1 .LBB86_1232
; %bb.1228:
	s_cmp_lt_i32 s5, 8
	s_cbranch_scc1 .LBB86_1233
; %bb.1229:
	;; [unrolled: 3-line block ×3, first 2 shown]
	s_cmp_gt_i32 s5, 9
	s_cbranch_scc0 .LBB86_1235
; %bb.1231:
	global_load_dwordx2 v[2:3], v[7:8], off
	s_mov_b32 s6, 0
	s_branch .LBB86_1236
.LBB86_1232:
                                        ; implicit-def: $vgpr2_vgpr3
	s_branch .LBB86_1253
.LBB86_1233:
                                        ; implicit-def: $vgpr2_vgpr3
	s_branch .LBB86_1242
.LBB86_1234:
	s_mov_b32 s6, -1
                                        ; implicit-def: $vgpr2_vgpr3
	s_branch .LBB86_1239
.LBB86_1235:
	s_mov_b32 s6, -1
                                        ; implicit-def: $vgpr2_vgpr3
.LBB86_1236:
	s_andn2_b32 vcc_lo, exec_lo, s6
	s_cbranch_vccnz .LBB86_1238
; %bb.1237:
	global_load_dword v1, v[7:8], off
	s_waitcnt vmcnt(0)
	v_cvt_f64_f32_e32 v[2:3], v1
.LBB86_1238:
	s_mov_b32 s6, 0
.LBB86_1239:
	s_andn2_b32 vcc_lo, exec_lo, s6
	s_cbranch_vccnz .LBB86_1241
; %bb.1240:
	global_load_dword v1, v[7:8], off
	s_waitcnt vmcnt(0)
	v_cvt_f32_f16_e32 v1, v1
	v_cvt_f64_f32_e32 v[2:3], v1
.LBB86_1241:
	s_cbranch_execnz .LBB86_1252
.LBB86_1242:
	s_cmp_lt_i32 s5, 6
	s_cbranch_scc1 .LBB86_1245
; %bb.1243:
	s_cmp_gt_i32 s5, 6
	s_cbranch_scc0 .LBB86_1246
; %bb.1244:
	global_load_dwordx2 v[2:3], v[7:8], off
	s_mov_b32 s6, 0
	s_branch .LBB86_1247
.LBB86_1245:
	s_mov_b32 s6, -1
                                        ; implicit-def: $vgpr2_vgpr3
	s_branch .LBB86_1250
.LBB86_1246:
	s_mov_b32 s6, -1
                                        ; implicit-def: $vgpr2_vgpr3
.LBB86_1247:
	s_andn2_b32 vcc_lo, exec_lo, s6
	s_cbranch_vccnz .LBB86_1249
; %bb.1248:
	global_load_dword v1, v[7:8], off
	s_waitcnt vmcnt(0)
	v_cvt_f64_f32_e32 v[2:3], v1
.LBB86_1249:
	s_mov_b32 s6, 0
.LBB86_1250:
	s_andn2_b32 vcc_lo, exec_lo, s6
	s_cbranch_vccnz .LBB86_1252
; %bb.1251:
	global_load_ushort v1, v[7:8], off
	s_waitcnt vmcnt(0)
	v_cvt_f32_f16_e32 v1, v1
	v_cvt_f64_f32_e32 v[2:3], v1
.LBB86_1252:
	s_cbranch_execnz .LBB86_1271
.LBB86_1253:
	s_cmp_lt_i32 s5, 2
	s_cbranch_scc1 .LBB86_1257
; %bb.1254:
	s_cmp_lt_i32 s5, 3
	s_cbranch_scc1 .LBB86_1258
; %bb.1255:
	s_cmp_gt_i32 s5, 3
	s_cbranch_scc0 .LBB86_1259
; %bb.1256:
	global_load_dwordx2 v[1:2], v[7:8], off
	s_mov_b32 s6, 0
	s_waitcnt vmcnt(0)
	v_cvt_f64_i32_e32 v[2:3], v2
	v_cvt_f64_u32_e32 v[9:10], v1
	v_ldexp_f64 v[2:3], v[2:3], 32
	v_add_f64 v[2:3], v[2:3], v[9:10]
	s_branch .LBB86_1260
.LBB86_1257:
                                        ; implicit-def: $vgpr2_vgpr3
	s_branch .LBB86_1266
.LBB86_1258:
	s_mov_b32 s6, -1
                                        ; implicit-def: $vgpr2_vgpr3
	s_branch .LBB86_1263
.LBB86_1259:
	s_mov_b32 s6, -1
                                        ; implicit-def: $vgpr2_vgpr3
.LBB86_1260:
	s_andn2_b32 vcc_lo, exec_lo, s6
	s_cbranch_vccnz .LBB86_1262
; %bb.1261:
	global_load_dword v1, v[7:8], off
	s_waitcnt vmcnt(0)
	v_cvt_f64_i32_e32 v[2:3], v1
.LBB86_1262:
	s_mov_b32 s6, 0
.LBB86_1263:
	s_andn2_b32 vcc_lo, exec_lo, s6
	s_cbranch_vccnz .LBB86_1265
; %bb.1264:
	global_load_sshort v1, v[7:8], off
	s_waitcnt vmcnt(0)
	v_cvt_f64_i32_e32 v[2:3], v1
.LBB86_1265:
	s_cbranch_execnz .LBB86_1271
.LBB86_1266:
	s_cmp_gt_i32 s5, 0
	s_mov_b32 s5, 0
	s_cbranch_scc0 .LBB86_1268
; %bb.1267:
	global_load_sbyte v1, v[7:8], off
	s_waitcnt vmcnt(0)
	v_cvt_f64_i32_e32 v[2:3], v1
	s_branch .LBB86_1269
.LBB86_1268:
	s_mov_b32 s5, -1
                                        ; implicit-def: $vgpr2_vgpr3
.LBB86_1269:
	s_andn2_b32 vcc_lo, exec_lo, s5
	s_cbranch_vccnz .LBB86_1271
; %bb.1270:
	global_load_ubyte v1, v[7:8], off
	s_waitcnt vmcnt(0)
	v_cvt_f64_u32_e32 v[2:3], v1
.LBB86_1271:
.LBB86_1272:
	v_add_co_u32 v5, s5, s54, v6
	s_lshr_b32 s4, s4, 8
	v_add_co_ci_u32_e64 v6, null, s55, 0, s5
	s_and_b32 s4, s4, 0xff
	s_cmp_lt_i32 s4, 11
	s_cbranch_scc1 .LBB86_1279
; %bb.1273:
	s_and_b32 s5, 0xffff, s4
	s_mov_b32 s7, 0
	s_cmp_gt_i32 s5, 25
	s_cbranch_scc0 .LBB86_1281
; %bb.1274:
	s_cmp_gt_i32 s5, 28
	s_cbranch_scc0 .LBB86_1282
; %bb.1275:
	;; [unrolled: 3-line block ×4, first 2 shown]
	s_cmp_eq_u32 s5, 46
	s_mov_b32 s9, 0
	s_cbranch_scc0 .LBB86_1288
; %bb.1278:
	global_load_dword v1, v[5:6], off
	s_mov_b32 s6, 0
	s_mov_b32 s8, -1
	s_waitcnt vmcnt(0)
	v_lshlrev_b32_e32 v1, 16, v1
	v_cvt_f64_f32_e32 v[45:46], v1
	s_branch .LBB86_1290
.LBB86_1279:
	s_mov_b32 s8, 0
                                        ; implicit-def: $vgpr45_vgpr46
	s_cbranch_execnz .LBB86_1355
.LBB86_1280:
	s_andn2_b32 vcc_lo, exec_lo, s8
	s_cbranch_vccnz .LBB86_2096
	s_branch .LBB86_1402
.LBB86_1281:
	s_mov_b32 s8, 0
	s_mov_b32 s6, 0
                                        ; implicit-def: $vgpr45_vgpr46
	s_cbranch_execnz .LBB86_1321
	s_branch .LBB86_1351
.LBB86_1282:
	s_mov_b32 s9, -1
	s_mov_b32 s8, 0
	s_mov_b32 s6, 0
                                        ; implicit-def: $vgpr45_vgpr46
	s_branch .LBB86_1300
.LBB86_1283:
	s_mov_b32 s9, -1
	s_mov_b32 s8, 0
	s_mov_b32 s6, 0
                                        ; implicit-def: $vgpr45_vgpr46
	s_branch .LBB86_1295
.LBB86_1284:
	s_or_b32 s33, s64, exec_lo
	s_trap 2
	s_cbranch_execz .LBB86_1225
	s_branch .LBB86_1226
.LBB86_1285:
	s_mov_b32 s9, -1
	s_mov_b32 s8, 0
	s_mov_b32 s6, 0
	s_branch .LBB86_1289
.LBB86_1286:
	s_andn2_saveexec_b32 s10, s10
	s_cbranch_execz .LBB86_1015
.LBB86_1287:
	v_add_f32_e64 v3, 0x42800000, |v2|
	s_andn2_b32 s9, s9, exec_lo
	v_and_b32_e32 v3, 0xff, v3
	v_cmp_ne_u32_e32 vcc_lo, 0, v3
	s_and_b32 s11, vcc_lo, exec_lo
	s_or_b32 s9, s9, s11
	s_or_b32 exec_lo, exec_lo, s10
	v_mov_b32_e32 v6, 0
	s_and_saveexec_b32 s10, s9
	s_cbranch_execnz .LBB86_1016
	s_branch .LBB86_1017
.LBB86_1288:
	s_mov_b32 s6, -1
	s_mov_b32 s8, 0
.LBB86_1289:
                                        ; implicit-def: $vgpr45_vgpr46
.LBB86_1290:
	s_and_b32 vcc_lo, exec_lo, s9
	s_cbranch_vccz .LBB86_1294
; %bb.1291:
	s_cmp_eq_u32 s5, 44
	s_cbranch_scc0 .LBB86_1293
; %bb.1292:
	global_load_ubyte v1, v[5:6], off
	s_mov_b32 s6, 0
	s_mov_b32 s8, -1
	s_waitcnt vmcnt(0)
	v_lshlrev_b32_e32 v7, 23, v1
	v_cmp_ne_u32_e32 vcc_lo, 0xff, v1
	v_cvt_f64_f32_e32 v[7:8], v7
	v_cndmask_b32_e32 v7, 0x20000000, v7, vcc_lo
	v_cndmask_b32_e32 v8, 0x7ff80000, v8, vcc_lo
	v_cmp_ne_u32_e32 vcc_lo, 0, v1
	v_cndmask_b32_e32 v46, 0x38000000, v8, vcc_lo
	v_cndmask_b32_e32 v45, 0, v7, vcc_lo
	s_branch .LBB86_1294
.LBB86_1293:
	s_mov_b32 s6, -1
                                        ; implicit-def: $vgpr45_vgpr46
.LBB86_1294:
	s_mov_b32 s9, 0
.LBB86_1295:
	s_and_b32 vcc_lo, exec_lo, s9
	s_cbranch_vccz .LBB86_1299
; %bb.1296:
	s_cmp_eq_u32 s5, 29
	s_cbranch_scc0 .LBB86_1298
; %bb.1297:
	global_load_dwordx2 v[7:8], v[5:6], off
	s_mov_b32 s6, 0
	s_mov_b32 s8, -1
	s_mov_b32 s9, 0
	s_waitcnt vmcnt(0)
	v_cvt_f64_u32_e32 v[8:9], v8
	v_cvt_f64_u32_e32 v[10:11], v7
	v_ldexp_f64 v[8:9], v[8:9], 32
	v_add_f64 v[45:46], v[8:9], v[10:11]
	s_branch .LBB86_1300
.LBB86_1298:
	s_mov_b32 s6, -1
                                        ; implicit-def: $vgpr45_vgpr46
.LBB86_1299:
	s_mov_b32 s9, 0
.LBB86_1300:
	s_and_b32 vcc_lo, exec_lo, s9
	s_cbranch_vccz .LBB86_1320
; %bb.1301:
	s_cmp_lt_i32 s5, 27
	s_cbranch_scc1 .LBB86_1304
; %bb.1302:
	s_cmp_gt_i32 s5, 27
	s_cbranch_scc0 .LBB86_1305
; %bb.1303:
	global_load_dword v1, v[5:6], off
	s_mov_b32 s8, 0
	s_waitcnt vmcnt(0)
	v_cvt_f64_u32_e32 v[45:46], v1
	s_branch .LBB86_1306
.LBB86_1304:
	s_mov_b32 s8, -1
                                        ; implicit-def: $vgpr45_vgpr46
	s_branch .LBB86_1309
.LBB86_1305:
	s_mov_b32 s8, -1
                                        ; implicit-def: $vgpr45_vgpr46
.LBB86_1306:
	s_andn2_b32 vcc_lo, exec_lo, s8
	s_cbranch_vccnz .LBB86_1308
; %bb.1307:
	global_load_ushort v1, v[5:6], off
	s_waitcnt vmcnt(0)
	v_cvt_f64_u32_e32 v[45:46], v1
.LBB86_1308:
	s_mov_b32 s8, 0
.LBB86_1309:
	s_andn2_b32 vcc_lo, exec_lo, s8
	s_cbranch_vccnz .LBB86_1319
; %bb.1310:
	global_load_ubyte v1, v[5:6], off
	s_mov_b32 s8, 0
	s_mov_b32 s9, exec_lo
	s_waitcnt vmcnt(0)
	v_cmpx_lt_i16_e32 0x7f, v1
	s_xor_b32 s9, exec_lo, s9
	s_cbranch_execz .LBB86_1314
; %bb.1311:
	s_mov_b32 s8, -1
	s_mov_b32 s10, exec_lo
	v_cmpx_eq_u16_e32 0x80, v1
; %bb.1312:
	s_xor_b32 s8, exec_lo, -1
; %bb.1313:
	s_or_b32 exec_lo, exec_lo, s10
	s_and_b32 s8, s8, exec_lo
.LBB86_1314:
	s_or_saveexec_b32 s9, s9
	v_bfrev_b32_e32 v45, 4
	v_mov_b32_e32 v46, 0x7ff80000
	s_xor_b32 exec_lo, exec_lo, s9
; %bb.1315:
	v_cmp_ne_u16_e32 vcc_lo, 0, v1
	v_mov_b32_e32 v45, 0
	v_mov_b32_e32 v46, 0
	s_andn2_b32 s8, s8, exec_lo
	s_and_b32 s10, vcc_lo, exec_lo
	s_or_b32 s8, s8, s10
; %bb.1316:
	s_or_b32 exec_lo, exec_lo, s9
	s_and_saveexec_b32 s9, s8
	s_cbranch_execz .LBB86_1318
; %bb.1317:
	v_and_b32_e32 v7, 0xffff, v1
	v_lshlrev_b32_e32 v1, 24, v1
	v_and_b32_e32 v8, 7, v7
	v_bfe_u32 v11, v7, 3, 4
	v_and_b32_e32 v1, 0x80000000, v1
	v_ffbh_u32_e32 v9, v8
	v_cmp_eq_u32_e32 vcc_lo, 0, v11
	v_min_u32_e32 v9, 32, v9
	v_subrev_nc_u32_e32 v10, 28, v9
	v_sub_nc_u32_e32 v9, 29, v9
	v_lshlrev_b32_e32 v7, v10, v7
	v_cndmask_b32_e32 v9, v11, v9, vcc_lo
	v_and_b32_e32 v7, 7, v7
	v_cndmask_b32_e32 v7, v8, v7, vcc_lo
	v_lshl_add_u32 v8, v9, 23, 0x3b800000
	v_lshlrev_b32_e32 v7, 20, v7
	v_or3_b32 v1, v1, v8, v7
	v_cvt_f64_f32_e32 v[45:46], v1
.LBB86_1318:
	s_or_b32 exec_lo, exec_lo, s9
.LBB86_1319:
	s_mov_b32 s8, -1
.LBB86_1320:
	s_branch .LBB86_1351
.LBB86_1321:
	s_cmp_gt_i32 s5, 22
	s_cbranch_scc0 .LBB86_1333
; %bb.1322:
	s_cmp_lt_i32 s5, 24
	s_cbranch_scc1 .LBB86_1334
; %bb.1323:
	s_cmp_gt_i32 s5, 24
	s_cbranch_scc0 .LBB86_1335
; %bb.1324:
	global_load_ubyte v1, v[5:6], off
	s_mov_b32 s8, exec_lo
	s_waitcnt vmcnt(0)
	v_cmpx_lt_i16_e32 0x7f, v1
	s_xor_b32 s8, exec_lo, s8
	s_cbranch_execz .LBB86_1328
; %bb.1325:
	s_mov_b32 s7, -1
	s_mov_b32 s9, exec_lo
	v_cmpx_eq_u16_e32 0x80, v1
; %bb.1326:
	s_xor_b32 s7, exec_lo, -1
; %bb.1327:
	s_or_b32 exec_lo, exec_lo, s9
	s_and_b32 s7, s7, exec_lo
.LBB86_1328:
	s_or_saveexec_b32 s8, s8
	v_bfrev_b32_e32 v45, 4
	v_mov_b32_e32 v46, 0x7ff80000
	s_xor_b32 exec_lo, exec_lo, s8
; %bb.1329:
	v_cmp_ne_u16_e32 vcc_lo, 0, v1
	v_mov_b32_e32 v45, 0
	v_mov_b32_e32 v46, 0
	s_andn2_b32 s7, s7, exec_lo
	s_and_b32 s9, vcc_lo, exec_lo
	s_or_b32 s7, s7, s9
; %bb.1330:
	s_or_b32 exec_lo, exec_lo, s8
	s_and_saveexec_b32 s8, s7
	s_cbranch_execz .LBB86_1332
; %bb.1331:
	v_and_b32_e32 v7, 0xffff, v1
	v_lshlrev_b32_e32 v1, 24, v1
	v_and_b32_e32 v8, 3, v7
	v_bfe_u32 v11, v7, 2, 5
	v_and_b32_e32 v1, 0x80000000, v1
	v_ffbh_u32_e32 v9, v8
	v_cmp_eq_u32_e32 vcc_lo, 0, v11
	v_min_u32_e32 v9, 32, v9
	v_subrev_nc_u32_e32 v10, 29, v9
	v_sub_nc_u32_e32 v9, 30, v9
	v_lshlrev_b32_e32 v7, v10, v7
	v_cndmask_b32_e32 v9, v11, v9, vcc_lo
	v_and_b32_e32 v7, 3, v7
	v_cndmask_b32_e32 v7, v8, v7, vcc_lo
	v_lshl_add_u32 v8, v9, 23, 0x37800000
	v_lshlrev_b32_e32 v7, 21, v7
	v_or3_b32 v1, v1, v8, v7
	v_cvt_f64_f32_e32 v[45:46], v1
.LBB86_1332:
	s_or_b32 exec_lo, exec_lo, s8
	s_mov_b32 s7, 0
	s_branch .LBB86_1336
.LBB86_1333:
	s_mov_b32 s7, -1
                                        ; implicit-def: $vgpr45_vgpr46
	s_branch .LBB86_1342
.LBB86_1334:
	s_mov_b32 s7, -1
                                        ; implicit-def: $vgpr45_vgpr46
	s_branch .LBB86_1339
.LBB86_1335:
	s_mov_b32 s7, -1
                                        ; implicit-def: $vgpr45_vgpr46
.LBB86_1336:
	s_and_b32 vcc_lo, exec_lo, s7
	s_cbranch_vccz .LBB86_1338
; %bb.1337:
	global_load_ubyte v1, v[5:6], off
	s_waitcnt vmcnt(0)
	v_lshlrev_b32_e32 v1, 24, v1
	v_and_b32_e32 v7, 0x7f000000, v1
	v_ffbh_u32_e32 v8, v7
	v_add_nc_u32_e32 v10, 0x1000000, v7
	v_cmp_ne_u32_e32 vcc_lo, 0, v7
	v_min_u32_e32 v8, 32, v8
	v_sub_nc_u32_e64 v8, v8, 4 clamp
	v_lshlrev_b32_e32 v9, v8, v7
	v_lshlrev_b32_e32 v8, 23, v8
	v_lshrrev_b32_e32 v9, 4, v9
	v_sub_nc_u32_e32 v8, v9, v8
	v_ashrrev_i32_e32 v9, 8, v10
	v_add_nc_u32_e32 v8, 0x3c000000, v8
	v_and_or_b32 v8, 0x7f800000, v9, v8
	v_cndmask_b32_e32 v7, 0, v8, vcc_lo
	v_and_or_b32 v1, 0x80000000, v1, v7
	v_cvt_f64_f32_e32 v[45:46], v1
.LBB86_1338:
	s_mov_b32 s7, 0
.LBB86_1339:
	s_andn2_b32 vcc_lo, exec_lo, s7
	s_cbranch_vccnz .LBB86_1341
; %bb.1340:
	global_load_ubyte v1, v[5:6], off
	s_waitcnt vmcnt(0)
	v_lshlrev_b32_e32 v7, 25, v1
	v_lshlrev_b16 v1, 8, v1
	v_lshrrev_b32_e32 v8, 4, v7
	v_and_or_b32 v9, 0x7f00, v1, 0.5
	v_cmp_gt_u32_e32 vcc_lo, 0x8000000, v7
	v_bfe_i32 v1, v1, 0, 16
	v_or_b32_e32 v8, 0x70000000, v8
	v_add_f32_e32 v9, -0.5, v9
	v_mul_f32_e32 v8, 0x7800000, v8
	v_cndmask_b32_e32 v7, v8, v9, vcc_lo
	v_and_or_b32 v1, 0x80000000, v1, v7
	v_cvt_f64_f32_e32 v[45:46], v1
.LBB86_1341:
	s_mov_b32 s7, 0
	s_mov_b32 s8, -1
.LBB86_1342:
	s_andn2_b32 vcc_lo, exec_lo, s7
	s_mov_b32 s7, 0
	s_cbranch_vccnz .LBB86_1351
; %bb.1343:
	s_cmp_gt_i32 s5, 14
	s_cbranch_scc0 .LBB86_1346
; %bb.1344:
	s_cmp_eq_u32 s5, 15
	s_cbranch_scc0 .LBB86_1347
; %bb.1345:
	global_load_ushort v1, v[5:6], off
	s_mov_b32 s6, 0
	s_mov_b32 s8, -1
	s_waitcnt vmcnt(0)
	v_lshlrev_b32_e32 v1, 16, v1
	v_cvt_f64_f32_e32 v[45:46], v1
	s_branch .LBB86_1349
.LBB86_1346:
	s_mov_b32 s7, -1
	s_branch .LBB86_1348
.LBB86_1347:
	s_mov_b32 s6, -1
.LBB86_1348:
                                        ; implicit-def: $vgpr45_vgpr46
.LBB86_1349:
	s_and_b32 vcc_lo, exec_lo, s7
	s_mov_b32 s7, 0
	s_cbranch_vccz .LBB86_1351
; %bb.1350:
	s_cmp_lg_u32 s5, 11
	s_mov_b32 s7, -1
	s_cselect_b32 s6, -1, 0
.LBB86_1351:
	s_and_b32 vcc_lo, exec_lo, s6
	s_cbranch_vccnz .LBB86_1414
; %bb.1352:
	s_andn2_b32 vcc_lo, exec_lo, s7
	s_cbranch_vccnz .LBB86_1354
.LBB86_1353:
	global_load_ubyte v1, v[5:6], off
	v_mov_b32_e32 v45, 0
	s_mov_b32 s8, -1
	s_waitcnt vmcnt(0)
	v_cmp_ne_u16_e32 vcc_lo, 0, v1
	v_cndmask_b32_e64 v46, 0, 0x3ff00000, vcc_lo
.LBB86_1354:
	s_branch .LBB86_1280
.LBB86_1355:
	s_and_b32 s5, 0xffff, s4
	s_cmp_lt_i32 s5, 5
	s_cbranch_scc1 .LBB86_1360
; %bb.1356:
	s_cmp_lt_i32 s5, 8
	s_cbranch_scc1 .LBB86_1361
; %bb.1357:
	;; [unrolled: 3-line block ×3, first 2 shown]
	s_cmp_gt_i32 s5, 9
	s_cbranch_scc0 .LBB86_1363
; %bb.1359:
	global_load_dwordx2 v[45:46], v[5:6], off
	s_mov_b32 s6, 0
	s_branch .LBB86_1364
.LBB86_1360:
                                        ; implicit-def: $vgpr45_vgpr46
	s_branch .LBB86_1382
.LBB86_1361:
	s_mov_b32 s6, -1
                                        ; implicit-def: $vgpr45_vgpr46
	s_branch .LBB86_1370
.LBB86_1362:
	s_mov_b32 s6, -1
                                        ; implicit-def: $vgpr45_vgpr46
	s_branch .LBB86_1367
.LBB86_1363:
	s_mov_b32 s6, -1
                                        ; implicit-def: $vgpr45_vgpr46
.LBB86_1364:
	s_andn2_b32 vcc_lo, exec_lo, s6
	s_cbranch_vccnz .LBB86_1366
; %bb.1365:
	global_load_dword v1, v[5:6], off
	s_waitcnt vmcnt(0)
	v_cvt_f64_f32_e32 v[45:46], v1
.LBB86_1366:
	s_mov_b32 s6, 0
.LBB86_1367:
	s_andn2_b32 vcc_lo, exec_lo, s6
	s_cbranch_vccnz .LBB86_1369
; %bb.1368:
	global_load_dword v1, v[5:6], off
	s_waitcnt vmcnt(0)
	v_cvt_f32_f16_e32 v1, v1
	v_cvt_f64_f32_e32 v[45:46], v1
.LBB86_1369:
	s_mov_b32 s6, 0
.LBB86_1370:
	s_andn2_b32 vcc_lo, exec_lo, s6
	s_cbranch_vccnz .LBB86_1381
; %bb.1371:
	s_cmp_lt_i32 s5, 6
	s_cbranch_scc1 .LBB86_1374
; %bb.1372:
	s_cmp_gt_i32 s5, 6
	s_cbranch_scc0 .LBB86_1375
; %bb.1373:
	global_load_dwordx2 v[45:46], v[5:6], off
	s_mov_b32 s6, 0
	s_branch .LBB86_1376
.LBB86_1374:
	s_mov_b32 s6, -1
                                        ; implicit-def: $vgpr45_vgpr46
	s_branch .LBB86_1379
.LBB86_1375:
	s_mov_b32 s6, -1
                                        ; implicit-def: $vgpr45_vgpr46
.LBB86_1376:
	s_andn2_b32 vcc_lo, exec_lo, s6
	s_cbranch_vccnz .LBB86_1378
; %bb.1377:
	global_load_dword v1, v[5:6], off
	s_waitcnt vmcnt(0)
	v_cvt_f64_f32_e32 v[45:46], v1
.LBB86_1378:
	s_mov_b32 s6, 0
.LBB86_1379:
	s_andn2_b32 vcc_lo, exec_lo, s6
	s_cbranch_vccnz .LBB86_1381
; %bb.1380:
	global_load_ushort v1, v[5:6], off
	s_waitcnt vmcnt(0)
	v_cvt_f32_f16_e32 v1, v1
	v_cvt_f64_f32_e32 v[45:46], v1
.LBB86_1381:
	s_cbranch_execnz .LBB86_1401
.LBB86_1382:
	s_cmp_lt_i32 s5, 2
	s_cbranch_scc1 .LBB86_1386
; %bb.1383:
	s_cmp_lt_i32 s5, 3
	s_cbranch_scc1 .LBB86_1387
; %bb.1384:
	s_cmp_gt_i32 s5, 3
	s_cbranch_scc0 .LBB86_1388
; %bb.1385:
	global_load_dwordx2 v[7:8], v[5:6], off
	s_mov_b32 s6, 0
	s_waitcnt vmcnt(0)
	v_cvt_f64_i32_e32 v[8:9], v8
	v_cvt_f64_u32_e32 v[10:11], v7
	v_ldexp_f64 v[8:9], v[8:9], 32
	v_add_f64 v[45:46], v[8:9], v[10:11]
	s_branch .LBB86_1389
.LBB86_1386:
	s_mov_b32 s6, -1
                                        ; implicit-def: $vgpr45_vgpr46
	s_branch .LBB86_1395
.LBB86_1387:
	s_mov_b32 s6, -1
                                        ; implicit-def: $vgpr45_vgpr46
	s_branch .LBB86_1392
.LBB86_1388:
	s_mov_b32 s6, -1
                                        ; implicit-def: $vgpr45_vgpr46
.LBB86_1389:
	s_andn2_b32 vcc_lo, exec_lo, s6
	s_cbranch_vccnz .LBB86_1391
; %bb.1390:
	global_load_dword v1, v[5:6], off
	s_waitcnt vmcnt(0)
	v_cvt_f64_i32_e32 v[45:46], v1
.LBB86_1391:
	s_mov_b32 s6, 0
.LBB86_1392:
	s_andn2_b32 vcc_lo, exec_lo, s6
	s_cbranch_vccnz .LBB86_1394
; %bb.1393:
	global_load_sshort v1, v[5:6], off
	s_waitcnt vmcnt(0)
	v_cvt_f64_i32_e32 v[45:46], v1
.LBB86_1394:
	s_mov_b32 s6, 0
.LBB86_1395:
	s_andn2_b32 vcc_lo, exec_lo, s6
	s_cbranch_vccnz .LBB86_1401
; %bb.1396:
	s_cmp_gt_i32 s5, 0
	s_mov_b32 s5, 0
	s_cbranch_scc0 .LBB86_1398
; %bb.1397:
	global_load_sbyte v1, v[5:6], off
	s_waitcnt vmcnt(0)
	v_cvt_f64_i32_e32 v[45:46], v1
	s_branch .LBB86_1399
.LBB86_1398:
	s_mov_b32 s5, -1
                                        ; implicit-def: $vgpr45_vgpr46
.LBB86_1399:
	s_andn2_b32 vcc_lo, exec_lo, s5
	s_cbranch_vccnz .LBB86_1401
; %bb.1400:
	global_load_ubyte v1, v[5:6], off
	s_waitcnt vmcnt(0)
	v_cvt_f64_u32_e32 v[45:46], v1
.LBB86_1401:
.LBB86_1402:
	v_add_co_u32 v4, s5, s54, v4
	v_add_co_ci_u32_e64 v5, null, s55, 0, s5
	s_cmp_lt_i32 s4, 11
	s_cbranch_scc1 .LBB86_1409
; %bb.1403:
	s_and_b32 s5, 0xffff, s4
	s_mov_b32 s7, 0
	s_cmp_gt_i32 s5, 25
	s_cbranch_scc0 .LBB86_1411
; %bb.1404:
	s_cmp_gt_i32 s5, 28
	s_cbranch_scc0 .LBB86_1412
; %bb.1405:
	;; [unrolled: 3-line block ×4, first 2 shown]
	s_cmp_eq_u32 s5, 46
	s_mov_b32 s9, 0
	s_cbranch_scc0 .LBB86_1416
; %bb.1408:
	global_load_dword v1, v[4:5], off
	s_mov_b32 s6, 0
	s_mov_b32 s8, -1
	s_waitcnt vmcnt(0)
	v_lshlrev_b32_e32 v1, 16, v1
	v_cvt_f64_f32_e32 v[43:44], v1
	s_branch .LBB86_1418
.LBB86_1409:
	s_mov_b32 s8, 0
                                        ; implicit-def: $vgpr43_vgpr44
	s_cbranch_execnz .LBB86_1484
.LBB86_1410:
	s_andn2_b32 vcc_lo, exec_lo, s8
	s_cbranch_vccnz .LBB86_2096
	s_branch .LBB86_1532
.LBB86_1411:
	s_mov_b32 s9, -1
	s_mov_b32 s8, 0
	s_mov_b32 s6, 0
                                        ; implicit-def: $vgpr43_vgpr44
	s_branch .LBB86_1449
.LBB86_1412:
	s_mov_b32 s9, -1
	s_mov_b32 s8, 0
	s_mov_b32 s6, 0
                                        ; implicit-def: $vgpr43_vgpr44
	s_branch .LBB86_1428
.LBB86_1413:
	s_mov_b32 s9, -1
	s_mov_b32 s8, 0
	s_mov_b32 s6, 0
                                        ; implicit-def: $vgpr43_vgpr44
	s_branch .LBB86_1423
.LBB86_1414:
	s_or_b32 s33, s33, exec_lo
	s_trap 2
	s_cbranch_execz .LBB86_1353
	s_branch .LBB86_1354
.LBB86_1415:
	s_mov_b32 s9, -1
	s_mov_b32 s8, 0
	s_mov_b32 s6, 0
	s_branch .LBB86_1417
.LBB86_1416:
	s_mov_b32 s6, -1
	s_mov_b32 s8, 0
.LBB86_1417:
                                        ; implicit-def: $vgpr43_vgpr44
.LBB86_1418:
	s_and_b32 vcc_lo, exec_lo, s9
	s_cbranch_vccz .LBB86_1422
; %bb.1419:
	s_cmp_eq_u32 s5, 44
	s_cbranch_scc0 .LBB86_1421
; %bb.1420:
	global_load_ubyte v1, v[4:5], off
	s_mov_b32 s6, 0
	s_mov_b32 s8, -1
	s_waitcnt vmcnt(0)
	v_lshlrev_b32_e32 v6, 23, v1
	v_cmp_ne_u32_e32 vcc_lo, 0xff, v1
	v_cvt_f64_f32_e32 v[6:7], v6
	v_cndmask_b32_e32 v6, 0x20000000, v6, vcc_lo
	v_cndmask_b32_e32 v7, 0x7ff80000, v7, vcc_lo
	v_cmp_ne_u32_e32 vcc_lo, 0, v1
	v_cndmask_b32_e32 v44, 0x38000000, v7, vcc_lo
	v_cndmask_b32_e32 v43, 0, v6, vcc_lo
	s_branch .LBB86_1422
.LBB86_1421:
	s_mov_b32 s6, -1
                                        ; implicit-def: $vgpr43_vgpr44
.LBB86_1422:
	s_mov_b32 s9, 0
.LBB86_1423:
	s_and_b32 vcc_lo, exec_lo, s9
	s_cbranch_vccz .LBB86_1427
; %bb.1424:
	s_cmp_eq_u32 s5, 29
	s_cbranch_scc0 .LBB86_1426
; %bb.1425:
	global_load_dwordx2 v[6:7], v[4:5], off
	s_mov_b32 s6, 0
	s_mov_b32 s8, -1
	s_mov_b32 s9, 0
	s_waitcnt vmcnt(0)
	v_cvt_f64_u32_e32 v[7:8], v7
	v_cvt_f64_u32_e32 v[9:10], v6
	v_ldexp_f64 v[7:8], v[7:8], 32
	v_add_f64 v[43:44], v[7:8], v[9:10]
	s_branch .LBB86_1428
.LBB86_1426:
	s_mov_b32 s6, -1
                                        ; implicit-def: $vgpr43_vgpr44
.LBB86_1427:
	s_mov_b32 s9, 0
.LBB86_1428:
	s_and_b32 vcc_lo, exec_lo, s9
	s_cbranch_vccz .LBB86_1448
; %bb.1429:
	s_cmp_lt_i32 s5, 27
	s_cbranch_scc1 .LBB86_1432
; %bb.1430:
	s_cmp_gt_i32 s5, 27
	s_cbranch_scc0 .LBB86_1433
; %bb.1431:
	global_load_dword v1, v[4:5], off
	s_mov_b32 s8, 0
	s_waitcnt vmcnt(0)
	v_cvt_f64_u32_e32 v[43:44], v1
	s_branch .LBB86_1434
.LBB86_1432:
	s_mov_b32 s8, -1
                                        ; implicit-def: $vgpr43_vgpr44
	s_branch .LBB86_1437
.LBB86_1433:
	s_mov_b32 s8, -1
                                        ; implicit-def: $vgpr43_vgpr44
.LBB86_1434:
	s_andn2_b32 vcc_lo, exec_lo, s8
	s_cbranch_vccnz .LBB86_1436
; %bb.1435:
	global_load_ushort v1, v[4:5], off
	s_waitcnt vmcnt(0)
	v_cvt_f64_u32_e32 v[43:44], v1
.LBB86_1436:
	s_mov_b32 s8, 0
.LBB86_1437:
	s_andn2_b32 vcc_lo, exec_lo, s8
	s_cbranch_vccnz .LBB86_1447
; %bb.1438:
	global_load_ubyte v1, v[4:5], off
	s_mov_b32 s8, 0
	s_mov_b32 s9, exec_lo
	s_waitcnt vmcnt(0)
	v_cmpx_lt_i16_e32 0x7f, v1
	s_xor_b32 s9, exec_lo, s9
	s_cbranch_execz .LBB86_1442
; %bb.1439:
	s_mov_b32 s8, -1
	s_mov_b32 s10, exec_lo
	v_cmpx_eq_u16_e32 0x80, v1
; %bb.1440:
	s_xor_b32 s8, exec_lo, -1
; %bb.1441:
	s_or_b32 exec_lo, exec_lo, s10
	s_and_b32 s8, s8, exec_lo
.LBB86_1442:
	s_or_saveexec_b32 s9, s9
	v_bfrev_b32_e32 v43, 4
	v_mov_b32_e32 v44, 0x7ff80000
	s_xor_b32 exec_lo, exec_lo, s9
; %bb.1443:
	v_cmp_ne_u16_e32 vcc_lo, 0, v1
	v_mov_b32_e32 v43, 0
	v_mov_b32_e32 v44, 0
	s_andn2_b32 s8, s8, exec_lo
	s_and_b32 s10, vcc_lo, exec_lo
	s_or_b32 s8, s8, s10
; %bb.1444:
	s_or_b32 exec_lo, exec_lo, s9
	s_and_saveexec_b32 s9, s8
	s_cbranch_execz .LBB86_1446
; %bb.1445:
	v_and_b32_e32 v6, 0xffff, v1
	v_lshlrev_b32_e32 v1, 24, v1
	v_and_b32_e32 v7, 7, v6
	v_bfe_u32 v10, v6, 3, 4
	v_and_b32_e32 v1, 0x80000000, v1
	v_ffbh_u32_e32 v8, v7
	v_cmp_eq_u32_e32 vcc_lo, 0, v10
	v_min_u32_e32 v8, 32, v8
	v_subrev_nc_u32_e32 v9, 28, v8
	v_sub_nc_u32_e32 v8, 29, v8
	v_lshlrev_b32_e32 v6, v9, v6
	v_cndmask_b32_e32 v8, v10, v8, vcc_lo
	v_and_b32_e32 v6, 7, v6
	v_cndmask_b32_e32 v6, v7, v6, vcc_lo
	v_lshl_add_u32 v7, v8, 23, 0x3b800000
	v_lshlrev_b32_e32 v6, 20, v6
	v_or3_b32 v1, v1, v7, v6
	v_cvt_f64_f32_e32 v[43:44], v1
.LBB86_1446:
	s_or_b32 exec_lo, exec_lo, s9
.LBB86_1447:
	s_mov_b32 s8, -1
.LBB86_1448:
	s_mov_b32 s9, 0
.LBB86_1449:
	s_and_b32 vcc_lo, exec_lo, s9
	s_cbranch_vccz .LBB86_1480
; %bb.1450:
	s_cmp_gt_i32 s5, 22
	s_cbranch_scc0 .LBB86_1462
; %bb.1451:
	s_cmp_lt_i32 s5, 24
	s_cbranch_scc1 .LBB86_1463
; %bb.1452:
	s_cmp_gt_i32 s5, 24
	s_cbranch_scc0 .LBB86_1464
; %bb.1453:
	global_load_ubyte v1, v[4:5], off
	s_mov_b32 s8, exec_lo
	s_waitcnt vmcnt(0)
	v_cmpx_lt_i16_e32 0x7f, v1
	s_xor_b32 s8, exec_lo, s8
	s_cbranch_execz .LBB86_1457
; %bb.1454:
	s_mov_b32 s7, -1
	s_mov_b32 s9, exec_lo
	v_cmpx_eq_u16_e32 0x80, v1
; %bb.1455:
	s_xor_b32 s7, exec_lo, -1
; %bb.1456:
	s_or_b32 exec_lo, exec_lo, s9
	s_and_b32 s7, s7, exec_lo
.LBB86_1457:
	s_or_saveexec_b32 s8, s8
	v_bfrev_b32_e32 v43, 4
	v_mov_b32_e32 v44, 0x7ff80000
	s_xor_b32 exec_lo, exec_lo, s8
; %bb.1458:
	v_cmp_ne_u16_e32 vcc_lo, 0, v1
	v_mov_b32_e32 v43, 0
	v_mov_b32_e32 v44, 0
	s_andn2_b32 s7, s7, exec_lo
	s_and_b32 s9, vcc_lo, exec_lo
	s_or_b32 s7, s7, s9
; %bb.1459:
	s_or_b32 exec_lo, exec_lo, s8
	s_and_saveexec_b32 s8, s7
	s_cbranch_execz .LBB86_1461
; %bb.1460:
	v_and_b32_e32 v6, 0xffff, v1
	v_lshlrev_b32_e32 v1, 24, v1
	v_and_b32_e32 v7, 3, v6
	v_bfe_u32 v10, v6, 2, 5
	v_and_b32_e32 v1, 0x80000000, v1
	v_ffbh_u32_e32 v8, v7
	v_cmp_eq_u32_e32 vcc_lo, 0, v10
	v_min_u32_e32 v8, 32, v8
	v_subrev_nc_u32_e32 v9, 29, v8
	v_sub_nc_u32_e32 v8, 30, v8
	v_lshlrev_b32_e32 v6, v9, v6
	v_cndmask_b32_e32 v8, v10, v8, vcc_lo
	v_and_b32_e32 v6, 3, v6
	v_cndmask_b32_e32 v6, v7, v6, vcc_lo
	v_lshl_add_u32 v7, v8, 23, 0x37800000
	v_lshlrev_b32_e32 v6, 21, v6
	v_or3_b32 v1, v1, v7, v6
	v_cvt_f64_f32_e32 v[43:44], v1
.LBB86_1461:
	s_or_b32 exec_lo, exec_lo, s8
	s_mov_b32 s7, 0
	s_branch .LBB86_1465
.LBB86_1462:
	s_mov_b32 s7, -1
                                        ; implicit-def: $vgpr43_vgpr44
	s_branch .LBB86_1471
.LBB86_1463:
	s_mov_b32 s7, -1
                                        ; implicit-def: $vgpr43_vgpr44
	s_branch .LBB86_1468
.LBB86_1464:
	s_mov_b32 s7, -1
                                        ; implicit-def: $vgpr43_vgpr44
.LBB86_1465:
	s_and_b32 vcc_lo, exec_lo, s7
	s_cbranch_vccz .LBB86_1467
; %bb.1466:
	global_load_ubyte v1, v[4:5], off
	s_waitcnt vmcnt(0)
	v_lshlrev_b32_e32 v1, 24, v1
	v_and_b32_e32 v6, 0x7f000000, v1
	v_ffbh_u32_e32 v7, v6
	v_add_nc_u32_e32 v9, 0x1000000, v6
	v_cmp_ne_u32_e32 vcc_lo, 0, v6
	v_min_u32_e32 v7, 32, v7
	v_sub_nc_u32_e64 v7, v7, 4 clamp
	v_lshlrev_b32_e32 v8, v7, v6
	v_lshlrev_b32_e32 v7, 23, v7
	v_lshrrev_b32_e32 v8, 4, v8
	v_sub_nc_u32_e32 v7, v8, v7
	v_ashrrev_i32_e32 v8, 8, v9
	v_add_nc_u32_e32 v7, 0x3c000000, v7
	v_and_or_b32 v7, 0x7f800000, v8, v7
	v_cndmask_b32_e32 v6, 0, v7, vcc_lo
	v_and_or_b32 v1, 0x80000000, v1, v6
	v_cvt_f64_f32_e32 v[43:44], v1
.LBB86_1467:
	s_mov_b32 s7, 0
.LBB86_1468:
	s_andn2_b32 vcc_lo, exec_lo, s7
	s_cbranch_vccnz .LBB86_1470
; %bb.1469:
	global_load_ubyte v1, v[4:5], off
	s_waitcnt vmcnt(0)
	v_lshlrev_b32_e32 v6, 25, v1
	v_lshlrev_b16 v1, 8, v1
	v_lshrrev_b32_e32 v7, 4, v6
	v_and_or_b32 v8, 0x7f00, v1, 0.5
	v_cmp_gt_u32_e32 vcc_lo, 0x8000000, v6
	v_bfe_i32 v1, v1, 0, 16
	v_or_b32_e32 v7, 0x70000000, v7
	v_add_f32_e32 v8, -0.5, v8
	v_mul_f32_e32 v7, 0x7800000, v7
	v_cndmask_b32_e32 v6, v7, v8, vcc_lo
	v_and_or_b32 v1, 0x80000000, v1, v6
	v_cvt_f64_f32_e32 v[43:44], v1
.LBB86_1470:
	s_mov_b32 s7, 0
	s_mov_b32 s8, -1
.LBB86_1471:
	s_andn2_b32 vcc_lo, exec_lo, s7
	s_mov_b32 s7, 0
	s_cbranch_vccnz .LBB86_1480
; %bb.1472:
	s_cmp_gt_i32 s5, 14
	s_cbranch_scc0 .LBB86_1475
; %bb.1473:
	s_cmp_eq_u32 s5, 15
	s_cbranch_scc0 .LBB86_1476
; %bb.1474:
	global_load_ushort v1, v[4:5], off
	s_mov_b32 s6, 0
	s_mov_b32 s8, -1
	s_waitcnt vmcnt(0)
	v_lshlrev_b32_e32 v1, 16, v1
	v_cvt_f64_f32_e32 v[43:44], v1
	s_branch .LBB86_1478
.LBB86_1475:
	s_mov_b32 s7, -1
	s_branch .LBB86_1477
.LBB86_1476:
	s_mov_b32 s6, -1
.LBB86_1477:
                                        ; implicit-def: $vgpr43_vgpr44
.LBB86_1478:
	s_and_b32 vcc_lo, exec_lo, s7
	s_mov_b32 s7, 0
	s_cbranch_vccz .LBB86_1480
; %bb.1479:
	s_cmp_lg_u32 s5, 11
	s_mov_b32 s7, -1
	s_cselect_b32 s6, -1, 0
.LBB86_1480:
	s_and_b32 vcc_lo, exec_lo, s6
	s_cbranch_vccnz .LBB86_1543
; %bb.1481:
	s_andn2_b32 vcc_lo, exec_lo, s7
	s_cbranch_vccnz .LBB86_1483
.LBB86_1482:
	global_load_ubyte v1, v[4:5], off
	v_mov_b32_e32 v43, 0
	s_mov_b32 s8, -1
	s_waitcnt vmcnt(0)
	v_cmp_ne_u16_e32 vcc_lo, 0, v1
	v_cndmask_b32_e64 v44, 0, 0x3ff00000, vcc_lo
.LBB86_1483:
	s_branch .LBB86_1410
.LBB86_1484:
	s_and_b32 s5, 0xffff, s4
	s_cmp_lt_i32 s5, 5
	s_cbranch_scc1 .LBB86_1489
; %bb.1485:
	s_cmp_lt_i32 s5, 8
	s_cbranch_scc1 .LBB86_1490
; %bb.1486:
	;; [unrolled: 3-line block ×3, first 2 shown]
	s_cmp_gt_i32 s5, 9
	s_cbranch_scc0 .LBB86_1492
; %bb.1488:
	global_load_dwordx2 v[43:44], v[4:5], off
	s_mov_b32 s6, 0
	s_branch .LBB86_1493
.LBB86_1489:
	s_mov_b32 s6, -1
                                        ; implicit-def: $vgpr43_vgpr44
	s_branch .LBB86_1511
.LBB86_1490:
	s_mov_b32 s6, -1
                                        ; implicit-def: $vgpr43_vgpr44
	s_branch .LBB86_1499
.LBB86_1491:
	s_mov_b32 s6, -1
                                        ; implicit-def: $vgpr43_vgpr44
	s_branch .LBB86_1496
.LBB86_1492:
	s_mov_b32 s6, -1
                                        ; implicit-def: $vgpr43_vgpr44
.LBB86_1493:
	s_andn2_b32 vcc_lo, exec_lo, s6
	s_cbranch_vccnz .LBB86_1495
; %bb.1494:
	global_load_dword v1, v[4:5], off
	s_waitcnt vmcnt(0)
	v_cvt_f64_f32_e32 v[43:44], v1
.LBB86_1495:
	s_mov_b32 s6, 0
.LBB86_1496:
	s_andn2_b32 vcc_lo, exec_lo, s6
	s_cbranch_vccnz .LBB86_1498
; %bb.1497:
	global_load_dword v1, v[4:5], off
	s_waitcnt vmcnt(0)
	v_cvt_f32_f16_e32 v1, v1
	v_cvt_f64_f32_e32 v[43:44], v1
.LBB86_1498:
	s_mov_b32 s6, 0
.LBB86_1499:
	s_andn2_b32 vcc_lo, exec_lo, s6
	s_cbranch_vccnz .LBB86_1510
; %bb.1500:
	s_cmp_lt_i32 s5, 6
	s_cbranch_scc1 .LBB86_1503
; %bb.1501:
	s_cmp_gt_i32 s5, 6
	s_cbranch_scc0 .LBB86_1504
; %bb.1502:
	global_load_dwordx2 v[43:44], v[4:5], off
	s_mov_b32 s6, 0
	s_branch .LBB86_1505
.LBB86_1503:
	s_mov_b32 s6, -1
                                        ; implicit-def: $vgpr43_vgpr44
	s_branch .LBB86_1508
.LBB86_1504:
	s_mov_b32 s6, -1
                                        ; implicit-def: $vgpr43_vgpr44
.LBB86_1505:
	s_andn2_b32 vcc_lo, exec_lo, s6
	s_cbranch_vccnz .LBB86_1507
; %bb.1506:
	global_load_dword v1, v[4:5], off
	s_waitcnt vmcnt(0)
	v_cvt_f64_f32_e32 v[43:44], v1
.LBB86_1507:
	s_mov_b32 s6, 0
.LBB86_1508:
	s_andn2_b32 vcc_lo, exec_lo, s6
	s_cbranch_vccnz .LBB86_1510
; %bb.1509:
	global_load_ushort v1, v[4:5], off
	s_waitcnt vmcnt(0)
	v_cvt_f32_f16_e32 v1, v1
	v_cvt_f64_f32_e32 v[43:44], v1
.LBB86_1510:
	s_mov_b32 s6, 0
.LBB86_1511:
	s_andn2_b32 vcc_lo, exec_lo, s6
	s_cbranch_vccnz .LBB86_1531
; %bb.1512:
	s_cmp_lt_i32 s5, 2
	s_cbranch_scc1 .LBB86_1516
; %bb.1513:
	s_cmp_lt_i32 s5, 3
	s_cbranch_scc1 .LBB86_1517
; %bb.1514:
	s_cmp_gt_i32 s5, 3
	s_cbranch_scc0 .LBB86_1518
; %bb.1515:
	global_load_dwordx2 v[6:7], v[4:5], off
	s_mov_b32 s6, 0
	s_waitcnt vmcnt(0)
	v_cvt_f64_i32_e32 v[7:8], v7
	v_cvt_f64_u32_e32 v[9:10], v6
	v_ldexp_f64 v[7:8], v[7:8], 32
	v_add_f64 v[43:44], v[7:8], v[9:10]
	s_branch .LBB86_1519
.LBB86_1516:
	s_mov_b32 s6, -1
                                        ; implicit-def: $vgpr43_vgpr44
	s_branch .LBB86_1525
.LBB86_1517:
	s_mov_b32 s6, -1
                                        ; implicit-def: $vgpr43_vgpr44
	s_branch .LBB86_1522
.LBB86_1518:
	s_mov_b32 s6, -1
                                        ; implicit-def: $vgpr43_vgpr44
.LBB86_1519:
	s_andn2_b32 vcc_lo, exec_lo, s6
	s_cbranch_vccnz .LBB86_1521
; %bb.1520:
	global_load_dword v1, v[4:5], off
	s_waitcnt vmcnt(0)
	v_cvt_f64_i32_e32 v[43:44], v1
.LBB86_1521:
	s_mov_b32 s6, 0
.LBB86_1522:
	s_andn2_b32 vcc_lo, exec_lo, s6
	s_cbranch_vccnz .LBB86_1524
; %bb.1523:
	global_load_sshort v1, v[4:5], off
	s_waitcnt vmcnt(0)
	v_cvt_f64_i32_e32 v[43:44], v1
.LBB86_1524:
	s_mov_b32 s6, 0
.LBB86_1525:
	s_andn2_b32 vcc_lo, exec_lo, s6
	s_cbranch_vccnz .LBB86_1531
; %bb.1526:
	s_cmp_gt_i32 s5, 0
	s_mov_b32 s5, 0
	s_cbranch_scc0 .LBB86_1528
; %bb.1527:
	global_load_sbyte v1, v[4:5], off
	s_waitcnt vmcnt(0)
	v_cvt_f64_i32_e32 v[43:44], v1
	s_branch .LBB86_1529
.LBB86_1528:
	s_mov_b32 s5, -1
                                        ; implicit-def: $vgpr43_vgpr44
.LBB86_1529:
	s_andn2_b32 vcc_lo, exec_lo, s5
	s_cbranch_vccnz .LBB86_1531
; %bb.1530:
	global_load_ubyte v1, v[4:5], off
	s_waitcnt vmcnt(0)
	v_cvt_f64_u32_e32 v[43:44], v1
.LBB86_1531:
.LBB86_1532:
	v_add_co_u32 v0, s5, s54, v0
	v_add_co_ci_u32_e64 v1, null, s55, 0, s5
	s_cmp_lt_i32 s4, 11
	s_cbranch_scc1 .LBB86_1539
; %bb.1533:
	s_and_b32 s5, 0xffff, s4
	s_mov_b32 s7, 0
	s_cmp_gt_i32 s5, 25
	s_cbranch_scc0 .LBB86_1540
; %bb.1534:
	s_cmp_gt_i32 s5, 28
	s_cbranch_scc0 .LBB86_1541
; %bb.1535:
	;; [unrolled: 3-line block ×4, first 2 shown]
	s_cmp_eq_u32 s5, 46
	s_mov_b32 s9, 0
	s_cbranch_scc0 .LBB86_1545
; %bb.1538:
	global_load_dword v4, v[0:1], off
	s_mov_b32 s6, 0
	s_mov_b32 s8, -1
	s_waitcnt vmcnt(0)
	v_lshlrev_b32_e32 v4, 16, v4
	v_cvt_f64_f32_e32 v[41:42], v4
	s_branch .LBB86_1547
.LBB86_1539:
	s_mov_b32 s5, -1
	s_mov_b32 s8, 0
                                        ; implicit-def: $vgpr41_vgpr42
	s_branch .LBB86_1613
.LBB86_1540:
	s_mov_b32 s9, -1
	s_mov_b32 s8, 0
	s_mov_b32 s6, 0
                                        ; implicit-def: $vgpr41_vgpr42
	s_branch .LBB86_1578
.LBB86_1541:
	s_mov_b32 s9, -1
	s_mov_b32 s8, 0
	s_mov_b32 s6, 0
                                        ; implicit-def: $vgpr41_vgpr42
	s_branch .LBB86_1557
.LBB86_1542:
	s_mov_b32 s9, -1
	s_mov_b32 s8, 0
	s_mov_b32 s6, 0
                                        ; implicit-def: $vgpr41_vgpr42
	s_branch .LBB86_1552
.LBB86_1543:
	s_or_b32 s33, s33, exec_lo
	s_trap 2
	s_cbranch_execz .LBB86_1482
	s_branch .LBB86_1483
.LBB86_1544:
	s_mov_b32 s9, -1
	s_mov_b32 s8, 0
	s_mov_b32 s6, 0
	s_branch .LBB86_1546
.LBB86_1545:
	s_mov_b32 s6, -1
	s_mov_b32 s8, 0
.LBB86_1546:
                                        ; implicit-def: $vgpr41_vgpr42
.LBB86_1547:
	s_and_b32 vcc_lo, exec_lo, s9
	s_cbranch_vccz .LBB86_1551
; %bb.1548:
	s_cmp_eq_u32 s5, 44
	s_cbranch_scc0 .LBB86_1550
; %bb.1549:
	global_load_ubyte v6, v[0:1], off
	s_mov_b32 s6, 0
	s_mov_b32 s8, -1
	s_waitcnt vmcnt(0)
	v_lshlrev_b32_e32 v4, 23, v6
	v_cmp_ne_u32_e32 vcc_lo, 0xff, v6
	v_cvt_f64_f32_e32 v[4:5], v4
	v_cndmask_b32_e32 v4, 0x20000000, v4, vcc_lo
	v_cndmask_b32_e32 v5, 0x7ff80000, v5, vcc_lo
	v_cmp_ne_u32_e32 vcc_lo, 0, v6
	v_cndmask_b32_e32 v42, 0x38000000, v5, vcc_lo
	v_cndmask_b32_e32 v41, 0, v4, vcc_lo
	s_branch .LBB86_1551
.LBB86_1550:
	s_mov_b32 s6, -1
                                        ; implicit-def: $vgpr41_vgpr42
.LBB86_1551:
	s_mov_b32 s9, 0
.LBB86_1552:
	s_and_b32 vcc_lo, exec_lo, s9
	s_cbranch_vccz .LBB86_1556
; %bb.1553:
	s_cmp_eq_u32 s5, 29
	s_cbranch_scc0 .LBB86_1555
; %bb.1554:
	global_load_dwordx2 v[4:5], v[0:1], off
	s_mov_b32 s6, 0
	s_mov_b32 s8, -1
	s_mov_b32 s9, 0
	s_waitcnt vmcnt(0)
	v_cvt_f64_u32_e32 v[5:6], v5
	v_cvt_f64_u32_e32 v[7:8], v4
	v_ldexp_f64 v[5:6], v[5:6], 32
	v_add_f64 v[41:42], v[5:6], v[7:8]
	s_branch .LBB86_1557
.LBB86_1555:
	s_mov_b32 s6, -1
                                        ; implicit-def: $vgpr41_vgpr42
.LBB86_1556:
	s_mov_b32 s9, 0
.LBB86_1557:
	s_and_b32 vcc_lo, exec_lo, s9
	s_cbranch_vccz .LBB86_1577
; %bb.1558:
	s_cmp_lt_i32 s5, 27
	s_cbranch_scc1 .LBB86_1561
; %bb.1559:
	s_cmp_gt_i32 s5, 27
	s_cbranch_scc0 .LBB86_1562
; %bb.1560:
	global_load_dword v4, v[0:1], off
	s_mov_b32 s8, 0
	s_waitcnt vmcnt(0)
	v_cvt_f64_u32_e32 v[41:42], v4
	s_branch .LBB86_1563
.LBB86_1561:
	s_mov_b32 s8, -1
                                        ; implicit-def: $vgpr41_vgpr42
	s_branch .LBB86_1566
.LBB86_1562:
	s_mov_b32 s8, -1
                                        ; implicit-def: $vgpr41_vgpr42
.LBB86_1563:
	s_andn2_b32 vcc_lo, exec_lo, s8
	s_cbranch_vccnz .LBB86_1565
; %bb.1564:
	global_load_ushort v4, v[0:1], off
	s_waitcnt vmcnt(0)
	v_cvt_f64_u32_e32 v[41:42], v4
.LBB86_1565:
	s_mov_b32 s8, 0
.LBB86_1566:
	s_andn2_b32 vcc_lo, exec_lo, s8
	s_cbranch_vccnz .LBB86_1576
; %bb.1567:
	global_load_ubyte v4, v[0:1], off
	s_mov_b32 s8, 0
	s_mov_b32 s9, exec_lo
	s_waitcnt vmcnt(0)
	v_cmpx_lt_i16_e32 0x7f, v4
	s_xor_b32 s9, exec_lo, s9
	s_cbranch_execz .LBB86_1571
; %bb.1568:
	s_mov_b32 s8, -1
	s_mov_b32 s10, exec_lo
	v_cmpx_eq_u16_e32 0x80, v4
; %bb.1569:
	s_xor_b32 s8, exec_lo, -1
; %bb.1570:
	s_or_b32 exec_lo, exec_lo, s10
	s_and_b32 s8, s8, exec_lo
.LBB86_1571:
	s_or_saveexec_b32 s9, s9
	v_bfrev_b32_e32 v41, 4
	v_mov_b32_e32 v42, 0x7ff80000
	s_xor_b32 exec_lo, exec_lo, s9
; %bb.1572:
	v_cmp_ne_u16_e32 vcc_lo, 0, v4
	v_mov_b32_e32 v41, 0
	v_mov_b32_e32 v42, 0
	s_andn2_b32 s8, s8, exec_lo
	s_and_b32 s10, vcc_lo, exec_lo
	s_or_b32 s8, s8, s10
; %bb.1573:
	s_or_b32 exec_lo, exec_lo, s9
	s_and_saveexec_b32 s9, s8
	s_cbranch_execz .LBB86_1575
; %bb.1574:
	v_and_b32_e32 v5, 0xffff, v4
	v_lshlrev_b32_e32 v4, 24, v4
	v_and_b32_e32 v6, 7, v5
	v_bfe_u32 v9, v5, 3, 4
	v_and_b32_e32 v4, 0x80000000, v4
	v_ffbh_u32_e32 v7, v6
	v_cmp_eq_u32_e32 vcc_lo, 0, v9
	v_min_u32_e32 v7, 32, v7
	v_subrev_nc_u32_e32 v8, 28, v7
	v_sub_nc_u32_e32 v7, 29, v7
	v_lshlrev_b32_e32 v5, v8, v5
	v_cndmask_b32_e32 v7, v9, v7, vcc_lo
	v_and_b32_e32 v5, 7, v5
	v_cndmask_b32_e32 v5, v6, v5, vcc_lo
	v_lshl_add_u32 v6, v7, 23, 0x3b800000
	v_lshlrev_b32_e32 v5, 20, v5
	v_or3_b32 v4, v4, v6, v5
	v_cvt_f64_f32_e32 v[41:42], v4
.LBB86_1575:
	s_or_b32 exec_lo, exec_lo, s9
.LBB86_1576:
	s_mov_b32 s8, -1
.LBB86_1577:
	s_mov_b32 s9, 0
.LBB86_1578:
	s_and_b32 vcc_lo, exec_lo, s9
	s_cbranch_vccz .LBB86_1609
; %bb.1579:
	s_cmp_gt_i32 s5, 22
	s_cbranch_scc0 .LBB86_1591
; %bb.1580:
	s_cmp_lt_i32 s5, 24
	s_cbranch_scc1 .LBB86_1592
; %bb.1581:
	s_cmp_gt_i32 s5, 24
	s_cbranch_scc0 .LBB86_1593
; %bb.1582:
	global_load_ubyte v4, v[0:1], off
	s_mov_b32 s8, exec_lo
	s_waitcnt vmcnt(0)
	v_cmpx_lt_i16_e32 0x7f, v4
	s_xor_b32 s8, exec_lo, s8
	s_cbranch_execz .LBB86_1586
; %bb.1583:
	s_mov_b32 s7, -1
	s_mov_b32 s9, exec_lo
	v_cmpx_eq_u16_e32 0x80, v4
; %bb.1584:
	s_xor_b32 s7, exec_lo, -1
; %bb.1585:
	s_or_b32 exec_lo, exec_lo, s9
	s_and_b32 s7, s7, exec_lo
.LBB86_1586:
	s_or_saveexec_b32 s8, s8
	v_bfrev_b32_e32 v41, 4
	v_mov_b32_e32 v42, 0x7ff80000
	s_xor_b32 exec_lo, exec_lo, s8
; %bb.1587:
	v_cmp_ne_u16_e32 vcc_lo, 0, v4
	v_mov_b32_e32 v41, 0
	v_mov_b32_e32 v42, 0
	s_andn2_b32 s7, s7, exec_lo
	s_and_b32 s9, vcc_lo, exec_lo
	s_or_b32 s7, s7, s9
; %bb.1588:
	s_or_b32 exec_lo, exec_lo, s8
	s_and_saveexec_b32 s8, s7
	s_cbranch_execz .LBB86_1590
; %bb.1589:
	v_and_b32_e32 v5, 0xffff, v4
	v_lshlrev_b32_e32 v4, 24, v4
	v_and_b32_e32 v6, 3, v5
	v_bfe_u32 v9, v5, 2, 5
	v_and_b32_e32 v4, 0x80000000, v4
	v_ffbh_u32_e32 v7, v6
	v_cmp_eq_u32_e32 vcc_lo, 0, v9
	v_min_u32_e32 v7, 32, v7
	v_subrev_nc_u32_e32 v8, 29, v7
	v_sub_nc_u32_e32 v7, 30, v7
	v_lshlrev_b32_e32 v5, v8, v5
	v_cndmask_b32_e32 v7, v9, v7, vcc_lo
	v_and_b32_e32 v5, 3, v5
	v_cndmask_b32_e32 v5, v6, v5, vcc_lo
	v_lshl_add_u32 v6, v7, 23, 0x37800000
	v_lshlrev_b32_e32 v5, 21, v5
	v_or3_b32 v4, v4, v6, v5
	v_cvt_f64_f32_e32 v[41:42], v4
.LBB86_1590:
	s_or_b32 exec_lo, exec_lo, s8
	s_mov_b32 s7, 0
	s_branch .LBB86_1594
.LBB86_1591:
	s_mov_b32 s7, -1
                                        ; implicit-def: $vgpr41_vgpr42
	s_branch .LBB86_1600
.LBB86_1592:
	s_mov_b32 s7, -1
                                        ; implicit-def: $vgpr41_vgpr42
	s_branch .LBB86_1597
.LBB86_1593:
	s_mov_b32 s7, -1
                                        ; implicit-def: $vgpr41_vgpr42
.LBB86_1594:
	s_and_b32 vcc_lo, exec_lo, s7
	s_cbranch_vccz .LBB86_1596
; %bb.1595:
	global_load_ubyte v4, v[0:1], off
	s_waitcnt vmcnt(0)
	v_lshlrev_b32_e32 v4, 24, v4
	v_and_b32_e32 v5, 0x7f000000, v4
	v_ffbh_u32_e32 v6, v5
	v_add_nc_u32_e32 v8, 0x1000000, v5
	v_cmp_ne_u32_e32 vcc_lo, 0, v5
	v_min_u32_e32 v6, 32, v6
	v_sub_nc_u32_e64 v6, v6, 4 clamp
	v_lshlrev_b32_e32 v7, v6, v5
	v_lshlrev_b32_e32 v6, 23, v6
	v_lshrrev_b32_e32 v7, 4, v7
	v_sub_nc_u32_e32 v6, v7, v6
	v_ashrrev_i32_e32 v7, 8, v8
	v_add_nc_u32_e32 v6, 0x3c000000, v6
	v_and_or_b32 v6, 0x7f800000, v7, v6
	v_cndmask_b32_e32 v5, 0, v6, vcc_lo
	v_and_or_b32 v4, 0x80000000, v4, v5
	v_cvt_f64_f32_e32 v[41:42], v4
.LBB86_1596:
	s_mov_b32 s7, 0
.LBB86_1597:
	s_andn2_b32 vcc_lo, exec_lo, s7
	s_cbranch_vccnz .LBB86_1599
; %bb.1598:
	global_load_ubyte v4, v[0:1], off
	s_waitcnt vmcnt(0)
	v_lshlrev_b32_e32 v5, 25, v4
	v_lshlrev_b16 v4, 8, v4
	v_lshrrev_b32_e32 v6, 4, v5
	v_and_or_b32 v7, 0x7f00, v4, 0.5
	v_cmp_gt_u32_e32 vcc_lo, 0x8000000, v5
	v_bfe_i32 v4, v4, 0, 16
	v_or_b32_e32 v6, 0x70000000, v6
	v_add_f32_e32 v7, -0.5, v7
	v_mul_f32_e32 v6, 0x7800000, v6
	v_cndmask_b32_e32 v5, v6, v7, vcc_lo
	v_and_or_b32 v4, 0x80000000, v4, v5
	v_cvt_f64_f32_e32 v[41:42], v4
.LBB86_1599:
	s_mov_b32 s7, 0
	s_mov_b32 s8, -1
.LBB86_1600:
	s_andn2_b32 vcc_lo, exec_lo, s7
	s_mov_b32 s7, 0
	s_cbranch_vccnz .LBB86_1609
; %bb.1601:
	s_cmp_gt_i32 s5, 14
	s_cbranch_scc0 .LBB86_1604
; %bb.1602:
	s_cmp_eq_u32 s5, 15
	s_cbranch_scc0 .LBB86_1605
; %bb.1603:
	global_load_ushort v4, v[0:1], off
	s_mov_b32 s6, 0
	s_mov_b32 s8, -1
	s_waitcnt vmcnt(0)
	v_lshlrev_b32_e32 v4, 16, v4
	v_cvt_f64_f32_e32 v[41:42], v4
	s_branch .LBB86_1607
.LBB86_1604:
	s_mov_b32 s7, -1
	s_branch .LBB86_1606
.LBB86_1605:
	s_mov_b32 s6, -1
.LBB86_1606:
                                        ; implicit-def: $vgpr41_vgpr42
.LBB86_1607:
	s_and_b32 vcc_lo, exec_lo, s7
	s_mov_b32 s7, 0
	s_cbranch_vccz .LBB86_1609
; %bb.1608:
	s_cmp_lg_u32 s5, 11
	s_mov_b32 s7, -1
	s_cselect_b32 s6, -1, 0
.LBB86_1609:
	s_and_b32 vcc_lo, exec_lo, s6
	s_cbranch_vccnz .LBB86_2142
; %bb.1610:
	s_andn2_b32 vcc_lo, exec_lo, s7
	s_cbranch_vccnz .LBB86_1612
.LBB86_1611:
	global_load_ubyte v4, v[0:1], off
	v_mov_b32_e32 v41, 0
	s_mov_b32 s8, -1
	s_waitcnt vmcnt(0)
	v_cmp_ne_u16_e32 vcc_lo, 0, v4
	v_cndmask_b32_e64 v42, 0, 0x3ff00000, vcc_lo
.LBB86_1612:
	s_mov_b32 s5, 0
.LBB86_1613:
	s_and_b32 vcc_lo, exec_lo, s5
	s_cbranch_vccz .LBB86_1662
; %bb.1614:
	s_and_b32 s4, 0xffff, s4
	s_cmp_lt_i32 s4, 5
	s_cbranch_scc1 .LBB86_1619
; %bb.1615:
	s_cmp_lt_i32 s4, 8
	s_cbranch_scc1 .LBB86_1620
; %bb.1616:
	;; [unrolled: 3-line block ×3, first 2 shown]
	s_cmp_gt_i32 s4, 9
	s_cbranch_scc0 .LBB86_1622
; %bb.1618:
	global_load_dwordx2 v[41:42], v[0:1], off
	s_mov_b32 s5, 0
	s_branch .LBB86_1623
.LBB86_1619:
	s_mov_b32 s5, -1
                                        ; implicit-def: $vgpr41_vgpr42
	s_branch .LBB86_1641
.LBB86_1620:
	s_mov_b32 s5, -1
                                        ; implicit-def: $vgpr41_vgpr42
	s_branch .LBB86_1629
.LBB86_1621:
	s_mov_b32 s5, -1
                                        ; implicit-def: $vgpr41_vgpr42
	s_branch .LBB86_1626
.LBB86_1622:
	s_mov_b32 s5, -1
                                        ; implicit-def: $vgpr41_vgpr42
.LBB86_1623:
	s_andn2_b32 vcc_lo, exec_lo, s5
	s_cbranch_vccnz .LBB86_1625
; %bb.1624:
	global_load_dword v4, v[0:1], off
	s_waitcnt vmcnt(0)
	v_cvt_f64_f32_e32 v[41:42], v4
.LBB86_1625:
	s_mov_b32 s5, 0
.LBB86_1626:
	s_andn2_b32 vcc_lo, exec_lo, s5
	s_cbranch_vccnz .LBB86_1628
; %bb.1627:
	global_load_dword v4, v[0:1], off
	s_waitcnt vmcnt(0)
	v_cvt_f32_f16_e32 v4, v4
	v_cvt_f64_f32_e32 v[41:42], v4
.LBB86_1628:
	s_mov_b32 s5, 0
.LBB86_1629:
	s_andn2_b32 vcc_lo, exec_lo, s5
	s_cbranch_vccnz .LBB86_1640
; %bb.1630:
	s_cmp_lt_i32 s4, 6
	s_cbranch_scc1 .LBB86_1633
; %bb.1631:
	s_cmp_gt_i32 s4, 6
	s_cbranch_scc0 .LBB86_1634
; %bb.1632:
	global_load_dwordx2 v[41:42], v[0:1], off
	s_mov_b32 s5, 0
	s_branch .LBB86_1635
.LBB86_1633:
	s_mov_b32 s5, -1
                                        ; implicit-def: $vgpr41_vgpr42
	s_branch .LBB86_1638
.LBB86_1634:
	s_mov_b32 s5, -1
                                        ; implicit-def: $vgpr41_vgpr42
.LBB86_1635:
	s_andn2_b32 vcc_lo, exec_lo, s5
	s_cbranch_vccnz .LBB86_1637
; %bb.1636:
	global_load_dword v4, v[0:1], off
	s_waitcnt vmcnt(0)
	v_cvt_f64_f32_e32 v[41:42], v4
.LBB86_1637:
	s_mov_b32 s5, 0
.LBB86_1638:
	s_andn2_b32 vcc_lo, exec_lo, s5
	s_cbranch_vccnz .LBB86_1640
; %bb.1639:
	global_load_ushort v4, v[0:1], off
	s_waitcnt vmcnt(0)
	v_cvt_f32_f16_e32 v4, v4
	v_cvt_f64_f32_e32 v[41:42], v4
.LBB86_1640:
	s_mov_b32 s5, 0
.LBB86_1641:
	s_andn2_b32 vcc_lo, exec_lo, s5
	s_cbranch_vccnz .LBB86_1661
; %bb.1642:
	s_cmp_lt_i32 s4, 2
	s_cbranch_scc1 .LBB86_1646
; %bb.1643:
	s_cmp_lt_i32 s4, 3
	s_cbranch_scc1 .LBB86_1647
; %bb.1644:
	s_cmp_gt_i32 s4, 3
	s_cbranch_scc0 .LBB86_1648
; %bb.1645:
	global_load_dwordx2 v[4:5], v[0:1], off
	s_mov_b32 s5, 0
	s_waitcnt vmcnt(0)
	v_cvt_f64_i32_e32 v[5:6], v5
	v_cvt_f64_u32_e32 v[7:8], v4
	v_ldexp_f64 v[5:6], v[5:6], 32
	v_add_f64 v[41:42], v[5:6], v[7:8]
	s_branch .LBB86_1649
.LBB86_1646:
	s_mov_b32 s5, -1
                                        ; implicit-def: $vgpr41_vgpr42
	s_branch .LBB86_1655
.LBB86_1647:
	s_mov_b32 s5, -1
                                        ; implicit-def: $vgpr41_vgpr42
	s_branch .LBB86_1652
.LBB86_1648:
	s_mov_b32 s5, -1
                                        ; implicit-def: $vgpr41_vgpr42
.LBB86_1649:
	s_andn2_b32 vcc_lo, exec_lo, s5
	s_cbranch_vccnz .LBB86_1651
; %bb.1650:
	global_load_dword v4, v[0:1], off
	s_waitcnt vmcnt(0)
	v_cvt_f64_i32_e32 v[41:42], v4
.LBB86_1651:
	s_mov_b32 s5, 0
.LBB86_1652:
	s_andn2_b32 vcc_lo, exec_lo, s5
	s_cbranch_vccnz .LBB86_1654
; %bb.1653:
	global_load_sshort v4, v[0:1], off
	s_waitcnt vmcnt(0)
	v_cvt_f64_i32_e32 v[41:42], v4
.LBB86_1654:
	s_mov_b32 s5, 0
.LBB86_1655:
	s_andn2_b32 vcc_lo, exec_lo, s5
	s_cbranch_vccnz .LBB86_1661
; %bb.1656:
	s_cmp_gt_i32 s4, 0
	s_mov_b32 s4, 0
	s_cbranch_scc0 .LBB86_1658
; %bb.1657:
	global_load_sbyte v4, v[0:1], off
	s_waitcnt vmcnt(0)
	v_cvt_f64_i32_e32 v[41:42], v4
	s_branch .LBB86_1659
.LBB86_1658:
	s_mov_b32 s4, -1
                                        ; implicit-def: $vgpr41_vgpr42
.LBB86_1659:
	s_andn2_b32 vcc_lo, exec_lo, s4
	s_cbranch_vccnz .LBB86_1661
; %bb.1660:
	global_load_ubyte v0, v[0:1], off
	s_waitcnt vmcnt(0)
	v_cvt_f64_u32_e32 v[41:42], v0
.LBB86_1661:
	s_mov_b32 s8, -1
.LBB86_1662:
	s_andn2_b32 vcc_lo, exec_lo, s8
	s_cbranch_vccnz .LBB86_2096
; %bb.1663:
	s_clause 0x1
	s_load_dword s6, s[50:51], 0x160
	s_load_dwordx2 s[48:49], s[50:51], 0x158
	s_getpc_b64 s[4:5]
	s_add_u32 s4, s4, _ZZZZN2at6native21polygamma_kernel_cudaERNS_18TensorIteratorBaseElENKUlvE_clEvENKUlvE_clEvENKUldE_clEd@rel32@lo+4
	s_addc_u32 s5, s5, _ZZZZN2at6native21polygamma_kernel_cudaERNS_18TensorIteratorBaseElENKUlvE_clEvENKUlvE_clEvENKUldE_clEd@rel32@hi+12
	s_waitcnt lgkmcnt(0)
	s_and_b32 s54, s6, 0xff
	v_mov_b32_e32 v0, s48
	v_mov_b32_e32 v1, s49
	s_swappc_b64 s[30:31], s[4:5]
	v_add_co_u32 v4, s4, s52, v56
	v_add_co_ci_u32_e64 v5, null, s53, 0, s4
	s_cmp_lt_i32 s54, 11
	s_cbranch_scc1 .LBB86_1741
; %bb.1664:
	s_and_b32 s5, 0xffff, s54
	s_mov_b32 s8, -1
	s_mov_b32 s6, 0
	s_cmp_gt_i32 s5, 25
	s_mov_b32 s7, 0
	s_mov_b32 s4, 0
	s_cbranch_scc0 .LBB86_1697
; %bb.1665:
	s_cmp_gt_i32 s5, 28
	s_cbranch_scc0 .LBB86_1680
; %bb.1666:
	s_cmp_gt_i32 s5, 43
	;; [unrolled: 3-line block ×3, first 2 shown]
	s_cbranch_scc0 .LBB86_1670
; %bb.1668:
	s_mov_b32 s4, -1
	s_mov_b32 s8, 0
	s_cmp_eq_u32 s5, 46
	s_cbranch_scc0 .LBB86_1670
; %bb.1669:
	v_cvt_f32_f64_e32 v2, v[0:1]
	s_mov_b32 s4, 0
	s_mov_b32 s7, -1
	v_bfe_u32 v3, v2, 16, 1
	v_cmp_o_f32_e32 vcc_lo, v2, v2
	v_add3_u32 v2, v2, v3, 0x7fff
	v_mov_b32_e32 v3, 0x7fc0
	v_cndmask_b32_sdwa v2, v3, v2, vcc_lo dst_sel:DWORD dst_unused:UNUSED_PAD src0_sel:DWORD src1_sel:WORD_1
	global_store_dword v[4:5], v2, off
.LBB86_1670:
	s_and_b32 vcc_lo, exec_lo, s8
	s_cbranch_vccz .LBB86_1675
; %bb.1671:
	s_cmp_eq_u32 s5, 44
	s_mov_b32 s4, -1
	s_cbranch_scc0 .LBB86_1675
; %bb.1672:
	v_cvt_f32_f64_e32 v2, v[0:1]
	v_mov_b32_e32 v3, 0xff
	s_mov_b32 s7, exec_lo
	v_bfe_u32 v6, v2, 23, 8
	v_cmpx_ne_u32_e32 0xff, v6
	s_cbranch_execz .LBB86_1674
; %bb.1673:
	v_and_b32_e32 v3, 0x400000, v2
	v_and_or_b32 v6, 0x3fffff, v2, v6
	v_lshrrev_b32_e32 v2, 23, v2
	v_cmp_ne_u32_e32 vcc_lo, 0, v3
	v_cmp_ne_u32_e64 s4, 0, v6
	s_and_b32 s4, vcc_lo, s4
	v_cndmask_b32_e64 v3, 0, 1, s4
	v_add_nc_u32_e32 v3, v2, v3
.LBB86_1674:
	s_or_b32 exec_lo, exec_lo, s7
	s_mov_b32 s4, 0
	s_mov_b32 s7, -1
	global_store_byte v[4:5], v3, off
.LBB86_1675:
	s_mov_b32 s8, 0
.LBB86_1676:
	s_and_b32 vcc_lo, exec_lo, s8
	s_cbranch_vccz .LBB86_1679
; %bb.1677:
	s_cmp_eq_u32 s5, 29
	s_mov_b32 s4, -1
	s_cbranch_scc0 .LBB86_1679
; %bb.1678:
	v_trunc_f64_e32 v[2:3], v[0:1]
	s_mov_b32 s4, 0
	s_mov_b32 s7, -1
	v_ldexp_f64 v[6:7], v[2:3], 0xffffffe0
	v_floor_f64_e32 v[6:7], v[6:7]
	v_fma_f64 v[2:3], 0xc1f00000, v[6:7], v[2:3]
	v_cvt_u32_f64_e32 v7, v[6:7]
	v_cvt_u32_f64_e32 v6, v[2:3]
	global_store_dwordx2 v[4:5], v[6:7], off
.LBB86_1679:
	s_mov_b32 s8, 0
.LBB86_1680:
	s_and_b32 vcc_lo, exec_lo, s8
	s_cbranch_vccz .LBB86_1696
; %bb.1681:
	s_cmp_lt_i32 s5, 27
	s_mov_b32 s7, -1
	s_cbranch_scc1 .LBB86_1687
; %bb.1682:
	v_cvt_u32_f64_e32 v2, v[0:1]
	s_cmp_gt_i32 s5, 27
	s_cbranch_scc0 .LBB86_1684
; %bb.1683:
	s_mov_b32 s7, 0
	global_store_dword v[4:5], v2, off
.LBB86_1684:
	s_andn2_b32 vcc_lo, exec_lo, s7
	s_cbranch_vccnz .LBB86_1686
; %bb.1685:
	global_store_short v[4:5], v2, off
.LBB86_1686:
	s_mov_b32 s7, 0
.LBB86_1687:
	s_andn2_b32 vcc_lo, exec_lo, s7
	s_cbranch_vccnz .LBB86_1695
; %bb.1688:
	v_cvt_f32_f64_e32 v2, v[0:1]
	v_mov_b32_e32 v6, 0x80
	s_mov_b32 s7, exec_lo
	v_and_b32_e32 v3, 0x7fffffff, v2
	v_cmpx_gt_u32_e32 0x43800000, v3
	s_cbranch_execz .LBB86_1694
; %bb.1689:
	v_cmp_lt_u32_e32 vcc_lo, 0x3bffffff, v3
	s_mov_b32 s8, 0
                                        ; implicit-def: $vgpr3
	s_and_saveexec_b32 s9, vcc_lo
	s_xor_b32 s9, exec_lo, s9
	s_cbranch_execz .LBB86_2143
; %bb.1690:
	v_bfe_u32 v3, v2, 20, 1
	s_mov_b32 s8, exec_lo
	v_add3_u32 v3, v2, v3, 0x487ffff
	v_lshrrev_b32_e32 v3, 20, v3
	s_andn2_saveexec_b32 s9, s9
	s_cbranch_execnz .LBB86_2144
.LBB86_1691:
	s_or_b32 exec_lo, exec_lo, s9
	v_mov_b32_e32 v6, 0
	s_and_saveexec_b32 s9, s8
.LBB86_1692:
	v_lshrrev_b32_e32 v2, 24, v2
	v_and_or_b32 v6, 0x80, v2, v3
.LBB86_1693:
	s_or_b32 exec_lo, exec_lo, s9
.LBB86_1694:
	s_or_b32 exec_lo, exec_lo, s7
	global_store_byte v[4:5], v6, off
.LBB86_1695:
	s_mov_b32 s7, -1
.LBB86_1696:
	s_mov_b32 s8, 0
.LBB86_1697:
	s_and_b32 vcc_lo, exec_lo, s8
	s_cbranch_vccz .LBB86_1737
; %bb.1698:
	s_cmp_gt_i32 s5, 22
	s_mov_b32 s6, -1
	s_cbranch_scc0 .LBB86_1730
; %bb.1699:
	s_cmp_lt_i32 s5, 24
	s_cbranch_scc1 .LBB86_1719
; %bb.1700:
	s_cmp_gt_i32 s5, 24
	s_cbranch_scc0 .LBB86_1708
; %bb.1701:
	v_cvt_f32_f64_e32 v2, v[0:1]
	v_mov_b32_e32 v6, 0x80
	s_mov_b32 s6, exec_lo
	v_and_b32_e32 v3, 0x7fffffff, v2
	v_cmpx_gt_u32_e32 0x47800000, v3
	s_cbranch_execz .LBB86_1707
; %bb.1702:
	v_cmp_lt_u32_e32 vcc_lo, 0x37ffffff, v3
	s_mov_b32 s7, 0
                                        ; implicit-def: $vgpr3
	s_and_saveexec_b32 s8, vcc_lo
	s_xor_b32 s8, exec_lo, s8
	s_cbranch_execz .LBB86_2146
; %bb.1703:
	v_bfe_u32 v3, v2, 21, 1
	s_mov_b32 s7, exec_lo
	v_add3_u32 v3, v2, v3, 0x88fffff
	v_lshrrev_b32_e32 v3, 21, v3
	s_andn2_saveexec_b32 s8, s8
	s_cbranch_execnz .LBB86_2147
.LBB86_1704:
	s_or_b32 exec_lo, exec_lo, s8
	v_mov_b32_e32 v6, 0
	s_and_saveexec_b32 s8, s7
.LBB86_1705:
	v_lshrrev_b32_e32 v2, 24, v2
	v_and_or_b32 v6, 0x80, v2, v3
.LBB86_1706:
	s_or_b32 exec_lo, exec_lo, s8
.LBB86_1707:
	s_or_b32 exec_lo, exec_lo, s6
	s_mov_b32 s6, 0
	global_store_byte v[4:5], v6, off
.LBB86_1708:
	s_and_b32 vcc_lo, exec_lo, s6
	s_cbranch_vccz .LBB86_1718
; %bb.1709:
	v_cvt_f32_f64_e32 v2, v[0:1]
	s_mov_b32 s6, exec_lo
                                        ; implicit-def: $vgpr3
	v_and_b32_e32 v6, 0x7fffffff, v2
	v_cmpx_gt_u32_e32 0x43f00000, v6
	s_xor_b32 s6, exec_lo, s6
	s_cbranch_execz .LBB86_1715
; %bb.1710:
	s_mov_b32 s7, exec_lo
                                        ; implicit-def: $vgpr3
	v_cmpx_lt_u32_e32 0x3c7fffff, v6
	s_xor_b32 s7, exec_lo, s7
; %bb.1711:
	v_bfe_u32 v3, v2, 20, 1
	v_add3_u32 v3, v2, v3, 0x407ffff
	v_and_b32_e32 v6, 0xff00000, v3
	v_lshrrev_b32_e32 v3, 20, v3
	v_cmp_ne_u32_e32 vcc_lo, 0x7f00000, v6
	v_cndmask_b32_e32 v3, 0x7e, v3, vcc_lo
; %bb.1712:
	s_andn2_saveexec_b32 s7, s7
; %bb.1713:
	v_add_f32_e64 v3, 0x46800000, |v2|
; %bb.1714:
	s_or_b32 exec_lo, exec_lo, s7
                                        ; implicit-def: $vgpr6
.LBB86_1715:
	s_andn2_saveexec_b32 s6, s6
; %bb.1716:
	v_mov_b32_e32 v3, 0x7f
	v_cmp_lt_u32_e32 vcc_lo, 0x7f800000, v6
	v_cndmask_b32_e32 v3, 0x7e, v3, vcc_lo
; %bb.1717:
	s_or_b32 exec_lo, exec_lo, s6
	v_lshrrev_b32_e32 v2, 24, v2
	v_and_or_b32 v2, 0x80, v2, v3
	global_store_byte v[4:5], v2, off
.LBB86_1718:
	s_mov_b32 s6, 0
.LBB86_1719:
	s_andn2_b32 vcc_lo, exec_lo, s6
	s_cbranch_vccnz .LBB86_1729
; %bb.1720:
	v_cvt_f32_f64_e32 v2, v[0:1]
	s_mov_b32 s6, exec_lo
                                        ; implicit-def: $vgpr3
	v_and_b32_e32 v6, 0x7fffffff, v2
	v_cmpx_gt_u32_e32 0x47800000, v6
	s_xor_b32 s6, exec_lo, s6
	s_cbranch_execz .LBB86_1726
; %bb.1721:
	s_mov_b32 s7, exec_lo
                                        ; implicit-def: $vgpr3
	v_cmpx_lt_u32_e32 0x387fffff, v6
	s_xor_b32 s7, exec_lo, s7
; %bb.1722:
	v_bfe_u32 v3, v2, 21, 1
	v_add3_u32 v3, v2, v3, 0x80fffff
	v_lshrrev_b32_e32 v3, 21, v3
; %bb.1723:
	s_andn2_saveexec_b32 s7, s7
; %bb.1724:
	v_add_f32_e64 v3, 0x43000000, |v2|
; %bb.1725:
	s_or_b32 exec_lo, exec_lo, s7
                                        ; implicit-def: $vgpr6
.LBB86_1726:
	s_andn2_saveexec_b32 s6, s6
; %bb.1727:
	v_mov_b32_e32 v3, 0x7f
	v_cmp_lt_u32_e32 vcc_lo, 0x7f800000, v6
	v_cndmask_b32_e32 v3, 0x7c, v3, vcc_lo
; %bb.1728:
	s_or_b32 exec_lo, exec_lo, s6
	v_lshrrev_b32_e32 v2, 24, v2
	v_and_or_b32 v2, 0x80, v2, v3
	global_store_byte v[4:5], v2, off
.LBB86_1729:
	s_mov_b32 s6, 0
	s_mov_b32 s7, -1
.LBB86_1730:
	s_andn2_b32 vcc_lo, exec_lo, s6
	s_mov_b32 s6, 0
	s_cbranch_vccnz .LBB86_1737
; %bb.1731:
	s_cmp_gt_i32 s5, 14
	s_mov_b32 s6, -1
	s_cbranch_scc0 .LBB86_1735
; %bb.1732:
	s_cmp_eq_u32 s5, 15
	s_mov_b32 s4, -1
	s_cbranch_scc0 .LBB86_1734
; %bb.1733:
	v_cvt_f32_f64_e32 v2, v[0:1]
	s_mov_b32 s4, 0
	s_mov_b32 s7, -1
	v_bfe_u32 v3, v2, 16, 1
	v_cmp_o_f32_e32 vcc_lo, v2, v2
	v_add3_u32 v2, v2, v3, 0x7fff
	v_mov_b32_e32 v3, 0x7fc0
	v_cndmask_b32_sdwa v2, v3, v2, vcc_lo dst_sel:DWORD dst_unused:UNUSED_PAD src0_sel:DWORD src1_sel:WORD_1
	global_store_short v[4:5], v2, off
.LBB86_1734:
	s_mov_b32 s6, 0
.LBB86_1735:
	s_and_b32 vcc_lo, exec_lo, s6
	s_mov_b32 s6, 0
	s_cbranch_vccz .LBB86_1737
; %bb.1736:
	s_cmp_lg_u32 s5, 11
	s_mov_b32 s6, -1
	s_cselect_b32 s4, -1, 0
.LBB86_1737:
	s_and_b32 vcc_lo, exec_lo, s4
	s_cbranch_vccnz .LBB86_2145
; %bb.1738:
	s_andn2_b32 vcc_lo, exec_lo, s6
	s_cbranch_vccnz .LBB86_1740
.LBB86_1739:
	v_cmp_neq_f64_e32 vcc_lo, 0, v[0:1]
	s_mov_b32 s7, -1
	v_cndmask_b32_e64 v2, 0, 1, vcc_lo
	global_store_byte v[4:5], v2, off
.LBB86_1740:
	s_mov_b32 s4, 0
	s_branch .LBB86_1742
.LBB86_1741:
	s_mov_b32 s4, -1
	s_mov_b32 s7, 0
.LBB86_1742:
	s_and_b32 vcc_lo, exec_lo, s4
	s_cbranch_vccz .LBB86_1781
; %bb.1743:
	s_and_b32 s4, 0xffff, s54
	s_mov_b32 s5, -1
	s_cmp_lt_i32 s4, 5
	s_cbranch_scc1 .LBB86_1764
; %bb.1744:
	s_cmp_lt_i32 s4, 8
	s_cbranch_scc1 .LBB86_1754
; %bb.1745:
	;; [unrolled: 3-line block ×3, first 2 shown]
	s_cmp_gt_i32 s4, 9
	s_cbranch_scc0 .LBB86_1748
; %bb.1747:
	v_mov_b32_e32 v2, 0
	s_mov_b32 s5, 0
	v_mov_b32_e32 v3, v2
	global_store_dwordx4 v[4:5], v[0:3], off
.LBB86_1748:
	s_andn2_b32 vcc_lo, exec_lo, s5
	s_cbranch_vccnz .LBB86_1750
; %bb.1749:
	v_cvt_f32_f64_e32 v2, v[0:1]
	v_mov_b32_e32 v3, 0
	global_store_dwordx2 v[4:5], v[2:3], off
.LBB86_1750:
	s_mov_b32 s5, 0
.LBB86_1751:
	s_andn2_b32 vcc_lo, exec_lo, s5
	s_cbranch_vccnz .LBB86_1753
; %bb.1752:
	v_and_or_b32 v2, 0x1ff, v1, v0
	v_lshrrev_b32_e32 v3, 8, v1
	v_bfe_u32 v6, v1, 20, 11
	v_cmp_ne_u32_e32 vcc_lo, 0, v2
	v_sub_nc_u32_e32 v7, 0x3f1, v6
	v_add_nc_u32_e32 v6, 0xfffffc10, v6
	v_cndmask_b32_e64 v2, 0, 1, vcc_lo
	v_and_or_b32 v2, 0xffe, v3, v2
	v_med3_i32 v3, v7, 0, 13
	v_or_b32_e32 v7, 0x1000, v2
	v_lshrrev_b32_e32 v8, v3, v7
	v_lshlrev_b32_e32 v3, v3, v8
	v_cmp_ne_u32_e32 vcc_lo, v3, v7
	v_lshl_or_b32 v7, v6, 12, v2
	v_cndmask_b32_e64 v3, 0, 1, vcc_lo
	v_cmp_gt_i32_e32 vcc_lo, 1, v6
	v_or_b32_e32 v3, v8, v3
	v_cndmask_b32_e32 v3, v7, v3, vcc_lo
	v_and_b32_e32 v7, 7, v3
	v_lshrrev_b32_e32 v3, 2, v3
	v_cmp_lt_i32_e32 vcc_lo, 5, v7
	v_cndmask_b32_e64 v8, 0, 1, vcc_lo
	v_cmp_eq_u32_e32 vcc_lo, 3, v7
	v_cndmask_b32_e64 v7, 0, 1, vcc_lo
	v_cmp_ne_u32_e32 vcc_lo, 0, v2
	v_or_b32_e32 v7, v7, v8
	v_mov_b32_e32 v8, 0x7e00
	v_add_nc_u32_e32 v3, v3, v7
	v_cndmask_b32_e32 v2, 0x7c00, v8, vcc_lo
	v_cmp_gt_i32_e32 vcc_lo, 31, v6
	v_cndmask_b32_e32 v3, 0x7c00, v3, vcc_lo
	v_cmp_eq_u32_e32 vcc_lo, 0x40f, v6
	v_cndmask_b32_e32 v2, v3, v2, vcc_lo
	v_lshrrev_b32_e32 v3, 16, v1
	v_and_or_b32 v2, 0x8000, v3, v2
	v_and_b32_e32 v2, 0xffff, v2
	global_store_dword v[4:5], v2, off
.LBB86_1753:
	s_mov_b32 s5, 0
.LBB86_1754:
	s_andn2_b32 vcc_lo, exec_lo, s5
	s_cbranch_vccnz .LBB86_1763
; %bb.1755:
	s_cmp_lt_i32 s4, 6
	s_mov_b32 s5, -1
	s_cbranch_scc1 .LBB86_1761
; %bb.1756:
	s_cmp_gt_i32 s4, 6
	s_cbranch_scc0 .LBB86_1758
; %bb.1757:
	s_mov_b32 s5, 0
	global_store_dwordx2 v[4:5], v[0:1], off
.LBB86_1758:
	s_andn2_b32 vcc_lo, exec_lo, s5
	s_cbranch_vccnz .LBB86_1760
; %bb.1759:
	v_cvt_f32_f64_e32 v2, v[0:1]
	global_store_dword v[4:5], v2, off
.LBB86_1760:
	s_mov_b32 s5, 0
.LBB86_1761:
	s_andn2_b32 vcc_lo, exec_lo, s5
	s_cbranch_vccnz .LBB86_1763
; %bb.1762:
	v_and_or_b32 v2, 0x1ff, v1, v0
	v_lshrrev_b32_e32 v3, 8, v1
	v_bfe_u32 v6, v1, 20, 11
	v_cmp_ne_u32_e32 vcc_lo, 0, v2
	v_sub_nc_u32_e32 v7, 0x3f1, v6
	v_add_nc_u32_e32 v6, 0xfffffc10, v6
	v_cndmask_b32_e64 v2, 0, 1, vcc_lo
	v_and_or_b32 v2, 0xffe, v3, v2
	v_med3_i32 v3, v7, 0, 13
	v_or_b32_e32 v7, 0x1000, v2
	v_lshrrev_b32_e32 v8, v3, v7
	v_lshlrev_b32_e32 v3, v3, v8
	v_cmp_ne_u32_e32 vcc_lo, v3, v7
	v_lshl_or_b32 v7, v6, 12, v2
	v_cndmask_b32_e64 v3, 0, 1, vcc_lo
	v_cmp_gt_i32_e32 vcc_lo, 1, v6
	v_or_b32_e32 v3, v8, v3
	v_cndmask_b32_e32 v3, v7, v3, vcc_lo
	v_and_b32_e32 v7, 7, v3
	v_lshrrev_b32_e32 v3, 2, v3
	v_cmp_lt_i32_e32 vcc_lo, 5, v7
	v_cndmask_b32_e64 v8, 0, 1, vcc_lo
	v_cmp_eq_u32_e32 vcc_lo, 3, v7
	v_cndmask_b32_e64 v7, 0, 1, vcc_lo
	v_cmp_ne_u32_e32 vcc_lo, 0, v2
	v_or_b32_e32 v7, v7, v8
	v_mov_b32_e32 v8, 0x7e00
	v_add_nc_u32_e32 v3, v3, v7
	v_cndmask_b32_e32 v2, 0x7c00, v8, vcc_lo
	v_cmp_gt_i32_e32 vcc_lo, 31, v6
	v_cndmask_b32_e32 v3, 0x7c00, v3, vcc_lo
	v_cmp_eq_u32_e32 vcc_lo, 0x40f, v6
	v_cndmask_b32_e32 v2, v3, v2, vcc_lo
	v_lshrrev_b32_e32 v3, 16, v1
	v_and_or_b32 v2, 0x8000, v3, v2
	global_store_short v[4:5], v2, off
.LBB86_1763:
	s_mov_b32 s5, 0
.LBB86_1764:
	s_andn2_b32 vcc_lo, exec_lo, s5
	s_cbranch_vccnz .LBB86_1780
; %bb.1765:
	s_cmp_lt_i32 s4, 2
	s_mov_b32 s5, -1
	s_cbranch_scc1 .LBB86_1775
; %bb.1766:
	s_cmp_lt_i32 s4, 3
	s_cbranch_scc1 .LBB86_1772
; %bb.1767:
	s_cmp_gt_i32 s4, 3
	s_cbranch_scc0 .LBB86_1769
; %bb.1768:
	v_trunc_f64_e32 v[2:3], v[0:1]
	s_mov_b32 s5, 0
	v_ldexp_f64 v[6:7], v[2:3], 0xffffffe0
	v_floor_f64_e32 v[6:7], v[6:7]
	v_fma_f64 v[2:3], 0xc1f00000, v[6:7], v[2:3]
	v_cvt_i32_f64_e32 v7, v[6:7]
	v_cvt_u32_f64_e32 v6, v[2:3]
	global_store_dwordx2 v[4:5], v[6:7], off
.LBB86_1769:
	s_andn2_b32 vcc_lo, exec_lo, s5
	s_cbranch_vccnz .LBB86_1771
; %bb.1770:
	v_cvt_i32_f64_e32 v2, v[0:1]
	global_store_dword v[4:5], v2, off
.LBB86_1771:
	s_mov_b32 s5, 0
.LBB86_1772:
	s_andn2_b32 vcc_lo, exec_lo, s5
	s_cbranch_vccnz .LBB86_1774
; %bb.1773:
	v_cvt_i32_f64_e32 v2, v[0:1]
	global_store_short v[4:5], v2, off
.LBB86_1774:
	s_mov_b32 s5, 0
.LBB86_1775:
	s_andn2_b32 vcc_lo, exec_lo, s5
	s_cbranch_vccnz .LBB86_1780
; %bb.1776:
	s_cmp_gt_i32 s4, 0
	s_mov_b32 s4, -1
	s_cbranch_scc0 .LBB86_1778
; %bb.1777:
	v_cvt_i32_f64_e32 v2, v[0:1]
	s_mov_b32 s4, 0
	global_store_byte v[4:5], v2, off
.LBB86_1778:
	s_andn2_b32 vcc_lo, exec_lo, s4
	s_cbranch_vccnz .LBB86_1780
; %bb.1779:
	v_trunc_f64_e32 v[0:1], v[0:1]
	v_ldexp_f64 v[2:3], v[0:1], 0xffffffe0
	v_floor_f64_e32 v[2:3], v[2:3]
	v_fma_f64 v[0:1], 0xc1f00000, v[2:3], v[0:1]
	v_cvt_u32_f64_e32 v0, v[0:1]
	global_store_byte v[4:5], v0, off
.LBB86_1780:
	s_mov_b32 s7, -1
.LBB86_1781:
	s_andn2_b32 vcc_lo, exec_lo, s7
	s_cbranch_vccnz .LBB86_2096
; %bb.1782:
	v_mov_b32_e32 v0, s48
	v_mov_b32_e32 v1, s49
	;; [unrolled: 1-line block ×4, first 2 shown]
	s_getpc_b64 s[4:5]
	s_add_u32 s4, s4, _ZZZZN2at6native21polygamma_kernel_cudaERNS_18TensorIteratorBaseElENKUlvE_clEvENKUlvE_clEvENKUldE_clEd@rel32@lo+4
	s_addc_u32 s5, s5, _ZZZZN2at6native21polygamma_kernel_cudaERNS_18TensorIteratorBaseElENKUlvE_clEvENKUlvE_clEvENKUldE_clEd@rel32@hi+12
	s_swappc_b64 s[30:31], s[4:5]
	v_add_co_u32 v4, s4, s52, v54
	v_add_co_ci_u32_e64 v5, null, s53, 0, s4
	s_and_b32 s39, 0xffff, s54
	s_cmp_lt_i32 s39, 11
	s_cbranch_scc1 .LBB86_1860
; %bb.1783:
	s_mov_b32 s7, -1
	s_mov_b32 s5, 0
	s_cmp_gt_i32 s39, 25
	s_mov_b32 s6, 0
	s_mov_b32 s4, 0
	s_cbranch_scc0 .LBB86_1816
; %bb.1784:
	s_cmp_gt_i32 s39, 28
	s_cbranch_scc0 .LBB86_1799
; %bb.1785:
	s_cmp_gt_i32 s39, 43
	;; [unrolled: 3-line block ×3, first 2 shown]
	s_cbranch_scc0 .LBB86_1789
; %bb.1787:
	s_mov_b32 s4, -1
	s_mov_b32 s7, 0
	s_cmp_eq_u32 s39, 46
	s_cbranch_scc0 .LBB86_1789
; %bb.1788:
	v_cvt_f32_f64_e32 v2, v[0:1]
	s_mov_b32 s4, 0
	s_mov_b32 s6, -1
	v_bfe_u32 v3, v2, 16, 1
	v_cmp_o_f32_e32 vcc_lo, v2, v2
	v_add3_u32 v2, v2, v3, 0x7fff
	v_mov_b32_e32 v3, 0x7fc0
	v_cndmask_b32_sdwa v2, v3, v2, vcc_lo dst_sel:DWORD dst_unused:UNUSED_PAD src0_sel:DWORD src1_sel:WORD_1
	global_store_dword v[4:5], v2, off
.LBB86_1789:
	s_and_b32 vcc_lo, exec_lo, s7
	s_cbranch_vccz .LBB86_1794
; %bb.1790:
	s_cmp_eq_u32 s39, 44
	s_mov_b32 s4, -1
	s_cbranch_scc0 .LBB86_1794
; %bb.1791:
	v_cvt_f32_f64_e32 v2, v[0:1]
	v_mov_b32_e32 v3, 0xff
	s_mov_b32 s6, exec_lo
	v_bfe_u32 v6, v2, 23, 8
	v_cmpx_ne_u32_e32 0xff, v6
	s_cbranch_execz .LBB86_1793
; %bb.1792:
	v_and_b32_e32 v3, 0x400000, v2
	v_and_or_b32 v6, 0x3fffff, v2, v6
	v_lshrrev_b32_e32 v2, 23, v2
	v_cmp_ne_u32_e32 vcc_lo, 0, v3
	v_cmp_ne_u32_e64 s4, 0, v6
	s_and_b32 s4, vcc_lo, s4
	v_cndmask_b32_e64 v3, 0, 1, s4
	v_add_nc_u32_e32 v3, v2, v3
.LBB86_1793:
	s_or_b32 exec_lo, exec_lo, s6
	s_mov_b32 s4, 0
	s_mov_b32 s6, -1
	global_store_byte v[4:5], v3, off
.LBB86_1794:
	s_mov_b32 s7, 0
.LBB86_1795:
	s_and_b32 vcc_lo, exec_lo, s7
	s_cbranch_vccz .LBB86_1798
; %bb.1796:
	s_cmp_eq_u32 s39, 29
	s_mov_b32 s4, -1
	s_cbranch_scc0 .LBB86_1798
; %bb.1797:
	v_trunc_f64_e32 v[2:3], v[0:1]
	s_mov_b32 s4, 0
	s_mov_b32 s6, -1
	v_ldexp_f64 v[6:7], v[2:3], 0xffffffe0
	v_floor_f64_e32 v[6:7], v[6:7]
	v_fma_f64 v[2:3], 0xc1f00000, v[6:7], v[2:3]
	v_cvt_u32_f64_e32 v7, v[6:7]
	v_cvt_u32_f64_e32 v6, v[2:3]
	global_store_dwordx2 v[4:5], v[6:7], off
.LBB86_1798:
	s_mov_b32 s7, 0
.LBB86_1799:
	s_and_b32 vcc_lo, exec_lo, s7
	s_cbranch_vccz .LBB86_1815
; %bb.1800:
	s_cmp_lt_i32 s39, 27
	s_mov_b32 s6, -1
	s_cbranch_scc1 .LBB86_1806
; %bb.1801:
	s_cmp_gt_i32 s39, 27
	s_cbranch_scc0 .LBB86_1803
; %bb.1802:
	v_cvt_u32_f64_e32 v2, v[0:1]
	s_mov_b32 s6, 0
	global_store_dword v[4:5], v2, off
.LBB86_1803:
	s_andn2_b32 vcc_lo, exec_lo, s6
	s_cbranch_vccnz .LBB86_1805
; %bb.1804:
	v_cvt_u32_f64_e32 v2, v[0:1]
	global_store_short v[4:5], v2, off
.LBB86_1805:
	s_mov_b32 s6, 0
.LBB86_1806:
	s_andn2_b32 vcc_lo, exec_lo, s6
	s_cbranch_vccnz .LBB86_1814
; %bb.1807:
	v_cvt_f32_f64_e32 v2, v[0:1]
	v_mov_b32_e32 v6, 0x80
	s_mov_b32 s6, exec_lo
	v_and_b32_e32 v3, 0x7fffffff, v2
	v_cmpx_gt_u32_e32 0x43800000, v3
	s_cbranch_execz .LBB86_1813
; %bb.1808:
	v_cmp_lt_u32_e32 vcc_lo, 0x3bffffff, v3
	s_mov_b32 s7, 0
                                        ; implicit-def: $vgpr3
	s_and_saveexec_b32 s8, vcc_lo
	s_xor_b32 s8, exec_lo, s8
	s_cbranch_execz .LBB86_2148
; %bb.1809:
	v_bfe_u32 v3, v2, 20, 1
	s_mov_b32 s7, exec_lo
	v_add3_u32 v3, v2, v3, 0x487ffff
	v_lshrrev_b32_e32 v3, 20, v3
	s_andn2_saveexec_b32 s8, s8
	s_cbranch_execnz .LBB86_2149
.LBB86_1810:
	s_or_b32 exec_lo, exec_lo, s8
	v_mov_b32_e32 v6, 0
	s_and_saveexec_b32 s8, s7
.LBB86_1811:
	v_lshrrev_b32_e32 v2, 24, v2
	v_and_or_b32 v6, 0x80, v2, v3
.LBB86_1812:
	s_or_b32 exec_lo, exec_lo, s8
.LBB86_1813:
	s_or_b32 exec_lo, exec_lo, s6
	global_store_byte v[4:5], v6, off
.LBB86_1814:
	s_mov_b32 s6, -1
.LBB86_1815:
	s_mov_b32 s7, 0
.LBB86_1816:
	s_and_b32 vcc_lo, exec_lo, s7
	s_cbranch_vccz .LBB86_1856
; %bb.1817:
	s_cmp_gt_i32 s39, 22
	s_mov_b32 s5, -1
	s_cbranch_scc0 .LBB86_1849
; %bb.1818:
	s_cmp_lt_i32 s39, 24
	s_cbranch_scc1 .LBB86_1838
; %bb.1819:
	s_cmp_gt_i32 s39, 24
	s_cbranch_scc0 .LBB86_1827
; %bb.1820:
	v_cvt_f32_f64_e32 v2, v[0:1]
	v_mov_b32_e32 v6, 0x80
	s_mov_b32 s5, exec_lo
	v_and_b32_e32 v3, 0x7fffffff, v2
	v_cmpx_gt_u32_e32 0x47800000, v3
	s_cbranch_execz .LBB86_1826
; %bb.1821:
	v_cmp_lt_u32_e32 vcc_lo, 0x37ffffff, v3
	s_mov_b32 s6, 0
                                        ; implicit-def: $vgpr3
	s_and_saveexec_b32 s7, vcc_lo
	s_xor_b32 s7, exec_lo, s7
	s_cbranch_execz .LBB86_2151
; %bb.1822:
	v_bfe_u32 v3, v2, 21, 1
	s_mov_b32 s6, exec_lo
	v_add3_u32 v3, v2, v3, 0x88fffff
	v_lshrrev_b32_e32 v3, 21, v3
	s_andn2_saveexec_b32 s7, s7
	s_cbranch_execnz .LBB86_2152
.LBB86_1823:
	s_or_b32 exec_lo, exec_lo, s7
	v_mov_b32_e32 v6, 0
	s_and_saveexec_b32 s7, s6
.LBB86_1824:
	v_lshrrev_b32_e32 v2, 24, v2
	v_and_or_b32 v6, 0x80, v2, v3
.LBB86_1825:
	s_or_b32 exec_lo, exec_lo, s7
.LBB86_1826:
	s_or_b32 exec_lo, exec_lo, s5
	s_mov_b32 s5, 0
	global_store_byte v[4:5], v6, off
.LBB86_1827:
	s_and_b32 vcc_lo, exec_lo, s5
	s_cbranch_vccz .LBB86_1837
; %bb.1828:
	v_cvt_f32_f64_e32 v2, v[0:1]
	s_mov_b32 s5, exec_lo
                                        ; implicit-def: $vgpr3
	v_and_b32_e32 v6, 0x7fffffff, v2
	v_cmpx_gt_u32_e32 0x43f00000, v6
	s_xor_b32 s5, exec_lo, s5
	s_cbranch_execz .LBB86_1834
; %bb.1829:
	s_mov_b32 s6, exec_lo
                                        ; implicit-def: $vgpr3
	v_cmpx_lt_u32_e32 0x3c7fffff, v6
	s_xor_b32 s6, exec_lo, s6
; %bb.1830:
	v_bfe_u32 v3, v2, 20, 1
	v_add3_u32 v3, v2, v3, 0x407ffff
	v_and_b32_e32 v6, 0xff00000, v3
	v_lshrrev_b32_e32 v3, 20, v3
	v_cmp_ne_u32_e32 vcc_lo, 0x7f00000, v6
	v_cndmask_b32_e32 v3, 0x7e, v3, vcc_lo
; %bb.1831:
	s_andn2_saveexec_b32 s6, s6
; %bb.1832:
	v_add_f32_e64 v3, 0x46800000, |v2|
; %bb.1833:
	s_or_b32 exec_lo, exec_lo, s6
                                        ; implicit-def: $vgpr6
.LBB86_1834:
	s_andn2_saveexec_b32 s5, s5
; %bb.1835:
	v_mov_b32_e32 v3, 0x7f
	v_cmp_lt_u32_e32 vcc_lo, 0x7f800000, v6
	v_cndmask_b32_e32 v3, 0x7e, v3, vcc_lo
; %bb.1836:
	s_or_b32 exec_lo, exec_lo, s5
	v_lshrrev_b32_e32 v2, 24, v2
	v_and_or_b32 v2, 0x80, v2, v3
	global_store_byte v[4:5], v2, off
.LBB86_1837:
	s_mov_b32 s5, 0
.LBB86_1838:
	s_andn2_b32 vcc_lo, exec_lo, s5
	s_cbranch_vccnz .LBB86_1848
; %bb.1839:
	v_cvt_f32_f64_e32 v2, v[0:1]
	s_mov_b32 s5, exec_lo
                                        ; implicit-def: $vgpr3
	v_and_b32_e32 v6, 0x7fffffff, v2
	v_cmpx_gt_u32_e32 0x47800000, v6
	s_xor_b32 s5, exec_lo, s5
	s_cbranch_execz .LBB86_1845
; %bb.1840:
	s_mov_b32 s6, exec_lo
                                        ; implicit-def: $vgpr3
	v_cmpx_lt_u32_e32 0x387fffff, v6
	s_xor_b32 s6, exec_lo, s6
; %bb.1841:
	v_bfe_u32 v3, v2, 21, 1
	v_add3_u32 v3, v2, v3, 0x80fffff
	v_lshrrev_b32_e32 v3, 21, v3
; %bb.1842:
	s_andn2_saveexec_b32 s6, s6
; %bb.1843:
	v_add_f32_e64 v3, 0x43000000, |v2|
; %bb.1844:
	s_or_b32 exec_lo, exec_lo, s6
                                        ; implicit-def: $vgpr6
.LBB86_1845:
	s_andn2_saveexec_b32 s5, s5
; %bb.1846:
	v_mov_b32_e32 v3, 0x7f
	v_cmp_lt_u32_e32 vcc_lo, 0x7f800000, v6
	v_cndmask_b32_e32 v3, 0x7c, v3, vcc_lo
; %bb.1847:
	s_or_b32 exec_lo, exec_lo, s5
	v_lshrrev_b32_e32 v2, 24, v2
	v_and_or_b32 v2, 0x80, v2, v3
	global_store_byte v[4:5], v2, off
.LBB86_1848:
	s_mov_b32 s5, 0
	s_mov_b32 s6, -1
.LBB86_1849:
	s_andn2_b32 vcc_lo, exec_lo, s5
	s_mov_b32 s5, 0
	s_cbranch_vccnz .LBB86_1856
; %bb.1850:
	s_cmp_gt_i32 s39, 14
	s_mov_b32 s5, -1
	s_cbranch_scc0 .LBB86_1854
; %bb.1851:
	s_cmp_eq_u32 s39, 15
	s_mov_b32 s4, -1
	s_cbranch_scc0 .LBB86_1853
; %bb.1852:
	v_cvt_f32_f64_e32 v2, v[0:1]
	s_mov_b32 s4, 0
	s_mov_b32 s6, -1
	v_bfe_u32 v3, v2, 16, 1
	v_cmp_o_f32_e32 vcc_lo, v2, v2
	v_add3_u32 v2, v2, v3, 0x7fff
	v_mov_b32_e32 v3, 0x7fc0
	v_cndmask_b32_sdwa v2, v3, v2, vcc_lo dst_sel:DWORD dst_unused:UNUSED_PAD src0_sel:DWORD src1_sel:WORD_1
	global_store_short v[4:5], v2, off
.LBB86_1853:
	s_mov_b32 s5, 0
.LBB86_1854:
	s_and_b32 vcc_lo, exec_lo, s5
	s_mov_b32 s5, 0
	s_cbranch_vccz .LBB86_1856
; %bb.1855:
	s_cmp_lg_u32 s39, 11
	s_mov_b32 s5, -1
	s_cselect_b32 s4, -1, 0
.LBB86_1856:
	s_and_b32 vcc_lo, exec_lo, s4
	s_cbranch_vccnz .LBB86_2150
; %bb.1857:
	s_andn2_b32 vcc_lo, exec_lo, s5
	s_cbranch_vccnz .LBB86_1859
.LBB86_1858:
	v_cmp_neq_f64_e32 vcc_lo, 0, v[0:1]
	s_mov_b32 s6, -1
	v_cndmask_b32_e64 v2, 0, 1, vcc_lo
	global_store_byte v[4:5], v2, off
.LBB86_1859:
	s_mov_b32 s4, 0
	s_branch .LBB86_1861
.LBB86_1860:
	s_mov_b32 s4, -1
	s_mov_b32 s6, 0
.LBB86_1861:
	s_and_b32 vcc_lo, exec_lo, s4
	s_cbranch_vccz .LBB86_1900
; %bb.1862:
	s_cmp_lt_i32 s39, 5
	s_mov_b32 s4, -1
	s_cbranch_scc1 .LBB86_1883
; %bb.1863:
	s_cmp_lt_i32 s39, 8
	s_cbranch_scc1 .LBB86_1873
; %bb.1864:
	s_cmp_lt_i32 s39, 9
	s_cbranch_scc1 .LBB86_1870
; %bb.1865:
	s_cmp_gt_i32 s39, 9
	s_cbranch_scc0 .LBB86_1867
; %bb.1866:
	v_mov_b32_e32 v2, 0
	s_mov_b32 s4, 0
	v_mov_b32_e32 v3, v2
	global_store_dwordx4 v[4:5], v[0:3], off
.LBB86_1867:
	s_andn2_b32 vcc_lo, exec_lo, s4
	s_cbranch_vccnz .LBB86_1869
; %bb.1868:
	v_cvt_f32_f64_e32 v2, v[0:1]
	v_mov_b32_e32 v3, 0
	global_store_dwordx2 v[4:5], v[2:3], off
.LBB86_1869:
	s_mov_b32 s4, 0
.LBB86_1870:
	s_andn2_b32 vcc_lo, exec_lo, s4
	s_cbranch_vccnz .LBB86_1872
; %bb.1871:
	v_and_or_b32 v2, 0x1ff, v1, v0
	v_lshrrev_b32_e32 v3, 8, v1
	v_bfe_u32 v6, v1, 20, 11
	v_cmp_ne_u32_e32 vcc_lo, 0, v2
	v_sub_nc_u32_e32 v7, 0x3f1, v6
	v_add_nc_u32_e32 v6, 0xfffffc10, v6
	v_cndmask_b32_e64 v2, 0, 1, vcc_lo
	v_and_or_b32 v2, 0xffe, v3, v2
	v_med3_i32 v3, v7, 0, 13
	v_or_b32_e32 v7, 0x1000, v2
	v_lshrrev_b32_e32 v8, v3, v7
	v_lshlrev_b32_e32 v3, v3, v8
	v_cmp_ne_u32_e32 vcc_lo, v3, v7
	v_lshl_or_b32 v7, v6, 12, v2
	v_cndmask_b32_e64 v3, 0, 1, vcc_lo
	v_cmp_gt_i32_e32 vcc_lo, 1, v6
	v_or_b32_e32 v3, v8, v3
	v_cndmask_b32_e32 v3, v7, v3, vcc_lo
	v_and_b32_e32 v7, 7, v3
	v_lshrrev_b32_e32 v3, 2, v3
	v_cmp_lt_i32_e32 vcc_lo, 5, v7
	v_cndmask_b32_e64 v8, 0, 1, vcc_lo
	v_cmp_eq_u32_e32 vcc_lo, 3, v7
	v_cndmask_b32_e64 v7, 0, 1, vcc_lo
	v_cmp_ne_u32_e32 vcc_lo, 0, v2
	v_or_b32_e32 v7, v7, v8
	v_mov_b32_e32 v8, 0x7e00
	v_add_nc_u32_e32 v3, v3, v7
	v_cndmask_b32_e32 v2, 0x7c00, v8, vcc_lo
	v_cmp_gt_i32_e32 vcc_lo, 31, v6
	v_cndmask_b32_e32 v3, 0x7c00, v3, vcc_lo
	v_cmp_eq_u32_e32 vcc_lo, 0x40f, v6
	v_cndmask_b32_e32 v2, v3, v2, vcc_lo
	v_lshrrev_b32_e32 v3, 16, v1
	v_and_or_b32 v2, 0x8000, v3, v2
	v_and_b32_e32 v2, 0xffff, v2
	global_store_dword v[4:5], v2, off
.LBB86_1872:
	s_mov_b32 s4, 0
.LBB86_1873:
	s_andn2_b32 vcc_lo, exec_lo, s4
	s_cbranch_vccnz .LBB86_1882
; %bb.1874:
	s_cmp_lt_i32 s39, 6
	s_mov_b32 s4, -1
	s_cbranch_scc1 .LBB86_1880
; %bb.1875:
	s_cmp_gt_i32 s39, 6
	s_cbranch_scc0 .LBB86_1877
; %bb.1876:
	s_mov_b32 s4, 0
	global_store_dwordx2 v[4:5], v[0:1], off
.LBB86_1877:
	s_andn2_b32 vcc_lo, exec_lo, s4
	s_cbranch_vccnz .LBB86_1879
; %bb.1878:
	v_cvt_f32_f64_e32 v2, v[0:1]
	global_store_dword v[4:5], v2, off
.LBB86_1879:
	s_mov_b32 s4, 0
.LBB86_1880:
	s_andn2_b32 vcc_lo, exec_lo, s4
	s_cbranch_vccnz .LBB86_1882
; %bb.1881:
	v_and_or_b32 v2, 0x1ff, v1, v0
	v_lshrrev_b32_e32 v3, 8, v1
	v_bfe_u32 v6, v1, 20, 11
	v_cmp_ne_u32_e32 vcc_lo, 0, v2
	v_sub_nc_u32_e32 v7, 0x3f1, v6
	v_add_nc_u32_e32 v6, 0xfffffc10, v6
	v_cndmask_b32_e64 v2, 0, 1, vcc_lo
	v_and_or_b32 v2, 0xffe, v3, v2
	v_med3_i32 v3, v7, 0, 13
	v_or_b32_e32 v7, 0x1000, v2
	v_lshrrev_b32_e32 v8, v3, v7
	v_lshlrev_b32_e32 v3, v3, v8
	v_cmp_ne_u32_e32 vcc_lo, v3, v7
	v_lshl_or_b32 v7, v6, 12, v2
	v_cndmask_b32_e64 v3, 0, 1, vcc_lo
	v_cmp_gt_i32_e32 vcc_lo, 1, v6
	v_or_b32_e32 v3, v8, v3
	v_cndmask_b32_e32 v3, v7, v3, vcc_lo
	v_and_b32_e32 v7, 7, v3
	v_lshrrev_b32_e32 v3, 2, v3
	v_cmp_lt_i32_e32 vcc_lo, 5, v7
	v_cndmask_b32_e64 v8, 0, 1, vcc_lo
	v_cmp_eq_u32_e32 vcc_lo, 3, v7
	v_cndmask_b32_e64 v7, 0, 1, vcc_lo
	v_cmp_ne_u32_e32 vcc_lo, 0, v2
	v_or_b32_e32 v7, v7, v8
	v_mov_b32_e32 v8, 0x7e00
	v_add_nc_u32_e32 v3, v3, v7
	v_cndmask_b32_e32 v2, 0x7c00, v8, vcc_lo
	v_cmp_gt_i32_e32 vcc_lo, 31, v6
	v_cndmask_b32_e32 v3, 0x7c00, v3, vcc_lo
	v_cmp_eq_u32_e32 vcc_lo, 0x40f, v6
	v_cndmask_b32_e32 v2, v3, v2, vcc_lo
	v_lshrrev_b32_e32 v3, 16, v1
	v_and_or_b32 v2, 0x8000, v3, v2
	global_store_short v[4:5], v2, off
.LBB86_1882:
	s_mov_b32 s4, 0
.LBB86_1883:
	s_andn2_b32 vcc_lo, exec_lo, s4
	s_cbranch_vccnz .LBB86_1899
; %bb.1884:
	s_cmp_lt_i32 s39, 2
	s_mov_b32 s4, -1
	s_cbranch_scc1 .LBB86_1894
; %bb.1885:
	s_cmp_lt_i32 s39, 3
	s_cbranch_scc1 .LBB86_1891
; %bb.1886:
	s_cmp_gt_i32 s39, 3
	s_cbranch_scc0 .LBB86_1888
; %bb.1887:
	v_trunc_f64_e32 v[2:3], v[0:1]
	s_mov_b32 s4, 0
	v_ldexp_f64 v[6:7], v[2:3], 0xffffffe0
	v_floor_f64_e32 v[6:7], v[6:7]
	v_fma_f64 v[2:3], 0xc1f00000, v[6:7], v[2:3]
	v_cvt_i32_f64_e32 v7, v[6:7]
	v_cvt_u32_f64_e32 v6, v[2:3]
	global_store_dwordx2 v[4:5], v[6:7], off
.LBB86_1888:
	s_andn2_b32 vcc_lo, exec_lo, s4
	s_cbranch_vccnz .LBB86_1890
; %bb.1889:
	v_cvt_i32_f64_e32 v2, v[0:1]
	global_store_dword v[4:5], v2, off
.LBB86_1890:
	s_mov_b32 s4, 0
.LBB86_1891:
	s_andn2_b32 vcc_lo, exec_lo, s4
	s_cbranch_vccnz .LBB86_1893
; %bb.1892:
	v_cvt_i32_f64_e32 v2, v[0:1]
	global_store_short v[4:5], v2, off
.LBB86_1893:
	s_mov_b32 s4, 0
.LBB86_1894:
	s_andn2_b32 vcc_lo, exec_lo, s4
	s_cbranch_vccnz .LBB86_1899
; %bb.1895:
	s_cmp_gt_i32 s39, 0
	s_mov_b32 s4, -1
	s_cbranch_scc0 .LBB86_1897
; %bb.1896:
	v_cvt_i32_f64_e32 v2, v[0:1]
	s_mov_b32 s4, 0
	global_store_byte v[4:5], v2, off
.LBB86_1897:
	s_andn2_b32 vcc_lo, exec_lo, s4
	s_cbranch_vccnz .LBB86_1899
; %bb.1898:
	v_trunc_f64_e32 v[0:1], v[0:1]
	v_ldexp_f64 v[2:3], v[0:1], 0xffffffe0
	v_floor_f64_e32 v[2:3], v[2:3]
	v_fma_f64 v[0:1], 0xc1f00000, v[2:3], v[0:1]
	v_cvt_u32_f64_e32 v0, v[0:1]
	global_store_byte v[4:5], v0, off
.LBB86_1899:
	s_mov_b32 s6, -1
.LBB86_1900:
	s_andn2_b32 vcc_lo, exec_lo, s6
	s_cbranch_vccnz .LBB86_2096
; %bb.1901:
	v_mov_b32_e32 v0, s48
	v_mov_b32_e32 v1, s49
	;; [unrolled: 1-line block ×4, first 2 shown]
	s_getpc_b64 s[4:5]
	s_add_u32 s4, s4, _ZZZZN2at6native21polygamma_kernel_cudaERNS_18TensorIteratorBaseElENKUlvE_clEvENKUlvE_clEvENKUldE_clEd@rel32@lo+4
	s_addc_u32 s5, s5, _ZZZZN2at6native21polygamma_kernel_cudaERNS_18TensorIteratorBaseElENKUlvE_clEvENKUlvE_clEvENKUldE_clEd@rel32@hi+12
	s_swappc_b64 s[30:31], s[4:5]
	v_add_co_u32 v4, s4, s52, v52
	v_add_co_ci_u32_e64 v5, null, s53, 0, s4
	s_cmp_lt_i32 s39, 11
	s_cbranch_scc1 .LBB86_1979
; %bb.1902:
	s_mov_b32 s7, -1
	s_mov_b32 s5, 0
	s_cmp_gt_i32 s39, 25
	s_mov_b32 s6, 0
	s_mov_b32 s4, 0
	s_cbranch_scc0 .LBB86_1935
; %bb.1903:
	s_cmp_gt_i32 s39, 28
	s_cbranch_scc0 .LBB86_1918
; %bb.1904:
	s_cmp_gt_i32 s39, 43
	;; [unrolled: 3-line block ×3, first 2 shown]
	s_cbranch_scc0 .LBB86_1908
; %bb.1906:
	s_mov_b32 s4, -1
	s_mov_b32 s7, 0
	s_cmp_eq_u32 s39, 46
	s_cbranch_scc0 .LBB86_1908
; %bb.1907:
	v_cvt_f32_f64_e32 v2, v[0:1]
	s_mov_b32 s4, 0
	s_mov_b32 s6, -1
	v_bfe_u32 v3, v2, 16, 1
	v_cmp_o_f32_e32 vcc_lo, v2, v2
	v_add3_u32 v2, v2, v3, 0x7fff
	v_mov_b32_e32 v3, 0x7fc0
	v_cndmask_b32_sdwa v2, v3, v2, vcc_lo dst_sel:DWORD dst_unused:UNUSED_PAD src0_sel:DWORD src1_sel:WORD_1
	global_store_dword v[4:5], v2, off
.LBB86_1908:
	s_and_b32 vcc_lo, exec_lo, s7
	s_cbranch_vccz .LBB86_1913
; %bb.1909:
	s_cmp_eq_u32 s39, 44
	s_mov_b32 s4, -1
	s_cbranch_scc0 .LBB86_1913
; %bb.1910:
	v_cvt_f32_f64_e32 v2, v[0:1]
	v_mov_b32_e32 v3, 0xff
	s_mov_b32 s6, exec_lo
	v_bfe_u32 v6, v2, 23, 8
	v_cmpx_ne_u32_e32 0xff, v6
	s_cbranch_execz .LBB86_1912
; %bb.1911:
	v_and_b32_e32 v3, 0x400000, v2
	v_and_or_b32 v6, 0x3fffff, v2, v6
	v_lshrrev_b32_e32 v2, 23, v2
	v_cmp_ne_u32_e32 vcc_lo, 0, v3
	v_cmp_ne_u32_e64 s4, 0, v6
	s_and_b32 s4, vcc_lo, s4
	v_cndmask_b32_e64 v3, 0, 1, s4
	v_add_nc_u32_e32 v3, v2, v3
.LBB86_1912:
	s_or_b32 exec_lo, exec_lo, s6
	s_mov_b32 s4, 0
	s_mov_b32 s6, -1
	global_store_byte v[4:5], v3, off
.LBB86_1913:
	s_mov_b32 s7, 0
.LBB86_1914:
	s_and_b32 vcc_lo, exec_lo, s7
	s_cbranch_vccz .LBB86_1917
; %bb.1915:
	s_cmp_eq_u32 s39, 29
	s_mov_b32 s4, -1
	s_cbranch_scc0 .LBB86_1917
; %bb.1916:
	v_trunc_f64_e32 v[2:3], v[0:1]
	s_mov_b32 s4, 0
	s_mov_b32 s6, -1
	v_ldexp_f64 v[6:7], v[2:3], 0xffffffe0
	v_floor_f64_e32 v[6:7], v[6:7]
	v_fma_f64 v[2:3], 0xc1f00000, v[6:7], v[2:3]
	v_cvt_u32_f64_e32 v7, v[6:7]
	v_cvt_u32_f64_e32 v6, v[2:3]
	global_store_dwordx2 v[4:5], v[6:7], off
.LBB86_1917:
	s_mov_b32 s7, 0
.LBB86_1918:
	s_and_b32 vcc_lo, exec_lo, s7
	s_cbranch_vccz .LBB86_1934
; %bb.1919:
	s_cmp_lt_i32 s39, 27
	s_mov_b32 s6, -1
	s_cbranch_scc1 .LBB86_1925
; %bb.1920:
	v_cvt_u32_f64_e32 v2, v[0:1]
	s_cmp_gt_i32 s39, 27
	s_cbranch_scc0 .LBB86_1922
; %bb.1921:
	s_mov_b32 s6, 0
	global_store_dword v[4:5], v2, off
.LBB86_1922:
	s_andn2_b32 vcc_lo, exec_lo, s6
	s_cbranch_vccnz .LBB86_1924
; %bb.1923:
	global_store_short v[4:5], v2, off
.LBB86_1924:
	s_mov_b32 s6, 0
.LBB86_1925:
	s_andn2_b32 vcc_lo, exec_lo, s6
	s_cbranch_vccnz .LBB86_1933
; %bb.1926:
	v_cvt_f32_f64_e32 v2, v[0:1]
	v_mov_b32_e32 v6, 0x80
	s_mov_b32 s6, exec_lo
	v_and_b32_e32 v3, 0x7fffffff, v2
	v_cmpx_gt_u32_e32 0x43800000, v3
	s_cbranch_execz .LBB86_1932
; %bb.1927:
	v_cmp_lt_u32_e32 vcc_lo, 0x3bffffff, v3
	s_mov_b32 s7, 0
                                        ; implicit-def: $vgpr3
	s_and_saveexec_b32 s8, vcc_lo
	s_xor_b32 s8, exec_lo, s8
	s_cbranch_execz .LBB86_2153
; %bb.1928:
	v_bfe_u32 v3, v2, 20, 1
	s_mov_b32 s7, exec_lo
	v_add3_u32 v3, v2, v3, 0x487ffff
	v_lshrrev_b32_e32 v3, 20, v3
	s_andn2_saveexec_b32 s8, s8
	s_cbranch_execnz .LBB86_2154
.LBB86_1929:
	s_or_b32 exec_lo, exec_lo, s8
	v_mov_b32_e32 v6, 0
	s_and_saveexec_b32 s8, s7
.LBB86_1930:
	v_lshrrev_b32_e32 v2, 24, v2
	v_and_or_b32 v6, 0x80, v2, v3
.LBB86_1931:
	s_or_b32 exec_lo, exec_lo, s8
.LBB86_1932:
	s_or_b32 exec_lo, exec_lo, s6
	global_store_byte v[4:5], v6, off
.LBB86_1933:
	s_mov_b32 s6, -1
.LBB86_1934:
	s_mov_b32 s7, 0
.LBB86_1935:
	s_and_b32 vcc_lo, exec_lo, s7
	s_cbranch_vccz .LBB86_1975
; %bb.1936:
	s_cmp_gt_i32 s39, 22
	s_mov_b32 s5, -1
	s_cbranch_scc0 .LBB86_1968
; %bb.1937:
	s_cmp_lt_i32 s39, 24
	s_cbranch_scc1 .LBB86_1957
; %bb.1938:
	s_cmp_gt_i32 s39, 24
	s_cbranch_scc0 .LBB86_1946
; %bb.1939:
	v_cvt_f32_f64_e32 v2, v[0:1]
	v_mov_b32_e32 v6, 0x80
	s_mov_b32 s5, exec_lo
	v_and_b32_e32 v3, 0x7fffffff, v2
	v_cmpx_gt_u32_e32 0x47800000, v3
	s_cbranch_execz .LBB86_1945
; %bb.1940:
	v_cmp_lt_u32_e32 vcc_lo, 0x37ffffff, v3
	s_mov_b32 s6, 0
                                        ; implicit-def: $vgpr3
	s_and_saveexec_b32 s7, vcc_lo
	s_xor_b32 s7, exec_lo, s7
	s_cbranch_execz .LBB86_2156
; %bb.1941:
	v_bfe_u32 v3, v2, 21, 1
	s_mov_b32 s6, exec_lo
	v_add3_u32 v3, v2, v3, 0x88fffff
	v_lshrrev_b32_e32 v3, 21, v3
	s_andn2_saveexec_b32 s7, s7
	s_cbranch_execnz .LBB86_2157
.LBB86_1942:
	s_or_b32 exec_lo, exec_lo, s7
	v_mov_b32_e32 v6, 0
	s_and_saveexec_b32 s7, s6
.LBB86_1943:
	v_lshrrev_b32_e32 v2, 24, v2
	v_and_or_b32 v6, 0x80, v2, v3
.LBB86_1944:
	s_or_b32 exec_lo, exec_lo, s7
.LBB86_1945:
	s_or_b32 exec_lo, exec_lo, s5
	s_mov_b32 s5, 0
	global_store_byte v[4:5], v6, off
.LBB86_1946:
	s_and_b32 vcc_lo, exec_lo, s5
	s_cbranch_vccz .LBB86_1956
; %bb.1947:
	v_cvt_f32_f64_e32 v2, v[0:1]
	s_mov_b32 s5, exec_lo
                                        ; implicit-def: $vgpr3
	v_and_b32_e32 v6, 0x7fffffff, v2
	v_cmpx_gt_u32_e32 0x43f00000, v6
	s_xor_b32 s5, exec_lo, s5
	s_cbranch_execz .LBB86_1953
; %bb.1948:
	s_mov_b32 s6, exec_lo
                                        ; implicit-def: $vgpr3
	v_cmpx_lt_u32_e32 0x3c7fffff, v6
	s_xor_b32 s6, exec_lo, s6
; %bb.1949:
	v_bfe_u32 v3, v2, 20, 1
	v_add3_u32 v3, v2, v3, 0x407ffff
	v_and_b32_e32 v6, 0xff00000, v3
	v_lshrrev_b32_e32 v3, 20, v3
	v_cmp_ne_u32_e32 vcc_lo, 0x7f00000, v6
	v_cndmask_b32_e32 v3, 0x7e, v3, vcc_lo
; %bb.1950:
	s_andn2_saveexec_b32 s6, s6
; %bb.1951:
	v_add_f32_e64 v3, 0x46800000, |v2|
; %bb.1952:
	s_or_b32 exec_lo, exec_lo, s6
                                        ; implicit-def: $vgpr6
.LBB86_1953:
	s_andn2_saveexec_b32 s5, s5
; %bb.1954:
	v_mov_b32_e32 v3, 0x7f
	v_cmp_lt_u32_e32 vcc_lo, 0x7f800000, v6
	v_cndmask_b32_e32 v3, 0x7e, v3, vcc_lo
; %bb.1955:
	s_or_b32 exec_lo, exec_lo, s5
	v_lshrrev_b32_e32 v2, 24, v2
	v_and_or_b32 v2, 0x80, v2, v3
	global_store_byte v[4:5], v2, off
.LBB86_1956:
	s_mov_b32 s5, 0
.LBB86_1957:
	s_andn2_b32 vcc_lo, exec_lo, s5
	s_cbranch_vccnz .LBB86_1967
; %bb.1958:
	v_cvt_f32_f64_e32 v2, v[0:1]
	s_mov_b32 s5, exec_lo
                                        ; implicit-def: $vgpr3
	v_and_b32_e32 v6, 0x7fffffff, v2
	v_cmpx_gt_u32_e32 0x47800000, v6
	s_xor_b32 s5, exec_lo, s5
	s_cbranch_execz .LBB86_1964
; %bb.1959:
	s_mov_b32 s6, exec_lo
                                        ; implicit-def: $vgpr3
	v_cmpx_lt_u32_e32 0x387fffff, v6
	s_xor_b32 s6, exec_lo, s6
; %bb.1960:
	v_bfe_u32 v3, v2, 21, 1
	v_add3_u32 v3, v2, v3, 0x80fffff
	v_lshrrev_b32_e32 v3, 21, v3
; %bb.1961:
	s_andn2_saveexec_b32 s6, s6
; %bb.1962:
	v_add_f32_e64 v3, 0x43000000, |v2|
; %bb.1963:
	s_or_b32 exec_lo, exec_lo, s6
                                        ; implicit-def: $vgpr6
.LBB86_1964:
	s_andn2_saveexec_b32 s5, s5
; %bb.1965:
	v_mov_b32_e32 v3, 0x7f
	v_cmp_lt_u32_e32 vcc_lo, 0x7f800000, v6
	v_cndmask_b32_e32 v3, 0x7c, v3, vcc_lo
; %bb.1966:
	s_or_b32 exec_lo, exec_lo, s5
	v_lshrrev_b32_e32 v2, 24, v2
	v_and_or_b32 v2, 0x80, v2, v3
	global_store_byte v[4:5], v2, off
.LBB86_1967:
	s_mov_b32 s5, 0
	s_mov_b32 s6, -1
.LBB86_1968:
	s_andn2_b32 vcc_lo, exec_lo, s5
	s_mov_b32 s5, 0
	s_cbranch_vccnz .LBB86_1975
; %bb.1969:
	s_cmp_gt_i32 s39, 14
	s_mov_b32 s5, -1
	s_cbranch_scc0 .LBB86_1973
; %bb.1970:
	s_cmp_eq_u32 s39, 15
	s_mov_b32 s4, -1
	s_cbranch_scc0 .LBB86_1972
; %bb.1971:
	v_cvt_f32_f64_e32 v2, v[0:1]
	s_mov_b32 s4, 0
	s_mov_b32 s6, -1
	v_bfe_u32 v3, v2, 16, 1
	v_cmp_o_f32_e32 vcc_lo, v2, v2
	v_add3_u32 v2, v2, v3, 0x7fff
	v_mov_b32_e32 v3, 0x7fc0
	v_cndmask_b32_sdwa v2, v3, v2, vcc_lo dst_sel:DWORD dst_unused:UNUSED_PAD src0_sel:DWORD src1_sel:WORD_1
	global_store_short v[4:5], v2, off
.LBB86_1972:
	s_mov_b32 s5, 0
.LBB86_1973:
	s_and_b32 vcc_lo, exec_lo, s5
	s_mov_b32 s5, 0
	s_cbranch_vccz .LBB86_1975
; %bb.1974:
	s_cmp_lg_u32 s39, 11
	s_mov_b32 s5, -1
	s_cselect_b32 s4, -1, 0
.LBB86_1975:
	s_and_b32 vcc_lo, exec_lo, s4
	s_cbranch_vccnz .LBB86_2155
; %bb.1976:
	s_andn2_b32 vcc_lo, exec_lo, s5
	s_cbranch_vccnz .LBB86_1978
.LBB86_1977:
	v_cmp_neq_f64_e32 vcc_lo, 0, v[0:1]
	s_mov_b32 s6, -1
	v_cndmask_b32_e64 v2, 0, 1, vcc_lo
	global_store_byte v[4:5], v2, off
.LBB86_1978:
	s_mov_b32 s4, 0
	s_branch .LBB86_1980
.LBB86_1979:
	s_mov_b32 s4, -1
	s_mov_b32 s6, 0
.LBB86_1980:
	s_and_b32 vcc_lo, exec_lo, s4
	s_cbranch_vccz .LBB86_2019
; %bb.1981:
	s_cmp_lt_i32 s39, 5
	s_mov_b32 s4, -1
	s_cbranch_scc1 .LBB86_2002
; %bb.1982:
	s_cmp_lt_i32 s39, 8
	s_cbranch_scc1 .LBB86_1992
; %bb.1983:
	s_cmp_lt_i32 s39, 9
	s_cbranch_scc1 .LBB86_1989
; %bb.1984:
	s_cmp_gt_i32 s39, 9
	s_cbranch_scc0 .LBB86_1986
; %bb.1985:
	v_mov_b32_e32 v2, 0
	s_mov_b32 s4, 0
	v_mov_b32_e32 v3, v2
	global_store_dwordx4 v[4:5], v[0:3], off
.LBB86_1986:
	s_andn2_b32 vcc_lo, exec_lo, s4
	s_cbranch_vccnz .LBB86_1988
; %bb.1987:
	v_cvt_f32_f64_e32 v2, v[0:1]
	v_mov_b32_e32 v3, 0
	global_store_dwordx2 v[4:5], v[2:3], off
.LBB86_1988:
	s_mov_b32 s4, 0
.LBB86_1989:
	s_andn2_b32 vcc_lo, exec_lo, s4
	s_cbranch_vccnz .LBB86_1991
; %bb.1990:
	v_and_or_b32 v2, 0x1ff, v1, v0
	v_lshrrev_b32_e32 v3, 8, v1
	v_bfe_u32 v6, v1, 20, 11
	v_cmp_ne_u32_e32 vcc_lo, 0, v2
	v_sub_nc_u32_e32 v7, 0x3f1, v6
	v_add_nc_u32_e32 v6, 0xfffffc10, v6
	v_cndmask_b32_e64 v2, 0, 1, vcc_lo
	v_and_or_b32 v2, 0xffe, v3, v2
	v_med3_i32 v3, v7, 0, 13
	v_or_b32_e32 v7, 0x1000, v2
	v_lshrrev_b32_e32 v8, v3, v7
	v_lshlrev_b32_e32 v3, v3, v8
	v_cmp_ne_u32_e32 vcc_lo, v3, v7
	v_lshl_or_b32 v7, v6, 12, v2
	v_cndmask_b32_e64 v3, 0, 1, vcc_lo
	v_cmp_gt_i32_e32 vcc_lo, 1, v6
	v_or_b32_e32 v3, v8, v3
	v_cndmask_b32_e32 v3, v7, v3, vcc_lo
	v_and_b32_e32 v7, 7, v3
	v_lshrrev_b32_e32 v3, 2, v3
	v_cmp_lt_i32_e32 vcc_lo, 5, v7
	v_cndmask_b32_e64 v8, 0, 1, vcc_lo
	v_cmp_eq_u32_e32 vcc_lo, 3, v7
	v_cndmask_b32_e64 v7, 0, 1, vcc_lo
	v_cmp_ne_u32_e32 vcc_lo, 0, v2
	v_or_b32_e32 v7, v7, v8
	v_mov_b32_e32 v8, 0x7e00
	v_add_nc_u32_e32 v3, v3, v7
	v_cndmask_b32_e32 v2, 0x7c00, v8, vcc_lo
	v_cmp_gt_i32_e32 vcc_lo, 31, v6
	v_cndmask_b32_e32 v3, 0x7c00, v3, vcc_lo
	v_cmp_eq_u32_e32 vcc_lo, 0x40f, v6
	v_cndmask_b32_e32 v2, v3, v2, vcc_lo
	v_lshrrev_b32_e32 v3, 16, v1
	v_and_or_b32 v2, 0x8000, v3, v2
	v_and_b32_e32 v2, 0xffff, v2
	global_store_dword v[4:5], v2, off
.LBB86_1991:
	s_mov_b32 s4, 0
.LBB86_1992:
	s_andn2_b32 vcc_lo, exec_lo, s4
	s_cbranch_vccnz .LBB86_2001
; %bb.1993:
	s_cmp_lt_i32 s39, 6
	s_mov_b32 s4, -1
	s_cbranch_scc1 .LBB86_1999
; %bb.1994:
	s_cmp_gt_i32 s39, 6
	s_cbranch_scc0 .LBB86_1996
; %bb.1995:
	s_mov_b32 s4, 0
	global_store_dwordx2 v[4:5], v[0:1], off
.LBB86_1996:
	s_andn2_b32 vcc_lo, exec_lo, s4
	s_cbranch_vccnz .LBB86_1998
; %bb.1997:
	v_cvt_f32_f64_e32 v2, v[0:1]
	global_store_dword v[4:5], v2, off
.LBB86_1998:
	s_mov_b32 s4, 0
.LBB86_1999:
	s_andn2_b32 vcc_lo, exec_lo, s4
	s_cbranch_vccnz .LBB86_2001
; %bb.2000:
	v_and_or_b32 v2, 0x1ff, v1, v0
	v_lshrrev_b32_e32 v3, 8, v1
	v_bfe_u32 v6, v1, 20, 11
	v_cmp_ne_u32_e32 vcc_lo, 0, v2
	v_sub_nc_u32_e32 v7, 0x3f1, v6
	v_add_nc_u32_e32 v6, 0xfffffc10, v6
	v_cndmask_b32_e64 v2, 0, 1, vcc_lo
	v_and_or_b32 v2, 0xffe, v3, v2
	v_med3_i32 v3, v7, 0, 13
	v_or_b32_e32 v7, 0x1000, v2
	v_lshrrev_b32_e32 v8, v3, v7
	v_lshlrev_b32_e32 v3, v3, v8
	v_cmp_ne_u32_e32 vcc_lo, v3, v7
	v_lshl_or_b32 v7, v6, 12, v2
	v_cndmask_b32_e64 v3, 0, 1, vcc_lo
	v_cmp_gt_i32_e32 vcc_lo, 1, v6
	v_or_b32_e32 v3, v8, v3
	v_cndmask_b32_e32 v3, v7, v3, vcc_lo
	v_and_b32_e32 v7, 7, v3
	v_lshrrev_b32_e32 v3, 2, v3
	v_cmp_lt_i32_e32 vcc_lo, 5, v7
	v_cndmask_b32_e64 v8, 0, 1, vcc_lo
	v_cmp_eq_u32_e32 vcc_lo, 3, v7
	v_cndmask_b32_e64 v7, 0, 1, vcc_lo
	v_cmp_ne_u32_e32 vcc_lo, 0, v2
	v_or_b32_e32 v7, v7, v8
	v_mov_b32_e32 v8, 0x7e00
	v_add_nc_u32_e32 v3, v3, v7
	v_cndmask_b32_e32 v2, 0x7c00, v8, vcc_lo
	v_cmp_gt_i32_e32 vcc_lo, 31, v6
	v_cndmask_b32_e32 v3, 0x7c00, v3, vcc_lo
	v_cmp_eq_u32_e32 vcc_lo, 0x40f, v6
	v_cndmask_b32_e32 v2, v3, v2, vcc_lo
	v_lshrrev_b32_e32 v3, 16, v1
	v_and_or_b32 v2, 0x8000, v3, v2
	global_store_short v[4:5], v2, off
.LBB86_2001:
	s_mov_b32 s4, 0
.LBB86_2002:
	s_andn2_b32 vcc_lo, exec_lo, s4
	s_cbranch_vccnz .LBB86_2018
; %bb.2003:
	s_cmp_lt_i32 s39, 2
	s_mov_b32 s4, -1
	s_cbranch_scc1 .LBB86_2013
; %bb.2004:
	s_cmp_lt_i32 s39, 3
	s_cbranch_scc1 .LBB86_2010
; %bb.2005:
	s_cmp_gt_i32 s39, 3
	s_cbranch_scc0 .LBB86_2007
; %bb.2006:
	v_trunc_f64_e32 v[2:3], v[0:1]
	s_mov_b32 s4, 0
	v_ldexp_f64 v[6:7], v[2:3], 0xffffffe0
	v_floor_f64_e32 v[6:7], v[6:7]
	v_fma_f64 v[2:3], 0xc1f00000, v[6:7], v[2:3]
	v_cvt_i32_f64_e32 v7, v[6:7]
	v_cvt_u32_f64_e32 v6, v[2:3]
	global_store_dwordx2 v[4:5], v[6:7], off
.LBB86_2007:
	s_andn2_b32 vcc_lo, exec_lo, s4
	s_cbranch_vccnz .LBB86_2009
; %bb.2008:
	v_cvt_i32_f64_e32 v2, v[0:1]
	global_store_dword v[4:5], v2, off
.LBB86_2009:
	s_mov_b32 s4, 0
.LBB86_2010:
	s_andn2_b32 vcc_lo, exec_lo, s4
	s_cbranch_vccnz .LBB86_2012
; %bb.2011:
	v_cvt_i32_f64_e32 v2, v[0:1]
	global_store_short v[4:5], v2, off
.LBB86_2012:
	s_mov_b32 s4, 0
.LBB86_2013:
	s_andn2_b32 vcc_lo, exec_lo, s4
	s_cbranch_vccnz .LBB86_2018
; %bb.2014:
	s_cmp_gt_i32 s39, 0
	s_mov_b32 s4, -1
	s_cbranch_scc0 .LBB86_2016
; %bb.2015:
	v_cvt_i32_f64_e32 v2, v[0:1]
	s_mov_b32 s4, 0
	global_store_byte v[4:5], v2, off
.LBB86_2016:
	s_andn2_b32 vcc_lo, exec_lo, s4
	s_cbranch_vccnz .LBB86_2018
; %bb.2017:
	v_trunc_f64_e32 v[0:1], v[0:1]
	v_ldexp_f64 v[2:3], v[0:1], 0xffffffe0
	v_floor_f64_e32 v[2:3], v[2:3]
	v_fma_f64 v[0:1], 0xc1f00000, v[2:3], v[0:1]
	v_cvt_u32_f64_e32 v0, v[0:1]
	global_store_byte v[4:5], v0, off
.LBB86_2018:
	s_mov_b32 s6, -1
.LBB86_2019:
	s_andn2_b32 vcc_lo, exec_lo, s6
	s_cbranch_vccnz .LBB86_2096
; %bb.2020:
	v_mov_b32_e32 v0, s48
	v_mov_b32_e32 v1, s49
	;; [unrolled: 1-line block ×4, first 2 shown]
	s_getpc_b64 s[4:5]
	s_add_u32 s4, s4, _ZZZZN2at6native21polygamma_kernel_cudaERNS_18TensorIteratorBaseElENKUlvE_clEvENKUlvE_clEvENKUldE_clEd@rel32@lo+4
	s_addc_u32 s5, s5, _ZZZZN2at6native21polygamma_kernel_cudaERNS_18TensorIteratorBaseElENKUlvE_clEvENKUlvE_clEvENKUldE_clEd@rel32@hi+12
	s_swappc_b64 s[30:31], s[4:5]
	v_add_co_u32 v4, s4, s52, v50
	v_add_co_ci_u32_e64 v5, null, s53, 0, s4
	s_cmp_lt_i32 s39, 11
	s_cbranch_scc1 .LBB86_2141
; %bb.2021:
	s_mov_b32 s6, -1
	s_mov_b32 s5, 0
	s_cmp_gt_i32 s39, 25
	s_mov_b32 s4, 0
	s_cbranch_scc0 .LBB86_2054
; %bb.2022:
	s_cmp_gt_i32 s39, 28
	s_cbranch_scc0 .LBB86_2038
; %bb.2023:
	s_cmp_gt_i32 s39, 43
	;; [unrolled: 3-line block ×3, first 2 shown]
	s_cbranch_scc0 .LBB86_2028
; %bb.2025:
	s_cmp_eq_u32 s39, 46
	s_mov_b32 s4, -1
	s_cbranch_scc0 .LBB86_2027
; %bb.2026:
	v_cvt_f32_f64_e32 v2, v[0:1]
	s_mov_b32 s4, 0
	v_bfe_u32 v3, v2, 16, 1
	v_cmp_o_f32_e32 vcc_lo, v2, v2
	v_add3_u32 v2, v2, v3, 0x7fff
	v_mov_b32_e32 v3, 0x7fc0
	v_cndmask_b32_sdwa v2, v3, v2, vcc_lo dst_sel:DWORD dst_unused:UNUSED_PAD src0_sel:DWORD src1_sel:WORD_1
	global_store_dword v[4:5], v2, off
.LBB86_2027:
	s_mov_b32 s6, 0
.LBB86_2028:
	s_and_b32 vcc_lo, exec_lo, s6
	s_cbranch_vccz .LBB86_2033
; %bb.2029:
	s_cmp_eq_u32 s39, 44
	s_mov_b32 s4, -1
	s_cbranch_scc0 .LBB86_2033
; %bb.2030:
	v_cvt_f32_f64_e32 v2, v[0:1]
	v_mov_b32_e32 v3, 0xff
	s_mov_b32 s6, exec_lo
	v_bfe_u32 v6, v2, 23, 8
	v_cmpx_ne_u32_e32 0xff, v6
	s_cbranch_execz .LBB86_2032
; %bb.2031:
	v_and_b32_e32 v3, 0x400000, v2
	v_and_or_b32 v6, 0x3fffff, v2, v6
	v_lshrrev_b32_e32 v2, 23, v2
	v_cmp_ne_u32_e32 vcc_lo, 0, v3
	v_cmp_ne_u32_e64 s4, 0, v6
	s_and_b32 s4, vcc_lo, s4
	v_cndmask_b32_e64 v3, 0, 1, s4
	v_add_nc_u32_e32 v3, v2, v3
.LBB86_2032:
	s_or_b32 exec_lo, exec_lo, s6
	s_mov_b32 s4, 0
	global_store_byte v[4:5], v3, off
.LBB86_2033:
	s_mov_b32 s6, 0
.LBB86_2034:
	s_and_b32 vcc_lo, exec_lo, s6
	s_cbranch_vccz .LBB86_2037
; %bb.2035:
	s_cmp_eq_u32 s39, 29
	s_mov_b32 s4, -1
	s_cbranch_scc0 .LBB86_2037
; %bb.2036:
	v_trunc_f64_e32 v[2:3], v[0:1]
	s_mov_b32 s4, 0
	v_ldexp_f64 v[6:7], v[2:3], 0xffffffe0
	v_floor_f64_e32 v[6:7], v[6:7]
	v_fma_f64 v[2:3], 0xc1f00000, v[6:7], v[2:3]
	v_cvt_u32_f64_e32 v7, v[6:7]
	v_cvt_u32_f64_e32 v6, v[2:3]
	global_store_dwordx2 v[4:5], v[6:7], off
.LBB86_2037:
	s_mov_b32 s6, 0
.LBB86_2038:
	s_and_b32 vcc_lo, exec_lo, s6
	s_cbranch_vccz .LBB86_2053
; %bb.2039:
	s_cmp_lt_i32 s39, 27
	s_mov_b32 s6, -1
	s_cbranch_scc1 .LBB86_2045
; %bb.2040:
	s_cmp_gt_i32 s39, 27
	s_cbranch_scc0 .LBB86_2042
; %bb.2041:
	v_cvt_u32_f64_e32 v2, v[0:1]
	s_mov_b32 s6, 0
	global_store_dword v[4:5], v2, off
.LBB86_2042:
	s_andn2_b32 vcc_lo, exec_lo, s6
	s_cbranch_vccnz .LBB86_2044
; %bb.2043:
	v_cvt_u32_f64_e32 v2, v[0:1]
	global_store_short v[4:5], v2, off
.LBB86_2044:
	s_mov_b32 s6, 0
.LBB86_2045:
	s_andn2_b32 vcc_lo, exec_lo, s6
	s_cbranch_vccnz .LBB86_2053
; %bb.2046:
	v_cvt_f32_f64_e32 v2, v[0:1]
	v_mov_b32_e32 v6, 0x80
	s_mov_b32 s6, exec_lo
	v_and_b32_e32 v3, 0x7fffffff, v2
	v_cmpx_gt_u32_e32 0x43800000, v3
	s_cbranch_execz .LBB86_2052
; %bb.2047:
	v_cmp_lt_u32_e32 vcc_lo, 0x3bffffff, v3
	s_mov_b32 s7, 0
                                        ; implicit-def: $vgpr3
	s_and_saveexec_b32 s8, vcc_lo
	s_xor_b32 s8, exec_lo, s8
	s_cbranch_execz .LBB86_2158
; %bb.2048:
	v_bfe_u32 v3, v2, 20, 1
	s_mov_b32 s7, exec_lo
	v_add3_u32 v3, v2, v3, 0x487ffff
	v_lshrrev_b32_e32 v3, 20, v3
	s_andn2_saveexec_b32 s8, s8
	s_cbranch_execnz .LBB86_2159
.LBB86_2049:
	s_or_b32 exec_lo, exec_lo, s8
	v_mov_b32_e32 v6, 0
	s_and_saveexec_b32 s8, s7
.LBB86_2050:
	v_lshrrev_b32_e32 v2, 24, v2
	v_and_or_b32 v6, 0x80, v2, v3
.LBB86_2051:
	s_or_b32 exec_lo, exec_lo, s8
.LBB86_2052:
	s_or_b32 exec_lo, exec_lo, s6
	global_store_byte v[4:5], v6, off
.LBB86_2053:
	s_mov_b32 s6, 0
.LBB86_2054:
	s_and_b32 vcc_lo, exec_lo, s6
	s_cbranch_vccz .LBB86_2094
; %bb.2055:
	s_cmp_gt_i32 s39, 22
	s_mov_b32 s5, -1
	s_cbranch_scc0 .LBB86_2087
; %bb.2056:
	s_cmp_lt_i32 s39, 24
	s_cbranch_scc1 .LBB86_2076
; %bb.2057:
	s_cmp_gt_i32 s39, 24
	s_cbranch_scc0 .LBB86_2065
; %bb.2058:
	v_cvt_f32_f64_e32 v2, v[0:1]
	v_mov_b32_e32 v6, 0x80
	s_mov_b32 s5, exec_lo
	v_and_b32_e32 v3, 0x7fffffff, v2
	v_cmpx_gt_u32_e32 0x47800000, v3
	s_cbranch_execz .LBB86_2064
; %bb.2059:
	v_cmp_lt_u32_e32 vcc_lo, 0x37ffffff, v3
	s_mov_b32 s6, 0
                                        ; implicit-def: $vgpr3
	s_and_saveexec_b32 s7, vcc_lo
	s_xor_b32 s7, exec_lo, s7
	s_cbranch_execz .LBB86_2161
; %bb.2060:
	v_bfe_u32 v3, v2, 21, 1
	s_mov_b32 s6, exec_lo
	v_add3_u32 v3, v2, v3, 0x88fffff
	v_lshrrev_b32_e32 v3, 21, v3
	s_andn2_saveexec_b32 s7, s7
	s_cbranch_execnz .LBB86_2162
.LBB86_2061:
	s_or_b32 exec_lo, exec_lo, s7
	v_mov_b32_e32 v6, 0
	s_and_saveexec_b32 s7, s6
.LBB86_2062:
	v_lshrrev_b32_e32 v2, 24, v2
	v_and_or_b32 v6, 0x80, v2, v3
.LBB86_2063:
	s_or_b32 exec_lo, exec_lo, s7
.LBB86_2064:
	s_or_b32 exec_lo, exec_lo, s5
	s_mov_b32 s5, 0
	global_store_byte v[4:5], v6, off
.LBB86_2065:
	s_and_b32 vcc_lo, exec_lo, s5
	s_cbranch_vccz .LBB86_2075
; %bb.2066:
	v_cvt_f32_f64_e32 v2, v[0:1]
	s_mov_b32 s5, exec_lo
                                        ; implicit-def: $vgpr3
	v_and_b32_e32 v6, 0x7fffffff, v2
	v_cmpx_gt_u32_e32 0x43f00000, v6
	s_xor_b32 s5, exec_lo, s5
	s_cbranch_execz .LBB86_2072
; %bb.2067:
	s_mov_b32 s6, exec_lo
                                        ; implicit-def: $vgpr3
	v_cmpx_lt_u32_e32 0x3c7fffff, v6
	s_xor_b32 s6, exec_lo, s6
; %bb.2068:
	v_bfe_u32 v3, v2, 20, 1
	v_add3_u32 v3, v2, v3, 0x407ffff
	v_and_b32_e32 v6, 0xff00000, v3
	v_lshrrev_b32_e32 v3, 20, v3
	v_cmp_ne_u32_e32 vcc_lo, 0x7f00000, v6
	v_cndmask_b32_e32 v3, 0x7e, v3, vcc_lo
; %bb.2069:
	s_andn2_saveexec_b32 s6, s6
; %bb.2070:
	v_add_f32_e64 v3, 0x46800000, |v2|
; %bb.2071:
	s_or_b32 exec_lo, exec_lo, s6
                                        ; implicit-def: $vgpr6
.LBB86_2072:
	s_andn2_saveexec_b32 s5, s5
; %bb.2073:
	v_mov_b32_e32 v3, 0x7f
	v_cmp_lt_u32_e32 vcc_lo, 0x7f800000, v6
	v_cndmask_b32_e32 v3, 0x7e, v3, vcc_lo
; %bb.2074:
	s_or_b32 exec_lo, exec_lo, s5
	v_lshrrev_b32_e32 v2, 24, v2
	v_and_or_b32 v2, 0x80, v2, v3
	global_store_byte v[4:5], v2, off
.LBB86_2075:
	s_mov_b32 s5, 0
.LBB86_2076:
	s_andn2_b32 vcc_lo, exec_lo, s5
	s_cbranch_vccnz .LBB86_2086
; %bb.2077:
	v_cvt_f32_f64_e32 v2, v[0:1]
	s_mov_b32 s5, exec_lo
                                        ; implicit-def: $vgpr3
	v_and_b32_e32 v6, 0x7fffffff, v2
	v_cmpx_gt_u32_e32 0x47800000, v6
	s_xor_b32 s5, exec_lo, s5
	s_cbranch_execz .LBB86_2083
; %bb.2078:
	s_mov_b32 s6, exec_lo
                                        ; implicit-def: $vgpr3
	v_cmpx_lt_u32_e32 0x387fffff, v6
	s_xor_b32 s6, exec_lo, s6
; %bb.2079:
	v_bfe_u32 v3, v2, 21, 1
	v_add3_u32 v3, v2, v3, 0x80fffff
	v_lshrrev_b32_e32 v3, 21, v3
; %bb.2080:
	s_andn2_saveexec_b32 s6, s6
; %bb.2081:
	v_add_f32_e64 v3, 0x43000000, |v2|
; %bb.2082:
	s_or_b32 exec_lo, exec_lo, s6
                                        ; implicit-def: $vgpr6
.LBB86_2083:
	s_andn2_saveexec_b32 s5, s5
; %bb.2084:
	v_mov_b32_e32 v3, 0x7f
	v_cmp_lt_u32_e32 vcc_lo, 0x7f800000, v6
	v_cndmask_b32_e32 v3, 0x7c, v3, vcc_lo
; %bb.2085:
	s_or_b32 exec_lo, exec_lo, s5
	v_lshrrev_b32_e32 v2, 24, v2
	v_and_or_b32 v2, 0x80, v2, v3
	global_store_byte v[4:5], v2, off
.LBB86_2086:
	s_mov_b32 s5, 0
.LBB86_2087:
	s_andn2_b32 vcc_lo, exec_lo, s5
	s_mov_b32 s5, 0
	s_cbranch_vccnz .LBB86_2094
; %bb.2088:
	s_cmp_gt_i32 s39, 14
	s_mov_b32 s5, -1
	s_cbranch_scc0 .LBB86_2092
; %bb.2089:
	s_cmp_eq_u32 s39, 15
	s_mov_b32 s4, -1
	s_cbranch_scc0 .LBB86_2091
; %bb.2090:
	v_cvt_f32_f64_e32 v2, v[0:1]
	s_mov_b32 s4, 0
	v_bfe_u32 v3, v2, 16, 1
	v_cmp_o_f32_e32 vcc_lo, v2, v2
	v_add3_u32 v2, v2, v3, 0x7fff
	v_mov_b32_e32 v3, 0x7fc0
	v_cndmask_b32_sdwa v2, v3, v2, vcc_lo dst_sel:DWORD dst_unused:UNUSED_PAD src0_sel:DWORD src1_sel:WORD_1
	global_store_short v[4:5], v2, off
.LBB86_2091:
	s_mov_b32 s5, 0
.LBB86_2092:
	s_and_b32 vcc_lo, exec_lo, s5
	s_mov_b32 s5, 0
	s_cbranch_vccz .LBB86_2094
; %bb.2093:
	s_cmp_lg_u32 s39, 11
	s_mov_b32 s5, -1
	s_cselect_b32 s4, -1, 0
.LBB86_2094:
	s_and_b32 vcc_lo, exec_lo, s4
	s_cbranch_vccnz .LBB86_2160
.LBB86_2095:
	s_mov_b32 s4, 0
	s_branch .LBB86_2097
.LBB86_2096:
	s_mov_b32 s4, 0
	s_mov_b32 s5, 0
                                        ; implicit-def: $vgpr4_vgpr5
                                        ; implicit-def: $sgpr54
                                        ; implicit-def: $vgpr0_vgpr1
.LBB86_2097:
	s_andn2_b32 s6, s64, exec_lo
	s_and_b32 s7, s33, exec_lo
	s_and_b32 s4, s4, exec_lo
	;; [unrolled: 1-line block ×3, first 2 shown]
	s_or_b32 s64, s6, s7
.LBB86_2098:
	s_or_b32 exec_lo, exec_lo, s65
	s_and_saveexec_b32 s5, s64
	s_cbranch_execz .LBB86_2101
; %bb.2099:
	; divergent unreachable
	s_or_b32 exec_lo, exec_lo, s5
	s_and_saveexec_b32 s5, s69
	s_xor_b32 s5, exec_lo, s5
	s_cbranch_execnz .LBB86_2102
.LBB86_2100:
	s_or_b32 exec_lo, exec_lo, s5
	s_and_saveexec_b32 s5, s4
	s_cbranch_execnz .LBB86_2103
	s_branch .LBB86_2140
.LBB86_2101:
	s_or_b32 exec_lo, exec_lo, s5
	s_and_saveexec_b32 s5, s69
	s_xor_b32 s5, exec_lo, s5
	s_cbranch_execz .LBB86_2100
.LBB86_2102:
	v_cmp_neq_f64_e32 vcc_lo, 0, v[0:1]
	s_waitcnt vmcnt(0)
	v_cndmask_b32_e64 v2, 0, 1, vcc_lo
	global_store_byte v[4:5], v2, off
	s_or_b32 exec_lo, exec_lo, s5
	s_and_saveexec_b32 s5, s4
	s_cbranch_execz .LBB86_2140
.LBB86_2103:
	s_sext_i32_i16 s5, s54
	s_mov_b32 s4, -1
	s_cmp_lt_i32 s5, 5
	s_cbranch_scc1 .LBB86_2124
; %bb.2104:
	s_cmp_lt_i32 s5, 8
	s_cbranch_scc1 .LBB86_2114
; %bb.2105:
	;; [unrolled: 3-line block ×3, first 2 shown]
	s_cmp_gt_i32 s5, 9
	s_cbranch_scc0 .LBB86_2108
; %bb.2107:
	s_waitcnt vmcnt(0)
	v_mov_b32_e32 v2, 0
	s_mov_b32 s4, 0
	v_mov_b32_e32 v3, v2
	global_store_dwordx4 v[4:5], v[0:3], off
.LBB86_2108:
	s_andn2_b32 vcc_lo, exec_lo, s4
	s_cbranch_vccnz .LBB86_2110
; %bb.2109:
	s_waitcnt vmcnt(0)
	v_cvt_f32_f64_e32 v2, v[0:1]
	v_mov_b32_e32 v3, 0
	global_store_dwordx2 v[4:5], v[2:3], off
.LBB86_2110:
	s_mov_b32 s4, 0
.LBB86_2111:
	s_andn2_b32 vcc_lo, exec_lo, s4
	s_cbranch_vccnz .LBB86_2113
; %bb.2112:
	s_waitcnt vmcnt(0)
	v_and_or_b32 v2, 0x1ff, v1, v0
	v_lshrrev_b32_e32 v3, 8, v1
	v_bfe_u32 v6, v1, 20, 11
	v_cmp_ne_u32_e32 vcc_lo, 0, v2
	v_sub_nc_u32_e32 v7, 0x3f1, v6
	v_add_nc_u32_e32 v6, 0xfffffc10, v6
	v_cndmask_b32_e64 v2, 0, 1, vcc_lo
	v_and_or_b32 v2, 0xffe, v3, v2
	v_med3_i32 v3, v7, 0, 13
	v_or_b32_e32 v7, 0x1000, v2
	v_lshrrev_b32_e32 v8, v3, v7
	v_lshlrev_b32_e32 v3, v3, v8
	v_cmp_ne_u32_e32 vcc_lo, v3, v7
	v_lshl_or_b32 v7, v6, 12, v2
	v_cndmask_b32_e64 v3, 0, 1, vcc_lo
	v_cmp_gt_i32_e32 vcc_lo, 1, v6
	v_or_b32_e32 v3, v8, v3
	v_cndmask_b32_e32 v3, v7, v3, vcc_lo
	v_and_b32_e32 v7, 7, v3
	v_lshrrev_b32_e32 v3, 2, v3
	v_cmp_lt_i32_e32 vcc_lo, 5, v7
	v_cndmask_b32_e64 v8, 0, 1, vcc_lo
	v_cmp_eq_u32_e32 vcc_lo, 3, v7
	v_cndmask_b32_e64 v7, 0, 1, vcc_lo
	v_cmp_ne_u32_e32 vcc_lo, 0, v2
	v_or_b32_e32 v7, v7, v8
	v_mov_b32_e32 v8, 0x7e00
	v_add_nc_u32_e32 v3, v3, v7
	v_cndmask_b32_e32 v2, 0x7c00, v8, vcc_lo
	v_cmp_gt_i32_e32 vcc_lo, 31, v6
	v_cndmask_b32_e32 v3, 0x7c00, v3, vcc_lo
	v_cmp_eq_u32_e32 vcc_lo, 0x40f, v6
	v_cndmask_b32_e32 v2, v3, v2, vcc_lo
	v_lshrrev_b32_e32 v3, 16, v1
	v_and_or_b32 v2, 0x8000, v3, v2
	v_and_b32_e32 v2, 0xffff, v2
	global_store_dword v[4:5], v2, off
.LBB86_2113:
	s_mov_b32 s4, 0
.LBB86_2114:
	s_andn2_b32 vcc_lo, exec_lo, s4
	s_cbranch_vccnz .LBB86_2123
; %bb.2115:
	s_sext_i32_i16 s5, s54
	s_mov_b32 s4, -1
	s_cmp_lt_i32 s5, 6
	s_cbranch_scc1 .LBB86_2121
; %bb.2116:
	s_cmp_gt_i32 s5, 6
	s_cbranch_scc0 .LBB86_2118
; %bb.2117:
	s_mov_b32 s4, 0
	global_store_dwordx2 v[4:5], v[0:1], off
.LBB86_2118:
	s_andn2_b32 vcc_lo, exec_lo, s4
	s_cbranch_vccnz .LBB86_2120
; %bb.2119:
	s_waitcnt vmcnt(0)
	v_cvt_f32_f64_e32 v2, v[0:1]
	global_store_dword v[4:5], v2, off
.LBB86_2120:
	s_mov_b32 s4, 0
.LBB86_2121:
	s_andn2_b32 vcc_lo, exec_lo, s4
	s_cbranch_vccnz .LBB86_2123
; %bb.2122:
	s_waitcnt vmcnt(0)
	v_and_or_b32 v2, 0x1ff, v1, v0
	v_lshrrev_b32_e32 v3, 8, v1
	v_bfe_u32 v6, v1, 20, 11
	v_cmp_ne_u32_e32 vcc_lo, 0, v2
	v_sub_nc_u32_e32 v7, 0x3f1, v6
	v_add_nc_u32_e32 v6, 0xfffffc10, v6
	v_cndmask_b32_e64 v2, 0, 1, vcc_lo
	v_and_or_b32 v2, 0xffe, v3, v2
	v_med3_i32 v3, v7, 0, 13
	v_or_b32_e32 v7, 0x1000, v2
	v_lshrrev_b32_e32 v8, v3, v7
	v_lshlrev_b32_e32 v3, v3, v8
	v_cmp_ne_u32_e32 vcc_lo, v3, v7
	v_lshl_or_b32 v7, v6, 12, v2
	v_cndmask_b32_e64 v3, 0, 1, vcc_lo
	v_cmp_gt_i32_e32 vcc_lo, 1, v6
	v_or_b32_e32 v3, v8, v3
	v_cndmask_b32_e32 v3, v7, v3, vcc_lo
	v_and_b32_e32 v7, 7, v3
	v_lshrrev_b32_e32 v3, 2, v3
	v_cmp_lt_i32_e32 vcc_lo, 5, v7
	v_cndmask_b32_e64 v8, 0, 1, vcc_lo
	v_cmp_eq_u32_e32 vcc_lo, 3, v7
	v_cndmask_b32_e64 v7, 0, 1, vcc_lo
	v_cmp_ne_u32_e32 vcc_lo, 0, v2
	v_or_b32_e32 v7, v7, v8
	v_mov_b32_e32 v8, 0x7e00
	v_add_nc_u32_e32 v3, v3, v7
	v_cndmask_b32_e32 v2, 0x7c00, v8, vcc_lo
	v_cmp_gt_i32_e32 vcc_lo, 31, v6
	v_cndmask_b32_e32 v3, 0x7c00, v3, vcc_lo
	v_cmp_eq_u32_e32 vcc_lo, 0x40f, v6
	v_cndmask_b32_e32 v2, v3, v2, vcc_lo
	v_lshrrev_b32_e32 v3, 16, v1
	v_and_or_b32 v2, 0x8000, v3, v2
	global_store_short v[4:5], v2, off
.LBB86_2123:
	s_mov_b32 s4, 0
.LBB86_2124:
	s_andn2_b32 vcc_lo, exec_lo, s4
	s_cbranch_vccnz .LBB86_2140
; %bb.2125:
	s_sext_i32_i16 s5, s54
	s_mov_b32 s4, -1
	s_cmp_lt_i32 s5, 2
	s_cbranch_scc1 .LBB86_2135
; %bb.2126:
	s_cmp_lt_i32 s5, 3
	s_cbranch_scc1 .LBB86_2132
; %bb.2127:
	s_cmp_gt_i32 s5, 3
	s_cbranch_scc0 .LBB86_2129
; %bb.2128:
	s_waitcnt vmcnt(0)
	v_trunc_f64_e32 v[2:3], v[0:1]
	s_mov_b32 s4, 0
	v_ldexp_f64 v[6:7], v[2:3], 0xffffffe0
	v_floor_f64_e32 v[6:7], v[6:7]
	v_fma_f64 v[2:3], 0xc1f00000, v[6:7], v[2:3]
	v_cvt_i32_f64_e32 v7, v[6:7]
	v_cvt_u32_f64_e32 v6, v[2:3]
	global_store_dwordx2 v[4:5], v[6:7], off
.LBB86_2129:
	s_andn2_b32 vcc_lo, exec_lo, s4
	s_cbranch_vccnz .LBB86_2131
; %bb.2130:
	s_waitcnt vmcnt(0)
	v_cvt_i32_f64_e32 v2, v[0:1]
	global_store_dword v[4:5], v2, off
.LBB86_2131:
	s_mov_b32 s4, 0
.LBB86_2132:
	s_andn2_b32 vcc_lo, exec_lo, s4
	s_cbranch_vccnz .LBB86_2134
; %bb.2133:
	s_waitcnt vmcnt(0)
	v_cvt_i32_f64_e32 v2, v[0:1]
	global_store_short v[4:5], v2, off
.LBB86_2134:
	s_mov_b32 s4, 0
.LBB86_2135:
	s_andn2_b32 vcc_lo, exec_lo, s4
	s_cbranch_vccnz .LBB86_2140
; %bb.2136:
	s_sext_i32_i16 s4, s54
	s_cmp_gt_i32 s4, 0
	s_mov_b32 s4, -1
	s_cbranch_scc0 .LBB86_2138
; %bb.2137:
	s_waitcnt vmcnt(0)
	v_cvt_i32_f64_e32 v2, v[0:1]
	s_mov_b32 s4, 0
	global_store_byte v[4:5], v2, off
.LBB86_2138:
	s_andn2_b32 vcc_lo, exec_lo, s4
	s_cbranch_vccnz .LBB86_2140
; %bb.2139:
	v_trunc_f64_e32 v[0:1], v[0:1]
	s_waitcnt vmcnt(0)
	v_ldexp_f64 v[2:3], v[0:1], 0xffffffe0
	v_floor_f64_e32 v[2:3], v[2:3]
	v_fma_f64 v[0:1], 0xc1f00000, v[2:3], v[0:1]
	v_cvt_u32_f64_e32 v0, v[0:1]
	global_store_byte v[4:5], v0, off
	s_endpgm
.LBB86_2140:
	s_endpgm
.LBB86_2141:
	s_mov_b32 s5, 0
	s_mov_b32 s4, -1
	s_branch .LBB86_2097
.LBB86_2142:
	s_or_b32 s33, s33, exec_lo
	s_trap 2
	s_cbranch_execz .LBB86_1611
	s_branch .LBB86_1612
.LBB86_2143:
	s_andn2_saveexec_b32 s9, s9
	s_cbranch_execz .LBB86_1691
.LBB86_2144:
	v_add_f32_e64 v3, 0x46000000, |v2|
	s_andn2_b32 s8, s8, exec_lo
	v_and_b32_e32 v3, 0xff, v3
	v_cmp_ne_u32_e32 vcc_lo, 0, v3
	s_and_b32 s10, vcc_lo, exec_lo
	s_or_b32 s8, s8, s10
	s_or_b32 exec_lo, exec_lo, s9
	v_mov_b32_e32 v6, 0
	s_and_saveexec_b32 s9, s8
	s_cbranch_execnz .LBB86_1692
	s_branch .LBB86_1693
.LBB86_2145:
	s_or_b32 s33, s33, exec_lo
	s_trap 2
	s_cbranch_execz .LBB86_1739
	s_branch .LBB86_1740
.LBB86_2146:
	s_andn2_saveexec_b32 s8, s8
	s_cbranch_execz .LBB86_1704
.LBB86_2147:
	v_add_f32_e64 v3, 0x42800000, |v2|
	s_andn2_b32 s7, s7, exec_lo
	v_and_b32_e32 v3, 0xff, v3
	v_cmp_ne_u32_e32 vcc_lo, 0, v3
	s_and_b32 s9, vcc_lo, exec_lo
	s_or_b32 s7, s7, s9
	s_or_b32 exec_lo, exec_lo, s8
	v_mov_b32_e32 v6, 0
	s_and_saveexec_b32 s8, s7
	s_cbranch_execnz .LBB86_1705
	s_branch .LBB86_1706
.LBB86_2148:
	s_andn2_saveexec_b32 s8, s8
	s_cbranch_execz .LBB86_1810
.LBB86_2149:
	v_add_f32_e64 v3, 0x46000000, |v2|
	s_andn2_b32 s7, s7, exec_lo
	v_and_b32_e32 v3, 0xff, v3
	v_cmp_ne_u32_e32 vcc_lo, 0, v3
	s_and_b32 s9, vcc_lo, exec_lo
	s_or_b32 s7, s7, s9
	s_or_b32 exec_lo, exec_lo, s8
	v_mov_b32_e32 v6, 0
	s_and_saveexec_b32 s8, s7
	s_cbranch_execnz .LBB86_1811
	s_branch .LBB86_1812
.LBB86_2150:
	s_or_b32 s33, s33, exec_lo
	s_trap 2
	s_cbranch_execz .LBB86_1858
	s_branch .LBB86_1859
.LBB86_2151:
	s_andn2_saveexec_b32 s7, s7
	s_cbranch_execz .LBB86_1823
.LBB86_2152:
	v_add_f32_e64 v3, 0x42800000, |v2|
	s_andn2_b32 s6, s6, exec_lo
	v_and_b32_e32 v3, 0xff, v3
	v_cmp_ne_u32_e32 vcc_lo, 0, v3
	s_and_b32 s8, vcc_lo, exec_lo
	s_or_b32 s6, s6, s8
	s_or_b32 exec_lo, exec_lo, s7
	v_mov_b32_e32 v6, 0
	s_and_saveexec_b32 s7, s6
	s_cbranch_execnz .LBB86_1824
	s_branch .LBB86_1825
.LBB86_2153:
	s_andn2_saveexec_b32 s8, s8
	s_cbranch_execz .LBB86_1929
.LBB86_2154:
	v_add_f32_e64 v3, 0x46000000, |v2|
	s_andn2_b32 s7, s7, exec_lo
	v_and_b32_e32 v3, 0xff, v3
	v_cmp_ne_u32_e32 vcc_lo, 0, v3
	s_and_b32 s9, vcc_lo, exec_lo
	s_or_b32 s7, s7, s9
	s_or_b32 exec_lo, exec_lo, s8
	v_mov_b32_e32 v6, 0
	s_and_saveexec_b32 s8, s7
	s_cbranch_execnz .LBB86_1930
	s_branch .LBB86_1931
.LBB86_2155:
	s_or_b32 s33, s33, exec_lo
	s_trap 2
	s_cbranch_execz .LBB86_1977
	s_branch .LBB86_1978
.LBB86_2156:
	s_andn2_saveexec_b32 s7, s7
	s_cbranch_execz .LBB86_1942
.LBB86_2157:
	v_add_f32_e64 v3, 0x42800000, |v2|
	s_andn2_b32 s6, s6, exec_lo
	v_and_b32_e32 v3, 0xff, v3
	v_cmp_ne_u32_e32 vcc_lo, 0, v3
	s_and_b32 s8, vcc_lo, exec_lo
	s_or_b32 s6, s6, s8
	s_or_b32 exec_lo, exec_lo, s7
	v_mov_b32_e32 v6, 0
	s_and_saveexec_b32 s7, s6
	s_cbranch_execnz .LBB86_1943
	s_branch .LBB86_1944
.LBB86_2158:
	s_andn2_saveexec_b32 s8, s8
	s_cbranch_execz .LBB86_2049
.LBB86_2159:
	v_add_f32_e64 v3, 0x46000000, |v2|
	s_andn2_b32 s7, s7, exec_lo
	v_and_b32_e32 v3, 0xff, v3
	v_cmp_ne_u32_e32 vcc_lo, 0, v3
	s_and_b32 s9, vcc_lo, exec_lo
	s_or_b32 s7, s7, s9
	s_or_b32 exec_lo, exec_lo, s8
	v_mov_b32_e32 v6, 0
	s_and_saveexec_b32 s8, s7
	s_cbranch_execnz .LBB86_2050
	s_branch .LBB86_2051
.LBB86_2160:
	s_mov_b32 s5, 0
	s_or_b32 s33, s33, exec_lo
	s_trap 2
	s_branch .LBB86_2095
.LBB86_2161:
	s_andn2_saveexec_b32 s7, s7
	s_cbranch_execz .LBB86_2061
.LBB86_2162:
	v_add_f32_e64 v3, 0x42800000, |v2|
	s_andn2_b32 s6, s6, exec_lo
	v_and_b32_e32 v3, 0xff, v3
	v_cmp_ne_u32_e32 vcc_lo, 0, v3
	s_and_b32 s8, vcc_lo, exec_lo
	s_or_b32 s6, s6, s8
	s_or_b32 exec_lo, exec_lo, s7
	v_mov_b32_e32 v6, 0
	s_and_saveexec_b32 s7, s6
	s_cbranch_execnz .LBB86_2062
	s_branch .LBB86_2063
	.section	.rodata,"a",@progbits
	.p2align	6, 0x0
	.amdhsa_kernel _ZN2at6native32elementwise_kernel_manual_unrollILi128ELi4EZNS0_15gpu_kernel_implIZZZNS0_21polygamma_kernel_cudaERNS_18TensorIteratorBaseElENKUlvE_clEvENKUlvE_clEvEUldE_EEvS4_RKT_EUlibE0_EEviT1_
		.amdhsa_group_segment_fixed_size 0
		.amdhsa_private_segment_fixed_size 8
		.amdhsa_kernarg_size 368
		.amdhsa_user_sgpr_count 6
		.amdhsa_user_sgpr_private_segment_buffer 1
		.amdhsa_user_sgpr_dispatch_ptr 0
		.amdhsa_user_sgpr_queue_ptr 0
		.amdhsa_user_sgpr_kernarg_segment_ptr 1
		.amdhsa_user_sgpr_dispatch_id 0
		.amdhsa_user_sgpr_flat_scratch_init 0
		.amdhsa_user_sgpr_private_segment_size 0
		.amdhsa_wavefront_size32 1
		.amdhsa_uses_dynamic_stack 0
		.amdhsa_system_sgpr_private_segment_wavefront_offset 1
		.amdhsa_system_sgpr_workgroup_id_x 1
		.amdhsa_system_sgpr_workgroup_id_y 0
		.amdhsa_system_sgpr_workgroup_id_z 0
		.amdhsa_system_sgpr_workgroup_info 0
		.amdhsa_system_vgpr_workitem_id 0
		.amdhsa_next_free_vgpr 58
		.amdhsa_next_free_sgpr 105
		.amdhsa_reserve_vcc 1
		.amdhsa_reserve_flat_scratch 0
		.amdhsa_float_round_mode_32 0
		.amdhsa_float_round_mode_16_64 0
		.amdhsa_float_denorm_mode_32 3
		.amdhsa_float_denorm_mode_16_64 3
		.amdhsa_dx10_clamp 1
		.amdhsa_ieee_mode 1
		.amdhsa_fp16_overflow 0
		.amdhsa_workgroup_processor_mode 1
		.amdhsa_memory_ordered 1
		.amdhsa_forward_progress 1
		.amdhsa_shared_vgpr_count 0
		.amdhsa_exception_fp_ieee_invalid_op 0
		.amdhsa_exception_fp_denorm_src 0
		.amdhsa_exception_fp_ieee_div_zero 0
		.amdhsa_exception_fp_ieee_overflow 0
		.amdhsa_exception_fp_ieee_underflow 0
		.amdhsa_exception_fp_ieee_inexact 0
		.amdhsa_exception_int_div_zero 0
	.end_amdhsa_kernel
	.section	.text._ZN2at6native32elementwise_kernel_manual_unrollILi128ELi4EZNS0_15gpu_kernel_implIZZZNS0_21polygamma_kernel_cudaERNS_18TensorIteratorBaseElENKUlvE_clEvENKUlvE_clEvEUldE_EEvS4_RKT_EUlibE0_EEviT1_,"axG",@progbits,_ZN2at6native32elementwise_kernel_manual_unrollILi128ELi4EZNS0_15gpu_kernel_implIZZZNS0_21polygamma_kernel_cudaERNS_18TensorIteratorBaseElENKUlvE_clEvENKUlvE_clEvEUldE_EEvS4_RKT_EUlibE0_EEviT1_,comdat
.Lfunc_end86:
	.size	_ZN2at6native32elementwise_kernel_manual_unrollILi128ELi4EZNS0_15gpu_kernel_implIZZZNS0_21polygamma_kernel_cudaERNS_18TensorIteratorBaseElENKUlvE_clEvENKUlvE_clEvEUldE_EEvS4_RKT_EUlibE0_EEviT1_, .Lfunc_end86-_ZN2at6native32elementwise_kernel_manual_unrollILi128ELi4EZNS0_15gpu_kernel_implIZZZNS0_21polygamma_kernel_cudaERNS_18TensorIteratorBaseElENKUlvE_clEvENKUlvE_clEvEUldE_EEvS4_RKT_EUlibE0_EEviT1_
                                        ; -- End function
	.set _ZN2at6native32elementwise_kernel_manual_unrollILi128ELi4EZNS0_15gpu_kernel_implIZZZNS0_21polygamma_kernel_cudaERNS_18TensorIteratorBaseElENKUlvE_clEvENKUlvE_clEvEUldE_EEvS4_RKT_EUlibE0_EEviT1_.num_vgpr, max(58, .L_ZZZZN2at6native21polygamma_kernel_cudaERNS_18TensorIteratorBaseElENKUlvE_clEvENKUlvE_clEvENKUldE_clEd.num_vgpr)
	.set _ZN2at6native32elementwise_kernel_manual_unrollILi128ELi4EZNS0_15gpu_kernel_implIZZZNS0_21polygamma_kernel_cudaERNS_18TensorIteratorBaseElENKUlvE_clEvENKUlvE_clEvEUldE_EEvS4_RKT_EUlibE0_EEviT1_.num_agpr, max(0, .L_ZZZZN2at6native21polygamma_kernel_cudaERNS_18TensorIteratorBaseElENKUlvE_clEvENKUlvE_clEvENKUldE_clEd.num_agpr)
	.set _ZN2at6native32elementwise_kernel_manual_unrollILi128ELi4EZNS0_15gpu_kernel_implIZZZNS0_21polygamma_kernel_cudaERNS_18TensorIteratorBaseElENKUlvE_clEvENKUlvE_clEvEUldE_EEvS4_RKT_EUlibE0_EEviT1_.numbered_sgpr, max(105, .L_ZZZZN2at6native21polygamma_kernel_cudaERNS_18TensorIteratorBaseElENKUlvE_clEvENKUlvE_clEvENKUldE_clEd.numbered_sgpr)
	.set _ZN2at6native32elementwise_kernel_manual_unrollILi128ELi4EZNS0_15gpu_kernel_implIZZZNS0_21polygamma_kernel_cudaERNS_18TensorIteratorBaseElENKUlvE_clEvENKUlvE_clEvEUldE_EEvS4_RKT_EUlibE0_EEviT1_.num_named_barrier, max(0, .L_ZZZZN2at6native21polygamma_kernel_cudaERNS_18TensorIteratorBaseElENKUlvE_clEvENKUlvE_clEvENKUldE_clEd.num_named_barrier)
	.set _ZN2at6native32elementwise_kernel_manual_unrollILi128ELi4EZNS0_15gpu_kernel_implIZZZNS0_21polygamma_kernel_cudaERNS_18TensorIteratorBaseElENKUlvE_clEvENKUlvE_clEvEUldE_EEvS4_RKT_EUlibE0_EEviT1_.private_seg_size, 0+max(.L_ZZZZN2at6native21polygamma_kernel_cudaERNS_18TensorIteratorBaseElENKUlvE_clEvENKUlvE_clEvENKUldE_clEd.private_seg_size)
	.set _ZN2at6native32elementwise_kernel_manual_unrollILi128ELi4EZNS0_15gpu_kernel_implIZZZNS0_21polygamma_kernel_cudaERNS_18TensorIteratorBaseElENKUlvE_clEvENKUlvE_clEvEUldE_EEvS4_RKT_EUlibE0_EEviT1_.uses_vcc, or(1, .L_ZZZZN2at6native21polygamma_kernel_cudaERNS_18TensorIteratorBaseElENKUlvE_clEvENKUlvE_clEvENKUldE_clEd.uses_vcc)
	.set _ZN2at6native32elementwise_kernel_manual_unrollILi128ELi4EZNS0_15gpu_kernel_implIZZZNS0_21polygamma_kernel_cudaERNS_18TensorIteratorBaseElENKUlvE_clEvENKUlvE_clEvEUldE_EEvS4_RKT_EUlibE0_EEviT1_.uses_flat_scratch, or(0, .L_ZZZZN2at6native21polygamma_kernel_cudaERNS_18TensorIteratorBaseElENKUlvE_clEvENKUlvE_clEvENKUldE_clEd.uses_flat_scratch)
	.set _ZN2at6native32elementwise_kernel_manual_unrollILi128ELi4EZNS0_15gpu_kernel_implIZZZNS0_21polygamma_kernel_cudaERNS_18TensorIteratorBaseElENKUlvE_clEvENKUlvE_clEvEUldE_EEvS4_RKT_EUlibE0_EEviT1_.has_dyn_sized_stack, or(0, .L_ZZZZN2at6native21polygamma_kernel_cudaERNS_18TensorIteratorBaseElENKUlvE_clEvENKUlvE_clEvENKUldE_clEd.has_dyn_sized_stack)
	.set _ZN2at6native32elementwise_kernel_manual_unrollILi128ELi4EZNS0_15gpu_kernel_implIZZZNS0_21polygamma_kernel_cudaERNS_18TensorIteratorBaseElENKUlvE_clEvENKUlvE_clEvEUldE_EEvS4_RKT_EUlibE0_EEviT1_.has_recursion, or(0, .L_ZZZZN2at6native21polygamma_kernel_cudaERNS_18TensorIteratorBaseElENKUlvE_clEvENKUlvE_clEvENKUldE_clEd.has_recursion)
	.set _ZN2at6native32elementwise_kernel_manual_unrollILi128ELi4EZNS0_15gpu_kernel_implIZZZNS0_21polygamma_kernel_cudaERNS_18TensorIteratorBaseElENKUlvE_clEvENKUlvE_clEvEUldE_EEvS4_RKT_EUlibE0_EEviT1_.has_indirect_call, or(0, .L_ZZZZN2at6native21polygamma_kernel_cudaERNS_18TensorIteratorBaseElENKUlvE_clEvENKUlvE_clEvENKUldE_clEd.has_indirect_call)
	.section	.AMDGPU.csdata,"",@progbits
; Kernel info:
; codeLenInByte = 41564
; TotalNumSgprs: 107
; NumVgprs: 58
; ScratchSize: 8
; MemoryBound: 1
; FloatMode: 240
; IeeeMode: 1
; LDSByteSize: 0 bytes/workgroup (compile time only)
; SGPRBlocks: 0
; VGPRBlocks: 7
; NumSGPRsForWavesPerEU: 107
; NumVGPRsForWavesPerEU: 58
; Occupancy: 16
; WaveLimiterHint : 1
; COMPUTE_PGM_RSRC2:SCRATCH_EN: 1
; COMPUTE_PGM_RSRC2:USER_SGPR: 6
; COMPUTE_PGM_RSRC2:TRAP_HANDLER: 0
; COMPUTE_PGM_RSRC2:TGID_X_EN: 1
; COMPUTE_PGM_RSRC2:TGID_Y_EN: 0
; COMPUTE_PGM_RSRC2:TGID_Z_EN: 0
; COMPUTE_PGM_RSRC2:TIDIG_COMP_CNT: 0
	.text
	.p2align	2                               ; -- Begin function _ZN3c104guts5applyIRZZZN2at6native21polygamma_kernel_cudaERNS2_18TensorIteratorBaseElENKUlvE_clEvENKUlvE0_clEvEUlfE_RSt5tupleIJfEEEEDaOT_OT0_
	.type	_ZN3c104guts5applyIRZZZN2at6native21polygamma_kernel_cudaERNS2_18TensorIteratorBaseElENKUlvE_clEvENKUlvE0_clEvEUlfE_RSt5tupleIJfEEEEDaOT_OT0_,@function
_ZN3c104guts5applyIRZZZN2at6native21polygamma_kernel_cudaERNS2_18TensorIteratorBaseElENKUlvE_clEvENKUlvE0_clEvEUlfE_RSt5tupleIJfEEEEDaOT_OT0_: ; @_ZN3c104guts5applyIRZZZN2at6native21polygamma_kernel_cudaERNS2_18TensorIteratorBaseElENKUlvE_clEvENKUlvE0_clEvEUlfE_RSt5tupleIJfEEEEDaOT_OT0_
; %bb.0:
	s_waitcnt vmcnt(0) expcnt(0) lgkmcnt(0)
	v_cvt_f32_i32_e32 v1, v0
	s_mov_b32 s5, exec_lo
                                        ; implicit-def: $vgpr3
	v_add_f32_e32 v1, 1.0, v1
	v_and_b32_e32 v4, 0x7fffffff, v1
	v_cmpx_ngt_f32_e64 0x3c800000, |v1|
	s_xor_b32 s5, exec_lo, s5
	s_cbranch_execz .LBB87_30
; %bb.1:
	s_mov_b32 s6, exec_lo
                                        ; implicit-def: $vgpr3
	v_cmpx_nlt_f32_e64 |v1|, 2.0
	s_xor_b32 s6, exec_lo, s6
	s_cbranch_execz .LBB87_11
; %bb.2:
	v_cmp_ngt_f32_e64 s4, 0x41000000, |v1|
                                        ; implicit-def: $vgpr3
	s_and_saveexec_b32 s7, s4
	s_xor_b32 s4, exec_lo, s7
	s_cbranch_execz .LBB87_8
; %bb.3:
	v_cmp_ngt_f32_e64 s7, 0x5c800000, |v1|
                                        ; implicit-def: $vgpr3
	s_and_saveexec_b32 s8, s7
	s_xor_b32 s7, exec_lo, s8
	s_cbranch_execz .LBB87_5
; %bb.4:
	v_cmp_gt_f32_e64 s8, 0x800000, |v1|
	v_cndmask_b32_e64 v3, 0, 32, s8
	v_ldexp_f32 v3, |v1|, v3
	v_log_f32_e32 v3, v3
	v_mul_f32_e32 v5, 0x3f317217, v3
	v_cmp_gt_f32_e64 vcc_lo, 0x7f800000, |v3|
	v_fma_f32 v6, 0x3f317217, v3, -v5
	v_fmamk_f32 v6, v3, 0x3377d1cf, v6
	v_add_f32_e32 v5, v5, v6
	v_cndmask_b32_e32 v3, v3, v5, vcc_lo
	v_cndmask_b32_e64 v5, 0, 0x41b17218, s8
	v_sub_f32_e32 v3, v3, v5
	v_fma_f32 v3, |v1|, v3, -|v1|
.LBB87_5:
	s_andn2_saveexec_b32 s7, s7
	s_cbranch_execz .LBB87_7
; %bb.6:
	v_cmp_gt_f32_e64 s8, 0x800000, |v1|
	v_rcp_f32_e64 v5, |v1|
	s_mov_b32 s9, 0xbad5c4e8
	v_cndmask_b32_e64 v3, 0, 32, s8
	v_ldexp_f32 v3, |v1|, v3
	v_mul_f32_e32 v6, v5, v5
	v_log_f32_e32 v3, v3
	v_fmaak_f32 v8, s9, v6, 0x3a5b3dd2
	v_fmaak_f32 v8, v6, v8, 0xba1c065c
	v_mul_f32_e32 v7, 0x3f317217, v3
	v_fmaak_f32 v8, v6, v8, 0x3a500cfd
	v_cmp_gt_f32_e64 vcc_lo, 0x7f800000, |v3|
	v_fma_f32 v9, 0x3f317217, v3, -v7
	v_fmaak_f32 v8, v6, v8, 0xbb360b61
	v_fmamk_f32 v9, v3, 0x3377d1cf, v9
	v_fmaak_f32 v6, v6, v8, 0x3daaaaab
	v_add_f32_e32 v7, v7, v9
	v_cndmask_b32_e32 v3, v3, v7, vcc_lo
	v_cndmask_b32_e64 v7, 0, 0x41b17218, s8
	v_sub_f32_e32 v7, v3, v7
	v_fmaak_f32 v3, v5, v6, 0x3ed67f1d
	v_add_f32_e64 v5, |v1|, -0.5
	v_add_f32_e32 v6, -1.0, v7
	v_fmac_f32_e32 v3, v5, v6
.LBB87_7:
	s_or_b32 exec_lo, exec_lo, s7
.LBB87_8:
	s_andn2_saveexec_b32 s7, s4
	s_cbranch_execz .LBB87_10
; %bb.9:
	v_cvt_i32_f32_e32 v3, v4
	s_mov_b32 s4, 0x36f5d7bd
	s_mov_b32 s8, 0x3805ff67
	v_cvt_f32_i32_e32 v5, v3
	v_cmp_lt_i32_e32 vcc_lo, 2, v3
	v_sub_f32_e64 v5, |v1|, v5
	v_add_f32_e32 v6, 2.0, v5
	v_add_f32_e32 v7, 0x40400000, v5
	v_add_f32_e32 v8, 4.0, v5
	v_add_f32_e32 v9, 0x40a00000, v5
	v_cndmask_b32_e32 v6, 1.0, v6, vcc_lo
	v_cmp_lt_i32_e32 vcc_lo, 3, v3
	v_cndmask_b32_e32 v7, 1.0, v7, vcc_lo
	v_cmp_lt_i32_e32 vcc_lo, 4, v3
	v_mul_f32_e32 v6, v6, v7
	v_cndmask_b32_e32 v8, 1.0, v8, vcc_lo
	v_cmp_lt_i32_e32 vcc_lo, 5, v3
	v_add_f32_e32 v7, 0x40c00000, v5
	v_mul_f32_e32 v6, v8, v6
	v_cndmask_b32_e32 v9, 1.0, v9, vcc_lo
	v_cmp_lt_i32_e32 vcc_lo, 6, v3
	v_fmaak_f32 v8, s8, v5, 0x3af135b4
	v_mul_f32_e32 v6, v9, v6
	v_cndmask_b32_e32 v3, 1.0, v7, vcc_lo
	v_mul_f32_e32 v3, v3, v6
	v_fmaak_f32 v6, s4, v5, 0x3a4beed6
	v_cmp_gt_f32_e32 vcc_lo, 0x800000, v3
	v_fmaak_f32 v6, v5, v6, 0x3c98bf54
	v_cndmask_b32_e64 v7, 0, 32, vcc_lo
	v_fmaak_f32 v6, v5, v6, 0x3e300f6e
	v_ldexp_f32 v3, v3, v7
	v_fmaak_f32 v7, v5, v8, 0x3cda40e4
	v_fmaak_f32 v6, v5, v6, 0x3f38d0c5
	v_log_f32_e32 v3, v3
	v_fmaak_f32 v7, v5, v7, 0x3e15dce6
	v_fmaak_f32 v6, v5, v6, 0x3fb22d3b
	;; [unrolled: 1-line block ×3, first 2 shown]
	v_fma_f32 v6, v5, v6, 1.0
	v_mul_f32_e32 v8, 0x3f317217, v3
	v_fmaak_f32 v7, v5, v7, 0x3e5c245a
	v_rcp_f32_e32 v6, v6
	v_cmp_gt_f32_e64 s4, 0x7f800000, |v3|
	v_fma_f32 v9, 0x3f317217, v3, -v8
	v_fmaak_f32 v7, v5, v7, 0xbd9e233f
	v_fmamk_f32 v9, v3, 0x3377d1cf, v9
	v_mul_f32_e32 v7, v5, v7
	v_add_f32_e32 v8, v8, v9
	v_mul_f32_e32 v6, v7, v6
	v_cndmask_b32_e64 v7, 0, 0x41b17218, vcc_lo
	v_cndmask_b32_e64 v3, v3, v8, s4
	v_fmac_f32_e32 v6, 0.5, v5
	v_sub_f32_e32 v3, v3, v7
	v_add_f32_e32 v3, v3, v6
.LBB87_10:
	s_or_b32 exec_lo, exec_lo, s7
.LBB87_11:
	s_andn2_saveexec_b32 s6, s6
	s_cbranch_execz .LBB87_29
; %bb.12:
	s_mov_b32 s7, exec_lo
                                        ; implicit-def: $vgpr3
                                        ; implicit-def: $vgpr6
                                        ; implicit-def: $vgpr5
	v_cmpx_ge_f32_e64 0x3f666666, |v1|
	s_xor_b32 s7, exec_lo, s7
	s_cbranch_execz .LBB87_14
; %bb.13:
	v_cmp_gt_f32_e64 s4, 0x800000, |v1|
	v_sub_f32_e64 v7, 1.0, |v1|
	v_cmp_gt_f32_e64 vcc_lo, 0x3f3b4a23, |v1|
	v_cndmask_b32_e64 v3, 0, 32, s4
	v_cndmask_b32_e64 v8, 0, 0x41b17218, s4
	v_ldexp_f32 v3, |v1|, v3
	v_log_f32_e32 v3, v3
	v_mul_f32_e32 v5, 0x3f317217, v3
	v_cmp_gt_f32_e64 s4, 0x7f800000, |v3|
	v_fma_f32 v6, 0x3f317217, v3, -v5
	v_fmamk_f32 v6, v3, 0x3377d1cf, v6
	v_add_f32_e32 v5, v5, v6
	v_add_f32_e64 v6, 0xbeec5b0c, |v1|
	v_cndmask_b32_e64 v3, v3, v5, s4
	v_cndmask_b32_e32 v5, v7, v6, vcc_lo
	v_cndmask_b32_e64 v6, 0, 1, vcc_lo
	v_cmp_gt_f32_e64 s4, 0x3e6d3309, |v1|
	v_sub_f32_e32 v3, v3, v8
	v_cndmask_b32_e64 v5, v5, |v1|, s4
	v_cndmask_b32_e64 v6, v6, 2, s4
	v_xor_b32_e32 v3, 0x80000000, v3
.LBB87_14:
	s_andn2_saveexec_b32 s4, s7
	s_cbranch_execz .LBB87_16
; %bb.15:
	v_sub_f32_e64 v3, 2.0, |v1|
	v_add_f32_e64 v5, 0xbfbb16c3, |v1|
	v_cmp_gt_f32_e64 vcc_lo, 0x3fdda512, |v1|
	v_add_f32_e64 v6, |v1|, -1.0
	v_cndmask_b32_e32 v5, v3, v5, vcc_lo
	v_cndmask_b32_e64 v3, v3, 1.0, vcc_lo
	v_cmp_gt_f32_e64 vcc_lo, 0x3f9d70a4, |v1|
	v_cvt_i32_f32_e32 v3, v3
	v_cndmask_b32_e32 v5, v5, v6, vcc_lo
	v_cndmask_b32_e64 v6, v3, 2, vcc_lo
	v_mov_b32_e32 v3, 0
.LBB87_16:
	s_or_b32 exec_lo, exec_lo, s4
	s_mov_b32 s4, exec_lo
	v_cmpx_lt_i32_e32 0, v6
	s_xor_b32 s4, exec_lo, s4
	s_cbranch_execz .LBB87_24
; %bb.17:
	s_mov_b32 s7, exec_lo
	v_cmpx_lt_i32_e32 1, v6
	s_xor_b32 s7, exec_lo, s7
	s_cbranch_execz .LBB87_21
; %bb.18:
	s_mov_b32 s8, exec_lo
	v_cmpx_eq_u32_e32 2, v6
	s_cbranch_execz .LBB87_20
; %bb.19:
	s_mov_b32 s9, 0x3b52d5db
	v_fmaak_f32 v6, s9, v5, 0x3dd572af
	s_mov_b32 s9, 0x3c5b3c5e
	v_fmaak_f32 v7, s9, v5, 0x3e6a7578
	v_fmaak_f32 v6, v5, v6, 0x3f44efdf
	;; [unrolled: 1-line block ×7, first 2 shown]
	v_fma_f32 v6, v5, v6, 1.0
	v_fmaak_f32 v7, v5, v7, 0xbd9e233f
	v_rcp_f32_e32 v6, v6
	v_mul_f32_e32 v7, v5, v7
	v_mul_f32_e32 v6, v7, v6
	v_fmac_f32_e32 v6, -0.5, v5
	v_add_f32_e32 v3, v3, v6
.LBB87_20:
	s_or_b32 exec_lo, exec_lo, s8
                                        ; implicit-def: $vgpr5
.LBB87_21:
	s_andn2_saveexec_b32 s7, s7
	s_cbranch_execz .LBB87_23
; %bb.22:
	v_mul_f32_e32 v6, v5, v5
	s_mov_b32 s8, 0xb9a3f927
	s_mov_b32 s9, 0x39afe9f7
	v_mul_f32_e32 v7, v5, v6
	v_fmaak_f32 v8, s8, v7, 0x3a66f867
	v_fmaak_f32 v9, s9, v7, 0xba0d3085
	s_mov_b32 s8, 0x39a57b6b
	v_fmaak_f32 v10, s8, v7, 0xbab7f476
	v_fmaak_f32 v8, v7, v8, 0xbb7177fe
	;; [unrolled: 1-line block ×9, first 2 shown]
	v_fmac_f32_e32 v8, v5, v9
	v_fmaak_f32 v5, v7, v10, 0x3ef7b95e
	v_fma_f32 v7, v7, -v8, 0xa2863e55
	v_fma_f32 v5, v6, v5, -v7
	v_add_f32_e32 v5, 0xbdf8cdce, v5
	v_add_f32_e32 v3, v3, v5
.LBB87_23:
	s_or_b32 exec_lo, exec_lo, s7
                                        ; implicit-def: $vgpr6
                                        ; implicit-def: $vgpr5
.LBB87_24:
	s_andn2_saveexec_b32 s4, s4
	s_cbranch_execz .LBB87_28
; %bb.25:
	s_mov_b32 s7, exec_lo
	v_cmpx_eq_u32_e32 0, v6
	s_cbranch_execz .LBB87_27
; %bb.26:
	v_mul_f32_e32 v6, v5, v5
	s_mov_b32 s8, 0x383c2c75
	v_fmaak_f32 v7, s8, v6, 0x38e28445
	s_mov_b32 s8, 0x37d383a2
	v_fmaak_f32 v8, s8, v6, 0x39679767
	v_fmaak_f32 v7, v6, v7, 0x3a05b634
	;; [unrolled: 1-line block ×9, first 2 shown]
	v_mul_f32_e32 v6, v6, v7
	v_fmac_f32_e32 v6, v5, v8
	v_fmac_f32_e32 v6, -0.5, v5
	v_add_f32_e32 v3, v3, v6
.LBB87_27:
	s_or_b32 exec_lo, exec_lo, s7
.LBB87_28:
	s_or_b32 exec_lo, exec_lo, s4
.LBB87_29:
	s_or_b32 exec_lo, exec_lo, s6
.LBB87_30:
	s_andn2_saveexec_b32 s4, s5
	s_cbranch_execz .LBB87_32
; %bb.31:
	v_cmp_gt_f32_e64 s5, 0x800000, |v1|
	s_mov_b32 s6, 0x3e8a8991
	v_fma_f32 v7, |v1|, s6, 0xbecd26ab
	v_cndmask_b32_e64 v3, 0, 32, s5
	v_ldexp_f32 v3, |v1|, v3
	v_log_f32_e32 v3, v3
	v_mul_f32_e32 v5, 0x3f317217, v3
	v_cmp_gt_f32_e64 vcc_lo, 0x7f800000, |v3|
	v_fma_f32 v6, 0x3f317217, v3, -v5
	v_fmamk_f32 v6, v3, 0x3377d1cf, v6
	v_add_f32_e32 v5, v5, v6
	v_fma_f32 v6, |v1|, v7, 0x3f528d33
	v_cndmask_b32_e32 v3, v3, v5, vcc_lo
	v_cndmask_b32_e64 v5, 0, 0x41b17218, s5
	v_fma_f32 v6, |v1|, v6, 0xbf13c468
	v_sub_f32_e32 v3, v3, v5
	v_fma_f32 v3, |v1|, v6, -v3
.LBB87_32:
	s_or_b32 exec_lo, exec_lo, s4
	v_cmp_le_f32_e64 s4, 0, v1
	s_mov_b32 s5, exec_lo
	v_cmpx_nle_f32_e32 0, v1
	s_xor_b32 s6, exec_lo, s5
	s_cbranch_execz .LBB87_36
; %bb.33:
	v_cmp_gt_f32_e64 s5, 0x4b000000, |v1|
	v_cmp_lt_f32_e64 s7, 0x35000000, |v1|
	s_and_b32 s5, s5, s7
	s_and_saveexec_b32 s7, s5
	s_cbranch_execz .LBB87_35
; %bb.34:
	v_mul_f32_e64 v5, |v1|, 0.5
	v_cmp_gt_f32_e64 s5, |v1|, 1.0
	s_mov_b32 s8, 0x3d4be544
	v_xor_b32_e32 v4, v4, v1
	v_fract_f32_e32 v6, v5
	v_cmp_neq_f32_e32 vcc_lo, 0x7f800000, v5
	v_add_f32_e32 v6, v6, v6
	v_cndmask_b32_e32 v5, 0, v6, vcc_lo
	v_cndmask_b32_e64 v5, |v1|, v5, s5
	s_mov_b32 s5, 0x3e75aa41
	v_add_f32_e32 v6, v5, v5
	v_rndne_f32_e32 v6, v6
	v_fmac_f32_e32 v5, -0.5, v6
	v_cvt_i32_f32_e32 v6, v6
	v_mul_f32_e32 v7, v5, v5
	v_fmaak_f32 v8, s5, v7, 0xbf1f24be
	v_fmaak_f32 v9, s8, v7, 0x3e642e9d
	v_mul_f32_e32 v10, v5, v7
	v_fmaak_f32 v8, v7, v8, 0x40234736
	v_fmaak_f32 v9, v7, v9, 0xbfaad1da
	;; [unrolled: 1-line block ×4, first 2 shown]
	v_mul_f32_e32 v8, v10, v8
	v_fmaak_f32 v9, v7, v9, 0xc09de9e6
	v_and_b32_e32 v10, 1, v6
	v_lshlrev_b32_e32 v6, 30, v6
	v_fmamk_f32 v5, v5, 0x40490fdb, v8
	v_fma_f32 v7, v7, v9, 1.0
	v_cmp_eq_u32_e32 vcc_lo, 0, v10
	v_and_b32_e32 v6, 0x80000000, v6
	v_cndmask_b32_e32 v5, v7, v5, vcc_lo
	v_xor3_b32 v4, v4, v6, v5
	v_mul_f32_e32 v4, v1, v4
	v_frexp_mant_f32_e64 v5, |v4|
	v_frexp_exp_i32_f32_e32 v4, v4
	v_rcp_f32_e32 v5, v5
	v_sub_nc_u32_e32 v4, 2, v4
	v_mul_f32_e32 v5, 0x3f490fdb, v5
	v_ldexp_f32 v4, v5, v4
	v_cmp_gt_f32_e32 vcc_lo, 0x800000, v4
	v_cndmask_b32_e64 v5, 0, 32, vcc_lo
	v_ldexp_f32 v4, v4, v5
	v_log_f32_e32 v4, v4
	v_mul_f32_e32 v5, 0x3f317217, v4
	v_cmp_gt_f32_e64 s5, 0x7f800000, |v4|
	v_fma_f32 v6, 0x3f317217, v4, -v5
	v_fmamk_f32 v6, v4, 0x3377d1cf, v6
	v_add_f32_e32 v5, v5, v6
	v_cndmask_b32_e64 v4, v4, v5, s5
	v_cndmask_b32_e64 v5, 0, 0x41b17218, vcc_lo
	v_sub_f32_e32 v4, v4, v5
	v_fract_f32_e32 v5, v1
	v_sub_f32_e32 v3, v4, v3
	v_cmp_neq_f32_e32 vcc_lo, 0, v5
	v_cndmask_b32_e32 v3, 0x7f800000, v3, vcc_lo
.LBB87_35:
	s_or_b32 exec_lo, exec_lo, s7
.LBB87_36:
	s_andn2_saveexec_b32 s6, s6
; %bb.37:
	v_cmp_eq_f32_e32 vcc_lo, 1.0, v1
	v_cmp_eq_f32_e64 s5, 2.0, v1
	s_or_b32 s5, vcc_lo, s5
	v_cndmask_b32_e64 v3, v3, 0, s5
; %bb.38:
	s_or_b32 exec_lo, exec_lo, s6
	v_mov_b32_e32 v5, 0x7f800000
	s_mov_b32 s8, exec_lo
	v_cmpx_ne_u32_e32 0, v0
	s_cbranch_execz .LBB87_56
; %bb.39:
	v_mov_b32_e32 v5, 0x7fc00000
	s_mov_b32 s9, exec_lo
	v_cmpx_lt_i32_e32 -1, v0
	s_cbranch_execz .LBB87_55
; %bb.40:
	v_floor_f32_e32 v4, v2
	v_cmp_nge_f32_e32 vcc_lo, 0, v2
	v_mov_b32_e32 v5, 0x7f800000
	s_mov_b32 s11, 0
	v_cmp_neq_f32_e64 s5, v2, v4
	s_or_b32 s5, vcc_lo, s5
	s_and_saveexec_b32 s10, s5
	s_cbranch_execz .LBB87_54
; %bb.41:
	v_frexp_mant_f32_e64 v4, |v2|
	s_mov_b32 s12, 0x3e76c4e1
	s_mov_b32 s16, 0
                                        ; implicit-def: $sgpr13
                                        ; implicit-def: $sgpr15
                                        ; implicit-def: $sgpr14
	v_cmp_gt_f32_e32 vcc_lo, 0x3f2aaaab, v4
	v_cndmask_b32_e64 v5, 1.0, 2.0, vcc_lo
	v_mul_f32_e32 v4, v4, v5
	v_add_f32_e32 v5, 1.0, v4
	v_add_f32_e32 v7, -1.0, v4
	v_rcp_f32_e32 v6, v5
	v_add_f32_e32 v9, -1.0, v5
	v_sub_f32_e32 v4, v4, v9
	v_mul_f32_e32 v8, v7, v6
	v_mul_f32_e32 v10, v5, v8
	v_fma_f32 v5, v8, v5, -v10
	v_fmac_f32_e32 v5, v8, v4
	v_add_f32_e32 v4, v10, v5
	v_sub_f32_e32 v9, v7, v4
	v_sub_f32_e32 v10, v4, v10
	;; [unrolled: 1-line block ×5, first 2 shown]
	v_add_f32_e32 v4, v5, v4
	v_add_f32_e32 v4, v9, v4
	v_mul_f32_e32 v4, v6, v4
	v_add_f32_e32 v6, v8, v4
	v_sub_f32_e32 v5, v6, v8
	v_mul_f32_e32 v7, v6, v6
	v_sub_f32_e32 v8, v4, v5
	v_fma_f32 v4, v6, v6, -v7
	v_add_f32_e32 v5, v8, v8
	v_fmac_f32_e32 v4, v6, v5
	v_add_f32_e32 v9, v7, v4
	v_fmaak_f32 v5, s12, v9, 0x3e91f4c4
	v_sub_f32_e32 v7, v9, v7
	v_mul_f32_e32 v14, v6, v9
	v_fmaak_f32 v5, v9, v5, 0x3ecccdef
	v_sub_f32_e32 v7, v4, v7
	v_fma_f32 v15, v9, v6, -v14
	v_mul_f32_e32 v10, v9, v5
	v_fmac_f32_e32 v15, v9, v8
	v_ldexp_f32 v8, v8, 1
	v_fma_f32 v11, v9, v5, -v10
	v_fmac_f32_e32 v15, v7, v6
	v_fmac_f32_e32 v11, v7, v5
	v_cvt_f64_f32_e64 v[4:5], |v2|
	v_add_f32_e32 v12, v10, v11
	v_sub_f32_e32 v10, v12, v10
	v_add_f32_e32 v13, 0x3f2aaaaa, v12
	v_sub_f32_e32 v10, v11, v10
	v_add_f32_e32 v11, 0xbf2aaaaa, v13
	v_add_f32_e32 v10, 0x31739010, v10
	v_sub_f32_e32 v11, v12, v11
	v_frexp_exp_i32_f64_e32 v4, v[4:5]
	v_add_f32_e32 v9, v10, v11
	v_add_f32_e32 v10, v14, v15
	;; [unrolled: 1-line block ×3, first 2 shown]
	v_sub_f32_e32 v12, v10, v14
	v_sub_f32_e32 v5, v13, v7
	v_mul_f32_e32 v11, v10, v7
	v_sub_f32_e32 v12, v15, v12
	v_add_f32_e32 v5, v9, v5
	v_fma_f32 v9, v10, v7, -v11
	v_subrev_co_ci_u32_e64 v4, null, 0, v4, vcc_lo
	v_fmac_f32_e32 v9, v10, v5
	v_ldexp_f32 v5, v6, 1
	v_cmp_neq_f32_e32 vcc_lo, 1.0, v2
	v_cvt_f32_i32_e32 v4, v4
	v_fmac_f32_e32 v9, v12, v7
	v_add_f32_e32 v6, v11, v9
	v_add_f32_e32 v7, v5, v6
	v_sub_f32_e32 v10, v6, v11
	v_mul_f32_e32 v11, 0x3f317218, v4
	v_sub_f32_e32 v5, v7, v5
	v_sub_f32_e32 v9, v9, v10
	v_fma_f32 v10, 0x3f317218, v4, -v11
	v_sub_f32_e32 v5, v6, v5
	v_add_f32_e32 v6, v8, v9
	v_fmac_f32_e32 v10, 0xb102e308, v4
	v_add_f32_e32 v4, v6, v5
	v_add_f32_e32 v5, v11, v10
	;; [unrolled: 1-line block ×3, first 2 shown]
	v_sub_f32_e32 v11, v5, v11
	v_add_f32_e32 v8, v5, v6
	v_sub_f32_e32 v7, v6, v7
	v_sub_f32_e32 v10, v10, v11
	v_sub_f32_e32 v9, v8, v5
	v_sub_f32_e32 v4, v4, v7
	v_sub_f32_e32 v12, v8, v9
	v_sub_f32_e32 v6, v6, v9
	v_add_f32_e32 v7, v10, v4
	v_sub_f32_e32 v5, v5, v12
	v_add_f32_e32 v5, v6, v5
	v_sub_f32_e32 v6, v7, v10
	;; [unrolled: 2-line block ×3, first 2 shown]
	v_sub_f32_e32 v4, v4, v6
	v_add_f32_e32 v9, v8, v5
	v_sub_f32_e32 v6, v10, v7
	v_sub_f32_e32 v7, v9, v8
	v_add_f32_e32 v4, v4, v6
	v_add_nc_u32_e32 v6, 1, v0
	v_sub_f32_e32 v5, v5, v7
	v_add_f32_e32 v5, v4, v5
	v_cvt_f32_i32_e32 v4, v6
	v_add_f32_e32 v6, v9, v5
	v_cndmask_b32_e64 v7, 1.0, -v4, vcc_lo
	v_sub_f32_e32 v8, v6, v9
	v_mul_f32_e32 v9, v7, v6
	v_cmp_gt_f32_e64 s7, 0, v7
	v_sub_f32_e32 v5, v5, v8
	v_fma_f32 v6, v7, v6, -v9
	v_cmp_class_f32_e64 vcc_lo, v9, 0x204
	v_fmac_f32_e32 v6, v7, v5
	v_add_f32_e32 v5, v9, v6
	v_cndmask_b32_e32 v8, v5, v9, vcc_lo
	v_sub_f32_e32 v5, v5, v9
	v_cmp_eq_f32_e32 vcc_lo, 0x42b17218, v8
	v_sub_f32_e32 v5, v6, v5
	v_cndmask_b32_e64 v10, 0, 0x37000000, vcc_lo
	v_cmp_neq_f32_e64 vcc_lo, 0x7f800000, |v8|
	v_sub_f32_e32 v11, v8, v10
	v_cndmask_b32_e32 v5, 0, v5, vcc_lo
	v_trunc_f32_e32 v8, v7
	v_mul_f32_e32 v12, 0x3fb8aa3b, v11
	v_cmp_ngt_f32_e32 vcc_lo, 0xc2ce8ed0, v11
	v_add_f32_e32 v5, v10, v5
	v_fma_f32 v13, 0x3fb8aa3b, v11, -v12
	v_rndne_f32_e32 v14, v12
	v_fmac_f32_e32 v13, 0x32a5705f, v11
	v_sub_f32_e32 v12, v12, v14
	v_cvt_i32_f32_e32 v9, v14
	v_add_f32_e32 v12, v12, v13
	v_exp_f32_e32 v12, v12
	v_ldexp_f32 v6, v12, v9
	v_mul_f32_e32 v9, 0.5, v7
	v_cndmask_b32_e32 v6, 0, v6, vcc_lo
	v_cmp_nlt_f32_e32 vcc_lo, 0x42b17218, v11
	v_trunc_f32_e32 v12, v9
	v_cndmask_b32_e32 v6, 0x7f800000, v6, vcc_lo
	v_cmp_eq_f32_e32 vcc_lo, v8, v7
	v_cmp_neq_f32_e64 s5, v12, v9
	v_fma_f32 v5, v6, v5, v6
	v_cmp_class_f32_e64 s6, v6, 0x204
	s_and_b32 s5, vcc_lo, s5
	v_cndmask_b32_e64 v8, 1.0, v2, s5
	v_cndmask_b32_e64 v5, v5, v6, s6
	v_cmp_eq_f32_e64 s6, 0, v2
	v_bfi_b32 v5, 0x7fffffff, v5, v8
	s_xor_b32 s7, s6, s7
	v_cndmask_b32_e64 v8, 0, v2, s5
	v_cndmask_b32_e64 v6, 0x7f800000, 0, s7
	v_cmp_class_f32_e64 s5, v2, 0x204
	v_cndmask_b32_e32 v7, 0x7fc00000, v5, vcc_lo
	v_cmp_gt_f32_e32 vcc_lo, 0, v2
	v_bfi_b32 v6, 0x7fffffff, v6, v8
	v_cndmask_b32_e32 v5, v5, v7, vcc_lo
	s_or_b32 vcc_lo, s6, s5
	v_cndmask_b32_e32 v5, v5, v6, vcc_lo
	v_cmp_o_f32_e32 vcc_lo, v2, v2
	v_cndmask_b32_e32 v5, 0x7fc00000, v5, vcc_lo
	s_branch .LBB87_43
.LBB87_42:                              ;   in Loop: Header=BB87_43 Depth=1
	s_or_b32 exec_lo, exec_lo, s5
	s_and_b32 s5, exec_lo, s15
	s_or_b32 s11, s5, s11
	s_andn2_b32 s5, s13, exec_lo
	s_and_b32 s6, s14, exec_lo
	s_or_b32 s13, s5, s6
	s_andn2_b32 exec_lo, exec_lo, s11
	s_cbranch_execz .LBB87_45
.LBB87_43:                              ; =>This Inner Loop Header: Depth=1
	v_add_f32_e32 v2, 1.0, v2
	s_or_b32 s14, s14, exec_lo
	s_or_b32 s15, s15, exec_lo
	v_frexp_mant_f32_e64 v6, |v2|
	v_cmp_eq_f32_e64 s6, 0, v2
	v_cmp_gt_f32_e32 vcc_lo, 0x3f2aaaab, v6
	v_cndmask_b32_e64 v7, 1.0, 2.0, vcc_lo
	v_mul_f32_e32 v6, v6, v7
	v_add_f32_e32 v7, 1.0, v6
	v_add_f32_e32 v9, -1.0, v6
	v_rcp_f32_e32 v8, v7
	v_add_f32_e32 v11, -1.0, v7
	v_sub_f32_e32 v6, v6, v11
	v_mul_f32_e32 v10, v9, v8
	v_mul_f32_e32 v12, v7, v10
	v_fma_f32 v7, v10, v7, -v12
	v_fmac_f32_e32 v7, v10, v6
	v_add_f32_e32 v6, v12, v7
	v_sub_f32_e32 v11, v9, v6
	v_sub_f32_e32 v12, v6, v12
	;; [unrolled: 1-line block ×5, first 2 shown]
	v_add_f32_e32 v6, v7, v6
	v_add_f32_e32 v6, v11, v6
	v_mul_f32_e32 v6, v8, v6
	v_add_f32_e32 v8, v10, v6
	v_sub_f32_e32 v7, v8, v10
	v_mul_f32_e32 v9, v8, v8
	v_sub_f32_e32 v10, v6, v7
	v_fma_f32 v6, v8, v8, -v9
	v_add_f32_e32 v7, v10, v10
	v_fmac_f32_e32 v6, v8, v7
	v_add_f32_e32 v11, v9, v6
	v_fmaak_f32 v7, s12, v11, 0x3e91f4c4
	v_sub_f32_e32 v9, v11, v9
	v_mul_f32_e32 v16, v8, v11
	v_fmaak_f32 v7, v11, v7, 0x3ecccdef
	v_sub_f32_e32 v9, v6, v9
	v_fma_f32 v17, v11, v8, -v16
	v_mul_f32_e32 v12, v11, v7
	v_fmac_f32_e32 v17, v11, v10
	v_ldexp_f32 v10, v10, 1
	v_fma_f32 v13, v11, v7, -v12
	v_fmac_f32_e32 v17, v9, v8
	v_fmac_f32_e32 v13, v9, v7
	v_cvt_f64_f32_e64 v[6:7], |v2|
	v_add_f32_e32 v14, v12, v13
	v_sub_f32_e32 v12, v14, v12
	v_add_f32_e32 v15, 0x3f2aaaaa, v14
	v_sub_f32_e32 v12, v13, v12
	v_add_f32_e32 v13, 0xbf2aaaaa, v15
	v_add_f32_e32 v12, 0x31739010, v12
	v_sub_f32_e32 v13, v14, v13
	v_frexp_exp_i32_f64_e32 v6, v[6:7]
	v_add_f32_e32 v11, v12, v13
	v_add_f32_e32 v12, v16, v17
	v_add_f32_e32 v9, v15, v11
	v_sub_f32_e32 v14, v12, v16
	v_sub_f32_e32 v7, v15, v9
	v_mul_f32_e32 v13, v12, v9
	v_sub_f32_e32 v14, v17, v14
	v_add_f32_e32 v7, v11, v7
	v_fma_f32 v11, v12, v9, -v13
	v_subrev_co_ci_u32_e64 v6, null, 0, v6, vcc_lo
	v_fmac_f32_e32 v11, v12, v7
	v_ldexp_f32 v7, v8, 1
	v_cmp_neq_f32_e32 vcc_lo, 1.0, v2
	v_cvt_f32_i32_e32 v6, v6
	v_fmac_f32_e32 v11, v14, v9
	v_add_f32_e32 v8, v13, v11
	v_add_f32_e32 v9, v7, v8
	v_sub_f32_e32 v12, v8, v13
	v_mul_f32_e32 v13, 0x3f317218, v6
	v_sub_f32_e32 v7, v9, v7
	v_sub_f32_e32 v11, v11, v12
	v_fma_f32 v12, 0x3f317218, v6, -v13
	v_sub_f32_e32 v7, v8, v7
	v_add_f32_e32 v8, v10, v11
	v_fmac_f32_e32 v12, 0xb102e308, v6
	v_add_f32_e32 v6, v8, v7
	v_add_f32_e32 v7, v13, v12
	;; [unrolled: 1-line block ×3, first 2 shown]
	v_sub_f32_e32 v13, v7, v13
	v_add_f32_e32 v10, v7, v8
	v_sub_f32_e32 v9, v8, v9
	v_sub_f32_e32 v12, v12, v13
	;; [unrolled: 1-line block ×6, first 2 shown]
	v_add_f32_e32 v9, v12, v6
	v_sub_f32_e32 v7, v7, v14
	v_add_f32_e32 v7, v8, v7
	v_sub_f32_e32 v8, v9, v12
	;; [unrolled: 2-line block ×3, first 2 shown]
	v_sub_f32_e32 v6, v6, v8
	v_add_f32_e32 v11, v10, v7
	v_sub_f32_e32 v8, v12, v9
	v_sub_f32_e32 v9, v11, v10
	v_add_f32_e32 v6, v6, v8
	v_cndmask_b32_e64 v8, 1.0, -v4, vcc_lo
	v_sub_f32_e32 v7, v7, v9
	v_add_f32_e32 v6, v6, v7
	v_add_f32_e32 v7, v11, v6
	v_sub_f32_e32 v9, v7, v11
	v_mul_f32_e32 v10, v8, v7
	v_sub_f32_e32 v6, v6, v9
	v_fma_f32 v7, v8, v7, -v10
	v_cmp_class_f32_e64 vcc_lo, v10, 0x204
	v_fmac_f32_e32 v7, v8, v6
	v_add_f32_e32 v6, v10, v7
	v_cndmask_b32_e32 v9, v6, v10, vcc_lo
	v_sub_f32_e32 v6, v6, v10
	v_cmp_eq_f32_e32 vcc_lo, 0x42b17218, v9
	v_sub_f32_e32 v6, v7, v6
	v_cndmask_b32_e64 v11, 0, 0x37000000, vcc_lo
	v_cmp_neq_f32_e64 vcc_lo, 0x7f800000, |v9|
	v_sub_f32_e32 v12, v9, v11
	v_cndmask_b32_e32 v6, 0, v6, vcc_lo
	v_trunc_f32_e32 v9, v8
	v_mul_f32_e32 v13, 0x3fb8aa3b, v12
	v_cmp_ngt_f32_e32 vcc_lo, 0xc2ce8ed0, v12
	v_add_f32_e32 v6, v11, v6
	v_fma_f32 v14, 0x3fb8aa3b, v12, -v13
	v_rndne_f32_e32 v15, v13
	v_fmac_f32_e32 v14, 0x32a5705f, v12
	v_sub_f32_e32 v13, v13, v15
	v_cvt_i32_f32_e32 v10, v15
	v_add_f32_e32 v13, v13, v14
	v_exp_f32_e32 v13, v13
	v_ldexp_f32 v7, v13, v10
	v_mul_f32_e32 v10, 0.5, v8
	v_cndmask_b32_e32 v7, 0, v7, vcc_lo
	v_cmp_nlt_f32_e32 vcc_lo, 0x42b17218, v12
	v_trunc_f32_e32 v13, v10
	v_cndmask_b32_e32 v7, 0x7f800000, v7, vcc_lo
	v_cmp_eq_f32_e32 vcc_lo, v9, v8
	v_cmp_neq_f32_e64 s5, v13, v10
	v_fma_f32 v6, v7, v6, v7
	v_cmp_class_f32_e64 s7, v7, 0x204
	s_and_b32 s5, vcc_lo, s5
	v_cndmask_b32_e64 v9, 1.0, v2, s5
	v_cndmask_b32_e64 v6, v6, v7, s7
	v_cmp_gt_f32_e64 s7, 0, v8
	v_cndmask_b32_e64 v8, 0, v2, s5
	v_cmp_class_f32_e64 s5, v2, 0x204
	v_bfi_b32 v6, 0x7fffffff, v6, v9
	s_xor_b32 s7, s6, s7
	v_cndmask_b32_e64 v7, 0x7f800000, 0, s7
	v_cndmask_b32_e32 v9, 0x7fc00000, v6, vcc_lo
	v_cmp_gt_f32_e32 vcc_lo, 0, v2
	v_bfi_b32 v7, 0x7fffffff, v7, v8
	v_cndmask_b32_e32 v6, v6, v9, vcc_lo
	s_or_b32 vcc_lo, s6, s5
	v_cndmask_b32_e32 v6, v6, v7, vcc_lo
	v_cmp_o_f32_e32 vcc_lo, v2, v2
	v_cndmask_b32_e32 v6, 0x7fc00000, v6, vcc_lo
	v_add_f32_e32 v5, v5, v6
	v_mul_f32_e32 v7, 0xa5000000, v5
	v_mul_f32_e32 v8, 0x25000000, v5
	v_cmp_nlt_f32_e32 vcc_lo, v7, v6
	v_cmp_nlt_f32_e64 s5, v6, v8
	s_or_b32 s6, vcc_lo, s5
	s_and_saveexec_b32 s5, s6
	s_cbranch_execz .LBB87_42
; %bb.44:                               ;   in Loop: Header=BB87_43 Depth=1
	s_add_i32 s6, s16, 1
	v_cmp_nge_f32_e32 vcc_lo, 0x41100000, v2
	s_cmp_gt_u32 s16, 7
	s_mov_b32 s16, s6
	s_cselect_b32 s7, -1, 0
	s_andn2_b32 s15, s15, exec_lo
	s_and_b32 s7, s7, vcc_lo
	s_andn2_b32 s14, s14, exec_lo
	s_and_b32 s7, s7, exec_lo
	s_or_b32 s15, s15, s7
	s_branch .LBB87_42
.LBB87_45:
	s_or_b32 exec_lo, exec_lo, s11
	s_xor_b32 s5, s13, -1
	s_and_saveexec_b32 s6, s5
	s_xor_b32 s5, exec_lo, s6
	s_cbranch_execz .LBB87_53
; %bb.46:
	v_mul_f32_e32 v7, v2, v6
	v_add_f32_e32 v8, -1.0, v4
	s_mov_b64 s[6:7], 0
	s_mov_b32 s11, 0
                                        ; implicit-def: $sgpr12
	v_div_scale_f32 v9, null, v8, v8, v7
	v_div_scale_f32 v12, vcc_lo, v7, v8, v7
	v_rcp_f32_e32 v10, v9
	v_fma_f32 v11, -v9, v10, 1.0
	v_fmac_f32_e32 v10, v11, v10
	v_mul_f32_e32 v11, v12, v10
	v_fma_f32 v13, -v9, v11, v12
	v_fmac_f32_e32 v11, v13, v10
	v_fma_f32 v9, -v9, v11, v12
	v_div_fmas_f32 v9, v9, v10, v11
	v_div_fixup_f32 v7, v9, v8, v7
	v_mov_b32_e32 v8, 1.0
	v_add_f32_e32 v5, v5, v7
	v_mov_b32_e32 v7, 0
	v_fmac_f32_e32 v5, -0.5, v6
	s_branch .LBB87_49
.LBB87_47:                              ;   in Loop: Header=BB87_49 Depth=1
	s_or_b32 exec_lo, exec_lo, s14
	s_andn2_b32 s12, s12, exec_lo
	s_and_b32 s14, s15, exec_lo
	s_or_b32 s12, s12, s14
.LBB87_48:                              ;   in Loop: Header=BB87_49 Depth=1
	s_or_b32 exec_lo, exec_lo, s13
	s_and_b32 s13, exec_lo, s12
	s_or_b32 s11, s13, s11
	s_andn2_b32 exec_lo, exec_lo, s11
	s_cbranch_execz .LBB87_52
.LBB87_49:                              ; =>This Inner Loop Header: Depth=1
	v_div_scale_f32 v9, null, v2, v2, v6
	v_div_scale_f32 v12, vcc_lo, v6, v2, v6
	s_getpc_b64 s[14:15]
	s_add_u32 s14, s14, _ZZ4zetaIfLb1EET_S0_S0_E1A@rel32@lo+4
	s_addc_u32 s15, s15, _ZZ4zetaIfLb1EET_S0_S0_E1A@rel32@hi+12
	v_rcp_f32_e32 v10, v9
	s_add_u32 s14, s14, s6
	s_addc_u32 s15, s15, s7
	s_or_b32 s12, s12, exec_lo
	s_load_dword s13, s[14:15], 0x0
	v_fma_f32 v11, -v9, v10, 1.0
	v_fmac_f32_e32 v10, v11, v10
	v_mul_f32_e32 v11, v12, v10
	v_fma_f32 v13, -v9, v11, v12
	v_fmac_f32_e32 v11, v13, v10
	v_fma_f32 v9, -v9, v11, v12
	v_add_f32_e32 v12, v7, v4
	v_div_fmas_f32 v10, v9, v10, v11
	v_mul_f32_e32 v9, v8, v12
	v_div_fixup_f32 v10, v10, v2, v6
	v_mul_f32_e32 v6, v10, v9
	s_waitcnt lgkmcnt(0)
	v_div_scale_f32 v8, null, s13, s13, v6
	v_div_scale_f32 v13, vcc_lo, v6, s13, v6
	v_rcp_f32_e32 v11, v8
	v_fma_f32 v12, -v8, v11, 1.0
	v_fmac_f32_e32 v11, v12, v11
	v_mul_f32_e32 v12, v13, v11
	v_fma_f32 v14, -v8, v12, v13
	v_fmac_f32_e32 v12, v14, v11
	v_fma_f32 v8, -v8, v12, v13
	v_div_fmas_f32 v8, v8, v11, v12
	v_div_fixup_f32 v6, v8, s13, v6
	v_add_f32_e32 v5, v5, v6
	v_div_scale_f32 v8, null, v5, v5, v6
	v_rcp_f32_e32 v11, v8
	v_fma_f32 v12, -v8, v11, 1.0
	v_fmac_f32_e32 v11, v12, v11
	v_div_scale_f32 v12, vcc_lo, v6, v5, v6
	v_mul_f32_e32 v13, v12, v11
	v_fma_f32 v14, -v8, v13, v12
	v_fmac_f32_e32 v13, v14, v11
	v_fma_f32 v8, -v8, v13, v12
	v_div_fmas_f32 v8, v8, v11, v13
	v_div_fixup_f32 v6, v8, v5, v6
                                        ; implicit-def: $vgpr8
	v_cmp_ngt_f32_e64 s14, 0x25000000, |v6|
                                        ; implicit-def: $vgpr6
	s_and_saveexec_b32 s13, s14
	s_cbranch_execz .LBB87_48
; %bb.50:                               ;   in Loop: Header=BB87_49 Depth=1
	v_div_scale_f32 v6, null, v2, v2, v10
	v_div_scale_f32 v12, vcc_lo, v10, v2, v10
	v_add_f32_e32 v7, 1.0, v7
	v_rcp_f32_e32 v8, v6
	s_getpc_b64 s[14:15]
	s_add_u32 s14, s14, _ZZ4zetaIfLb1EET_S0_S0_E1A@rel32@lo+8
	s_addc_u32 s15, s15, _ZZ4zetaIfLb1EET_S0_S0_E1A@rel32@hi+16
	s_add_u32 s14, s14, s6
	s_addc_u32 s15, s15, s7
	v_add_f32_e32 v15, v7, v4
	s_load_dword s14, s[14:15], 0x0
	s_mov_b32 s15, -1
	v_fma_f32 v11, -v6, v8, 1.0
	v_fmac_f32_e32 v8, v11, v8
	v_mul_f32_e32 v11, v12, v8
	v_fma_f32 v13, -v6, v11, v12
	v_fmac_f32_e32 v11, v13, v8
	v_fma_f32 v6, -v6, v11, v12
	v_div_fmas_f32 v6, v6, v8, v11
	v_div_fixup_f32 v6, v6, v2, v10
	v_div_scale_f32 v8, null, v2, v2, v6
	v_div_scale_f32 v12, vcc_lo, v6, v2, v6
	v_rcp_f32_e32 v10, v8
	v_fma_f32 v11, -v8, v10, 1.0
	v_fmac_f32_e32 v10, v11, v10
	v_add_f32_e32 v11, 1.0, v7
	v_mul_f32_e32 v13, v12, v10
	v_fma_f32 v14, -v8, v13, v12
	v_fmac_f32_e32 v13, v14, v10
	v_fma_f32 v7, -v8, v13, v12
	v_mul_f32_e32 v8, v15, v9
	v_add_f32_e32 v9, v11, v4
	v_div_fmas_f32 v7, v7, v10, v13
	v_mul_f32_e32 v9, v8, v9
	v_div_fixup_f32 v10, v7, v2, v6
	v_mul_f32_e32 v6, v10, v9
	s_waitcnt lgkmcnt(0)
	v_div_scale_f32 v7, null, s14, s14, v6
	v_div_scale_f32 v13, vcc_lo, v6, s14, v6
	v_rcp_f32_e32 v8, v7
	v_fma_f32 v12, -v7, v8, 1.0
	v_fmac_f32_e32 v8, v12, v8
	v_mul_f32_e32 v12, v13, v8
	v_fma_f32 v14, -v7, v12, v13
	v_fmac_f32_e32 v12, v14, v8
	v_fma_f32 v7, -v7, v12, v13
	v_div_fmas_f32 v7, v7, v8, v12
	v_div_fixup_f32 v6, v7, s14, v6
	v_add_f32_e32 v5, v5, v6
	v_div_scale_f32 v7, null, v5, v5, v6
	v_rcp_f32_e32 v8, v7
	v_fma_f32 v12, -v7, v8, 1.0
	v_fmac_f32_e32 v8, v12, v8
	v_div_scale_f32 v12, vcc_lo, v6, v5, v6
	v_mul_f32_e32 v13, v12, v8
	v_fma_f32 v14, -v7, v13, v12
	v_fmac_f32_e32 v13, v14, v8
	v_fma_f32 v7, -v7, v13, v12
	v_div_fmas_f32 v7, v7, v8, v13
                                        ; implicit-def: $vgpr8
	v_div_fixup_f32 v6, v7, v5, v6
                                        ; implicit-def: $vgpr7
	v_cmp_ngt_f32_e64 s16, 0x25000000, |v6|
                                        ; implicit-def: $vgpr6
	s_and_saveexec_b32 s14, s16
	s_cbranch_execz .LBB87_47
; %bb.51:                               ;   in Loop: Header=BB87_49 Depth=1
	v_div_scale_f32 v6, null, v2, v2, v10
	v_div_scale_f32 v12, vcc_lo, v10, v2, v10
	v_add_f32_e32 v11, 1.0, v11
	v_rcp_f32_e32 v7, v6
	s_add_u32 s6, s6, 8
	s_addc_u32 s7, s7, 0
	s_cmp_eq_u32 s6, 48
	s_cselect_b32 s15, -1, 0
	s_orn2_b32 s15, s15, exec_lo
	v_fma_f32 v8, -v6, v7, 1.0
	v_fmac_f32_e32 v7, v8, v7
	v_mul_f32_e32 v8, v12, v7
	v_fma_f32 v13, -v6, v8, v12
	v_fmac_f32_e32 v8, v13, v7
	v_fma_f32 v6, -v6, v8, v12
	v_add_f32_e32 v12, v11, v4
	v_div_fmas_f32 v6, v6, v7, v8
	v_mul_f32_e32 v8, v12, v9
	v_add_f32_e32 v7, 1.0, v11
	v_div_fixup_f32 v6, v6, v2, v10
	s_branch .LBB87_47
.LBB87_52:
	s_or_b32 exec_lo, exec_lo, s11
.LBB87_53:
	s_or_b32 exec_lo, exec_lo, s5
.LBB87_54:
	s_or_b32 exec_lo, exec_lo, s10
.LBB87_55:
	s_or_b32 exec_lo, exec_lo, s9
.LBB87_56:
	s_or_b32 exec_lo, exec_lo, s8
	v_cmp_gt_f32_e64 s5, 0x4b000000, |v1|
	v_and_b32_e32 v0, 1, v0
	s_or_b32 vcc_lo, s4, s5
	v_cmp_class_f32_e64 s4, v1, 0x244
	v_cndmask_b32_e32 v2, 0x7f800000, v3, vcc_lo
	v_cndmask_b32_e64 v1, v2, 0x7f800000, s4
	v_mul_f32_e32 v2, 0x3fb8aa3b, v1
	v_cmp_ngt_f32_e32 vcc_lo, 0xc2ce8ed0, v1
	v_fma_f32 v3, 0x3fb8aa3b, v1, -v2
	v_rndne_f32_e32 v4, v2
	v_fmamk_f32 v3, v1, 0x32a5705f, v3
	v_sub_f32_e32 v2, v2, v4
	v_add_f32_e32 v2, v2, v3
	v_cvt_i32_f32_e32 v3, v4
	v_exp_f32_e32 v2, v2
	v_ldexp_f32 v2, v2, v3
	v_cndmask_b32_e32 v2, 0, v2, vcc_lo
	v_cmp_nlt_f32_e32 vcc_lo, 0x42b17218, v1
	v_cndmask_b32_e32 v1, 0x7f800000, v2, vcc_lo
	v_cmp_eq_u32_e32 vcc_lo, 0, v0
	v_cndmask_b32_e64 v0, v1, -v1, vcc_lo
	v_mul_f32_e32 v0, v0, v5
	s_setpc_b64 s[30:31]
.Lfunc_end87:
	.size	_ZN3c104guts5applyIRZZZN2at6native21polygamma_kernel_cudaERNS2_18TensorIteratorBaseElENKUlvE_clEvENKUlvE0_clEvEUlfE_RSt5tupleIJfEEEEDaOT_OT0_, .Lfunc_end87-_ZN3c104guts5applyIRZZZN2at6native21polygamma_kernel_cudaERNS2_18TensorIteratorBaseElENKUlvE_clEvENKUlvE0_clEvEUlfE_RSt5tupleIJfEEEEDaOT_OT0_
                                        ; -- End function
	.set .L_ZN3c104guts5applyIRZZZN2at6native21polygamma_kernel_cudaERNS2_18TensorIteratorBaseElENKUlvE_clEvENKUlvE0_clEvEUlfE_RSt5tupleIJfEEEEDaOT_OT0_.num_vgpr, 18
	.set .L_ZN3c104guts5applyIRZZZN2at6native21polygamma_kernel_cudaERNS2_18TensorIteratorBaseElENKUlvE_clEvENKUlvE0_clEvEUlfE_RSt5tupleIJfEEEEDaOT_OT0_.num_agpr, 0
	.set .L_ZN3c104guts5applyIRZZZN2at6native21polygamma_kernel_cudaERNS2_18TensorIteratorBaseElENKUlvE_clEvENKUlvE0_clEvEUlfE_RSt5tupleIJfEEEEDaOT_OT0_.numbered_sgpr, 32
	.set .L_ZN3c104guts5applyIRZZZN2at6native21polygamma_kernel_cudaERNS2_18TensorIteratorBaseElENKUlvE_clEvENKUlvE0_clEvEUlfE_RSt5tupleIJfEEEEDaOT_OT0_.num_named_barrier, 0
	.set .L_ZN3c104guts5applyIRZZZN2at6native21polygamma_kernel_cudaERNS2_18TensorIteratorBaseElENKUlvE_clEvENKUlvE0_clEvEUlfE_RSt5tupleIJfEEEEDaOT_OT0_.private_seg_size, 0
	.set .L_ZN3c104guts5applyIRZZZN2at6native21polygamma_kernel_cudaERNS2_18TensorIteratorBaseElENKUlvE_clEvENKUlvE0_clEvEUlfE_RSt5tupleIJfEEEEDaOT_OT0_.uses_vcc, 1
	.set .L_ZN3c104guts5applyIRZZZN2at6native21polygamma_kernel_cudaERNS2_18TensorIteratorBaseElENKUlvE_clEvENKUlvE0_clEvEUlfE_RSt5tupleIJfEEEEDaOT_OT0_.uses_flat_scratch, 0
	.set .L_ZN3c104guts5applyIRZZZN2at6native21polygamma_kernel_cudaERNS2_18TensorIteratorBaseElENKUlvE_clEvENKUlvE0_clEvEUlfE_RSt5tupleIJfEEEEDaOT_OT0_.has_dyn_sized_stack, 0
	.set .L_ZN3c104guts5applyIRZZZN2at6native21polygamma_kernel_cudaERNS2_18TensorIteratorBaseElENKUlvE_clEvENKUlvE0_clEvEUlfE_RSt5tupleIJfEEEEDaOT_OT0_.has_recursion, 0
	.set .L_ZN3c104guts5applyIRZZZN2at6native21polygamma_kernel_cudaERNS2_18TensorIteratorBaseElENKUlvE_clEvENKUlvE0_clEvEUlfE_RSt5tupleIJfEEEEDaOT_OT0_.has_indirect_call, 0
	.section	.AMDGPU.csdata,"",@progbits
; Function info:
; codeLenInByte = 5232
; TotalNumSgprs: 34
; NumVgprs: 18
; ScratchSize: 0
; MemoryBound: 0
	.section	.text._ZN2at6native29vectorized_elementwise_kernelILi16EZZZNS0_21polygamma_kernel_cudaERNS_18TensorIteratorBaseElENKUlvE_clEvENKUlvE0_clEvEUlfE_St5arrayIPcLm2EEEEviT0_T1_,"axG",@progbits,_ZN2at6native29vectorized_elementwise_kernelILi16EZZZNS0_21polygamma_kernel_cudaERNS_18TensorIteratorBaseElENKUlvE_clEvENKUlvE0_clEvEUlfE_St5arrayIPcLm2EEEEviT0_T1_,comdat
	.globl	_ZN2at6native29vectorized_elementwise_kernelILi16EZZZNS0_21polygamma_kernel_cudaERNS_18TensorIteratorBaseElENKUlvE_clEvENKUlvE0_clEvEUlfE_St5arrayIPcLm2EEEEviT0_T1_ ; -- Begin function _ZN2at6native29vectorized_elementwise_kernelILi16EZZZNS0_21polygamma_kernel_cudaERNS_18TensorIteratorBaseElENKUlvE_clEvENKUlvE0_clEvEUlfE_St5arrayIPcLm2EEEEviT0_T1_
	.p2align	8
	.type	_ZN2at6native29vectorized_elementwise_kernelILi16EZZZNS0_21polygamma_kernel_cudaERNS_18TensorIteratorBaseElENKUlvE_clEvENKUlvE0_clEvEUlfE_St5arrayIPcLm2EEEEviT0_T1_,@function
_ZN2at6native29vectorized_elementwise_kernelILi16EZZZNS0_21polygamma_kernel_cudaERNS_18TensorIteratorBaseElENKUlvE_clEvENKUlvE0_clEvEUlfE_St5arrayIPcLm2EEEEviT0_T1_: ; @_ZN2at6native29vectorized_elementwise_kernelILi16EZZZNS0_21polygamma_kernel_cudaERNS_18TensorIteratorBaseElENKUlvE_clEvENKUlvE0_clEvEUlfE_St5arrayIPcLm2EEEEviT0_T1_
; %bb.0:
	s_add_u32 s0, s0, s7
	s_clause 0x2
	s_load_dword s7, s[4:5], 0x0
	s_load_dwordx4 s[20:23], s[4:5], 0x8
	s_load_dwordx2 s[24:25], s[4:5], 0x18
	s_addc_u32 s1, s1, 0
	s_lshl_b32 s18, s6, 10
	v_mov_b32_e32 v18, v0
	s_mov_b32 s4, -1
	s_mov_b32 s32, 0
	s_waitcnt lgkmcnt(0)
	s_sub_i32 s26, s7, s18
	s_cmpk_gt_i32 s26, 0x3ff
	s_cbranch_scc0 .LBB88_2
; %bb.1:
	s_ashr_i32 s19, s18, 31
	v_lshlrev_b32_e32 v23, 4, v18
	s_lshl_b64 s[28:29], s[18:19], 2
	v_mov_b32_e32 v0, s20
	s_add_u32 s4, s24, s28
	s_addc_u32 s5, s25, s29
	v_mov_b32_e32 v1, s21
	global_load_dwordx4 v[19:22], v23, s[4:5]
	s_getpc_b64 s[34:35]
	s_add_u32 s34, s34, _ZN3c104guts5applyIRZZZN2at6native21polygamma_kernel_cudaERNS2_18TensorIteratorBaseElENKUlvE_clEvENKUlvE0_clEvEUlfE_RSt5tupleIJfEEEEDaOT_OT0_@rel32@lo+4
	s_addc_u32 s35, s35, _ZN3c104guts5applyIRZZZN2at6native21polygamma_kernel_cudaERNS2_18TensorIteratorBaseElENKUlvE_clEvENKUlvE0_clEvEUlfE_RSt5tupleIJfEEEEDaOT_OT0_@rel32@hi+12
	s_waitcnt vmcnt(0)
	v_mov_b32_e32 v2, v19
	s_swappc_b64 s[30:31], s[34:35]
	v_mov_b32_e32 v19, v0
	v_mov_b32_e32 v0, s20
	v_mov_b32_e32 v1, s21
	v_mov_b32_e32 v2, v20
	s_swappc_b64 s[30:31], s[34:35]
	v_mov_b32_e32 v20, v0
	v_mov_b32_e32 v0, s20
	v_mov_b32_e32 v1, s21
	;; [unrolled: 5-line block ×3, first 2 shown]
	v_mov_b32_e32 v2, v22
	s_swappc_b64 s[30:31], s[34:35]
	v_mov_b32_e32 v22, v0
	s_add_u32 s6, s22, s28
	s_addc_u32 s7, s23, s29
	s_mov_b32 s4, 0
	global_store_dwordx4 v23, v[19:22], s[6:7]
.LBB88_2:
	s_andn2_b32 vcc_lo, exec_lo, s4
	s_cbranch_vccnz .LBB88_23
; %bb.3:
	v_cmp_gt_i32_e64 s17, s26, v18
	v_mov_b32_e32 v19, 0
	v_or_b32_e32 v26, s18, v18
	v_or_b32_e32 v28, 0x100, v18
	v_mov_b32_e32 v2, 0
	v_mov_b32_e32 v0, v18
	s_and_saveexec_b32 s4, s17
	s_cbranch_execz .LBB88_5
; %bb.4:
	v_mov_b32_e32 v27, 0
	v_lshlrev_b64 v[0:1], 2, v[26:27]
	v_add_co_u32 v0, vcc_lo, s24, v0
	v_add_co_ci_u32_e64 v1, null, s25, v1, vcc_lo
	global_load_dword v2, v[0:1], off
	v_or_b32_e32 v0, 0x100, v18
.LBB88_5:
	s_or_b32 exec_lo, exec_lo, s4
	s_mov_b32 s4, exec_lo
	v_cmpx_gt_i32_e64 s26, v0
	s_cbranch_execz .LBB88_7
; %bb.6:
	v_add_nc_u32_e32 v3, s18, v0
	v_mov_b32_e32 v4, 0
	v_add_nc_u32_e32 v0, 0x100, v0
	v_lshlrev_b64 v[3:4], 2, v[3:4]
	v_add_co_u32 v3, vcc_lo, s24, v3
	v_add_co_ci_u32_e64 v4, null, s25, v4, vcc_lo
	global_load_dword v19, v[3:4], off
.LBB88_7:
	s_or_b32 exec_lo, exec_lo, s4
	v_mov_b32_e32 v20, 0
	v_mov_b32_e32 v21, 0
	s_mov_b32 s4, exec_lo
	v_cmpx_gt_i32_e64 s26, v0
	s_cbranch_execz .LBB88_9
; %bb.8:
	v_add_nc_u32_e32 v3, s18, v0
	v_mov_b32_e32 v4, 0
	v_add_nc_u32_e32 v0, 0x100, v0
	v_lshlrev_b64 v[3:4], 2, v[3:4]
	v_add_co_u32 v3, vcc_lo, s24, v3
	v_add_co_ci_u32_e64 v4, null, s25, v4, vcc_lo
	global_load_dword v21, v[3:4], off
.LBB88_9:
	s_or_b32 exec_lo, exec_lo, s4
	s_mov_b32 s4, exec_lo
	v_cmpx_gt_i32_e64 s26, v0
	s_cbranch_execz .LBB88_11
; %bb.10:
	v_add_nc_u32_e32 v0, s18, v0
	v_mov_b32_e32 v1, 0
	v_lshlrev_b64 v[0:1], 2, v[0:1]
	v_add_co_u32 v0, vcc_lo, s24, v0
	v_add_co_ci_u32_e64 v1, null, s25, v1, vcc_lo
	global_load_dword v20, v[0:1], off
.LBB88_11:
	s_or_b32 exec_lo, exec_lo, s4
	v_mov_b32_e32 v22, 0
	v_mov_b32_e32 v23, v22
	;; [unrolled: 1-line block ×4, first 2 shown]
	s_and_saveexec_b32 s19, s17
	s_cbranch_execz .LBB88_13
; %bb.12:
	v_mov_b32_e32 v0, s20
	v_mov_b32_e32 v1, s21
	s_getpc_b64 s[4:5]
	s_add_u32 s4, s4, _ZN3c104guts5applyIRZZZN2at6native21polygamma_kernel_cudaERNS2_18TensorIteratorBaseElENKUlvE_clEvENKUlvE0_clEvEUlfE_RSt5tupleIJfEEEEDaOT_OT0_@rel32@lo+4
	s_addc_u32 s5, s5, _ZN3c104guts5applyIRZZZN2at6native21polygamma_kernel_cudaERNS2_18TensorIteratorBaseElENKUlvE_clEvENKUlvE0_clEvEUlfE_RSt5tupleIJfEEEEDaOT_OT0_@rel32@hi+12
	s_swappc_b64 s[30:31], s[4:5]
	v_mov_b32_e32 v3, v22
	v_mov_b32_e32 v1, v22
	;; [unrolled: 1-line block ×7, first 2 shown]
.LBB88_13:
	s_or_b32 exec_lo, exec_lo, s19
	s_mov_b32 s19, exec_lo
	v_cmpx_gt_i32_e64 s26, v28
	s_cbranch_execz .LBB88_15
; %bb.14:
	v_mov_b32_e32 v0, s20
	v_mov_b32_e32 v1, s21
	s_waitcnt vmcnt(0)
	v_mov_b32_e32 v2, v19
	s_getpc_b64 s[4:5]
	s_add_u32 s4, s4, _ZN3c104guts5applyIRZZZN2at6native21polygamma_kernel_cudaERNS2_18TensorIteratorBaseElENKUlvE_clEvENKUlvE0_clEvEUlfE_RSt5tupleIJfEEEEDaOT_OT0_@rel32@lo+4
	s_addc_u32 s5, s5, _ZN3c104guts5applyIRZZZN2at6native21polygamma_kernel_cudaERNS2_18TensorIteratorBaseElENKUlvE_clEvENKUlvE0_clEvEUlfE_RSt5tupleIJfEEEEDaOT_OT0_@rel32@hi+12
	s_swappc_b64 s[30:31], s[4:5]
	v_mov_b32_e32 v23, v0
.LBB88_15:
	s_or_b32 exec_lo, exec_lo, s19
	v_or_b32_e32 v0, 0x200, v18
	s_mov_b32 s19, exec_lo
	v_cmpx_gt_i32_e64 s26, v0
	s_cbranch_execz .LBB88_17
; %bb.16:
	v_mov_b32_e32 v0, s20
	v_mov_b32_e32 v1, s21
	s_waitcnt vmcnt(0)
	v_mov_b32_e32 v2, v21
	s_getpc_b64 s[4:5]
	s_add_u32 s4, s4, _ZN3c104guts5applyIRZZZN2at6native21polygamma_kernel_cudaERNS2_18TensorIteratorBaseElENKUlvE_clEvENKUlvE0_clEvEUlfE_RSt5tupleIJfEEEEDaOT_OT0_@rel32@lo+4
	s_addc_u32 s5, s5, _ZN3c104guts5applyIRZZZN2at6native21polygamma_kernel_cudaERNS2_18TensorIteratorBaseElENKUlvE_clEvENKUlvE0_clEvEUlfE_RSt5tupleIJfEEEEDaOT_OT0_@rel32@hi+12
	s_swappc_b64 s[30:31], s[4:5]
	v_mov_b32_e32 v24, v0
.LBB88_17:
	s_or_b32 exec_lo, exec_lo, s19
	v_or_b32_e32 v0, 0x300, v18
	s_mov_b32 s19, exec_lo
	v_cmpx_gt_i32_e64 s26, v0
	s_cbranch_execnz .LBB88_24
; %bb.18:
	s_or_b32 exec_lo, exec_lo, s19
	s_and_saveexec_b32 s4, s17
	s_xor_b32 s4, exec_lo, s4
	s_cbranch_execnz .LBB88_25
.LBB88_19:
	s_or_b32 exec_lo, exec_lo, s4
	s_mov_b32 s4, exec_lo
	v_cmpx_gt_i32_e64 s26, v18
	s_cbranch_execnz .LBB88_26
.LBB88_20:
	s_or_b32 exec_lo, exec_lo, s4
	s_mov_b32 s4, exec_lo
	v_cmpx_gt_i32_e64 s26, v18
	s_cbranch_execnz .LBB88_27
.LBB88_21:
	s_or_b32 exec_lo, exec_lo, s4
	s_mov_b32 s4, exec_lo
	v_cmpx_gt_i32_e64 s26, v18
	s_cbranch_execz .LBB88_23
.LBB88_22:
	v_add_nc_u32_e32 v0, s18, v18
	v_mov_b32_e32 v1, 0
	v_lshlrev_b64 v[0:1], 2, v[0:1]
	v_add_co_u32 v0, vcc_lo, s22, v0
	v_add_co_ci_u32_e64 v1, null, s23, v1, vcc_lo
	global_store_dword v[0:1], v25, off
.LBB88_23:
	s_endpgm
.LBB88_24:
	v_mov_b32_e32 v0, s20
	v_mov_b32_e32 v1, s21
	s_waitcnt vmcnt(0)
	v_mov_b32_e32 v2, v20
	s_getpc_b64 s[4:5]
	s_add_u32 s4, s4, _ZN3c104guts5applyIRZZZN2at6native21polygamma_kernel_cudaERNS2_18TensorIteratorBaseElENKUlvE_clEvENKUlvE0_clEvEUlfE_RSt5tupleIJfEEEEDaOT_OT0_@rel32@lo+4
	s_addc_u32 s5, s5, _ZN3c104guts5applyIRZZZN2at6native21polygamma_kernel_cudaERNS2_18TensorIteratorBaseElENKUlvE_clEvENKUlvE0_clEvEUlfE_RSt5tupleIJfEEEEDaOT_OT0_@rel32@hi+12
	s_swappc_b64 s[30:31], s[4:5]
	v_mov_b32_e32 v25, v0
	s_or_b32 exec_lo, exec_lo, s19
	s_and_saveexec_b32 s4, s17
	s_xor_b32 s4, exec_lo, s4
	s_cbranch_execz .LBB88_19
.LBB88_25:
	v_mov_b32_e32 v27, 0
	v_mov_b32_e32 v18, v28
	v_lshlrev_b64 v[0:1], 2, v[26:27]
	v_add_co_u32 v0, vcc_lo, s22, v0
	v_add_co_ci_u32_e64 v1, null, s23, v1, vcc_lo
	global_store_dword v[0:1], v22, off
	s_or_b32 exec_lo, exec_lo, s4
	s_mov_b32 s4, exec_lo
	v_cmpx_gt_i32_e64 s26, v18
	s_cbranch_execz .LBB88_20
.LBB88_26:
	v_add_nc_u32_e32 v0, s18, v18
	v_mov_b32_e32 v1, 0
	v_add_nc_u32_e32 v18, 0x100, v18
	v_lshlrev_b64 v[0:1], 2, v[0:1]
	v_add_co_u32 v0, vcc_lo, s22, v0
	v_add_co_ci_u32_e64 v1, null, s23, v1, vcc_lo
	global_store_dword v[0:1], v23, off
	s_or_b32 exec_lo, exec_lo, s4
	s_mov_b32 s4, exec_lo
	v_cmpx_gt_i32_e64 s26, v18
	s_cbranch_execz .LBB88_21
.LBB88_27:
	v_add_nc_u32_e32 v0, s18, v18
	v_mov_b32_e32 v1, 0
	v_add_nc_u32_e32 v18, 0x100, v18
	v_lshlrev_b64 v[0:1], 2, v[0:1]
	v_add_co_u32 v0, vcc_lo, s22, v0
	v_add_co_ci_u32_e64 v1, null, s23, v1, vcc_lo
	global_store_dword v[0:1], v24, off
	s_or_b32 exec_lo, exec_lo, s4
	s_mov_b32 s4, exec_lo
	v_cmpx_gt_i32_e64 s26, v18
	s_cbranch_execnz .LBB88_22
	s_branch .LBB88_23
	.section	.rodata,"a",@progbits
	.p2align	6, 0x0
	.amdhsa_kernel _ZN2at6native29vectorized_elementwise_kernelILi16EZZZNS0_21polygamma_kernel_cudaERNS_18TensorIteratorBaseElENKUlvE_clEvENKUlvE0_clEvEUlfE_St5arrayIPcLm2EEEEviT0_T1_
		.amdhsa_group_segment_fixed_size 0
		.amdhsa_private_segment_fixed_size 0
		.amdhsa_kernarg_size 32
		.amdhsa_user_sgpr_count 6
		.amdhsa_user_sgpr_private_segment_buffer 1
		.amdhsa_user_sgpr_dispatch_ptr 0
		.amdhsa_user_sgpr_queue_ptr 0
		.amdhsa_user_sgpr_kernarg_segment_ptr 1
		.amdhsa_user_sgpr_dispatch_id 0
		.amdhsa_user_sgpr_flat_scratch_init 0
		.amdhsa_user_sgpr_private_segment_size 0
		.amdhsa_wavefront_size32 1
		.amdhsa_uses_dynamic_stack 0
		.amdhsa_system_sgpr_private_segment_wavefront_offset 0
		.amdhsa_system_sgpr_workgroup_id_x 1
		.amdhsa_system_sgpr_workgroup_id_y 0
		.amdhsa_system_sgpr_workgroup_id_z 0
		.amdhsa_system_sgpr_workgroup_info 0
		.amdhsa_system_vgpr_workitem_id 0
		.amdhsa_next_free_vgpr 29
		.amdhsa_next_free_sgpr 36
		.amdhsa_reserve_vcc 1
		.amdhsa_reserve_flat_scratch 0
		.amdhsa_float_round_mode_32 0
		.amdhsa_float_round_mode_16_64 0
		.amdhsa_float_denorm_mode_32 3
		.amdhsa_float_denorm_mode_16_64 3
		.amdhsa_dx10_clamp 1
		.amdhsa_ieee_mode 1
		.amdhsa_fp16_overflow 0
		.amdhsa_workgroup_processor_mode 1
		.amdhsa_memory_ordered 1
		.amdhsa_forward_progress 1
		.amdhsa_shared_vgpr_count 0
		.amdhsa_exception_fp_ieee_invalid_op 0
		.amdhsa_exception_fp_denorm_src 0
		.amdhsa_exception_fp_ieee_div_zero 0
		.amdhsa_exception_fp_ieee_overflow 0
		.amdhsa_exception_fp_ieee_underflow 0
		.amdhsa_exception_fp_ieee_inexact 0
		.amdhsa_exception_int_div_zero 0
	.end_amdhsa_kernel
	.section	.text._ZN2at6native29vectorized_elementwise_kernelILi16EZZZNS0_21polygamma_kernel_cudaERNS_18TensorIteratorBaseElENKUlvE_clEvENKUlvE0_clEvEUlfE_St5arrayIPcLm2EEEEviT0_T1_,"axG",@progbits,_ZN2at6native29vectorized_elementwise_kernelILi16EZZZNS0_21polygamma_kernel_cudaERNS_18TensorIteratorBaseElENKUlvE_clEvENKUlvE0_clEvEUlfE_St5arrayIPcLm2EEEEviT0_T1_,comdat
.Lfunc_end88:
	.size	_ZN2at6native29vectorized_elementwise_kernelILi16EZZZNS0_21polygamma_kernel_cudaERNS_18TensorIteratorBaseElENKUlvE_clEvENKUlvE0_clEvEUlfE_St5arrayIPcLm2EEEEviT0_T1_, .Lfunc_end88-_ZN2at6native29vectorized_elementwise_kernelILi16EZZZNS0_21polygamma_kernel_cudaERNS_18TensorIteratorBaseElENKUlvE_clEvENKUlvE0_clEvEUlfE_St5arrayIPcLm2EEEEviT0_T1_
                                        ; -- End function
	.set _ZN2at6native29vectorized_elementwise_kernelILi16EZZZNS0_21polygamma_kernel_cudaERNS_18TensorIteratorBaseElENKUlvE_clEvENKUlvE0_clEvEUlfE_St5arrayIPcLm2EEEEviT0_T1_.num_vgpr, max(29, .L_ZN3c104guts5applyIRZZZN2at6native21polygamma_kernel_cudaERNS2_18TensorIteratorBaseElENKUlvE_clEvENKUlvE0_clEvEUlfE_RSt5tupleIJfEEEEDaOT_OT0_.num_vgpr)
	.set _ZN2at6native29vectorized_elementwise_kernelILi16EZZZNS0_21polygamma_kernel_cudaERNS_18TensorIteratorBaseElENKUlvE_clEvENKUlvE0_clEvEUlfE_St5arrayIPcLm2EEEEviT0_T1_.num_agpr, max(0, .L_ZN3c104guts5applyIRZZZN2at6native21polygamma_kernel_cudaERNS2_18TensorIteratorBaseElENKUlvE_clEvENKUlvE0_clEvEUlfE_RSt5tupleIJfEEEEDaOT_OT0_.num_agpr)
	.set _ZN2at6native29vectorized_elementwise_kernelILi16EZZZNS0_21polygamma_kernel_cudaERNS_18TensorIteratorBaseElENKUlvE_clEvENKUlvE0_clEvEUlfE_St5arrayIPcLm2EEEEviT0_T1_.numbered_sgpr, max(36, .L_ZN3c104guts5applyIRZZZN2at6native21polygamma_kernel_cudaERNS2_18TensorIteratorBaseElENKUlvE_clEvENKUlvE0_clEvEUlfE_RSt5tupleIJfEEEEDaOT_OT0_.numbered_sgpr)
	.set _ZN2at6native29vectorized_elementwise_kernelILi16EZZZNS0_21polygamma_kernel_cudaERNS_18TensorIteratorBaseElENKUlvE_clEvENKUlvE0_clEvEUlfE_St5arrayIPcLm2EEEEviT0_T1_.num_named_barrier, max(0, .L_ZN3c104guts5applyIRZZZN2at6native21polygamma_kernel_cudaERNS2_18TensorIteratorBaseElENKUlvE_clEvENKUlvE0_clEvEUlfE_RSt5tupleIJfEEEEDaOT_OT0_.num_named_barrier)
	.set _ZN2at6native29vectorized_elementwise_kernelILi16EZZZNS0_21polygamma_kernel_cudaERNS_18TensorIteratorBaseElENKUlvE_clEvENKUlvE0_clEvEUlfE_St5arrayIPcLm2EEEEviT0_T1_.private_seg_size, 0+max(.L_ZN3c104guts5applyIRZZZN2at6native21polygamma_kernel_cudaERNS2_18TensorIteratorBaseElENKUlvE_clEvENKUlvE0_clEvEUlfE_RSt5tupleIJfEEEEDaOT_OT0_.private_seg_size)
	.set _ZN2at6native29vectorized_elementwise_kernelILi16EZZZNS0_21polygamma_kernel_cudaERNS_18TensorIteratorBaseElENKUlvE_clEvENKUlvE0_clEvEUlfE_St5arrayIPcLm2EEEEviT0_T1_.uses_vcc, or(1, .L_ZN3c104guts5applyIRZZZN2at6native21polygamma_kernel_cudaERNS2_18TensorIteratorBaseElENKUlvE_clEvENKUlvE0_clEvEUlfE_RSt5tupleIJfEEEEDaOT_OT0_.uses_vcc)
	.set _ZN2at6native29vectorized_elementwise_kernelILi16EZZZNS0_21polygamma_kernel_cudaERNS_18TensorIteratorBaseElENKUlvE_clEvENKUlvE0_clEvEUlfE_St5arrayIPcLm2EEEEviT0_T1_.uses_flat_scratch, or(0, .L_ZN3c104guts5applyIRZZZN2at6native21polygamma_kernel_cudaERNS2_18TensorIteratorBaseElENKUlvE_clEvENKUlvE0_clEvEUlfE_RSt5tupleIJfEEEEDaOT_OT0_.uses_flat_scratch)
	.set _ZN2at6native29vectorized_elementwise_kernelILi16EZZZNS0_21polygamma_kernel_cudaERNS_18TensorIteratorBaseElENKUlvE_clEvENKUlvE0_clEvEUlfE_St5arrayIPcLm2EEEEviT0_T1_.has_dyn_sized_stack, or(0, .L_ZN3c104guts5applyIRZZZN2at6native21polygamma_kernel_cudaERNS2_18TensorIteratorBaseElENKUlvE_clEvENKUlvE0_clEvEUlfE_RSt5tupleIJfEEEEDaOT_OT0_.has_dyn_sized_stack)
	.set _ZN2at6native29vectorized_elementwise_kernelILi16EZZZNS0_21polygamma_kernel_cudaERNS_18TensorIteratorBaseElENKUlvE_clEvENKUlvE0_clEvEUlfE_St5arrayIPcLm2EEEEviT0_T1_.has_recursion, or(0, .L_ZN3c104guts5applyIRZZZN2at6native21polygamma_kernel_cudaERNS2_18TensorIteratorBaseElENKUlvE_clEvENKUlvE0_clEvEUlfE_RSt5tupleIJfEEEEDaOT_OT0_.has_recursion)
	.set _ZN2at6native29vectorized_elementwise_kernelILi16EZZZNS0_21polygamma_kernel_cudaERNS_18TensorIteratorBaseElENKUlvE_clEvENKUlvE0_clEvEUlfE_St5arrayIPcLm2EEEEviT0_T1_.has_indirect_call, or(0, .L_ZN3c104guts5applyIRZZZN2at6native21polygamma_kernel_cudaERNS2_18TensorIteratorBaseElENKUlvE_clEvENKUlvE0_clEvEUlfE_RSt5tupleIJfEEEEDaOT_OT0_.has_indirect_call)
	.section	.AMDGPU.csdata,"",@progbits
; Kernel info:
; codeLenInByte = 1148
; TotalNumSgprs: 38
; NumVgprs: 29
; ScratchSize: 0
; MemoryBound: 0
; FloatMode: 240
; IeeeMode: 1
; LDSByteSize: 0 bytes/workgroup (compile time only)
; SGPRBlocks: 0
; VGPRBlocks: 3
; NumSGPRsForWavesPerEU: 38
; NumVGPRsForWavesPerEU: 29
; Occupancy: 16
; WaveLimiterHint : 0
; COMPUTE_PGM_RSRC2:SCRATCH_EN: 0
; COMPUTE_PGM_RSRC2:USER_SGPR: 6
; COMPUTE_PGM_RSRC2:TRAP_HANDLER: 0
; COMPUTE_PGM_RSRC2:TGID_X_EN: 1
; COMPUTE_PGM_RSRC2:TGID_Y_EN: 0
; COMPUTE_PGM_RSRC2:TGID_Z_EN: 0
; COMPUTE_PGM_RSRC2:TIDIG_COMP_CNT: 0
	.section	.text._ZN2at6native29vectorized_elementwise_kernelILi8EZZZNS0_21polygamma_kernel_cudaERNS_18TensorIteratorBaseElENKUlvE_clEvENKUlvE0_clEvEUlfE_St5arrayIPcLm2EEEEviT0_T1_,"axG",@progbits,_ZN2at6native29vectorized_elementwise_kernelILi8EZZZNS0_21polygamma_kernel_cudaERNS_18TensorIteratorBaseElENKUlvE_clEvENKUlvE0_clEvEUlfE_St5arrayIPcLm2EEEEviT0_T1_,comdat
	.globl	_ZN2at6native29vectorized_elementwise_kernelILi8EZZZNS0_21polygamma_kernel_cudaERNS_18TensorIteratorBaseElENKUlvE_clEvENKUlvE0_clEvEUlfE_St5arrayIPcLm2EEEEviT0_T1_ ; -- Begin function _ZN2at6native29vectorized_elementwise_kernelILi8EZZZNS0_21polygamma_kernel_cudaERNS_18TensorIteratorBaseElENKUlvE_clEvENKUlvE0_clEvEUlfE_St5arrayIPcLm2EEEEviT0_T1_
	.p2align	8
	.type	_ZN2at6native29vectorized_elementwise_kernelILi8EZZZNS0_21polygamma_kernel_cudaERNS_18TensorIteratorBaseElENKUlvE_clEvENKUlvE0_clEvEUlfE_St5arrayIPcLm2EEEEviT0_T1_,@function
_ZN2at6native29vectorized_elementwise_kernelILi8EZZZNS0_21polygamma_kernel_cudaERNS_18TensorIteratorBaseElENKUlvE_clEvENKUlvE0_clEvEUlfE_St5arrayIPcLm2EEEEviT0_T1_: ; @_ZN2at6native29vectorized_elementwise_kernelILi8EZZZNS0_21polygamma_kernel_cudaERNS_18TensorIteratorBaseElENKUlvE_clEvENKUlvE0_clEvEUlfE_St5arrayIPcLm2EEEEviT0_T1_
; %bb.0:
	s_add_u32 s0, s0, s7
	s_clause 0x2
	s_load_dword s7, s[4:5], 0x0
	s_load_dwordx4 s[20:23], s[4:5], 0x8
	s_load_dwordx2 s[24:25], s[4:5], 0x18
	s_addc_u32 s1, s1, 0
	s_lshl_b32 s18, s6, 10
	v_mov_b32_e32 v18, v0
	s_mov_b32 s4, -1
	s_mov_b32 s32, 0
	s_waitcnt lgkmcnt(0)
	s_sub_i32 s26, s7, s18
	s_cmpk_gt_i32 s26, 0x3ff
	s_cbranch_scc0 .LBB89_2
; %bb.1:
	s_ashr_i32 s19, s18, 31
	v_lshlrev_b32_e32 v23, 4, v18
	s_lshl_b64 s[28:29], s[18:19], 2
	v_mov_b32_e32 v0, s20
	s_add_u32 s4, s24, s28
	s_addc_u32 s5, s25, s29
	v_mov_b32_e32 v1, s21
	global_load_dwordx4 v[19:22], v23, s[4:5]
	s_getpc_b64 s[34:35]
	s_add_u32 s34, s34, _ZN3c104guts5applyIRZZZN2at6native21polygamma_kernel_cudaERNS2_18TensorIteratorBaseElENKUlvE_clEvENKUlvE0_clEvEUlfE_RSt5tupleIJfEEEEDaOT_OT0_@rel32@lo+4
	s_addc_u32 s35, s35, _ZN3c104guts5applyIRZZZN2at6native21polygamma_kernel_cudaERNS2_18TensorIteratorBaseElENKUlvE_clEvENKUlvE0_clEvEUlfE_RSt5tupleIJfEEEEDaOT_OT0_@rel32@hi+12
	s_waitcnt vmcnt(0)
	v_mov_b32_e32 v2, v19
	s_swappc_b64 s[30:31], s[34:35]
	v_mov_b32_e32 v19, v0
	v_mov_b32_e32 v0, s20
	v_mov_b32_e32 v1, s21
	v_mov_b32_e32 v2, v20
	s_swappc_b64 s[30:31], s[34:35]
	v_mov_b32_e32 v20, v0
	v_mov_b32_e32 v0, s20
	v_mov_b32_e32 v1, s21
	v_mov_b32_e32 v2, v21
	s_swappc_b64 s[30:31], s[34:35]
	v_mov_b32_e32 v21, v0
	v_mov_b32_e32 v0, s20
	v_mov_b32_e32 v1, s21
	v_mov_b32_e32 v2, v22
	s_swappc_b64 s[30:31], s[34:35]
	v_mov_b32_e32 v22, v0
	s_add_u32 s6, s22, s28
	s_addc_u32 s7, s23, s29
	s_mov_b32 s4, 0
	global_store_dwordx4 v23, v[19:22], s[6:7]
.LBB89_2:
	s_andn2_b32 vcc_lo, exec_lo, s4
	s_cbranch_vccnz .LBB89_23
; %bb.3:
	v_cmp_gt_i32_e64 s17, s26, v18
	v_mov_b32_e32 v19, 0
	v_or_b32_e32 v26, s18, v18
	v_or_b32_e32 v28, 0x100, v18
	v_mov_b32_e32 v2, 0
	v_mov_b32_e32 v0, v18
	s_and_saveexec_b32 s4, s17
	s_cbranch_execz .LBB89_5
; %bb.4:
	v_mov_b32_e32 v27, 0
	v_lshlrev_b64 v[0:1], 2, v[26:27]
	v_add_co_u32 v0, vcc_lo, s24, v0
	v_add_co_ci_u32_e64 v1, null, s25, v1, vcc_lo
	global_load_dword v2, v[0:1], off
	v_or_b32_e32 v0, 0x100, v18
.LBB89_5:
	s_or_b32 exec_lo, exec_lo, s4
	s_mov_b32 s4, exec_lo
	v_cmpx_gt_i32_e64 s26, v0
	s_cbranch_execz .LBB89_7
; %bb.6:
	v_add_nc_u32_e32 v3, s18, v0
	v_mov_b32_e32 v4, 0
	v_add_nc_u32_e32 v0, 0x100, v0
	v_lshlrev_b64 v[3:4], 2, v[3:4]
	v_add_co_u32 v3, vcc_lo, s24, v3
	v_add_co_ci_u32_e64 v4, null, s25, v4, vcc_lo
	global_load_dword v19, v[3:4], off
.LBB89_7:
	s_or_b32 exec_lo, exec_lo, s4
	v_mov_b32_e32 v20, 0
	v_mov_b32_e32 v21, 0
	s_mov_b32 s4, exec_lo
	v_cmpx_gt_i32_e64 s26, v0
	s_cbranch_execz .LBB89_9
; %bb.8:
	v_add_nc_u32_e32 v3, s18, v0
	v_mov_b32_e32 v4, 0
	v_add_nc_u32_e32 v0, 0x100, v0
	v_lshlrev_b64 v[3:4], 2, v[3:4]
	v_add_co_u32 v3, vcc_lo, s24, v3
	v_add_co_ci_u32_e64 v4, null, s25, v4, vcc_lo
	global_load_dword v21, v[3:4], off
.LBB89_9:
	s_or_b32 exec_lo, exec_lo, s4
	s_mov_b32 s4, exec_lo
	v_cmpx_gt_i32_e64 s26, v0
	s_cbranch_execz .LBB89_11
; %bb.10:
	v_add_nc_u32_e32 v0, s18, v0
	v_mov_b32_e32 v1, 0
	v_lshlrev_b64 v[0:1], 2, v[0:1]
	v_add_co_u32 v0, vcc_lo, s24, v0
	v_add_co_ci_u32_e64 v1, null, s25, v1, vcc_lo
	global_load_dword v20, v[0:1], off
.LBB89_11:
	s_or_b32 exec_lo, exec_lo, s4
	v_mov_b32_e32 v22, 0
	v_mov_b32_e32 v23, v22
	;; [unrolled: 1-line block ×4, first 2 shown]
	s_and_saveexec_b32 s19, s17
	s_cbranch_execz .LBB89_13
; %bb.12:
	v_mov_b32_e32 v0, s20
	v_mov_b32_e32 v1, s21
	s_getpc_b64 s[4:5]
	s_add_u32 s4, s4, _ZN3c104guts5applyIRZZZN2at6native21polygamma_kernel_cudaERNS2_18TensorIteratorBaseElENKUlvE_clEvENKUlvE0_clEvEUlfE_RSt5tupleIJfEEEEDaOT_OT0_@rel32@lo+4
	s_addc_u32 s5, s5, _ZN3c104guts5applyIRZZZN2at6native21polygamma_kernel_cudaERNS2_18TensorIteratorBaseElENKUlvE_clEvENKUlvE0_clEvEUlfE_RSt5tupleIJfEEEEDaOT_OT0_@rel32@hi+12
	s_swappc_b64 s[30:31], s[4:5]
	v_mov_b32_e32 v3, v22
	v_mov_b32_e32 v1, v22
	;; [unrolled: 1-line block ×7, first 2 shown]
.LBB89_13:
	s_or_b32 exec_lo, exec_lo, s19
	s_mov_b32 s19, exec_lo
	v_cmpx_gt_i32_e64 s26, v28
	s_cbranch_execz .LBB89_15
; %bb.14:
	v_mov_b32_e32 v0, s20
	v_mov_b32_e32 v1, s21
	s_waitcnt vmcnt(0)
	v_mov_b32_e32 v2, v19
	s_getpc_b64 s[4:5]
	s_add_u32 s4, s4, _ZN3c104guts5applyIRZZZN2at6native21polygamma_kernel_cudaERNS2_18TensorIteratorBaseElENKUlvE_clEvENKUlvE0_clEvEUlfE_RSt5tupleIJfEEEEDaOT_OT0_@rel32@lo+4
	s_addc_u32 s5, s5, _ZN3c104guts5applyIRZZZN2at6native21polygamma_kernel_cudaERNS2_18TensorIteratorBaseElENKUlvE_clEvENKUlvE0_clEvEUlfE_RSt5tupleIJfEEEEDaOT_OT0_@rel32@hi+12
	s_swappc_b64 s[30:31], s[4:5]
	v_mov_b32_e32 v23, v0
.LBB89_15:
	s_or_b32 exec_lo, exec_lo, s19
	v_or_b32_e32 v0, 0x200, v18
	s_mov_b32 s19, exec_lo
	v_cmpx_gt_i32_e64 s26, v0
	s_cbranch_execz .LBB89_17
; %bb.16:
	v_mov_b32_e32 v0, s20
	v_mov_b32_e32 v1, s21
	s_waitcnt vmcnt(0)
	v_mov_b32_e32 v2, v21
	s_getpc_b64 s[4:5]
	s_add_u32 s4, s4, _ZN3c104guts5applyIRZZZN2at6native21polygamma_kernel_cudaERNS2_18TensorIteratorBaseElENKUlvE_clEvENKUlvE0_clEvEUlfE_RSt5tupleIJfEEEEDaOT_OT0_@rel32@lo+4
	s_addc_u32 s5, s5, _ZN3c104guts5applyIRZZZN2at6native21polygamma_kernel_cudaERNS2_18TensorIteratorBaseElENKUlvE_clEvENKUlvE0_clEvEUlfE_RSt5tupleIJfEEEEDaOT_OT0_@rel32@hi+12
	s_swappc_b64 s[30:31], s[4:5]
	v_mov_b32_e32 v24, v0
.LBB89_17:
	s_or_b32 exec_lo, exec_lo, s19
	v_or_b32_e32 v0, 0x300, v18
	s_mov_b32 s19, exec_lo
	v_cmpx_gt_i32_e64 s26, v0
	s_cbranch_execnz .LBB89_24
; %bb.18:
	s_or_b32 exec_lo, exec_lo, s19
	s_and_saveexec_b32 s4, s17
	s_xor_b32 s4, exec_lo, s4
	s_cbranch_execnz .LBB89_25
.LBB89_19:
	s_or_b32 exec_lo, exec_lo, s4
	s_mov_b32 s4, exec_lo
	v_cmpx_gt_i32_e64 s26, v18
	s_cbranch_execnz .LBB89_26
.LBB89_20:
	s_or_b32 exec_lo, exec_lo, s4
	s_mov_b32 s4, exec_lo
	v_cmpx_gt_i32_e64 s26, v18
	s_cbranch_execnz .LBB89_27
.LBB89_21:
	s_or_b32 exec_lo, exec_lo, s4
	s_mov_b32 s4, exec_lo
	v_cmpx_gt_i32_e64 s26, v18
	s_cbranch_execz .LBB89_23
.LBB89_22:
	v_add_nc_u32_e32 v0, s18, v18
	v_mov_b32_e32 v1, 0
	v_lshlrev_b64 v[0:1], 2, v[0:1]
	v_add_co_u32 v0, vcc_lo, s22, v0
	v_add_co_ci_u32_e64 v1, null, s23, v1, vcc_lo
	global_store_dword v[0:1], v25, off
.LBB89_23:
	s_endpgm
.LBB89_24:
	v_mov_b32_e32 v0, s20
	v_mov_b32_e32 v1, s21
	s_waitcnt vmcnt(0)
	v_mov_b32_e32 v2, v20
	s_getpc_b64 s[4:5]
	s_add_u32 s4, s4, _ZN3c104guts5applyIRZZZN2at6native21polygamma_kernel_cudaERNS2_18TensorIteratorBaseElENKUlvE_clEvENKUlvE0_clEvEUlfE_RSt5tupleIJfEEEEDaOT_OT0_@rel32@lo+4
	s_addc_u32 s5, s5, _ZN3c104guts5applyIRZZZN2at6native21polygamma_kernel_cudaERNS2_18TensorIteratorBaseElENKUlvE_clEvENKUlvE0_clEvEUlfE_RSt5tupleIJfEEEEDaOT_OT0_@rel32@hi+12
	s_swappc_b64 s[30:31], s[4:5]
	v_mov_b32_e32 v25, v0
	s_or_b32 exec_lo, exec_lo, s19
	s_and_saveexec_b32 s4, s17
	s_xor_b32 s4, exec_lo, s4
	s_cbranch_execz .LBB89_19
.LBB89_25:
	v_mov_b32_e32 v27, 0
	v_mov_b32_e32 v18, v28
	v_lshlrev_b64 v[0:1], 2, v[26:27]
	v_add_co_u32 v0, vcc_lo, s22, v0
	v_add_co_ci_u32_e64 v1, null, s23, v1, vcc_lo
	global_store_dword v[0:1], v22, off
	s_or_b32 exec_lo, exec_lo, s4
	s_mov_b32 s4, exec_lo
	v_cmpx_gt_i32_e64 s26, v18
	s_cbranch_execz .LBB89_20
.LBB89_26:
	v_add_nc_u32_e32 v0, s18, v18
	v_mov_b32_e32 v1, 0
	v_add_nc_u32_e32 v18, 0x100, v18
	v_lshlrev_b64 v[0:1], 2, v[0:1]
	v_add_co_u32 v0, vcc_lo, s22, v0
	v_add_co_ci_u32_e64 v1, null, s23, v1, vcc_lo
	global_store_dword v[0:1], v23, off
	s_or_b32 exec_lo, exec_lo, s4
	s_mov_b32 s4, exec_lo
	v_cmpx_gt_i32_e64 s26, v18
	s_cbranch_execz .LBB89_21
.LBB89_27:
	v_add_nc_u32_e32 v0, s18, v18
	v_mov_b32_e32 v1, 0
	v_add_nc_u32_e32 v18, 0x100, v18
	v_lshlrev_b64 v[0:1], 2, v[0:1]
	v_add_co_u32 v0, vcc_lo, s22, v0
	v_add_co_ci_u32_e64 v1, null, s23, v1, vcc_lo
	global_store_dword v[0:1], v24, off
	s_or_b32 exec_lo, exec_lo, s4
	s_mov_b32 s4, exec_lo
	v_cmpx_gt_i32_e64 s26, v18
	s_cbranch_execnz .LBB89_22
	s_branch .LBB89_23
	.section	.rodata,"a",@progbits
	.p2align	6, 0x0
	.amdhsa_kernel _ZN2at6native29vectorized_elementwise_kernelILi8EZZZNS0_21polygamma_kernel_cudaERNS_18TensorIteratorBaseElENKUlvE_clEvENKUlvE0_clEvEUlfE_St5arrayIPcLm2EEEEviT0_T1_
		.amdhsa_group_segment_fixed_size 0
		.amdhsa_private_segment_fixed_size 0
		.amdhsa_kernarg_size 32
		.amdhsa_user_sgpr_count 6
		.amdhsa_user_sgpr_private_segment_buffer 1
		.amdhsa_user_sgpr_dispatch_ptr 0
		.amdhsa_user_sgpr_queue_ptr 0
		.amdhsa_user_sgpr_kernarg_segment_ptr 1
		.amdhsa_user_sgpr_dispatch_id 0
		.amdhsa_user_sgpr_flat_scratch_init 0
		.amdhsa_user_sgpr_private_segment_size 0
		.amdhsa_wavefront_size32 1
		.amdhsa_uses_dynamic_stack 0
		.amdhsa_system_sgpr_private_segment_wavefront_offset 0
		.amdhsa_system_sgpr_workgroup_id_x 1
		.amdhsa_system_sgpr_workgroup_id_y 0
		.amdhsa_system_sgpr_workgroup_id_z 0
		.amdhsa_system_sgpr_workgroup_info 0
		.amdhsa_system_vgpr_workitem_id 0
		.amdhsa_next_free_vgpr 29
		.amdhsa_next_free_sgpr 36
		.amdhsa_reserve_vcc 1
		.amdhsa_reserve_flat_scratch 0
		.amdhsa_float_round_mode_32 0
		.amdhsa_float_round_mode_16_64 0
		.amdhsa_float_denorm_mode_32 3
		.amdhsa_float_denorm_mode_16_64 3
		.amdhsa_dx10_clamp 1
		.amdhsa_ieee_mode 1
		.amdhsa_fp16_overflow 0
		.amdhsa_workgroup_processor_mode 1
		.amdhsa_memory_ordered 1
		.amdhsa_forward_progress 1
		.amdhsa_shared_vgpr_count 0
		.amdhsa_exception_fp_ieee_invalid_op 0
		.amdhsa_exception_fp_denorm_src 0
		.amdhsa_exception_fp_ieee_div_zero 0
		.amdhsa_exception_fp_ieee_overflow 0
		.amdhsa_exception_fp_ieee_underflow 0
		.amdhsa_exception_fp_ieee_inexact 0
		.amdhsa_exception_int_div_zero 0
	.end_amdhsa_kernel
	.section	.text._ZN2at6native29vectorized_elementwise_kernelILi8EZZZNS0_21polygamma_kernel_cudaERNS_18TensorIteratorBaseElENKUlvE_clEvENKUlvE0_clEvEUlfE_St5arrayIPcLm2EEEEviT0_T1_,"axG",@progbits,_ZN2at6native29vectorized_elementwise_kernelILi8EZZZNS0_21polygamma_kernel_cudaERNS_18TensorIteratorBaseElENKUlvE_clEvENKUlvE0_clEvEUlfE_St5arrayIPcLm2EEEEviT0_T1_,comdat
.Lfunc_end89:
	.size	_ZN2at6native29vectorized_elementwise_kernelILi8EZZZNS0_21polygamma_kernel_cudaERNS_18TensorIteratorBaseElENKUlvE_clEvENKUlvE0_clEvEUlfE_St5arrayIPcLm2EEEEviT0_T1_, .Lfunc_end89-_ZN2at6native29vectorized_elementwise_kernelILi8EZZZNS0_21polygamma_kernel_cudaERNS_18TensorIteratorBaseElENKUlvE_clEvENKUlvE0_clEvEUlfE_St5arrayIPcLm2EEEEviT0_T1_
                                        ; -- End function
	.set _ZN2at6native29vectorized_elementwise_kernelILi8EZZZNS0_21polygamma_kernel_cudaERNS_18TensorIteratorBaseElENKUlvE_clEvENKUlvE0_clEvEUlfE_St5arrayIPcLm2EEEEviT0_T1_.num_vgpr, max(29, .L_ZN3c104guts5applyIRZZZN2at6native21polygamma_kernel_cudaERNS2_18TensorIteratorBaseElENKUlvE_clEvENKUlvE0_clEvEUlfE_RSt5tupleIJfEEEEDaOT_OT0_.num_vgpr)
	.set _ZN2at6native29vectorized_elementwise_kernelILi8EZZZNS0_21polygamma_kernel_cudaERNS_18TensorIteratorBaseElENKUlvE_clEvENKUlvE0_clEvEUlfE_St5arrayIPcLm2EEEEviT0_T1_.num_agpr, max(0, .L_ZN3c104guts5applyIRZZZN2at6native21polygamma_kernel_cudaERNS2_18TensorIteratorBaseElENKUlvE_clEvENKUlvE0_clEvEUlfE_RSt5tupleIJfEEEEDaOT_OT0_.num_agpr)
	.set _ZN2at6native29vectorized_elementwise_kernelILi8EZZZNS0_21polygamma_kernel_cudaERNS_18TensorIteratorBaseElENKUlvE_clEvENKUlvE0_clEvEUlfE_St5arrayIPcLm2EEEEviT0_T1_.numbered_sgpr, max(36, .L_ZN3c104guts5applyIRZZZN2at6native21polygamma_kernel_cudaERNS2_18TensorIteratorBaseElENKUlvE_clEvENKUlvE0_clEvEUlfE_RSt5tupleIJfEEEEDaOT_OT0_.numbered_sgpr)
	.set _ZN2at6native29vectorized_elementwise_kernelILi8EZZZNS0_21polygamma_kernel_cudaERNS_18TensorIteratorBaseElENKUlvE_clEvENKUlvE0_clEvEUlfE_St5arrayIPcLm2EEEEviT0_T1_.num_named_barrier, max(0, .L_ZN3c104guts5applyIRZZZN2at6native21polygamma_kernel_cudaERNS2_18TensorIteratorBaseElENKUlvE_clEvENKUlvE0_clEvEUlfE_RSt5tupleIJfEEEEDaOT_OT0_.num_named_barrier)
	.set _ZN2at6native29vectorized_elementwise_kernelILi8EZZZNS0_21polygamma_kernel_cudaERNS_18TensorIteratorBaseElENKUlvE_clEvENKUlvE0_clEvEUlfE_St5arrayIPcLm2EEEEviT0_T1_.private_seg_size, 0+max(.L_ZN3c104guts5applyIRZZZN2at6native21polygamma_kernel_cudaERNS2_18TensorIteratorBaseElENKUlvE_clEvENKUlvE0_clEvEUlfE_RSt5tupleIJfEEEEDaOT_OT0_.private_seg_size)
	.set _ZN2at6native29vectorized_elementwise_kernelILi8EZZZNS0_21polygamma_kernel_cudaERNS_18TensorIteratorBaseElENKUlvE_clEvENKUlvE0_clEvEUlfE_St5arrayIPcLm2EEEEviT0_T1_.uses_vcc, or(1, .L_ZN3c104guts5applyIRZZZN2at6native21polygamma_kernel_cudaERNS2_18TensorIteratorBaseElENKUlvE_clEvENKUlvE0_clEvEUlfE_RSt5tupleIJfEEEEDaOT_OT0_.uses_vcc)
	.set _ZN2at6native29vectorized_elementwise_kernelILi8EZZZNS0_21polygamma_kernel_cudaERNS_18TensorIteratorBaseElENKUlvE_clEvENKUlvE0_clEvEUlfE_St5arrayIPcLm2EEEEviT0_T1_.uses_flat_scratch, or(0, .L_ZN3c104guts5applyIRZZZN2at6native21polygamma_kernel_cudaERNS2_18TensorIteratorBaseElENKUlvE_clEvENKUlvE0_clEvEUlfE_RSt5tupleIJfEEEEDaOT_OT0_.uses_flat_scratch)
	.set _ZN2at6native29vectorized_elementwise_kernelILi8EZZZNS0_21polygamma_kernel_cudaERNS_18TensorIteratorBaseElENKUlvE_clEvENKUlvE0_clEvEUlfE_St5arrayIPcLm2EEEEviT0_T1_.has_dyn_sized_stack, or(0, .L_ZN3c104guts5applyIRZZZN2at6native21polygamma_kernel_cudaERNS2_18TensorIteratorBaseElENKUlvE_clEvENKUlvE0_clEvEUlfE_RSt5tupleIJfEEEEDaOT_OT0_.has_dyn_sized_stack)
	.set _ZN2at6native29vectorized_elementwise_kernelILi8EZZZNS0_21polygamma_kernel_cudaERNS_18TensorIteratorBaseElENKUlvE_clEvENKUlvE0_clEvEUlfE_St5arrayIPcLm2EEEEviT0_T1_.has_recursion, or(0, .L_ZN3c104guts5applyIRZZZN2at6native21polygamma_kernel_cudaERNS2_18TensorIteratorBaseElENKUlvE_clEvENKUlvE0_clEvEUlfE_RSt5tupleIJfEEEEDaOT_OT0_.has_recursion)
	.set _ZN2at6native29vectorized_elementwise_kernelILi8EZZZNS0_21polygamma_kernel_cudaERNS_18TensorIteratorBaseElENKUlvE_clEvENKUlvE0_clEvEUlfE_St5arrayIPcLm2EEEEviT0_T1_.has_indirect_call, or(0, .L_ZN3c104guts5applyIRZZZN2at6native21polygamma_kernel_cudaERNS2_18TensorIteratorBaseElENKUlvE_clEvENKUlvE0_clEvEUlfE_RSt5tupleIJfEEEEDaOT_OT0_.has_indirect_call)
	.section	.AMDGPU.csdata,"",@progbits
; Kernel info:
; codeLenInByte = 1148
; TotalNumSgprs: 38
; NumVgprs: 29
; ScratchSize: 0
; MemoryBound: 0
; FloatMode: 240
; IeeeMode: 1
; LDSByteSize: 0 bytes/workgroup (compile time only)
; SGPRBlocks: 0
; VGPRBlocks: 3
; NumSGPRsForWavesPerEU: 38
; NumVGPRsForWavesPerEU: 29
; Occupancy: 16
; WaveLimiterHint : 0
; COMPUTE_PGM_RSRC2:SCRATCH_EN: 0
; COMPUTE_PGM_RSRC2:USER_SGPR: 6
; COMPUTE_PGM_RSRC2:TRAP_HANDLER: 0
; COMPUTE_PGM_RSRC2:TGID_X_EN: 1
; COMPUTE_PGM_RSRC2:TGID_Y_EN: 0
; COMPUTE_PGM_RSRC2:TGID_Z_EN: 0
; COMPUTE_PGM_RSRC2:TIDIG_COMP_CNT: 0
	.section	.text._ZN2at6native29vectorized_elementwise_kernelILi4EZZZNS0_21polygamma_kernel_cudaERNS_18TensorIteratorBaseElENKUlvE_clEvENKUlvE0_clEvEUlfE_St5arrayIPcLm2EEEEviT0_T1_,"axG",@progbits,_ZN2at6native29vectorized_elementwise_kernelILi4EZZZNS0_21polygamma_kernel_cudaERNS_18TensorIteratorBaseElENKUlvE_clEvENKUlvE0_clEvEUlfE_St5arrayIPcLm2EEEEviT0_T1_,comdat
	.globl	_ZN2at6native29vectorized_elementwise_kernelILi4EZZZNS0_21polygamma_kernel_cudaERNS_18TensorIteratorBaseElENKUlvE_clEvENKUlvE0_clEvEUlfE_St5arrayIPcLm2EEEEviT0_T1_ ; -- Begin function _ZN2at6native29vectorized_elementwise_kernelILi4EZZZNS0_21polygamma_kernel_cudaERNS_18TensorIteratorBaseElENKUlvE_clEvENKUlvE0_clEvEUlfE_St5arrayIPcLm2EEEEviT0_T1_
	.p2align	8
	.type	_ZN2at6native29vectorized_elementwise_kernelILi4EZZZNS0_21polygamma_kernel_cudaERNS_18TensorIteratorBaseElENKUlvE_clEvENKUlvE0_clEvEUlfE_St5arrayIPcLm2EEEEviT0_T1_,@function
_ZN2at6native29vectorized_elementwise_kernelILi4EZZZNS0_21polygamma_kernel_cudaERNS_18TensorIteratorBaseElENKUlvE_clEvENKUlvE0_clEvEUlfE_St5arrayIPcLm2EEEEviT0_T1_: ; @_ZN2at6native29vectorized_elementwise_kernelILi4EZZZNS0_21polygamma_kernel_cudaERNS_18TensorIteratorBaseElENKUlvE_clEvENKUlvE0_clEvEUlfE_St5arrayIPcLm2EEEEviT0_T1_
; %bb.0:
	s_add_u32 s0, s0, s7
	s_clause 0x2
	s_load_dword s7, s[4:5], 0x0
	s_load_dwordx4 s[20:23], s[4:5], 0x8
	s_load_dwordx2 s[24:25], s[4:5], 0x18
	s_addc_u32 s1, s1, 0
	s_lshl_b32 s18, s6, 10
	v_mov_b32_e32 v18, v0
	s_mov_b32 s4, -1
	s_mov_b32 s32, 0
	s_waitcnt lgkmcnt(0)
	s_sub_i32 s26, s7, s18
	s_cmpk_gt_i32 s26, 0x3ff
	s_cbranch_scc0 .LBB90_2
; %bb.1:
	s_ashr_i32 s19, s18, 31
	v_lshlrev_b32_e32 v23, 4, v18
	s_lshl_b64 s[28:29], s[18:19], 2
	v_mov_b32_e32 v0, s20
	s_add_u32 s4, s24, s28
	s_addc_u32 s5, s25, s29
	v_mov_b32_e32 v1, s21
	global_load_dwordx4 v[19:22], v23, s[4:5]
	s_getpc_b64 s[34:35]
	s_add_u32 s34, s34, _ZN3c104guts5applyIRZZZN2at6native21polygamma_kernel_cudaERNS2_18TensorIteratorBaseElENKUlvE_clEvENKUlvE0_clEvEUlfE_RSt5tupleIJfEEEEDaOT_OT0_@rel32@lo+4
	s_addc_u32 s35, s35, _ZN3c104guts5applyIRZZZN2at6native21polygamma_kernel_cudaERNS2_18TensorIteratorBaseElENKUlvE_clEvENKUlvE0_clEvEUlfE_RSt5tupleIJfEEEEDaOT_OT0_@rel32@hi+12
	s_waitcnt vmcnt(0)
	v_mov_b32_e32 v2, v19
	s_swappc_b64 s[30:31], s[34:35]
	v_mov_b32_e32 v19, v0
	v_mov_b32_e32 v0, s20
	v_mov_b32_e32 v1, s21
	v_mov_b32_e32 v2, v20
	s_swappc_b64 s[30:31], s[34:35]
	v_mov_b32_e32 v20, v0
	v_mov_b32_e32 v0, s20
	v_mov_b32_e32 v1, s21
	;; [unrolled: 5-line block ×3, first 2 shown]
	v_mov_b32_e32 v2, v22
	s_swappc_b64 s[30:31], s[34:35]
	v_mov_b32_e32 v22, v0
	s_add_u32 s6, s22, s28
	s_addc_u32 s7, s23, s29
	s_mov_b32 s4, 0
	global_store_dwordx4 v23, v[19:22], s[6:7]
.LBB90_2:
	s_andn2_b32 vcc_lo, exec_lo, s4
	s_cbranch_vccnz .LBB90_23
; %bb.3:
	v_cmp_gt_i32_e64 s17, s26, v18
	v_mov_b32_e32 v19, 0
	v_or_b32_e32 v26, s18, v18
	v_or_b32_e32 v28, 0x100, v18
	v_mov_b32_e32 v2, 0
	v_mov_b32_e32 v0, v18
	s_and_saveexec_b32 s4, s17
	s_cbranch_execz .LBB90_5
; %bb.4:
	v_mov_b32_e32 v27, 0
	v_lshlrev_b64 v[0:1], 2, v[26:27]
	v_add_co_u32 v0, vcc_lo, s24, v0
	v_add_co_ci_u32_e64 v1, null, s25, v1, vcc_lo
	global_load_dword v2, v[0:1], off
	v_or_b32_e32 v0, 0x100, v18
.LBB90_5:
	s_or_b32 exec_lo, exec_lo, s4
	s_mov_b32 s4, exec_lo
	v_cmpx_gt_i32_e64 s26, v0
	s_cbranch_execz .LBB90_7
; %bb.6:
	v_add_nc_u32_e32 v3, s18, v0
	v_mov_b32_e32 v4, 0
	v_add_nc_u32_e32 v0, 0x100, v0
	v_lshlrev_b64 v[3:4], 2, v[3:4]
	v_add_co_u32 v3, vcc_lo, s24, v3
	v_add_co_ci_u32_e64 v4, null, s25, v4, vcc_lo
	global_load_dword v19, v[3:4], off
.LBB90_7:
	s_or_b32 exec_lo, exec_lo, s4
	v_mov_b32_e32 v20, 0
	v_mov_b32_e32 v21, 0
	s_mov_b32 s4, exec_lo
	v_cmpx_gt_i32_e64 s26, v0
	s_cbranch_execz .LBB90_9
; %bb.8:
	v_add_nc_u32_e32 v3, s18, v0
	v_mov_b32_e32 v4, 0
	v_add_nc_u32_e32 v0, 0x100, v0
	v_lshlrev_b64 v[3:4], 2, v[3:4]
	v_add_co_u32 v3, vcc_lo, s24, v3
	v_add_co_ci_u32_e64 v4, null, s25, v4, vcc_lo
	global_load_dword v21, v[3:4], off
.LBB90_9:
	s_or_b32 exec_lo, exec_lo, s4
	s_mov_b32 s4, exec_lo
	v_cmpx_gt_i32_e64 s26, v0
	s_cbranch_execz .LBB90_11
; %bb.10:
	v_add_nc_u32_e32 v0, s18, v0
	v_mov_b32_e32 v1, 0
	v_lshlrev_b64 v[0:1], 2, v[0:1]
	v_add_co_u32 v0, vcc_lo, s24, v0
	v_add_co_ci_u32_e64 v1, null, s25, v1, vcc_lo
	global_load_dword v20, v[0:1], off
.LBB90_11:
	s_or_b32 exec_lo, exec_lo, s4
	v_mov_b32_e32 v22, 0
	v_mov_b32_e32 v23, v22
	;; [unrolled: 1-line block ×4, first 2 shown]
	s_and_saveexec_b32 s19, s17
	s_cbranch_execz .LBB90_13
; %bb.12:
	v_mov_b32_e32 v0, s20
	v_mov_b32_e32 v1, s21
	s_getpc_b64 s[4:5]
	s_add_u32 s4, s4, _ZN3c104guts5applyIRZZZN2at6native21polygamma_kernel_cudaERNS2_18TensorIteratorBaseElENKUlvE_clEvENKUlvE0_clEvEUlfE_RSt5tupleIJfEEEEDaOT_OT0_@rel32@lo+4
	s_addc_u32 s5, s5, _ZN3c104guts5applyIRZZZN2at6native21polygamma_kernel_cudaERNS2_18TensorIteratorBaseElENKUlvE_clEvENKUlvE0_clEvEUlfE_RSt5tupleIJfEEEEDaOT_OT0_@rel32@hi+12
	s_swappc_b64 s[30:31], s[4:5]
	v_mov_b32_e32 v3, v22
	v_mov_b32_e32 v1, v22
	v_mov_b32_e32 v2, v22
	v_mov_b32_e32 v25, v3
	v_mov_b32_e32 v23, v1
	v_mov_b32_e32 v24, v2
	v_mov_b32_e32 v22, v0
.LBB90_13:
	s_or_b32 exec_lo, exec_lo, s19
	s_mov_b32 s19, exec_lo
	v_cmpx_gt_i32_e64 s26, v28
	s_cbranch_execz .LBB90_15
; %bb.14:
	v_mov_b32_e32 v0, s20
	v_mov_b32_e32 v1, s21
	s_waitcnt vmcnt(0)
	v_mov_b32_e32 v2, v19
	s_getpc_b64 s[4:5]
	s_add_u32 s4, s4, _ZN3c104guts5applyIRZZZN2at6native21polygamma_kernel_cudaERNS2_18TensorIteratorBaseElENKUlvE_clEvENKUlvE0_clEvEUlfE_RSt5tupleIJfEEEEDaOT_OT0_@rel32@lo+4
	s_addc_u32 s5, s5, _ZN3c104guts5applyIRZZZN2at6native21polygamma_kernel_cudaERNS2_18TensorIteratorBaseElENKUlvE_clEvENKUlvE0_clEvEUlfE_RSt5tupleIJfEEEEDaOT_OT0_@rel32@hi+12
	s_swappc_b64 s[30:31], s[4:5]
	v_mov_b32_e32 v23, v0
.LBB90_15:
	s_or_b32 exec_lo, exec_lo, s19
	v_or_b32_e32 v0, 0x200, v18
	s_mov_b32 s19, exec_lo
	v_cmpx_gt_i32_e64 s26, v0
	s_cbranch_execz .LBB90_17
; %bb.16:
	v_mov_b32_e32 v0, s20
	v_mov_b32_e32 v1, s21
	s_waitcnt vmcnt(0)
	v_mov_b32_e32 v2, v21
	s_getpc_b64 s[4:5]
	s_add_u32 s4, s4, _ZN3c104guts5applyIRZZZN2at6native21polygamma_kernel_cudaERNS2_18TensorIteratorBaseElENKUlvE_clEvENKUlvE0_clEvEUlfE_RSt5tupleIJfEEEEDaOT_OT0_@rel32@lo+4
	s_addc_u32 s5, s5, _ZN3c104guts5applyIRZZZN2at6native21polygamma_kernel_cudaERNS2_18TensorIteratorBaseElENKUlvE_clEvENKUlvE0_clEvEUlfE_RSt5tupleIJfEEEEDaOT_OT0_@rel32@hi+12
	s_swappc_b64 s[30:31], s[4:5]
	v_mov_b32_e32 v24, v0
.LBB90_17:
	s_or_b32 exec_lo, exec_lo, s19
	v_or_b32_e32 v0, 0x300, v18
	s_mov_b32 s19, exec_lo
	v_cmpx_gt_i32_e64 s26, v0
	s_cbranch_execnz .LBB90_24
; %bb.18:
	s_or_b32 exec_lo, exec_lo, s19
	s_and_saveexec_b32 s4, s17
	s_xor_b32 s4, exec_lo, s4
	s_cbranch_execnz .LBB90_25
.LBB90_19:
	s_or_b32 exec_lo, exec_lo, s4
	s_mov_b32 s4, exec_lo
	v_cmpx_gt_i32_e64 s26, v18
	s_cbranch_execnz .LBB90_26
.LBB90_20:
	s_or_b32 exec_lo, exec_lo, s4
	s_mov_b32 s4, exec_lo
	v_cmpx_gt_i32_e64 s26, v18
	s_cbranch_execnz .LBB90_27
.LBB90_21:
	s_or_b32 exec_lo, exec_lo, s4
	s_mov_b32 s4, exec_lo
	v_cmpx_gt_i32_e64 s26, v18
	s_cbranch_execz .LBB90_23
.LBB90_22:
	v_add_nc_u32_e32 v0, s18, v18
	v_mov_b32_e32 v1, 0
	v_lshlrev_b64 v[0:1], 2, v[0:1]
	v_add_co_u32 v0, vcc_lo, s22, v0
	v_add_co_ci_u32_e64 v1, null, s23, v1, vcc_lo
	global_store_dword v[0:1], v25, off
.LBB90_23:
	s_endpgm
.LBB90_24:
	v_mov_b32_e32 v0, s20
	v_mov_b32_e32 v1, s21
	s_waitcnt vmcnt(0)
	v_mov_b32_e32 v2, v20
	s_getpc_b64 s[4:5]
	s_add_u32 s4, s4, _ZN3c104guts5applyIRZZZN2at6native21polygamma_kernel_cudaERNS2_18TensorIteratorBaseElENKUlvE_clEvENKUlvE0_clEvEUlfE_RSt5tupleIJfEEEEDaOT_OT0_@rel32@lo+4
	s_addc_u32 s5, s5, _ZN3c104guts5applyIRZZZN2at6native21polygamma_kernel_cudaERNS2_18TensorIteratorBaseElENKUlvE_clEvENKUlvE0_clEvEUlfE_RSt5tupleIJfEEEEDaOT_OT0_@rel32@hi+12
	s_swappc_b64 s[30:31], s[4:5]
	v_mov_b32_e32 v25, v0
	s_or_b32 exec_lo, exec_lo, s19
	s_and_saveexec_b32 s4, s17
	s_xor_b32 s4, exec_lo, s4
	s_cbranch_execz .LBB90_19
.LBB90_25:
	v_mov_b32_e32 v27, 0
	v_mov_b32_e32 v18, v28
	v_lshlrev_b64 v[0:1], 2, v[26:27]
	v_add_co_u32 v0, vcc_lo, s22, v0
	v_add_co_ci_u32_e64 v1, null, s23, v1, vcc_lo
	global_store_dword v[0:1], v22, off
	s_or_b32 exec_lo, exec_lo, s4
	s_mov_b32 s4, exec_lo
	v_cmpx_gt_i32_e64 s26, v18
	s_cbranch_execz .LBB90_20
.LBB90_26:
	v_add_nc_u32_e32 v0, s18, v18
	v_mov_b32_e32 v1, 0
	v_add_nc_u32_e32 v18, 0x100, v18
	v_lshlrev_b64 v[0:1], 2, v[0:1]
	v_add_co_u32 v0, vcc_lo, s22, v0
	v_add_co_ci_u32_e64 v1, null, s23, v1, vcc_lo
	global_store_dword v[0:1], v23, off
	s_or_b32 exec_lo, exec_lo, s4
	s_mov_b32 s4, exec_lo
	v_cmpx_gt_i32_e64 s26, v18
	s_cbranch_execz .LBB90_21
.LBB90_27:
	v_add_nc_u32_e32 v0, s18, v18
	v_mov_b32_e32 v1, 0
	v_add_nc_u32_e32 v18, 0x100, v18
	v_lshlrev_b64 v[0:1], 2, v[0:1]
	v_add_co_u32 v0, vcc_lo, s22, v0
	v_add_co_ci_u32_e64 v1, null, s23, v1, vcc_lo
	global_store_dword v[0:1], v24, off
	s_or_b32 exec_lo, exec_lo, s4
	s_mov_b32 s4, exec_lo
	v_cmpx_gt_i32_e64 s26, v18
	s_cbranch_execnz .LBB90_22
	s_branch .LBB90_23
	.section	.rodata,"a",@progbits
	.p2align	6, 0x0
	.amdhsa_kernel _ZN2at6native29vectorized_elementwise_kernelILi4EZZZNS0_21polygamma_kernel_cudaERNS_18TensorIteratorBaseElENKUlvE_clEvENKUlvE0_clEvEUlfE_St5arrayIPcLm2EEEEviT0_T1_
		.amdhsa_group_segment_fixed_size 0
		.amdhsa_private_segment_fixed_size 0
		.amdhsa_kernarg_size 32
		.amdhsa_user_sgpr_count 6
		.amdhsa_user_sgpr_private_segment_buffer 1
		.amdhsa_user_sgpr_dispatch_ptr 0
		.amdhsa_user_sgpr_queue_ptr 0
		.amdhsa_user_sgpr_kernarg_segment_ptr 1
		.amdhsa_user_sgpr_dispatch_id 0
		.amdhsa_user_sgpr_flat_scratch_init 0
		.amdhsa_user_sgpr_private_segment_size 0
		.amdhsa_wavefront_size32 1
		.amdhsa_uses_dynamic_stack 0
		.amdhsa_system_sgpr_private_segment_wavefront_offset 0
		.amdhsa_system_sgpr_workgroup_id_x 1
		.amdhsa_system_sgpr_workgroup_id_y 0
		.amdhsa_system_sgpr_workgroup_id_z 0
		.amdhsa_system_sgpr_workgroup_info 0
		.amdhsa_system_vgpr_workitem_id 0
		.amdhsa_next_free_vgpr 29
		.amdhsa_next_free_sgpr 36
		.amdhsa_reserve_vcc 1
		.amdhsa_reserve_flat_scratch 0
		.amdhsa_float_round_mode_32 0
		.amdhsa_float_round_mode_16_64 0
		.amdhsa_float_denorm_mode_32 3
		.amdhsa_float_denorm_mode_16_64 3
		.amdhsa_dx10_clamp 1
		.amdhsa_ieee_mode 1
		.amdhsa_fp16_overflow 0
		.amdhsa_workgroup_processor_mode 1
		.amdhsa_memory_ordered 1
		.amdhsa_forward_progress 1
		.amdhsa_shared_vgpr_count 0
		.amdhsa_exception_fp_ieee_invalid_op 0
		.amdhsa_exception_fp_denorm_src 0
		.amdhsa_exception_fp_ieee_div_zero 0
		.amdhsa_exception_fp_ieee_overflow 0
		.amdhsa_exception_fp_ieee_underflow 0
		.amdhsa_exception_fp_ieee_inexact 0
		.amdhsa_exception_int_div_zero 0
	.end_amdhsa_kernel
	.section	.text._ZN2at6native29vectorized_elementwise_kernelILi4EZZZNS0_21polygamma_kernel_cudaERNS_18TensorIteratorBaseElENKUlvE_clEvENKUlvE0_clEvEUlfE_St5arrayIPcLm2EEEEviT0_T1_,"axG",@progbits,_ZN2at6native29vectorized_elementwise_kernelILi4EZZZNS0_21polygamma_kernel_cudaERNS_18TensorIteratorBaseElENKUlvE_clEvENKUlvE0_clEvEUlfE_St5arrayIPcLm2EEEEviT0_T1_,comdat
.Lfunc_end90:
	.size	_ZN2at6native29vectorized_elementwise_kernelILi4EZZZNS0_21polygamma_kernel_cudaERNS_18TensorIteratorBaseElENKUlvE_clEvENKUlvE0_clEvEUlfE_St5arrayIPcLm2EEEEviT0_T1_, .Lfunc_end90-_ZN2at6native29vectorized_elementwise_kernelILi4EZZZNS0_21polygamma_kernel_cudaERNS_18TensorIteratorBaseElENKUlvE_clEvENKUlvE0_clEvEUlfE_St5arrayIPcLm2EEEEviT0_T1_
                                        ; -- End function
	.set _ZN2at6native29vectorized_elementwise_kernelILi4EZZZNS0_21polygamma_kernel_cudaERNS_18TensorIteratorBaseElENKUlvE_clEvENKUlvE0_clEvEUlfE_St5arrayIPcLm2EEEEviT0_T1_.num_vgpr, max(29, .L_ZN3c104guts5applyIRZZZN2at6native21polygamma_kernel_cudaERNS2_18TensorIteratorBaseElENKUlvE_clEvENKUlvE0_clEvEUlfE_RSt5tupleIJfEEEEDaOT_OT0_.num_vgpr)
	.set _ZN2at6native29vectorized_elementwise_kernelILi4EZZZNS0_21polygamma_kernel_cudaERNS_18TensorIteratorBaseElENKUlvE_clEvENKUlvE0_clEvEUlfE_St5arrayIPcLm2EEEEviT0_T1_.num_agpr, max(0, .L_ZN3c104guts5applyIRZZZN2at6native21polygamma_kernel_cudaERNS2_18TensorIteratorBaseElENKUlvE_clEvENKUlvE0_clEvEUlfE_RSt5tupleIJfEEEEDaOT_OT0_.num_agpr)
	.set _ZN2at6native29vectorized_elementwise_kernelILi4EZZZNS0_21polygamma_kernel_cudaERNS_18TensorIteratorBaseElENKUlvE_clEvENKUlvE0_clEvEUlfE_St5arrayIPcLm2EEEEviT0_T1_.numbered_sgpr, max(36, .L_ZN3c104guts5applyIRZZZN2at6native21polygamma_kernel_cudaERNS2_18TensorIteratorBaseElENKUlvE_clEvENKUlvE0_clEvEUlfE_RSt5tupleIJfEEEEDaOT_OT0_.numbered_sgpr)
	.set _ZN2at6native29vectorized_elementwise_kernelILi4EZZZNS0_21polygamma_kernel_cudaERNS_18TensorIteratorBaseElENKUlvE_clEvENKUlvE0_clEvEUlfE_St5arrayIPcLm2EEEEviT0_T1_.num_named_barrier, max(0, .L_ZN3c104guts5applyIRZZZN2at6native21polygamma_kernel_cudaERNS2_18TensorIteratorBaseElENKUlvE_clEvENKUlvE0_clEvEUlfE_RSt5tupleIJfEEEEDaOT_OT0_.num_named_barrier)
	.set _ZN2at6native29vectorized_elementwise_kernelILi4EZZZNS0_21polygamma_kernel_cudaERNS_18TensorIteratorBaseElENKUlvE_clEvENKUlvE0_clEvEUlfE_St5arrayIPcLm2EEEEviT0_T1_.private_seg_size, 0+max(.L_ZN3c104guts5applyIRZZZN2at6native21polygamma_kernel_cudaERNS2_18TensorIteratorBaseElENKUlvE_clEvENKUlvE0_clEvEUlfE_RSt5tupleIJfEEEEDaOT_OT0_.private_seg_size)
	.set _ZN2at6native29vectorized_elementwise_kernelILi4EZZZNS0_21polygamma_kernel_cudaERNS_18TensorIteratorBaseElENKUlvE_clEvENKUlvE0_clEvEUlfE_St5arrayIPcLm2EEEEviT0_T1_.uses_vcc, or(1, .L_ZN3c104guts5applyIRZZZN2at6native21polygamma_kernel_cudaERNS2_18TensorIteratorBaseElENKUlvE_clEvENKUlvE0_clEvEUlfE_RSt5tupleIJfEEEEDaOT_OT0_.uses_vcc)
	.set _ZN2at6native29vectorized_elementwise_kernelILi4EZZZNS0_21polygamma_kernel_cudaERNS_18TensorIteratorBaseElENKUlvE_clEvENKUlvE0_clEvEUlfE_St5arrayIPcLm2EEEEviT0_T1_.uses_flat_scratch, or(0, .L_ZN3c104guts5applyIRZZZN2at6native21polygamma_kernel_cudaERNS2_18TensorIteratorBaseElENKUlvE_clEvENKUlvE0_clEvEUlfE_RSt5tupleIJfEEEEDaOT_OT0_.uses_flat_scratch)
	.set _ZN2at6native29vectorized_elementwise_kernelILi4EZZZNS0_21polygamma_kernel_cudaERNS_18TensorIteratorBaseElENKUlvE_clEvENKUlvE0_clEvEUlfE_St5arrayIPcLm2EEEEviT0_T1_.has_dyn_sized_stack, or(0, .L_ZN3c104guts5applyIRZZZN2at6native21polygamma_kernel_cudaERNS2_18TensorIteratorBaseElENKUlvE_clEvENKUlvE0_clEvEUlfE_RSt5tupleIJfEEEEDaOT_OT0_.has_dyn_sized_stack)
	.set _ZN2at6native29vectorized_elementwise_kernelILi4EZZZNS0_21polygamma_kernel_cudaERNS_18TensorIteratorBaseElENKUlvE_clEvENKUlvE0_clEvEUlfE_St5arrayIPcLm2EEEEviT0_T1_.has_recursion, or(0, .L_ZN3c104guts5applyIRZZZN2at6native21polygamma_kernel_cudaERNS2_18TensorIteratorBaseElENKUlvE_clEvENKUlvE0_clEvEUlfE_RSt5tupleIJfEEEEDaOT_OT0_.has_recursion)
	.set _ZN2at6native29vectorized_elementwise_kernelILi4EZZZNS0_21polygamma_kernel_cudaERNS_18TensorIteratorBaseElENKUlvE_clEvENKUlvE0_clEvEUlfE_St5arrayIPcLm2EEEEviT0_T1_.has_indirect_call, or(0, .L_ZN3c104guts5applyIRZZZN2at6native21polygamma_kernel_cudaERNS2_18TensorIteratorBaseElENKUlvE_clEvENKUlvE0_clEvEUlfE_RSt5tupleIJfEEEEDaOT_OT0_.has_indirect_call)
	.section	.AMDGPU.csdata,"",@progbits
; Kernel info:
; codeLenInByte = 1148
; TotalNumSgprs: 38
; NumVgprs: 29
; ScratchSize: 0
; MemoryBound: 0
; FloatMode: 240
; IeeeMode: 1
; LDSByteSize: 0 bytes/workgroup (compile time only)
; SGPRBlocks: 0
; VGPRBlocks: 3
; NumSGPRsForWavesPerEU: 38
; NumVGPRsForWavesPerEU: 29
; Occupancy: 16
; WaveLimiterHint : 0
; COMPUTE_PGM_RSRC2:SCRATCH_EN: 0
; COMPUTE_PGM_RSRC2:USER_SGPR: 6
; COMPUTE_PGM_RSRC2:TRAP_HANDLER: 0
; COMPUTE_PGM_RSRC2:TGID_X_EN: 1
; COMPUTE_PGM_RSRC2:TGID_Y_EN: 0
; COMPUTE_PGM_RSRC2:TGID_Z_EN: 0
; COMPUTE_PGM_RSRC2:TIDIG_COMP_CNT: 0
	.section	.text._ZN2at6native29vectorized_elementwise_kernelILi2EZZZNS0_21polygamma_kernel_cudaERNS_18TensorIteratorBaseElENKUlvE_clEvENKUlvE0_clEvEUlfE_St5arrayIPcLm2EEEEviT0_T1_,"axG",@progbits,_ZN2at6native29vectorized_elementwise_kernelILi2EZZZNS0_21polygamma_kernel_cudaERNS_18TensorIteratorBaseElENKUlvE_clEvENKUlvE0_clEvEUlfE_St5arrayIPcLm2EEEEviT0_T1_,comdat
	.globl	_ZN2at6native29vectorized_elementwise_kernelILi2EZZZNS0_21polygamma_kernel_cudaERNS_18TensorIteratorBaseElENKUlvE_clEvENKUlvE0_clEvEUlfE_St5arrayIPcLm2EEEEviT0_T1_ ; -- Begin function _ZN2at6native29vectorized_elementwise_kernelILi2EZZZNS0_21polygamma_kernel_cudaERNS_18TensorIteratorBaseElENKUlvE_clEvENKUlvE0_clEvEUlfE_St5arrayIPcLm2EEEEviT0_T1_
	.p2align	8
	.type	_ZN2at6native29vectorized_elementwise_kernelILi2EZZZNS0_21polygamma_kernel_cudaERNS_18TensorIteratorBaseElENKUlvE_clEvENKUlvE0_clEvEUlfE_St5arrayIPcLm2EEEEviT0_T1_,@function
_ZN2at6native29vectorized_elementwise_kernelILi2EZZZNS0_21polygamma_kernel_cudaERNS_18TensorIteratorBaseElENKUlvE_clEvENKUlvE0_clEvEUlfE_St5arrayIPcLm2EEEEviT0_T1_: ; @_ZN2at6native29vectorized_elementwise_kernelILi2EZZZNS0_21polygamma_kernel_cudaERNS_18TensorIteratorBaseElENKUlvE_clEvENKUlvE0_clEvEUlfE_St5arrayIPcLm2EEEEviT0_T1_
; %bb.0:
	s_add_u32 s0, s0, s7
	s_clause 0x2
	s_load_dword s7, s[4:5], 0x0
	s_load_dwordx4 s[20:23], s[4:5], 0x8
	s_load_dwordx2 s[24:25], s[4:5], 0x18
	s_addc_u32 s1, s1, 0
	s_lshl_b32 s18, s6, 10
	v_mov_b32_e32 v18, v0
	s_mov_b32 s17, -1
	s_mov_b32 s32, 0
	s_waitcnt lgkmcnt(0)
	s_sub_i32 s26, s7, s18
	s_cmpk_gt_i32 s26, 0x3ff
	s_cbranch_scc0 .LBB91_2
; %bb.1:
	s_ashr_i32 s19, s18, 31
	v_lshlrev_b32_e32 v23, 3, v18
	s_lshl_b64 s[28:29], s[18:19], 2
	s_mov_b32 s17, 0
	s_add_u32 s4, s24, s28
	s_addc_u32 s5, s25, s29
	v_add_co_u32 v0, s6, s4, v23
	v_add_co_ci_u32_e64 v1, null, s5, 0, s6
	global_load_dwordx2 v[19:20], v23, s[4:5]
	v_add_co_u32 v0, vcc_lo, 0x800, v0
	v_add_co_ci_u32_e64 v1, null, 0, v1, vcc_lo
	s_getpc_b64 s[34:35]
	s_add_u32 s34, s34, _ZN3c104guts5applyIRZZZN2at6native21polygamma_kernel_cudaERNS2_18TensorIteratorBaseElENKUlvE_clEvENKUlvE0_clEvEUlfE_RSt5tupleIJfEEEEDaOT_OT0_@rel32@lo+4
	s_addc_u32 s35, s35, _ZN3c104guts5applyIRZZZN2at6native21polygamma_kernel_cudaERNS2_18TensorIteratorBaseElENKUlvE_clEvENKUlvE0_clEvEUlfE_RSt5tupleIJfEEEEDaOT_OT0_@rel32@hi+12
	global_load_dwordx2 v[21:22], v[0:1], off
	v_mov_b32_e32 v0, s20
	v_mov_b32_e32 v1, s21
	s_waitcnt vmcnt(1)
	v_mov_b32_e32 v2, v19
	s_swappc_b64 s[30:31], s[34:35]
	v_mov_b32_e32 v19, v0
	v_mov_b32_e32 v0, s20
	v_mov_b32_e32 v1, s21
	v_mov_b32_e32 v2, v20
	s_swappc_b64 s[30:31], s[34:35]
	v_mov_b32_e32 v20, v0
	v_mov_b32_e32 v0, s20
	v_mov_b32_e32 v1, s21
	;; [unrolled: 5-line block ×3, first 2 shown]
	v_mov_b32_e32 v2, v22
	s_swappc_b64 s[30:31], s[34:35]
	s_add_u32 s4, s22, s28
	v_mov_b32_e32 v22, v0
	s_addc_u32 s5, s23, s29
	v_add_co_u32 v0, s6, s4, v23
	v_add_co_ci_u32_e64 v1, null, s5, 0, s6
	v_add_co_u32 v0, vcc_lo, 0x800, v0
	v_add_co_ci_u32_e64 v1, null, 0, v1, vcc_lo
	global_store_dwordx2 v23, v[19:20], s[4:5]
	global_store_dwordx2 v[0:1], v[21:22], off
.LBB91_2:
	s_andn2_b32 vcc_lo, exec_lo, s17
	s_cbranch_vccnz .LBB91_23
; %bb.3:
	v_cmp_gt_i32_e64 s17, s26, v18
	v_mov_b32_e32 v19, 0
	v_or_b32_e32 v26, s18, v18
	v_or_b32_e32 v28, 0x100, v18
	v_mov_b32_e32 v2, 0
	v_mov_b32_e32 v0, v18
	s_and_saveexec_b32 s4, s17
	s_cbranch_execz .LBB91_5
; %bb.4:
	v_mov_b32_e32 v27, 0
	v_lshlrev_b64 v[0:1], 2, v[26:27]
	v_add_co_u32 v0, vcc_lo, s24, v0
	v_add_co_ci_u32_e64 v1, null, s25, v1, vcc_lo
	global_load_dword v2, v[0:1], off
	v_or_b32_e32 v0, 0x100, v18
.LBB91_5:
	s_or_b32 exec_lo, exec_lo, s4
	s_mov_b32 s4, exec_lo
	v_cmpx_gt_i32_e64 s26, v0
	s_cbranch_execz .LBB91_7
; %bb.6:
	v_add_nc_u32_e32 v3, s18, v0
	v_mov_b32_e32 v4, 0
	v_add_nc_u32_e32 v0, 0x100, v0
	v_lshlrev_b64 v[3:4], 2, v[3:4]
	v_add_co_u32 v3, vcc_lo, s24, v3
	v_add_co_ci_u32_e64 v4, null, s25, v4, vcc_lo
	global_load_dword v19, v[3:4], off
.LBB91_7:
	s_or_b32 exec_lo, exec_lo, s4
	v_mov_b32_e32 v20, 0
	v_mov_b32_e32 v21, 0
	s_mov_b32 s4, exec_lo
	v_cmpx_gt_i32_e64 s26, v0
	s_cbranch_execz .LBB91_9
; %bb.8:
	v_add_nc_u32_e32 v3, s18, v0
	v_mov_b32_e32 v4, 0
	v_add_nc_u32_e32 v0, 0x100, v0
	v_lshlrev_b64 v[3:4], 2, v[3:4]
	v_add_co_u32 v3, vcc_lo, s24, v3
	v_add_co_ci_u32_e64 v4, null, s25, v4, vcc_lo
	global_load_dword v21, v[3:4], off
.LBB91_9:
	s_or_b32 exec_lo, exec_lo, s4
	s_mov_b32 s4, exec_lo
	v_cmpx_gt_i32_e64 s26, v0
	s_cbranch_execz .LBB91_11
; %bb.10:
	v_add_nc_u32_e32 v0, s18, v0
	v_mov_b32_e32 v1, 0
	v_lshlrev_b64 v[0:1], 2, v[0:1]
	v_add_co_u32 v0, vcc_lo, s24, v0
	v_add_co_ci_u32_e64 v1, null, s25, v1, vcc_lo
	global_load_dword v20, v[0:1], off
.LBB91_11:
	s_or_b32 exec_lo, exec_lo, s4
	v_mov_b32_e32 v22, 0
	v_mov_b32_e32 v23, v22
	;; [unrolled: 1-line block ×4, first 2 shown]
	s_and_saveexec_b32 s19, s17
	s_cbranch_execz .LBB91_13
; %bb.12:
	v_mov_b32_e32 v0, s20
	v_mov_b32_e32 v1, s21
	s_getpc_b64 s[4:5]
	s_add_u32 s4, s4, _ZN3c104guts5applyIRZZZN2at6native21polygamma_kernel_cudaERNS2_18TensorIteratorBaseElENKUlvE_clEvENKUlvE0_clEvEUlfE_RSt5tupleIJfEEEEDaOT_OT0_@rel32@lo+4
	s_addc_u32 s5, s5, _ZN3c104guts5applyIRZZZN2at6native21polygamma_kernel_cudaERNS2_18TensorIteratorBaseElENKUlvE_clEvENKUlvE0_clEvEUlfE_RSt5tupleIJfEEEEDaOT_OT0_@rel32@hi+12
	s_swappc_b64 s[30:31], s[4:5]
	v_mov_b32_e32 v3, v22
	v_mov_b32_e32 v1, v22
	;; [unrolled: 1-line block ×7, first 2 shown]
.LBB91_13:
	s_or_b32 exec_lo, exec_lo, s19
	s_mov_b32 s19, exec_lo
	v_cmpx_gt_i32_e64 s26, v28
	s_cbranch_execz .LBB91_15
; %bb.14:
	v_mov_b32_e32 v0, s20
	v_mov_b32_e32 v1, s21
	s_waitcnt vmcnt(0)
	v_mov_b32_e32 v2, v19
	s_getpc_b64 s[4:5]
	s_add_u32 s4, s4, _ZN3c104guts5applyIRZZZN2at6native21polygamma_kernel_cudaERNS2_18TensorIteratorBaseElENKUlvE_clEvENKUlvE0_clEvEUlfE_RSt5tupleIJfEEEEDaOT_OT0_@rel32@lo+4
	s_addc_u32 s5, s5, _ZN3c104guts5applyIRZZZN2at6native21polygamma_kernel_cudaERNS2_18TensorIteratorBaseElENKUlvE_clEvENKUlvE0_clEvEUlfE_RSt5tupleIJfEEEEDaOT_OT0_@rel32@hi+12
	s_swappc_b64 s[30:31], s[4:5]
	v_mov_b32_e32 v23, v0
.LBB91_15:
	s_or_b32 exec_lo, exec_lo, s19
	v_or_b32_e32 v0, 0x200, v18
	s_mov_b32 s19, exec_lo
	v_cmpx_gt_i32_e64 s26, v0
	s_cbranch_execz .LBB91_17
; %bb.16:
	v_mov_b32_e32 v0, s20
	v_mov_b32_e32 v1, s21
	s_waitcnt vmcnt(0)
	v_mov_b32_e32 v2, v21
	s_getpc_b64 s[4:5]
	s_add_u32 s4, s4, _ZN3c104guts5applyIRZZZN2at6native21polygamma_kernel_cudaERNS2_18TensorIteratorBaseElENKUlvE_clEvENKUlvE0_clEvEUlfE_RSt5tupleIJfEEEEDaOT_OT0_@rel32@lo+4
	s_addc_u32 s5, s5, _ZN3c104guts5applyIRZZZN2at6native21polygamma_kernel_cudaERNS2_18TensorIteratorBaseElENKUlvE_clEvENKUlvE0_clEvEUlfE_RSt5tupleIJfEEEEDaOT_OT0_@rel32@hi+12
	s_swappc_b64 s[30:31], s[4:5]
	v_mov_b32_e32 v24, v0
.LBB91_17:
	s_or_b32 exec_lo, exec_lo, s19
	v_or_b32_e32 v0, 0x300, v18
	s_mov_b32 s19, exec_lo
	v_cmpx_gt_i32_e64 s26, v0
	s_cbranch_execnz .LBB91_24
; %bb.18:
	s_or_b32 exec_lo, exec_lo, s19
	s_and_saveexec_b32 s4, s17
	s_xor_b32 s4, exec_lo, s4
	s_cbranch_execnz .LBB91_25
.LBB91_19:
	s_or_b32 exec_lo, exec_lo, s4
	s_mov_b32 s4, exec_lo
	v_cmpx_gt_i32_e64 s26, v18
	s_cbranch_execnz .LBB91_26
.LBB91_20:
	s_or_b32 exec_lo, exec_lo, s4
	s_mov_b32 s4, exec_lo
	v_cmpx_gt_i32_e64 s26, v18
	s_cbranch_execnz .LBB91_27
.LBB91_21:
	s_or_b32 exec_lo, exec_lo, s4
	s_mov_b32 s4, exec_lo
	v_cmpx_gt_i32_e64 s26, v18
	s_cbranch_execz .LBB91_23
.LBB91_22:
	v_add_nc_u32_e32 v0, s18, v18
	v_mov_b32_e32 v1, 0
	v_lshlrev_b64 v[0:1], 2, v[0:1]
	v_add_co_u32 v0, vcc_lo, s22, v0
	v_add_co_ci_u32_e64 v1, null, s23, v1, vcc_lo
	global_store_dword v[0:1], v25, off
.LBB91_23:
	s_endpgm
.LBB91_24:
	v_mov_b32_e32 v0, s20
	v_mov_b32_e32 v1, s21
	s_waitcnt vmcnt(0)
	v_mov_b32_e32 v2, v20
	s_getpc_b64 s[4:5]
	s_add_u32 s4, s4, _ZN3c104guts5applyIRZZZN2at6native21polygamma_kernel_cudaERNS2_18TensorIteratorBaseElENKUlvE_clEvENKUlvE0_clEvEUlfE_RSt5tupleIJfEEEEDaOT_OT0_@rel32@lo+4
	s_addc_u32 s5, s5, _ZN3c104guts5applyIRZZZN2at6native21polygamma_kernel_cudaERNS2_18TensorIteratorBaseElENKUlvE_clEvENKUlvE0_clEvEUlfE_RSt5tupleIJfEEEEDaOT_OT0_@rel32@hi+12
	s_swappc_b64 s[30:31], s[4:5]
	v_mov_b32_e32 v25, v0
	s_or_b32 exec_lo, exec_lo, s19
	s_and_saveexec_b32 s4, s17
	s_xor_b32 s4, exec_lo, s4
	s_cbranch_execz .LBB91_19
.LBB91_25:
	v_mov_b32_e32 v27, 0
	v_mov_b32_e32 v18, v28
	v_lshlrev_b64 v[0:1], 2, v[26:27]
	v_add_co_u32 v0, vcc_lo, s22, v0
	v_add_co_ci_u32_e64 v1, null, s23, v1, vcc_lo
	global_store_dword v[0:1], v22, off
	s_or_b32 exec_lo, exec_lo, s4
	s_mov_b32 s4, exec_lo
	v_cmpx_gt_i32_e64 s26, v18
	s_cbranch_execz .LBB91_20
.LBB91_26:
	v_add_nc_u32_e32 v0, s18, v18
	v_mov_b32_e32 v1, 0
	v_add_nc_u32_e32 v18, 0x100, v18
	v_lshlrev_b64 v[0:1], 2, v[0:1]
	v_add_co_u32 v0, vcc_lo, s22, v0
	v_add_co_ci_u32_e64 v1, null, s23, v1, vcc_lo
	global_store_dword v[0:1], v23, off
	s_or_b32 exec_lo, exec_lo, s4
	s_mov_b32 s4, exec_lo
	v_cmpx_gt_i32_e64 s26, v18
	s_cbranch_execz .LBB91_21
.LBB91_27:
	v_add_nc_u32_e32 v0, s18, v18
	v_mov_b32_e32 v1, 0
	v_add_nc_u32_e32 v18, 0x100, v18
	v_lshlrev_b64 v[0:1], 2, v[0:1]
	v_add_co_u32 v0, vcc_lo, s22, v0
	v_add_co_ci_u32_e64 v1, null, s23, v1, vcc_lo
	global_store_dword v[0:1], v24, off
	s_or_b32 exec_lo, exec_lo, s4
	s_mov_b32 s4, exec_lo
	v_cmpx_gt_i32_e64 s26, v18
	s_cbranch_execnz .LBB91_22
	s_branch .LBB91_23
	.section	.rodata,"a",@progbits
	.p2align	6, 0x0
	.amdhsa_kernel _ZN2at6native29vectorized_elementwise_kernelILi2EZZZNS0_21polygamma_kernel_cudaERNS_18TensorIteratorBaseElENKUlvE_clEvENKUlvE0_clEvEUlfE_St5arrayIPcLm2EEEEviT0_T1_
		.amdhsa_group_segment_fixed_size 0
		.amdhsa_private_segment_fixed_size 0
		.amdhsa_kernarg_size 32
		.amdhsa_user_sgpr_count 6
		.amdhsa_user_sgpr_private_segment_buffer 1
		.amdhsa_user_sgpr_dispatch_ptr 0
		.amdhsa_user_sgpr_queue_ptr 0
		.amdhsa_user_sgpr_kernarg_segment_ptr 1
		.amdhsa_user_sgpr_dispatch_id 0
		.amdhsa_user_sgpr_flat_scratch_init 0
		.amdhsa_user_sgpr_private_segment_size 0
		.amdhsa_wavefront_size32 1
		.amdhsa_uses_dynamic_stack 0
		.amdhsa_system_sgpr_private_segment_wavefront_offset 0
		.amdhsa_system_sgpr_workgroup_id_x 1
		.amdhsa_system_sgpr_workgroup_id_y 0
		.amdhsa_system_sgpr_workgroup_id_z 0
		.amdhsa_system_sgpr_workgroup_info 0
		.amdhsa_system_vgpr_workitem_id 0
		.amdhsa_next_free_vgpr 29
		.amdhsa_next_free_sgpr 36
		.amdhsa_reserve_vcc 1
		.amdhsa_reserve_flat_scratch 0
		.amdhsa_float_round_mode_32 0
		.amdhsa_float_round_mode_16_64 0
		.amdhsa_float_denorm_mode_32 3
		.amdhsa_float_denorm_mode_16_64 3
		.amdhsa_dx10_clamp 1
		.amdhsa_ieee_mode 1
		.amdhsa_fp16_overflow 0
		.amdhsa_workgroup_processor_mode 1
		.amdhsa_memory_ordered 1
		.amdhsa_forward_progress 1
		.amdhsa_shared_vgpr_count 0
		.amdhsa_exception_fp_ieee_invalid_op 0
		.amdhsa_exception_fp_denorm_src 0
		.amdhsa_exception_fp_ieee_div_zero 0
		.amdhsa_exception_fp_ieee_overflow 0
		.amdhsa_exception_fp_ieee_underflow 0
		.amdhsa_exception_fp_ieee_inexact 0
		.amdhsa_exception_int_div_zero 0
	.end_amdhsa_kernel
	.section	.text._ZN2at6native29vectorized_elementwise_kernelILi2EZZZNS0_21polygamma_kernel_cudaERNS_18TensorIteratorBaseElENKUlvE_clEvENKUlvE0_clEvEUlfE_St5arrayIPcLm2EEEEviT0_T1_,"axG",@progbits,_ZN2at6native29vectorized_elementwise_kernelILi2EZZZNS0_21polygamma_kernel_cudaERNS_18TensorIteratorBaseElENKUlvE_clEvENKUlvE0_clEvEUlfE_St5arrayIPcLm2EEEEviT0_T1_,comdat
.Lfunc_end91:
	.size	_ZN2at6native29vectorized_elementwise_kernelILi2EZZZNS0_21polygamma_kernel_cudaERNS_18TensorIteratorBaseElENKUlvE_clEvENKUlvE0_clEvEUlfE_St5arrayIPcLm2EEEEviT0_T1_, .Lfunc_end91-_ZN2at6native29vectorized_elementwise_kernelILi2EZZZNS0_21polygamma_kernel_cudaERNS_18TensorIteratorBaseElENKUlvE_clEvENKUlvE0_clEvEUlfE_St5arrayIPcLm2EEEEviT0_T1_
                                        ; -- End function
	.set _ZN2at6native29vectorized_elementwise_kernelILi2EZZZNS0_21polygamma_kernel_cudaERNS_18TensorIteratorBaseElENKUlvE_clEvENKUlvE0_clEvEUlfE_St5arrayIPcLm2EEEEviT0_T1_.num_vgpr, max(29, .L_ZN3c104guts5applyIRZZZN2at6native21polygamma_kernel_cudaERNS2_18TensorIteratorBaseElENKUlvE_clEvENKUlvE0_clEvEUlfE_RSt5tupleIJfEEEEDaOT_OT0_.num_vgpr)
	.set _ZN2at6native29vectorized_elementwise_kernelILi2EZZZNS0_21polygamma_kernel_cudaERNS_18TensorIteratorBaseElENKUlvE_clEvENKUlvE0_clEvEUlfE_St5arrayIPcLm2EEEEviT0_T1_.num_agpr, max(0, .L_ZN3c104guts5applyIRZZZN2at6native21polygamma_kernel_cudaERNS2_18TensorIteratorBaseElENKUlvE_clEvENKUlvE0_clEvEUlfE_RSt5tupleIJfEEEEDaOT_OT0_.num_agpr)
	.set _ZN2at6native29vectorized_elementwise_kernelILi2EZZZNS0_21polygamma_kernel_cudaERNS_18TensorIteratorBaseElENKUlvE_clEvENKUlvE0_clEvEUlfE_St5arrayIPcLm2EEEEviT0_T1_.numbered_sgpr, max(36, .L_ZN3c104guts5applyIRZZZN2at6native21polygamma_kernel_cudaERNS2_18TensorIteratorBaseElENKUlvE_clEvENKUlvE0_clEvEUlfE_RSt5tupleIJfEEEEDaOT_OT0_.numbered_sgpr)
	.set _ZN2at6native29vectorized_elementwise_kernelILi2EZZZNS0_21polygamma_kernel_cudaERNS_18TensorIteratorBaseElENKUlvE_clEvENKUlvE0_clEvEUlfE_St5arrayIPcLm2EEEEviT0_T1_.num_named_barrier, max(0, .L_ZN3c104guts5applyIRZZZN2at6native21polygamma_kernel_cudaERNS2_18TensorIteratorBaseElENKUlvE_clEvENKUlvE0_clEvEUlfE_RSt5tupleIJfEEEEDaOT_OT0_.num_named_barrier)
	.set _ZN2at6native29vectorized_elementwise_kernelILi2EZZZNS0_21polygamma_kernel_cudaERNS_18TensorIteratorBaseElENKUlvE_clEvENKUlvE0_clEvEUlfE_St5arrayIPcLm2EEEEviT0_T1_.private_seg_size, 0+max(.L_ZN3c104guts5applyIRZZZN2at6native21polygamma_kernel_cudaERNS2_18TensorIteratorBaseElENKUlvE_clEvENKUlvE0_clEvEUlfE_RSt5tupleIJfEEEEDaOT_OT0_.private_seg_size)
	.set _ZN2at6native29vectorized_elementwise_kernelILi2EZZZNS0_21polygamma_kernel_cudaERNS_18TensorIteratorBaseElENKUlvE_clEvENKUlvE0_clEvEUlfE_St5arrayIPcLm2EEEEviT0_T1_.uses_vcc, or(1, .L_ZN3c104guts5applyIRZZZN2at6native21polygamma_kernel_cudaERNS2_18TensorIteratorBaseElENKUlvE_clEvENKUlvE0_clEvEUlfE_RSt5tupleIJfEEEEDaOT_OT0_.uses_vcc)
	.set _ZN2at6native29vectorized_elementwise_kernelILi2EZZZNS0_21polygamma_kernel_cudaERNS_18TensorIteratorBaseElENKUlvE_clEvENKUlvE0_clEvEUlfE_St5arrayIPcLm2EEEEviT0_T1_.uses_flat_scratch, or(0, .L_ZN3c104guts5applyIRZZZN2at6native21polygamma_kernel_cudaERNS2_18TensorIteratorBaseElENKUlvE_clEvENKUlvE0_clEvEUlfE_RSt5tupleIJfEEEEDaOT_OT0_.uses_flat_scratch)
	.set _ZN2at6native29vectorized_elementwise_kernelILi2EZZZNS0_21polygamma_kernel_cudaERNS_18TensorIteratorBaseElENKUlvE_clEvENKUlvE0_clEvEUlfE_St5arrayIPcLm2EEEEviT0_T1_.has_dyn_sized_stack, or(0, .L_ZN3c104guts5applyIRZZZN2at6native21polygamma_kernel_cudaERNS2_18TensorIteratorBaseElENKUlvE_clEvENKUlvE0_clEvEUlfE_RSt5tupleIJfEEEEDaOT_OT0_.has_dyn_sized_stack)
	.set _ZN2at6native29vectorized_elementwise_kernelILi2EZZZNS0_21polygamma_kernel_cudaERNS_18TensorIteratorBaseElENKUlvE_clEvENKUlvE0_clEvEUlfE_St5arrayIPcLm2EEEEviT0_T1_.has_recursion, or(0, .L_ZN3c104guts5applyIRZZZN2at6native21polygamma_kernel_cudaERNS2_18TensorIteratorBaseElENKUlvE_clEvENKUlvE0_clEvEUlfE_RSt5tupleIJfEEEEDaOT_OT0_.has_recursion)
	.set _ZN2at6native29vectorized_elementwise_kernelILi2EZZZNS0_21polygamma_kernel_cudaERNS_18TensorIteratorBaseElENKUlvE_clEvENKUlvE0_clEvEUlfE_St5arrayIPcLm2EEEEviT0_T1_.has_indirect_call, or(0, .L_ZN3c104guts5applyIRZZZN2at6native21polygamma_kernel_cudaERNS2_18TensorIteratorBaseElENKUlvE_clEvENKUlvE0_clEvEUlfE_RSt5tupleIJfEEEEDaOT_OT0_.has_indirect_call)
	.section	.AMDGPU.csdata,"",@progbits
; Kernel info:
; codeLenInByte = 1236
; TotalNumSgprs: 38
; NumVgprs: 29
; ScratchSize: 0
; MemoryBound: 0
; FloatMode: 240
; IeeeMode: 1
; LDSByteSize: 0 bytes/workgroup (compile time only)
; SGPRBlocks: 0
; VGPRBlocks: 3
; NumSGPRsForWavesPerEU: 38
; NumVGPRsForWavesPerEU: 29
; Occupancy: 16
; WaveLimiterHint : 1
; COMPUTE_PGM_RSRC2:SCRATCH_EN: 0
; COMPUTE_PGM_RSRC2:USER_SGPR: 6
; COMPUTE_PGM_RSRC2:TRAP_HANDLER: 0
; COMPUTE_PGM_RSRC2:TGID_X_EN: 1
; COMPUTE_PGM_RSRC2:TGID_Y_EN: 0
; COMPUTE_PGM_RSRC2:TGID_Z_EN: 0
; COMPUTE_PGM_RSRC2:TIDIG_COMP_CNT: 0
	.section	.text._ZN2at6native27unrolled_elementwise_kernelIZZZNS0_21polygamma_kernel_cudaERNS_18TensorIteratorBaseElENKUlvE_clEvENKUlvE0_clEvEUlfE_St5arrayIPcLm2EELi4E23TrivialOffsetCalculatorILi1EjESB_NS0_6memory15LoadWithoutCastENSC_16StoreWithoutCastEEEviT_T0_T2_T3_T4_T5_,"axG",@progbits,_ZN2at6native27unrolled_elementwise_kernelIZZZNS0_21polygamma_kernel_cudaERNS_18TensorIteratorBaseElENKUlvE_clEvENKUlvE0_clEvEUlfE_St5arrayIPcLm2EELi4E23TrivialOffsetCalculatorILi1EjESB_NS0_6memory15LoadWithoutCastENSC_16StoreWithoutCastEEEviT_T0_T2_T3_T4_T5_,comdat
	.globl	_ZN2at6native27unrolled_elementwise_kernelIZZZNS0_21polygamma_kernel_cudaERNS_18TensorIteratorBaseElENKUlvE_clEvENKUlvE0_clEvEUlfE_St5arrayIPcLm2EELi4E23TrivialOffsetCalculatorILi1EjESB_NS0_6memory15LoadWithoutCastENSC_16StoreWithoutCastEEEviT_T0_T2_T3_T4_T5_ ; -- Begin function _ZN2at6native27unrolled_elementwise_kernelIZZZNS0_21polygamma_kernel_cudaERNS_18TensorIteratorBaseElENKUlvE_clEvENKUlvE0_clEvEUlfE_St5arrayIPcLm2EELi4E23TrivialOffsetCalculatorILi1EjESB_NS0_6memory15LoadWithoutCastENSC_16StoreWithoutCastEEEviT_T0_T2_T3_T4_T5_
	.p2align	8
	.type	_ZN2at6native27unrolled_elementwise_kernelIZZZNS0_21polygamma_kernel_cudaERNS_18TensorIteratorBaseElENKUlvE_clEvENKUlvE0_clEvEUlfE_St5arrayIPcLm2EELi4E23TrivialOffsetCalculatorILi1EjESB_NS0_6memory15LoadWithoutCastENSC_16StoreWithoutCastEEEviT_T0_T2_T3_T4_T5_,@function
_ZN2at6native27unrolled_elementwise_kernelIZZZNS0_21polygamma_kernel_cudaERNS_18TensorIteratorBaseElENKUlvE_clEvENKUlvE0_clEvEUlfE_St5arrayIPcLm2EELi4E23TrivialOffsetCalculatorILi1EjESB_NS0_6memory15LoadWithoutCastENSC_16StoreWithoutCastEEEviT_T0_T2_T3_T4_T5_: ; @_ZN2at6native27unrolled_elementwise_kernelIZZZNS0_21polygamma_kernel_cudaERNS_18TensorIteratorBaseElENKUlvE_clEvENKUlvE0_clEvEUlfE_St5arrayIPcLm2EELi4E23TrivialOffsetCalculatorILi1EjESB_NS0_6memory15LoadWithoutCastENSC_16StoreWithoutCastEEEviT_T0_T2_T3_T4_T5_
; %bb.0:
	s_add_u32 s0, s0, s7
	s_clause 0x1
	s_load_dword s7, s[4:5], 0x0
	s_load_dwordx2 s[8:9], s[4:5], 0x18
	v_mov_b32_e32 v18, v0
	s_addc_u32 s1, s1, 0
	s_lshl_b32 s18, s6, 10
	v_mov_b32_e32 v19, 0
	v_mov_b32_e32 v2, 0
	v_or_b32_e32 v26, s18, v18
	v_or_b32_e32 v28, 0x100, v18
	s_mov_b32 s32, 0
	s_waitcnt lgkmcnt(0)
	s_sub_i32 s19, s7, s18
	v_cmp_gt_i32_e64 s17, s19, v18
	s_and_saveexec_b32 s6, s17
	s_cbranch_execz .LBB92_2
; %bb.1:
	v_mov_b32_e32 v27, 0
	v_lshlrev_b64 v[0:1], 2, v[26:27]
	v_add_co_u32 v0, vcc_lo, s8, v0
	v_add_co_ci_u32_e64 v1, null, s9, v1, vcc_lo
	global_load_dword v2, v[0:1], off
	v_or_b32_e32 v0, 0x100, v18
.LBB92_2:
	s_or_b32 exec_lo, exec_lo, s6
	s_load_dwordx4 s[20:23], s[4:5], 0x8
	s_mov_b32 s4, exec_lo
	v_cmpx_gt_i32_e64 s19, v0
	s_cbranch_execz .LBB92_4
; %bb.3:
	v_add_nc_u32_e32 v3, s18, v0
	v_mov_b32_e32 v4, 0
	v_add_nc_u32_e32 v0, 0x100, v0
	v_lshlrev_b64 v[3:4], 2, v[3:4]
	v_add_co_u32 v3, vcc_lo, s8, v3
	v_add_co_ci_u32_e64 v4, null, s9, v4, vcc_lo
	global_load_dword v19, v[3:4], off
.LBB92_4:
	s_or_b32 exec_lo, exec_lo, s4
	v_mov_b32_e32 v20, 0
	v_mov_b32_e32 v21, 0
	s_mov_b32 s4, exec_lo
	v_cmpx_gt_i32_e64 s19, v0
	s_cbranch_execz .LBB92_6
; %bb.5:
	v_add_nc_u32_e32 v3, s18, v0
	v_mov_b32_e32 v4, 0
	v_add_nc_u32_e32 v0, 0x100, v0
	v_lshlrev_b64 v[3:4], 2, v[3:4]
	v_add_co_u32 v3, vcc_lo, s8, v3
	v_add_co_ci_u32_e64 v4, null, s9, v4, vcc_lo
	global_load_dword v21, v[3:4], off
.LBB92_6:
	s_or_b32 exec_lo, exec_lo, s4
	s_mov_b32 s4, exec_lo
	v_cmpx_gt_i32_e64 s19, v0
	s_cbranch_execz .LBB92_8
; %bb.7:
	v_add_nc_u32_e32 v0, s18, v0
	v_mov_b32_e32 v1, 0
	v_lshlrev_b64 v[0:1], 2, v[0:1]
	v_add_co_u32 v0, vcc_lo, s8, v0
	v_add_co_ci_u32_e64 v1, null, s9, v1, vcc_lo
	global_load_dword v20, v[0:1], off
.LBB92_8:
	s_or_b32 exec_lo, exec_lo, s4
	v_mov_b32_e32 v22, 0
	v_mov_b32_e32 v23, v22
	;; [unrolled: 1-line block ×4, first 2 shown]
	s_and_saveexec_b32 s24, s17
	s_cbranch_execz .LBB92_10
; %bb.9:
	s_waitcnt lgkmcnt(0)
	v_mov_b32_e32 v0, s20
	v_mov_b32_e32 v1, s21
	s_getpc_b64 s[4:5]
	s_add_u32 s4, s4, _ZN3c104guts5applyIRZZZN2at6native21polygamma_kernel_cudaERNS2_18TensorIteratorBaseElENKUlvE_clEvENKUlvE0_clEvEUlfE_RSt5tupleIJfEEEEDaOT_OT0_@rel32@lo+4
	s_addc_u32 s5, s5, _ZN3c104guts5applyIRZZZN2at6native21polygamma_kernel_cudaERNS2_18TensorIteratorBaseElENKUlvE_clEvENKUlvE0_clEvEUlfE_RSt5tupleIJfEEEEDaOT_OT0_@rel32@hi+12
	s_swappc_b64 s[30:31], s[4:5]
	v_mov_b32_e32 v3, v22
	v_mov_b32_e32 v1, v22
	v_mov_b32_e32 v2, v22
	v_mov_b32_e32 v25, v3
	v_mov_b32_e32 v23, v1
	v_mov_b32_e32 v24, v2
	v_mov_b32_e32 v22, v0
.LBB92_10:
	s_or_b32 exec_lo, exec_lo, s24
	s_mov_b32 s24, exec_lo
	v_cmpx_gt_i32_e64 s19, v28
	s_cbranch_execz .LBB92_12
; %bb.11:
	s_waitcnt lgkmcnt(0)
	v_mov_b32_e32 v0, s20
	v_mov_b32_e32 v1, s21
	s_waitcnt vmcnt(0)
	v_mov_b32_e32 v2, v19
	s_getpc_b64 s[4:5]
	s_add_u32 s4, s4, _ZN3c104guts5applyIRZZZN2at6native21polygamma_kernel_cudaERNS2_18TensorIteratorBaseElENKUlvE_clEvENKUlvE0_clEvEUlfE_RSt5tupleIJfEEEEDaOT_OT0_@rel32@lo+4
	s_addc_u32 s5, s5, _ZN3c104guts5applyIRZZZN2at6native21polygamma_kernel_cudaERNS2_18TensorIteratorBaseElENKUlvE_clEvENKUlvE0_clEvEUlfE_RSt5tupleIJfEEEEDaOT_OT0_@rel32@hi+12
	s_swappc_b64 s[30:31], s[4:5]
	v_mov_b32_e32 v23, v0
.LBB92_12:
	s_or_b32 exec_lo, exec_lo, s24
	v_or_b32_e32 v0, 0x200, v18
	s_mov_b32 s24, exec_lo
	v_cmpx_gt_i32_e64 s19, v0
	s_cbranch_execz .LBB92_14
; %bb.13:
	s_waitcnt lgkmcnt(0)
	v_mov_b32_e32 v0, s20
	v_mov_b32_e32 v1, s21
	s_waitcnt vmcnt(0)
	v_mov_b32_e32 v2, v21
	s_getpc_b64 s[4:5]
	s_add_u32 s4, s4, _ZN3c104guts5applyIRZZZN2at6native21polygamma_kernel_cudaERNS2_18TensorIteratorBaseElENKUlvE_clEvENKUlvE0_clEvEUlfE_RSt5tupleIJfEEEEDaOT_OT0_@rel32@lo+4
	s_addc_u32 s5, s5, _ZN3c104guts5applyIRZZZN2at6native21polygamma_kernel_cudaERNS2_18TensorIteratorBaseElENKUlvE_clEvENKUlvE0_clEvEUlfE_RSt5tupleIJfEEEEDaOT_OT0_@rel32@hi+12
	s_swappc_b64 s[30:31], s[4:5]
	v_mov_b32_e32 v24, v0
.LBB92_14:
	s_or_b32 exec_lo, exec_lo, s24
	v_or_b32_e32 v0, 0x300, v18
	s_mov_b32 s24, exec_lo
	v_cmpx_gt_i32_e64 s19, v0
	s_cbranch_execnz .LBB92_20
; %bb.15:
	s_or_b32 exec_lo, exec_lo, s24
	s_and_saveexec_b32 s4, s17
	s_xor_b32 s4, exec_lo, s4
	s_cbranch_execnz .LBB92_21
.LBB92_16:
	s_or_b32 exec_lo, exec_lo, s4
	s_mov_b32 s4, exec_lo
	v_cmpx_gt_i32_e64 s19, v18
	s_cbranch_execnz .LBB92_22
.LBB92_17:
	s_or_b32 exec_lo, exec_lo, s4
	s_mov_b32 s4, exec_lo
	v_cmpx_gt_i32_e64 s19, v18
	s_cbranch_execnz .LBB92_23
.LBB92_18:
	s_or_b32 exec_lo, exec_lo, s4
	s_mov_b32 s4, exec_lo
	v_cmpx_gt_i32_e64 s19, v18
	s_cbranch_execnz .LBB92_24
.LBB92_19:
	s_endpgm
.LBB92_20:
	s_waitcnt lgkmcnt(0)
	v_mov_b32_e32 v0, s20
	v_mov_b32_e32 v1, s21
	s_waitcnt vmcnt(0)
	v_mov_b32_e32 v2, v20
	s_getpc_b64 s[4:5]
	s_add_u32 s4, s4, _ZN3c104guts5applyIRZZZN2at6native21polygamma_kernel_cudaERNS2_18TensorIteratorBaseElENKUlvE_clEvENKUlvE0_clEvEUlfE_RSt5tupleIJfEEEEDaOT_OT0_@rel32@lo+4
	s_addc_u32 s5, s5, _ZN3c104guts5applyIRZZZN2at6native21polygamma_kernel_cudaERNS2_18TensorIteratorBaseElENKUlvE_clEvENKUlvE0_clEvEUlfE_RSt5tupleIJfEEEEDaOT_OT0_@rel32@hi+12
	s_swappc_b64 s[30:31], s[4:5]
	v_mov_b32_e32 v25, v0
	s_or_b32 exec_lo, exec_lo, s24
	s_and_saveexec_b32 s4, s17
	s_xor_b32 s4, exec_lo, s4
	s_cbranch_execz .LBB92_16
.LBB92_21:
	v_mov_b32_e32 v27, 0
	v_mov_b32_e32 v18, v28
	v_lshlrev_b64 v[0:1], 2, v[26:27]
	s_waitcnt lgkmcnt(0)
	v_add_co_u32 v0, vcc_lo, s22, v0
	v_add_co_ci_u32_e64 v1, null, s23, v1, vcc_lo
	global_store_dword v[0:1], v22, off
	s_or_b32 exec_lo, exec_lo, s4
	s_mov_b32 s4, exec_lo
	v_cmpx_gt_i32_e64 s19, v18
	s_cbranch_execz .LBB92_17
.LBB92_22:
	v_add_nc_u32_e32 v0, s18, v18
	v_mov_b32_e32 v1, 0
	v_add_nc_u32_e32 v18, 0x100, v18
	v_lshlrev_b64 v[0:1], 2, v[0:1]
	s_waitcnt lgkmcnt(0)
	v_add_co_u32 v0, vcc_lo, s22, v0
	v_add_co_ci_u32_e64 v1, null, s23, v1, vcc_lo
	global_store_dword v[0:1], v23, off
	s_or_b32 exec_lo, exec_lo, s4
	s_mov_b32 s4, exec_lo
	v_cmpx_gt_i32_e64 s19, v18
	s_cbranch_execz .LBB92_18
.LBB92_23:
	v_add_nc_u32_e32 v0, s18, v18
	v_mov_b32_e32 v1, 0
	v_add_nc_u32_e32 v18, 0x100, v18
	v_lshlrev_b64 v[0:1], 2, v[0:1]
	s_waitcnt lgkmcnt(0)
	v_add_co_u32 v0, vcc_lo, s22, v0
	v_add_co_ci_u32_e64 v1, null, s23, v1, vcc_lo
	global_store_dword v[0:1], v24, off
	s_or_b32 exec_lo, exec_lo, s4
	s_mov_b32 s4, exec_lo
	v_cmpx_gt_i32_e64 s19, v18
	s_cbranch_execz .LBB92_19
.LBB92_24:
	v_add_nc_u32_e32 v0, s18, v18
	v_mov_b32_e32 v1, 0
	v_lshlrev_b64 v[0:1], 2, v[0:1]
	s_waitcnt lgkmcnt(0)
	v_add_co_u32 v0, vcc_lo, s22, v0
	v_add_co_ci_u32_e64 v1, null, s23, v1, vcc_lo
	global_store_dword v[0:1], v25, off
	s_endpgm
	.section	.rodata,"a",@progbits
	.p2align	6, 0x0
	.amdhsa_kernel _ZN2at6native27unrolled_elementwise_kernelIZZZNS0_21polygamma_kernel_cudaERNS_18TensorIteratorBaseElENKUlvE_clEvENKUlvE0_clEvEUlfE_St5arrayIPcLm2EELi4E23TrivialOffsetCalculatorILi1EjESB_NS0_6memory15LoadWithoutCastENSC_16StoreWithoutCastEEEviT_T0_T2_T3_T4_T5_
		.amdhsa_group_segment_fixed_size 0
		.amdhsa_private_segment_fixed_size 0
		.amdhsa_kernarg_size 36
		.amdhsa_user_sgpr_count 6
		.amdhsa_user_sgpr_private_segment_buffer 1
		.amdhsa_user_sgpr_dispatch_ptr 0
		.amdhsa_user_sgpr_queue_ptr 0
		.amdhsa_user_sgpr_kernarg_segment_ptr 1
		.amdhsa_user_sgpr_dispatch_id 0
		.amdhsa_user_sgpr_flat_scratch_init 0
		.amdhsa_user_sgpr_private_segment_size 0
		.amdhsa_wavefront_size32 1
		.amdhsa_uses_dynamic_stack 0
		.amdhsa_system_sgpr_private_segment_wavefront_offset 0
		.amdhsa_system_sgpr_workgroup_id_x 1
		.amdhsa_system_sgpr_workgroup_id_y 0
		.amdhsa_system_sgpr_workgroup_id_z 0
		.amdhsa_system_sgpr_workgroup_info 0
		.amdhsa_system_vgpr_workitem_id 0
		.amdhsa_next_free_vgpr 29
		.amdhsa_next_free_sgpr 33
		.amdhsa_reserve_vcc 1
		.amdhsa_reserve_flat_scratch 0
		.amdhsa_float_round_mode_32 0
		.amdhsa_float_round_mode_16_64 0
		.amdhsa_float_denorm_mode_32 3
		.amdhsa_float_denorm_mode_16_64 3
		.amdhsa_dx10_clamp 1
		.amdhsa_ieee_mode 1
		.amdhsa_fp16_overflow 0
		.amdhsa_workgroup_processor_mode 1
		.amdhsa_memory_ordered 1
		.amdhsa_forward_progress 1
		.amdhsa_shared_vgpr_count 0
		.amdhsa_exception_fp_ieee_invalid_op 0
		.amdhsa_exception_fp_denorm_src 0
		.amdhsa_exception_fp_ieee_div_zero 0
		.amdhsa_exception_fp_ieee_overflow 0
		.amdhsa_exception_fp_ieee_underflow 0
		.amdhsa_exception_fp_ieee_inexact 0
		.amdhsa_exception_int_div_zero 0
	.end_amdhsa_kernel
	.section	.text._ZN2at6native27unrolled_elementwise_kernelIZZZNS0_21polygamma_kernel_cudaERNS_18TensorIteratorBaseElENKUlvE_clEvENKUlvE0_clEvEUlfE_St5arrayIPcLm2EELi4E23TrivialOffsetCalculatorILi1EjESB_NS0_6memory15LoadWithoutCastENSC_16StoreWithoutCastEEEviT_T0_T2_T3_T4_T5_,"axG",@progbits,_ZN2at6native27unrolled_elementwise_kernelIZZZNS0_21polygamma_kernel_cudaERNS_18TensorIteratorBaseElENKUlvE_clEvENKUlvE0_clEvEUlfE_St5arrayIPcLm2EELi4E23TrivialOffsetCalculatorILi1EjESB_NS0_6memory15LoadWithoutCastENSC_16StoreWithoutCastEEEviT_T0_T2_T3_T4_T5_,comdat
.Lfunc_end92:
	.size	_ZN2at6native27unrolled_elementwise_kernelIZZZNS0_21polygamma_kernel_cudaERNS_18TensorIteratorBaseElENKUlvE_clEvENKUlvE0_clEvEUlfE_St5arrayIPcLm2EELi4E23TrivialOffsetCalculatorILi1EjESB_NS0_6memory15LoadWithoutCastENSC_16StoreWithoutCastEEEviT_T0_T2_T3_T4_T5_, .Lfunc_end92-_ZN2at6native27unrolled_elementwise_kernelIZZZNS0_21polygamma_kernel_cudaERNS_18TensorIteratorBaseElENKUlvE_clEvENKUlvE0_clEvEUlfE_St5arrayIPcLm2EELi4E23TrivialOffsetCalculatorILi1EjESB_NS0_6memory15LoadWithoutCastENSC_16StoreWithoutCastEEEviT_T0_T2_T3_T4_T5_
                                        ; -- End function
	.set _ZN2at6native27unrolled_elementwise_kernelIZZZNS0_21polygamma_kernel_cudaERNS_18TensorIteratorBaseElENKUlvE_clEvENKUlvE0_clEvEUlfE_St5arrayIPcLm2EELi4E23TrivialOffsetCalculatorILi1EjESB_NS0_6memory15LoadWithoutCastENSC_16StoreWithoutCastEEEviT_T0_T2_T3_T4_T5_.num_vgpr, max(29, .L_ZN3c104guts5applyIRZZZN2at6native21polygamma_kernel_cudaERNS2_18TensorIteratorBaseElENKUlvE_clEvENKUlvE0_clEvEUlfE_RSt5tupleIJfEEEEDaOT_OT0_.num_vgpr)
	.set _ZN2at6native27unrolled_elementwise_kernelIZZZNS0_21polygamma_kernel_cudaERNS_18TensorIteratorBaseElENKUlvE_clEvENKUlvE0_clEvEUlfE_St5arrayIPcLm2EELi4E23TrivialOffsetCalculatorILi1EjESB_NS0_6memory15LoadWithoutCastENSC_16StoreWithoutCastEEEviT_T0_T2_T3_T4_T5_.num_agpr, max(0, .L_ZN3c104guts5applyIRZZZN2at6native21polygamma_kernel_cudaERNS2_18TensorIteratorBaseElENKUlvE_clEvENKUlvE0_clEvEUlfE_RSt5tupleIJfEEEEDaOT_OT0_.num_agpr)
	.set _ZN2at6native27unrolled_elementwise_kernelIZZZNS0_21polygamma_kernel_cudaERNS_18TensorIteratorBaseElENKUlvE_clEvENKUlvE0_clEvEUlfE_St5arrayIPcLm2EELi4E23TrivialOffsetCalculatorILi1EjESB_NS0_6memory15LoadWithoutCastENSC_16StoreWithoutCastEEEviT_T0_T2_T3_T4_T5_.numbered_sgpr, max(33, .L_ZN3c104guts5applyIRZZZN2at6native21polygamma_kernel_cudaERNS2_18TensorIteratorBaseElENKUlvE_clEvENKUlvE0_clEvEUlfE_RSt5tupleIJfEEEEDaOT_OT0_.numbered_sgpr)
	.set _ZN2at6native27unrolled_elementwise_kernelIZZZNS0_21polygamma_kernel_cudaERNS_18TensorIteratorBaseElENKUlvE_clEvENKUlvE0_clEvEUlfE_St5arrayIPcLm2EELi4E23TrivialOffsetCalculatorILi1EjESB_NS0_6memory15LoadWithoutCastENSC_16StoreWithoutCastEEEviT_T0_T2_T3_T4_T5_.num_named_barrier, max(0, .L_ZN3c104guts5applyIRZZZN2at6native21polygamma_kernel_cudaERNS2_18TensorIteratorBaseElENKUlvE_clEvENKUlvE0_clEvEUlfE_RSt5tupleIJfEEEEDaOT_OT0_.num_named_barrier)
	.set _ZN2at6native27unrolled_elementwise_kernelIZZZNS0_21polygamma_kernel_cudaERNS_18TensorIteratorBaseElENKUlvE_clEvENKUlvE0_clEvEUlfE_St5arrayIPcLm2EELi4E23TrivialOffsetCalculatorILi1EjESB_NS0_6memory15LoadWithoutCastENSC_16StoreWithoutCastEEEviT_T0_T2_T3_T4_T5_.private_seg_size, 0+max(.L_ZN3c104guts5applyIRZZZN2at6native21polygamma_kernel_cudaERNS2_18TensorIteratorBaseElENKUlvE_clEvENKUlvE0_clEvEUlfE_RSt5tupleIJfEEEEDaOT_OT0_.private_seg_size)
	.set _ZN2at6native27unrolled_elementwise_kernelIZZZNS0_21polygamma_kernel_cudaERNS_18TensorIteratorBaseElENKUlvE_clEvENKUlvE0_clEvEUlfE_St5arrayIPcLm2EELi4E23TrivialOffsetCalculatorILi1EjESB_NS0_6memory15LoadWithoutCastENSC_16StoreWithoutCastEEEviT_T0_T2_T3_T4_T5_.uses_vcc, or(1, .L_ZN3c104guts5applyIRZZZN2at6native21polygamma_kernel_cudaERNS2_18TensorIteratorBaseElENKUlvE_clEvENKUlvE0_clEvEUlfE_RSt5tupleIJfEEEEDaOT_OT0_.uses_vcc)
	.set _ZN2at6native27unrolled_elementwise_kernelIZZZNS0_21polygamma_kernel_cudaERNS_18TensorIteratorBaseElENKUlvE_clEvENKUlvE0_clEvEUlfE_St5arrayIPcLm2EELi4E23TrivialOffsetCalculatorILi1EjESB_NS0_6memory15LoadWithoutCastENSC_16StoreWithoutCastEEEviT_T0_T2_T3_T4_T5_.uses_flat_scratch, or(0, .L_ZN3c104guts5applyIRZZZN2at6native21polygamma_kernel_cudaERNS2_18TensorIteratorBaseElENKUlvE_clEvENKUlvE0_clEvEUlfE_RSt5tupleIJfEEEEDaOT_OT0_.uses_flat_scratch)
	.set _ZN2at6native27unrolled_elementwise_kernelIZZZNS0_21polygamma_kernel_cudaERNS_18TensorIteratorBaseElENKUlvE_clEvENKUlvE0_clEvEUlfE_St5arrayIPcLm2EELi4E23TrivialOffsetCalculatorILi1EjESB_NS0_6memory15LoadWithoutCastENSC_16StoreWithoutCastEEEviT_T0_T2_T3_T4_T5_.has_dyn_sized_stack, or(0, .L_ZN3c104guts5applyIRZZZN2at6native21polygamma_kernel_cudaERNS2_18TensorIteratorBaseElENKUlvE_clEvENKUlvE0_clEvEUlfE_RSt5tupleIJfEEEEDaOT_OT0_.has_dyn_sized_stack)
	.set _ZN2at6native27unrolled_elementwise_kernelIZZZNS0_21polygamma_kernel_cudaERNS_18TensorIteratorBaseElENKUlvE_clEvENKUlvE0_clEvEUlfE_St5arrayIPcLm2EELi4E23TrivialOffsetCalculatorILi1EjESB_NS0_6memory15LoadWithoutCastENSC_16StoreWithoutCastEEEviT_T0_T2_T3_T4_T5_.has_recursion, or(0, .L_ZN3c104guts5applyIRZZZN2at6native21polygamma_kernel_cudaERNS2_18TensorIteratorBaseElENKUlvE_clEvENKUlvE0_clEvEUlfE_RSt5tupleIJfEEEEDaOT_OT0_.has_recursion)
	.set _ZN2at6native27unrolled_elementwise_kernelIZZZNS0_21polygamma_kernel_cudaERNS_18TensorIteratorBaseElENKUlvE_clEvENKUlvE0_clEvEUlfE_St5arrayIPcLm2EELi4E23TrivialOffsetCalculatorILi1EjESB_NS0_6memory15LoadWithoutCastENSC_16StoreWithoutCastEEEviT_T0_T2_T3_T4_T5_.has_indirect_call, or(0, .L_ZN3c104guts5applyIRZZZN2at6native21polygamma_kernel_cudaERNS2_18TensorIteratorBaseElENKUlvE_clEvENKUlvE0_clEvEUlfE_RSt5tupleIJfEEEEDaOT_OT0_.has_indirect_call)
	.section	.AMDGPU.csdata,"",@progbits
; Kernel info:
; codeLenInByte = 1004
; TotalNumSgprs: 35
; NumVgprs: 29
; ScratchSize: 0
; MemoryBound: 0
; FloatMode: 240
; IeeeMode: 1
; LDSByteSize: 0 bytes/workgroup (compile time only)
; SGPRBlocks: 0
; VGPRBlocks: 3
; NumSGPRsForWavesPerEU: 35
; NumVGPRsForWavesPerEU: 29
; Occupancy: 16
; WaveLimiterHint : 0
; COMPUTE_PGM_RSRC2:SCRATCH_EN: 0
; COMPUTE_PGM_RSRC2:USER_SGPR: 6
; COMPUTE_PGM_RSRC2:TRAP_HANDLER: 0
; COMPUTE_PGM_RSRC2:TGID_X_EN: 1
; COMPUTE_PGM_RSRC2:TGID_Y_EN: 0
; COMPUTE_PGM_RSRC2:TGID_Z_EN: 0
; COMPUTE_PGM_RSRC2:TIDIG_COMP_CNT: 0
	.text
	.p2align	2                               ; -- Begin function _ZN2at6native6invokeIZZZNS0_21polygamma_kernel_cudaERNS_18TensorIteratorBaseElENKUlvE_clEvENKUlvE0_clEvEUlfE_j15function_traitsIS6_EEENT1_11result_typeERKT_PrKPcPKT0_i
	.type	_ZN2at6native6invokeIZZZNS0_21polygamma_kernel_cudaERNS_18TensorIteratorBaseElENKUlvE_clEvENKUlvE0_clEvEUlfE_j15function_traitsIS6_EEENT1_11result_typeERKT_PrKPcPKT0_i,@function
_ZN2at6native6invokeIZZZNS0_21polygamma_kernel_cudaERNS_18TensorIteratorBaseElENKUlvE_clEvENKUlvE0_clEvEUlfE_j15function_traitsIS6_EEENT1_11result_typeERKT_PrKPcPKT0_i: ; @_ZN2at6native6invokeIZZZNS0_21polygamma_kernel_cudaERNS_18TensorIteratorBaseElENKUlvE_clEvENKUlvE0_clEvEUlfE_j15function_traitsIS6_EEENT1_11result_typeERKT_PrKPcPKT0_i
; %bb.0:
	s_waitcnt vmcnt(0) expcnt(0) lgkmcnt(0)
	v_add_co_u32 v1, vcc_lo, v2, v4
	v_add_co_ci_u32_e64 v2, null, 0, v3, vcc_lo
	s_mov_b32 s5, exec_lo
                                        ; implicit-def: $vgpr3
	flat_load_dword v2, v[1:2]
	v_cvt_f32_i32_e32 v1, v0
	v_add_f32_e32 v1, 1.0, v1
	v_and_b32_e32 v4, 0x7fffffff, v1
	v_cmpx_ngt_f32_e64 0x3c800000, |v1|
	s_xor_b32 s5, exec_lo, s5
	s_cbranch_execz .LBB93_30
; %bb.1:
	s_mov_b32 s6, exec_lo
                                        ; implicit-def: $vgpr3
	v_cmpx_nlt_f32_e64 |v1|, 2.0
	s_xor_b32 s6, exec_lo, s6
	s_cbranch_execz .LBB93_11
; %bb.2:
	v_cmp_ngt_f32_e64 s4, 0x41000000, |v1|
                                        ; implicit-def: $vgpr3
	s_and_saveexec_b32 s7, s4
	s_xor_b32 s4, exec_lo, s7
	s_cbranch_execz .LBB93_8
; %bb.3:
	v_cmp_ngt_f32_e64 s7, 0x5c800000, |v1|
                                        ; implicit-def: $vgpr3
	s_and_saveexec_b32 s8, s7
	s_xor_b32 s7, exec_lo, s8
	s_cbranch_execz .LBB93_5
; %bb.4:
	v_cmp_gt_f32_e64 s8, 0x800000, |v1|
	v_cndmask_b32_e64 v3, 0, 32, s8
	v_ldexp_f32 v3, |v1|, v3
	v_log_f32_e32 v3, v3
	v_mul_f32_e32 v5, 0x3f317217, v3
	v_cmp_gt_f32_e64 vcc_lo, 0x7f800000, |v3|
	v_fma_f32 v6, 0x3f317217, v3, -v5
	v_fmamk_f32 v6, v3, 0x3377d1cf, v6
	v_add_f32_e32 v5, v5, v6
	v_cndmask_b32_e32 v3, v3, v5, vcc_lo
	v_cndmask_b32_e64 v5, 0, 0x41b17218, s8
	v_sub_f32_e32 v3, v3, v5
	v_fma_f32 v3, |v1|, v3, -|v1|
.LBB93_5:
	s_andn2_saveexec_b32 s7, s7
	s_cbranch_execz .LBB93_7
; %bb.6:
	v_cmp_gt_f32_e64 s8, 0x800000, |v1|
	v_rcp_f32_e64 v5, |v1|
	s_mov_b32 s9, 0xbad5c4e8
	v_cndmask_b32_e64 v3, 0, 32, s8
	v_ldexp_f32 v3, |v1|, v3
	v_mul_f32_e32 v6, v5, v5
	v_log_f32_e32 v3, v3
	v_fmaak_f32 v8, s9, v6, 0x3a5b3dd2
	v_fmaak_f32 v8, v6, v8, 0xba1c065c
	v_mul_f32_e32 v7, 0x3f317217, v3
	v_fmaak_f32 v8, v6, v8, 0x3a500cfd
	v_cmp_gt_f32_e64 vcc_lo, 0x7f800000, |v3|
	v_fma_f32 v9, 0x3f317217, v3, -v7
	v_fmaak_f32 v8, v6, v8, 0xbb360b61
	v_fmamk_f32 v9, v3, 0x3377d1cf, v9
	v_fmaak_f32 v6, v6, v8, 0x3daaaaab
	v_add_f32_e32 v7, v7, v9
	v_cndmask_b32_e32 v3, v3, v7, vcc_lo
	v_cndmask_b32_e64 v7, 0, 0x41b17218, s8
	v_sub_f32_e32 v7, v3, v7
	v_fmaak_f32 v3, v5, v6, 0x3ed67f1d
	v_add_f32_e64 v5, |v1|, -0.5
	v_add_f32_e32 v6, -1.0, v7
	v_fmac_f32_e32 v3, v5, v6
.LBB93_7:
	s_or_b32 exec_lo, exec_lo, s7
.LBB93_8:
	s_andn2_saveexec_b32 s7, s4
	s_cbranch_execz .LBB93_10
; %bb.9:
	v_cvt_i32_f32_e32 v3, v4
	s_mov_b32 s4, 0x36f5d7bd
	s_mov_b32 s8, 0x3805ff67
	v_cvt_f32_i32_e32 v5, v3
	v_cmp_lt_i32_e32 vcc_lo, 2, v3
	v_sub_f32_e64 v5, |v1|, v5
	v_add_f32_e32 v6, 2.0, v5
	v_add_f32_e32 v7, 0x40400000, v5
	v_add_f32_e32 v8, 4.0, v5
	v_add_f32_e32 v9, 0x40a00000, v5
	v_cndmask_b32_e32 v6, 1.0, v6, vcc_lo
	v_cmp_lt_i32_e32 vcc_lo, 3, v3
	v_cndmask_b32_e32 v7, 1.0, v7, vcc_lo
	v_cmp_lt_i32_e32 vcc_lo, 4, v3
	v_mul_f32_e32 v6, v6, v7
	v_cndmask_b32_e32 v8, 1.0, v8, vcc_lo
	v_cmp_lt_i32_e32 vcc_lo, 5, v3
	v_add_f32_e32 v7, 0x40c00000, v5
	v_mul_f32_e32 v6, v8, v6
	v_cndmask_b32_e32 v9, 1.0, v9, vcc_lo
	v_cmp_lt_i32_e32 vcc_lo, 6, v3
	v_fmaak_f32 v8, s8, v5, 0x3af135b4
	v_mul_f32_e32 v6, v9, v6
	v_cndmask_b32_e32 v3, 1.0, v7, vcc_lo
	v_mul_f32_e32 v3, v3, v6
	v_fmaak_f32 v6, s4, v5, 0x3a4beed6
	v_cmp_gt_f32_e32 vcc_lo, 0x800000, v3
	v_fmaak_f32 v6, v5, v6, 0x3c98bf54
	v_cndmask_b32_e64 v7, 0, 32, vcc_lo
	v_fmaak_f32 v6, v5, v6, 0x3e300f6e
	v_ldexp_f32 v3, v3, v7
	v_fmaak_f32 v7, v5, v8, 0x3cda40e4
	v_fmaak_f32 v6, v5, v6, 0x3f38d0c5
	v_log_f32_e32 v3, v3
	v_fmaak_f32 v7, v5, v7, 0x3e15dce6
	v_fmaak_f32 v6, v5, v6, 0x3fb22d3b
	;; [unrolled: 1-line block ×3, first 2 shown]
	v_fma_f32 v6, v5, v6, 1.0
	v_mul_f32_e32 v8, 0x3f317217, v3
	v_fmaak_f32 v7, v5, v7, 0x3e5c245a
	v_rcp_f32_e32 v6, v6
	v_cmp_gt_f32_e64 s4, 0x7f800000, |v3|
	v_fma_f32 v9, 0x3f317217, v3, -v8
	v_fmaak_f32 v7, v5, v7, 0xbd9e233f
	v_fmamk_f32 v9, v3, 0x3377d1cf, v9
	v_mul_f32_e32 v7, v5, v7
	v_add_f32_e32 v8, v8, v9
	v_mul_f32_e32 v6, v7, v6
	v_cndmask_b32_e64 v7, 0, 0x41b17218, vcc_lo
	v_cndmask_b32_e64 v3, v3, v8, s4
	v_fmac_f32_e32 v6, 0.5, v5
	v_sub_f32_e32 v3, v3, v7
	v_add_f32_e32 v3, v3, v6
.LBB93_10:
	s_or_b32 exec_lo, exec_lo, s7
.LBB93_11:
	s_andn2_saveexec_b32 s6, s6
	s_cbranch_execz .LBB93_29
; %bb.12:
	s_mov_b32 s7, exec_lo
                                        ; implicit-def: $vgpr3
                                        ; implicit-def: $vgpr6
                                        ; implicit-def: $vgpr5
	v_cmpx_ge_f32_e64 0x3f666666, |v1|
	s_xor_b32 s7, exec_lo, s7
	s_cbranch_execz .LBB93_14
; %bb.13:
	v_cmp_gt_f32_e64 s4, 0x800000, |v1|
	v_sub_f32_e64 v7, 1.0, |v1|
	v_cmp_gt_f32_e64 vcc_lo, 0x3f3b4a23, |v1|
	v_cndmask_b32_e64 v3, 0, 32, s4
	v_cndmask_b32_e64 v8, 0, 0x41b17218, s4
	v_ldexp_f32 v3, |v1|, v3
	v_log_f32_e32 v3, v3
	v_mul_f32_e32 v5, 0x3f317217, v3
	v_cmp_gt_f32_e64 s4, 0x7f800000, |v3|
	v_fma_f32 v6, 0x3f317217, v3, -v5
	v_fmamk_f32 v6, v3, 0x3377d1cf, v6
	v_add_f32_e32 v5, v5, v6
	v_add_f32_e64 v6, 0xbeec5b0c, |v1|
	v_cndmask_b32_e64 v3, v3, v5, s4
	v_cndmask_b32_e32 v5, v7, v6, vcc_lo
	v_cndmask_b32_e64 v6, 0, 1, vcc_lo
	v_cmp_gt_f32_e64 s4, 0x3e6d3309, |v1|
	v_sub_f32_e32 v3, v3, v8
	v_cndmask_b32_e64 v5, v5, |v1|, s4
	v_cndmask_b32_e64 v6, v6, 2, s4
	v_xor_b32_e32 v3, 0x80000000, v3
.LBB93_14:
	s_andn2_saveexec_b32 s4, s7
	s_cbranch_execz .LBB93_16
; %bb.15:
	v_sub_f32_e64 v3, 2.0, |v1|
	v_add_f32_e64 v5, 0xbfbb16c3, |v1|
	v_cmp_gt_f32_e64 vcc_lo, 0x3fdda512, |v1|
	v_add_f32_e64 v6, |v1|, -1.0
	v_cndmask_b32_e32 v5, v3, v5, vcc_lo
	v_cndmask_b32_e64 v3, v3, 1.0, vcc_lo
	v_cmp_gt_f32_e64 vcc_lo, 0x3f9d70a4, |v1|
	v_cvt_i32_f32_e32 v3, v3
	v_cndmask_b32_e32 v5, v5, v6, vcc_lo
	v_cndmask_b32_e64 v6, v3, 2, vcc_lo
	v_mov_b32_e32 v3, 0
.LBB93_16:
	s_or_b32 exec_lo, exec_lo, s4
	s_mov_b32 s4, exec_lo
	v_cmpx_lt_i32_e32 0, v6
	s_xor_b32 s4, exec_lo, s4
	s_cbranch_execz .LBB93_24
; %bb.17:
	s_mov_b32 s7, exec_lo
	v_cmpx_lt_i32_e32 1, v6
	s_xor_b32 s7, exec_lo, s7
	s_cbranch_execz .LBB93_21
; %bb.18:
	s_mov_b32 s8, exec_lo
	v_cmpx_eq_u32_e32 2, v6
	s_cbranch_execz .LBB93_20
; %bb.19:
	s_mov_b32 s9, 0x3b52d5db
	v_fmaak_f32 v6, s9, v5, 0x3dd572af
	s_mov_b32 s9, 0x3c5b3c5e
	v_fmaak_f32 v7, s9, v5, 0x3e6a7578
	v_fmaak_f32 v6, v5, v6, 0x3f44efdf
	;; [unrolled: 1-line block ×7, first 2 shown]
	v_fma_f32 v6, v5, v6, 1.0
	v_fmaak_f32 v7, v5, v7, 0xbd9e233f
	v_rcp_f32_e32 v6, v6
	v_mul_f32_e32 v7, v5, v7
	v_mul_f32_e32 v6, v7, v6
	v_fmac_f32_e32 v6, -0.5, v5
	v_add_f32_e32 v3, v3, v6
.LBB93_20:
	s_or_b32 exec_lo, exec_lo, s8
                                        ; implicit-def: $vgpr5
.LBB93_21:
	s_andn2_saveexec_b32 s7, s7
	s_cbranch_execz .LBB93_23
; %bb.22:
	v_mul_f32_e32 v6, v5, v5
	s_mov_b32 s8, 0xb9a3f927
	s_mov_b32 s9, 0x39afe9f7
	v_mul_f32_e32 v7, v5, v6
	v_fmaak_f32 v8, s8, v7, 0x3a66f867
	v_fmaak_f32 v9, s9, v7, 0xba0d3085
	s_mov_b32 s8, 0x39a57b6b
	v_fmaak_f32 v10, s8, v7, 0xbab7f476
	v_fmaak_f32 v8, v7, v8, 0xbb7177fe
	;; [unrolled: 1-line block ×9, first 2 shown]
	v_fmac_f32_e32 v8, v5, v9
	v_fmaak_f32 v5, v7, v10, 0x3ef7b95e
	v_fma_f32 v7, v7, -v8, 0xa2863e55
	v_fma_f32 v5, v6, v5, -v7
	v_add_f32_e32 v5, 0xbdf8cdce, v5
	v_add_f32_e32 v3, v3, v5
.LBB93_23:
	s_or_b32 exec_lo, exec_lo, s7
                                        ; implicit-def: $vgpr6
                                        ; implicit-def: $vgpr5
.LBB93_24:
	s_andn2_saveexec_b32 s4, s4
	s_cbranch_execz .LBB93_28
; %bb.25:
	s_mov_b32 s7, exec_lo
	v_cmpx_eq_u32_e32 0, v6
	s_cbranch_execz .LBB93_27
; %bb.26:
	v_mul_f32_e32 v6, v5, v5
	s_mov_b32 s8, 0x383c2c75
	v_fmaak_f32 v7, s8, v6, 0x38e28445
	s_mov_b32 s8, 0x37d383a2
	v_fmaak_f32 v8, s8, v6, 0x39679767
	v_fmaak_f32 v7, v6, v7, 0x3a05b634
	;; [unrolled: 1-line block ×9, first 2 shown]
	v_mul_f32_e32 v6, v6, v7
	v_fmac_f32_e32 v6, v5, v8
	v_fmac_f32_e32 v6, -0.5, v5
	v_add_f32_e32 v3, v3, v6
.LBB93_27:
	s_or_b32 exec_lo, exec_lo, s7
.LBB93_28:
	s_or_b32 exec_lo, exec_lo, s4
.LBB93_29:
	s_or_b32 exec_lo, exec_lo, s6
.LBB93_30:
	s_andn2_saveexec_b32 s4, s5
	s_cbranch_execz .LBB93_32
; %bb.31:
	v_cmp_gt_f32_e64 s5, 0x800000, |v1|
	s_mov_b32 s6, 0x3e8a8991
	v_fma_f32 v7, |v1|, s6, 0xbecd26ab
	v_cndmask_b32_e64 v3, 0, 32, s5
	v_ldexp_f32 v3, |v1|, v3
	v_log_f32_e32 v3, v3
	v_mul_f32_e32 v5, 0x3f317217, v3
	v_cmp_gt_f32_e64 vcc_lo, 0x7f800000, |v3|
	v_fma_f32 v6, 0x3f317217, v3, -v5
	v_fmamk_f32 v6, v3, 0x3377d1cf, v6
	v_add_f32_e32 v5, v5, v6
	v_fma_f32 v6, |v1|, v7, 0x3f528d33
	v_cndmask_b32_e32 v3, v3, v5, vcc_lo
	v_cndmask_b32_e64 v5, 0, 0x41b17218, s5
	v_fma_f32 v6, |v1|, v6, 0xbf13c468
	v_sub_f32_e32 v3, v3, v5
	v_fma_f32 v3, |v1|, v6, -v3
.LBB93_32:
	s_or_b32 exec_lo, exec_lo, s4
	v_cmp_le_f32_e64 s4, 0, v1
	s_mov_b32 s5, exec_lo
	v_cmpx_nle_f32_e32 0, v1
	s_xor_b32 s6, exec_lo, s5
	s_cbranch_execz .LBB93_36
; %bb.33:
	v_cmp_gt_f32_e64 s5, 0x4b000000, |v1|
	v_cmp_lt_f32_e64 s7, 0x35000000, |v1|
	s_and_b32 s5, s5, s7
	s_and_saveexec_b32 s7, s5
	s_cbranch_execz .LBB93_35
; %bb.34:
	v_mul_f32_e64 v5, |v1|, 0.5
	v_cmp_gt_f32_e64 s5, |v1|, 1.0
	s_mov_b32 s8, 0x3d4be544
	v_xor_b32_e32 v4, v4, v1
	v_fract_f32_e32 v6, v5
	v_cmp_neq_f32_e32 vcc_lo, 0x7f800000, v5
	v_add_f32_e32 v6, v6, v6
	v_cndmask_b32_e32 v5, 0, v6, vcc_lo
	v_cndmask_b32_e64 v5, |v1|, v5, s5
	s_mov_b32 s5, 0x3e75aa41
	v_add_f32_e32 v6, v5, v5
	v_rndne_f32_e32 v6, v6
	v_fmac_f32_e32 v5, -0.5, v6
	v_cvt_i32_f32_e32 v6, v6
	v_mul_f32_e32 v7, v5, v5
	v_fmaak_f32 v8, s5, v7, 0xbf1f24be
	v_fmaak_f32 v9, s8, v7, 0x3e642e9d
	v_mul_f32_e32 v10, v5, v7
	v_fmaak_f32 v8, v7, v8, 0x40234736
	v_fmaak_f32 v9, v7, v9, 0xbfaad1da
	v_fmaak_f32 v8, v7, v8, 0xc0a55e0e
	v_fmaak_f32 v9, v7, v9, 0x4081e0d3
	v_mul_f32_e32 v8, v10, v8
	v_fmaak_f32 v9, v7, v9, 0xc09de9e6
	v_and_b32_e32 v10, 1, v6
	v_lshlrev_b32_e32 v6, 30, v6
	v_fmamk_f32 v5, v5, 0x40490fdb, v8
	v_fma_f32 v7, v7, v9, 1.0
	v_cmp_eq_u32_e32 vcc_lo, 0, v10
	v_and_b32_e32 v6, 0x80000000, v6
	v_cndmask_b32_e32 v5, v7, v5, vcc_lo
	v_xor3_b32 v4, v4, v6, v5
	v_mul_f32_e32 v4, v1, v4
	v_frexp_mant_f32_e64 v5, |v4|
	v_frexp_exp_i32_f32_e32 v4, v4
	v_rcp_f32_e32 v5, v5
	v_sub_nc_u32_e32 v4, 2, v4
	v_mul_f32_e32 v5, 0x3f490fdb, v5
	v_ldexp_f32 v4, v5, v4
	v_cmp_gt_f32_e32 vcc_lo, 0x800000, v4
	v_cndmask_b32_e64 v5, 0, 32, vcc_lo
	v_ldexp_f32 v4, v4, v5
	v_log_f32_e32 v4, v4
	v_mul_f32_e32 v5, 0x3f317217, v4
	v_cmp_gt_f32_e64 s5, 0x7f800000, |v4|
	v_fma_f32 v6, 0x3f317217, v4, -v5
	v_fmamk_f32 v6, v4, 0x3377d1cf, v6
	v_add_f32_e32 v5, v5, v6
	v_cndmask_b32_e64 v4, v4, v5, s5
	v_cndmask_b32_e64 v5, 0, 0x41b17218, vcc_lo
	v_sub_f32_e32 v4, v4, v5
	v_fract_f32_e32 v5, v1
	v_sub_f32_e32 v3, v4, v3
	v_cmp_neq_f32_e32 vcc_lo, 0, v5
	v_cndmask_b32_e32 v3, 0x7f800000, v3, vcc_lo
.LBB93_35:
	s_or_b32 exec_lo, exec_lo, s7
.LBB93_36:
	s_andn2_saveexec_b32 s6, s6
; %bb.37:
	v_cmp_eq_f32_e32 vcc_lo, 1.0, v1
	v_cmp_eq_f32_e64 s5, 2.0, v1
	s_or_b32 s5, vcc_lo, s5
	v_cndmask_b32_e64 v3, v3, 0, s5
; %bb.38:
	s_or_b32 exec_lo, exec_lo, s6
	v_mov_b32_e32 v5, 0x7f800000
	s_mov_b32 s8, exec_lo
	v_cmpx_ne_u32_e32 0, v0
	s_cbranch_execz .LBB93_56
; %bb.39:
	v_mov_b32_e32 v5, 0x7fc00000
	s_mov_b32 s9, exec_lo
	v_cmpx_lt_i32_e32 -1, v0
	s_cbranch_execz .LBB93_55
; %bb.40:
	s_waitcnt vmcnt(0) lgkmcnt(0)
	v_floor_f32_e32 v4, v2
	v_cmp_nge_f32_e32 vcc_lo, 0, v2
	v_mov_b32_e32 v5, 0x7f800000
	s_mov_b32 s11, 0
	v_cmp_neq_f32_e64 s5, v2, v4
	s_or_b32 s5, vcc_lo, s5
	s_and_saveexec_b32 s10, s5
	s_cbranch_execz .LBB93_54
; %bb.41:
	v_frexp_mant_f32_e64 v4, |v2|
	s_mov_b32 s12, 0x3e76c4e1
	s_mov_b32 s16, 0
                                        ; implicit-def: $sgpr13
                                        ; implicit-def: $sgpr15
                                        ; implicit-def: $sgpr14
	v_cmp_gt_f32_e32 vcc_lo, 0x3f2aaaab, v4
	v_cndmask_b32_e64 v5, 1.0, 2.0, vcc_lo
	v_mul_f32_e32 v4, v4, v5
	v_add_f32_e32 v5, 1.0, v4
	v_add_f32_e32 v7, -1.0, v4
	v_rcp_f32_e32 v6, v5
	v_add_f32_e32 v9, -1.0, v5
	v_sub_f32_e32 v4, v4, v9
	v_mul_f32_e32 v8, v7, v6
	v_mul_f32_e32 v10, v5, v8
	v_fma_f32 v5, v8, v5, -v10
	v_fmac_f32_e32 v5, v8, v4
	v_add_f32_e32 v4, v10, v5
	v_sub_f32_e32 v9, v7, v4
	v_sub_f32_e32 v10, v4, v10
	;; [unrolled: 1-line block ×5, first 2 shown]
	v_add_f32_e32 v4, v5, v4
	v_add_f32_e32 v4, v9, v4
	v_mul_f32_e32 v4, v6, v4
	v_add_f32_e32 v6, v8, v4
	v_sub_f32_e32 v5, v6, v8
	v_mul_f32_e32 v7, v6, v6
	v_sub_f32_e32 v8, v4, v5
	v_fma_f32 v4, v6, v6, -v7
	v_add_f32_e32 v5, v8, v8
	v_fmac_f32_e32 v4, v6, v5
	v_add_f32_e32 v9, v7, v4
	v_fmaak_f32 v5, s12, v9, 0x3e91f4c4
	v_sub_f32_e32 v7, v9, v7
	v_mul_f32_e32 v14, v6, v9
	v_fmaak_f32 v5, v9, v5, 0x3ecccdef
	v_sub_f32_e32 v7, v4, v7
	v_fma_f32 v15, v9, v6, -v14
	v_mul_f32_e32 v10, v9, v5
	v_fmac_f32_e32 v15, v9, v8
	v_ldexp_f32 v8, v8, 1
	v_fma_f32 v11, v9, v5, -v10
	v_fmac_f32_e32 v15, v7, v6
	v_fmac_f32_e32 v11, v7, v5
	v_cvt_f64_f32_e64 v[4:5], |v2|
	v_add_f32_e32 v12, v10, v11
	v_sub_f32_e32 v10, v12, v10
	v_add_f32_e32 v13, 0x3f2aaaaa, v12
	v_sub_f32_e32 v10, v11, v10
	v_add_f32_e32 v11, 0xbf2aaaaa, v13
	v_add_f32_e32 v10, 0x31739010, v10
	v_sub_f32_e32 v11, v12, v11
	v_frexp_exp_i32_f64_e32 v4, v[4:5]
	v_add_f32_e32 v9, v10, v11
	v_add_f32_e32 v10, v14, v15
	;; [unrolled: 1-line block ×3, first 2 shown]
	v_sub_f32_e32 v12, v10, v14
	v_sub_f32_e32 v5, v13, v7
	v_mul_f32_e32 v11, v10, v7
	v_sub_f32_e32 v12, v15, v12
	v_add_f32_e32 v5, v9, v5
	v_fma_f32 v9, v10, v7, -v11
	v_subrev_co_ci_u32_e64 v4, null, 0, v4, vcc_lo
	v_fmac_f32_e32 v9, v10, v5
	v_ldexp_f32 v5, v6, 1
	v_cmp_neq_f32_e32 vcc_lo, 1.0, v2
	v_cvt_f32_i32_e32 v4, v4
	v_fmac_f32_e32 v9, v12, v7
	v_add_f32_e32 v6, v11, v9
	v_add_f32_e32 v7, v5, v6
	v_sub_f32_e32 v10, v6, v11
	v_mul_f32_e32 v11, 0x3f317218, v4
	v_sub_f32_e32 v5, v7, v5
	v_sub_f32_e32 v9, v9, v10
	v_fma_f32 v10, 0x3f317218, v4, -v11
	v_sub_f32_e32 v5, v6, v5
	v_add_f32_e32 v6, v8, v9
	v_fmac_f32_e32 v10, 0xb102e308, v4
	v_add_f32_e32 v4, v6, v5
	v_add_f32_e32 v5, v11, v10
	;; [unrolled: 1-line block ×3, first 2 shown]
	v_sub_f32_e32 v11, v5, v11
	v_add_f32_e32 v8, v5, v6
	v_sub_f32_e32 v7, v6, v7
	v_sub_f32_e32 v10, v10, v11
	;; [unrolled: 1-line block ×6, first 2 shown]
	v_add_f32_e32 v7, v10, v4
	v_sub_f32_e32 v5, v5, v12
	v_add_f32_e32 v5, v6, v5
	v_sub_f32_e32 v6, v7, v10
	;; [unrolled: 2-line block ×3, first 2 shown]
	v_sub_f32_e32 v4, v4, v6
	v_add_f32_e32 v9, v8, v5
	v_sub_f32_e32 v6, v10, v7
	v_sub_f32_e32 v7, v9, v8
	v_add_f32_e32 v4, v4, v6
	v_add_nc_u32_e32 v6, 1, v0
	v_sub_f32_e32 v5, v5, v7
	v_add_f32_e32 v5, v4, v5
	v_cvt_f32_i32_e32 v4, v6
	v_add_f32_e32 v6, v9, v5
	v_cndmask_b32_e64 v7, 1.0, -v4, vcc_lo
	v_sub_f32_e32 v8, v6, v9
	v_mul_f32_e32 v9, v7, v6
	v_cmp_gt_f32_e64 s7, 0, v7
	v_sub_f32_e32 v5, v5, v8
	v_fma_f32 v6, v7, v6, -v9
	v_cmp_class_f32_e64 vcc_lo, v9, 0x204
	v_fmac_f32_e32 v6, v7, v5
	v_add_f32_e32 v5, v9, v6
	v_cndmask_b32_e32 v8, v5, v9, vcc_lo
	v_sub_f32_e32 v5, v5, v9
	v_cmp_eq_f32_e32 vcc_lo, 0x42b17218, v8
	v_sub_f32_e32 v5, v6, v5
	v_cndmask_b32_e64 v10, 0, 0x37000000, vcc_lo
	v_cmp_neq_f32_e64 vcc_lo, 0x7f800000, |v8|
	v_sub_f32_e32 v11, v8, v10
	v_cndmask_b32_e32 v5, 0, v5, vcc_lo
	v_trunc_f32_e32 v8, v7
	v_mul_f32_e32 v12, 0x3fb8aa3b, v11
	v_cmp_ngt_f32_e32 vcc_lo, 0xc2ce8ed0, v11
	v_add_f32_e32 v5, v10, v5
	v_fma_f32 v13, 0x3fb8aa3b, v11, -v12
	v_rndne_f32_e32 v14, v12
	v_fmac_f32_e32 v13, 0x32a5705f, v11
	v_sub_f32_e32 v12, v12, v14
	v_cvt_i32_f32_e32 v9, v14
	v_add_f32_e32 v12, v12, v13
	v_exp_f32_e32 v12, v12
	v_ldexp_f32 v6, v12, v9
	v_mul_f32_e32 v9, 0.5, v7
	v_cndmask_b32_e32 v6, 0, v6, vcc_lo
	v_cmp_nlt_f32_e32 vcc_lo, 0x42b17218, v11
	v_trunc_f32_e32 v12, v9
	v_cndmask_b32_e32 v6, 0x7f800000, v6, vcc_lo
	v_cmp_eq_f32_e32 vcc_lo, v8, v7
	v_cmp_neq_f32_e64 s5, v12, v9
	v_fma_f32 v5, v6, v5, v6
	v_cmp_class_f32_e64 s6, v6, 0x204
	s_and_b32 s5, vcc_lo, s5
	v_cndmask_b32_e64 v8, 1.0, v2, s5
	v_cndmask_b32_e64 v5, v5, v6, s6
	v_cmp_eq_f32_e64 s6, 0, v2
	v_bfi_b32 v5, 0x7fffffff, v5, v8
	s_xor_b32 s7, s6, s7
	v_cndmask_b32_e64 v8, 0, v2, s5
	v_cndmask_b32_e64 v6, 0x7f800000, 0, s7
	v_cmp_class_f32_e64 s5, v2, 0x204
	v_cndmask_b32_e32 v7, 0x7fc00000, v5, vcc_lo
	v_cmp_gt_f32_e32 vcc_lo, 0, v2
	v_bfi_b32 v6, 0x7fffffff, v6, v8
	v_cndmask_b32_e32 v5, v5, v7, vcc_lo
	s_or_b32 vcc_lo, s6, s5
	v_cndmask_b32_e32 v5, v5, v6, vcc_lo
	v_cmp_o_f32_e32 vcc_lo, v2, v2
	v_cndmask_b32_e32 v5, 0x7fc00000, v5, vcc_lo
	s_branch .LBB93_43
.LBB93_42:                              ;   in Loop: Header=BB93_43 Depth=1
	s_or_b32 exec_lo, exec_lo, s5
	s_and_b32 s5, exec_lo, s15
	s_or_b32 s11, s5, s11
	s_andn2_b32 s5, s13, exec_lo
	s_and_b32 s6, s14, exec_lo
	s_or_b32 s13, s5, s6
	s_andn2_b32 exec_lo, exec_lo, s11
	s_cbranch_execz .LBB93_45
.LBB93_43:                              ; =>This Inner Loop Header: Depth=1
	v_add_f32_e32 v2, 1.0, v2
	s_or_b32 s14, s14, exec_lo
	s_or_b32 s15, s15, exec_lo
	v_frexp_mant_f32_e64 v6, |v2|
	v_cmp_eq_f32_e64 s6, 0, v2
	v_cmp_gt_f32_e32 vcc_lo, 0x3f2aaaab, v6
	v_cndmask_b32_e64 v7, 1.0, 2.0, vcc_lo
	v_mul_f32_e32 v6, v6, v7
	v_add_f32_e32 v7, 1.0, v6
	v_add_f32_e32 v9, -1.0, v6
	v_rcp_f32_e32 v8, v7
	v_add_f32_e32 v11, -1.0, v7
	v_sub_f32_e32 v6, v6, v11
	v_mul_f32_e32 v10, v9, v8
	v_mul_f32_e32 v12, v7, v10
	v_fma_f32 v7, v10, v7, -v12
	v_fmac_f32_e32 v7, v10, v6
	v_add_f32_e32 v6, v12, v7
	v_sub_f32_e32 v11, v9, v6
	v_sub_f32_e32 v12, v6, v12
	;; [unrolled: 1-line block ×5, first 2 shown]
	v_add_f32_e32 v6, v7, v6
	v_add_f32_e32 v6, v11, v6
	v_mul_f32_e32 v6, v8, v6
	v_add_f32_e32 v8, v10, v6
	v_sub_f32_e32 v7, v8, v10
	v_mul_f32_e32 v9, v8, v8
	v_sub_f32_e32 v10, v6, v7
	v_fma_f32 v6, v8, v8, -v9
	v_add_f32_e32 v7, v10, v10
	v_fmac_f32_e32 v6, v8, v7
	v_add_f32_e32 v11, v9, v6
	v_fmaak_f32 v7, s12, v11, 0x3e91f4c4
	v_sub_f32_e32 v9, v11, v9
	v_mul_f32_e32 v16, v8, v11
	v_fmaak_f32 v7, v11, v7, 0x3ecccdef
	v_sub_f32_e32 v9, v6, v9
	v_fma_f32 v17, v11, v8, -v16
	v_mul_f32_e32 v12, v11, v7
	v_fmac_f32_e32 v17, v11, v10
	v_ldexp_f32 v10, v10, 1
	v_fma_f32 v13, v11, v7, -v12
	v_fmac_f32_e32 v17, v9, v8
	v_fmac_f32_e32 v13, v9, v7
	v_cvt_f64_f32_e64 v[6:7], |v2|
	v_add_f32_e32 v14, v12, v13
	v_sub_f32_e32 v12, v14, v12
	v_add_f32_e32 v15, 0x3f2aaaaa, v14
	v_sub_f32_e32 v12, v13, v12
	v_add_f32_e32 v13, 0xbf2aaaaa, v15
	v_add_f32_e32 v12, 0x31739010, v12
	v_sub_f32_e32 v13, v14, v13
	v_frexp_exp_i32_f64_e32 v6, v[6:7]
	v_add_f32_e32 v11, v12, v13
	v_add_f32_e32 v12, v16, v17
	;; [unrolled: 1-line block ×3, first 2 shown]
	v_sub_f32_e32 v14, v12, v16
	v_sub_f32_e32 v7, v15, v9
	v_mul_f32_e32 v13, v12, v9
	v_sub_f32_e32 v14, v17, v14
	v_add_f32_e32 v7, v11, v7
	v_fma_f32 v11, v12, v9, -v13
	v_subrev_co_ci_u32_e64 v6, null, 0, v6, vcc_lo
	v_fmac_f32_e32 v11, v12, v7
	v_ldexp_f32 v7, v8, 1
	v_cmp_neq_f32_e32 vcc_lo, 1.0, v2
	v_cvt_f32_i32_e32 v6, v6
	v_fmac_f32_e32 v11, v14, v9
	v_add_f32_e32 v8, v13, v11
	v_add_f32_e32 v9, v7, v8
	v_sub_f32_e32 v12, v8, v13
	v_mul_f32_e32 v13, 0x3f317218, v6
	v_sub_f32_e32 v7, v9, v7
	v_sub_f32_e32 v11, v11, v12
	v_fma_f32 v12, 0x3f317218, v6, -v13
	v_sub_f32_e32 v7, v8, v7
	v_add_f32_e32 v8, v10, v11
	v_fmac_f32_e32 v12, 0xb102e308, v6
	v_add_f32_e32 v6, v8, v7
	v_add_f32_e32 v7, v13, v12
	;; [unrolled: 1-line block ×3, first 2 shown]
	v_sub_f32_e32 v13, v7, v13
	v_add_f32_e32 v10, v7, v8
	v_sub_f32_e32 v9, v8, v9
	v_sub_f32_e32 v12, v12, v13
	;; [unrolled: 1-line block ×6, first 2 shown]
	v_add_f32_e32 v9, v12, v6
	v_sub_f32_e32 v7, v7, v14
	v_add_f32_e32 v7, v8, v7
	v_sub_f32_e32 v8, v9, v12
	;; [unrolled: 2-line block ×3, first 2 shown]
	v_sub_f32_e32 v6, v6, v8
	v_add_f32_e32 v11, v10, v7
	v_sub_f32_e32 v8, v12, v9
	v_sub_f32_e32 v9, v11, v10
	v_add_f32_e32 v6, v6, v8
	v_cndmask_b32_e64 v8, 1.0, -v4, vcc_lo
	v_sub_f32_e32 v7, v7, v9
	v_add_f32_e32 v6, v6, v7
	v_add_f32_e32 v7, v11, v6
	v_sub_f32_e32 v9, v7, v11
	v_mul_f32_e32 v10, v8, v7
	v_sub_f32_e32 v6, v6, v9
	v_fma_f32 v7, v8, v7, -v10
	v_cmp_class_f32_e64 vcc_lo, v10, 0x204
	v_fmac_f32_e32 v7, v8, v6
	v_add_f32_e32 v6, v10, v7
	v_cndmask_b32_e32 v9, v6, v10, vcc_lo
	v_sub_f32_e32 v6, v6, v10
	v_cmp_eq_f32_e32 vcc_lo, 0x42b17218, v9
	v_sub_f32_e32 v6, v7, v6
	v_cndmask_b32_e64 v11, 0, 0x37000000, vcc_lo
	v_cmp_neq_f32_e64 vcc_lo, 0x7f800000, |v9|
	v_sub_f32_e32 v12, v9, v11
	v_cndmask_b32_e32 v6, 0, v6, vcc_lo
	v_trunc_f32_e32 v9, v8
	v_mul_f32_e32 v13, 0x3fb8aa3b, v12
	v_cmp_ngt_f32_e32 vcc_lo, 0xc2ce8ed0, v12
	v_add_f32_e32 v6, v11, v6
	v_fma_f32 v14, 0x3fb8aa3b, v12, -v13
	v_rndne_f32_e32 v15, v13
	v_fmac_f32_e32 v14, 0x32a5705f, v12
	v_sub_f32_e32 v13, v13, v15
	v_cvt_i32_f32_e32 v10, v15
	v_add_f32_e32 v13, v13, v14
	v_exp_f32_e32 v13, v13
	v_ldexp_f32 v7, v13, v10
	v_mul_f32_e32 v10, 0.5, v8
	v_cndmask_b32_e32 v7, 0, v7, vcc_lo
	v_cmp_nlt_f32_e32 vcc_lo, 0x42b17218, v12
	v_trunc_f32_e32 v13, v10
	v_cndmask_b32_e32 v7, 0x7f800000, v7, vcc_lo
	v_cmp_eq_f32_e32 vcc_lo, v9, v8
	v_cmp_neq_f32_e64 s5, v13, v10
	v_fma_f32 v6, v7, v6, v7
	v_cmp_class_f32_e64 s7, v7, 0x204
	s_and_b32 s5, vcc_lo, s5
	v_cndmask_b32_e64 v9, 1.0, v2, s5
	v_cndmask_b32_e64 v6, v6, v7, s7
	v_cmp_gt_f32_e64 s7, 0, v8
	v_cndmask_b32_e64 v8, 0, v2, s5
	v_cmp_class_f32_e64 s5, v2, 0x204
	v_bfi_b32 v6, 0x7fffffff, v6, v9
	s_xor_b32 s7, s6, s7
	v_cndmask_b32_e64 v7, 0x7f800000, 0, s7
	v_cndmask_b32_e32 v9, 0x7fc00000, v6, vcc_lo
	v_cmp_gt_f32_e32 vcc_lo, 0, v2
	v_bfi_b32 v7, 0x7fffffff, v7, v8
	v_cndmask_b32_e32 v6, v6, v9, vcc_lo
	s_or_b32 vcc_lo, s6, s5
	v_cndmask_b32_e32 v6, v6, v7, vcc_lo
	v_cmp_o_f32_e32 vcc_lo, v2, v2
	v_cndmask_b32_e32 v6, 0x7fc00000, v6, vcc_lo
	v_add_f32_e32 v5, v5, v6
	v_mul_f32_e32 v7, 0xa5000000, v5
	v_mul_f32_e32 v8, 0x25000000, v5
	v_cmp_nlt_f32_e32 vcc_lo, v7, v6
	v_cmp_nlt_f32_e64 s5, v6, v8
	s_or_b32 s6, vcc_lo, s5
	s_and_saveexec_b32 s5, s6
	s_cbranch_execz .LBB93_42
; %bb.44:                               ;   in Loop: Header=BB93_43 Depth=1
	s_add_i32 s6, s16, 1
	v_cmp_nge_f32_e32 vcc_lo, 0x41100000, v2
	s_cmp_gt_u32 s16, 7
	s_mov_b32 s16, s6
	s_cselect_b32 s7, -1, 0
	s_andn2_b32 s15, s15, exec_lo
	s_and_b32 s7, s7, vcc_lo
	s_andn2_b32 s14, s14, exec_lo
	s_and_b32 s7, s7, exec_lo
	s_or_b32 s15, s15, s7
	s_branch .LBB93_42
.LBB93_45:
	s_or_b32 exec_lo, exec_lo, s11
	s_xor_b32 s5, s13, -1
	s_and_saveexec_b32 s6, s5
	s_xor_b32 s5, exec_lo, s6
	s_cbranch_execz .LBB93_53
; %bb.46:
	v_mul_f32_e32 v7, v2, v6
	v_add_f32_e32 v8, -1.0, v4
	s_mov_b64 s[6:7], 0
	s_mov_b32 s11, 0
                                        ; implicit-def: $sgpr12
	v_div_scale_f32 v9, null, v8, v8, v7
	v_div_scale_f32 v12, vcc_lo, v7, v8, v7
	v_rcp_f32_e32 v10, v9
	v_fma_f32 v11, -v9, v10, 1.0
	v_fmac_f32_e32 v10, v11, v10
	v_mul_f32_e32 v11, v12, v10
	v_fma_f32 v13, -v9, v11, v12
	v_fmac_f32_e32 v11, v13, v10
	v_fma_f32 v9, -v9, v11, v12
	v_div_fmas_f32 v9, v9, v10, v11
	v_div_fixup_f32 v7, v9, v8, v7
	v_mov_b32_e32 v8, 1.0
	v_add_f32_e32 v5, v5, v7
	v_mov_b32_e32 v7, 0
	v_fmac_f32_e32 v5, -0.5, v6
	s_branch .LBB93_49
.LBB93_47:                              ;   in Loop: Header=BB93_49 Depth=1
	s_or_b32 exec_lo, exec_lo, s14
	s_andn2_b32 s12, s12, exec_lo
	s_and_b32 s14, s15, exec_lo
	s_or_b32 s12, s12, s14
.LBB93_48:                              ;   in Loop: Header=BB93_49 Depth=1
	s_or_b32 exec_lo, exec_lo, s13
	s_and_b32 s13, exec_lo, s12
	s_or_b32 s11, s13, s11
	s_andn2_b32 exec_lo, exec_lo, s11
	s_cbranch_execz .LBB93_52
.LBB93_49:                              ; =>This Inner Loop Header: Depth=1
	v_div_scale_f32 v9, null, v2, v2, v6
	v_div_scale_f32 v12, vcc_lo, v6, v2, v6
	s_getpc_b64 s[14:15]
	s_add_u32 s14, s14, _ZZ4zetaIfLb1EET_S0_S0_E1A@rel32@lo+4
	s_addc_u32 s15, s15, _ZZ4zetaIfLb1EET_S0_S0_E1A@rel32@hi+12
	v_rcp_f32_e32 v10, v9
	s_add_u32 s14, s14, s6
	s_addc_u32 s15, s15, s7
	s_or_b32 s12, s12, exec_lo
	s_load_dword s13, s[14:15], 0x0
	v_fma_f32 v11, -v9, v10, 1.0
	v_fmac_f32_e32 v10, v11, v10
	v_mul_f32_e32 v11, v12, v10
	v_fma_f32 v13, -v9, v11, v12
	v_fmac_f32_e32 v11, v13, v10
	v_fma_f32 v9, -v9, v11, v12
	v_add_f32_e32 v12, v7, v4
	v_div_fmas_f32 v10, v9, v10, v11
	v_mul_f32_e32 v9, v8, v12
	v_div_fixup_f32 v10, v10, v2, v6
	v_mul_f32_e32 v6, v10, v9
	s_waitcnt lgkmcnt(0)
	v_div_scale_f32 v8, null, s13, s13, v6
	v_div_scale_f32 v13, vcc_lo, v6, s13, v6
	v_rcp_f32_e32 v11, v8
	v_fma_f32 v12, -v8, v11, 1.0
	v_fmac_f32_e32 v11, v12, v11
	v_mul_f32_e32 v12, v13, v11
	v_fma_f32 v14, -v8, v12, v13
	v_fmac_f32_e32 v12, v14, v11
	v_fma_f32 v8, -v8, v12, v13
	v_div_fmas_f32 v8, v8, v11, v12
	v_div_fixup_f32 v6, v8, s13, v6
	v_add_f32_e32 v5, v5, v6
	v_div_scale_f32 v8, null, v5, v5, v6
	v_rcp_f32_e32 v11, v8
	v_fma_f32 v12, -v8, v11, 1.0
	v_fmac_f32_e32 v11, v12, v11
	v_div_scale_f32 v12, vcc_lo, v6, v5, v6
	v_mul_f32_e32 v13, v12, v11
	v_fma_f32 v14, -v8, v13, v12
	v_fmac_f32_e32 v13, v14, v11
	v_fma_f32 v8, -v8, v13, v12
	v_div_fmas_f32 v8, v8, v11, v13
	v_div_fixup_f32 v6, v8, v5, v6
                                        ; implicit-def: $vgpr8
	v_cmp_ngt_f32_e64 s14, 0x25000000, |v6|
                                        ; implicit-def: $vgpr6
	s_and_saveexec_b32 s13, s14
	s_cbranch_execz .LBB93_48
; %bb.50:                               ;   in Loop: Header=BB93_49 Depth=1
	v_div_scale_f32 v6, null, v2, v2, v10
	v_div_scale_f32 v12, vcc_lo, v10, v2, v10
	v_add_f32_e32 v7, 1.0, v7
	v_rcp_f32_e32 v8, v6
	s_getpc_b64 s[14:15]
	s_add_u32 s14, s14, _ZZ4zetaIfLb1EET_S0_S0_E1A@rel32@lo+8
	s_addc_u32 s15, s15, _ZZ4zetaIfLb1EET_S0_S0_E1A@rel32@hi+16
	s_add_u32 s14, s14, s6
	s_addc_u32 s15, s15, s7
	v_add_f32_e32 v15, v7, v4
	s_load_dword s14, s[14:15], 0x0
	s_mov_b32 s15, -1
	v_fma_f32 v11, -v6, v8, 1.0
	v_fmac_f32_e32 v8, v11, v8
	v_mul_f32_e32 v11, v12, v8
	v_fma_f32 v13, -v6, v11, v12
	v_fmac_f32_e32 v11, v13, v8
	v_fma_f32 v6, -v6, v11, v12
	v_div_fmas_f32 v6, v6, v8, v11
	v_div_fixup_f32 v6, v6, v2, v10
	v_div_scale_f32 v8, null, v2, v2, v6
	v_div_scale_f32 v12, vcc_lo, v6, v2, v6
	v_rcp_f32_e32 v10, v8
	v_fma_f32 v11, -v8, v10, 1.0
	v_fmac_f32_e32 v10, v11, v10
	v_add_f32_e32 v11, 1.0, v7
	v_mul_f32_e32 v13, v12, v10
	v_fma_f32 v14, -v8, v13, v12
	v_fmac_f32_e32 v13, v14, v10
	v_fma_f32 v7, -v8, v13, v12
	v_mul_f32_e32 v8, v15, v9
	v_add_f32_e32 v9, v11, v4
	v_div_fmas_f32 v7, v7, v10, v13
	v_mul_f32_e32 v9, v8, v9
	v_div_fixup_f32 v10, v7, v2, v6
	v_mul_f32_e32 v6, v10, v9
	s_waitcnt lgkmcnt(0)
	v_div_scale_f32 v7, null, s14, s14, v6
	v_div_scale_f32 v13, vcc_lo, v6, s14, v6
	v_rcp_f32_e32 v8, v7
	v_fma_f32 v12, -v7, v8, 1.0
	v_fmac_f32_e32 v8, v12, v8
	v_mul_f32_e32 v12, v13, v8
	v_fma_f32 v14, -v7, v12, v13
	v_fmac_f32_e32 v12, v14, v8
	v_fma_f32 v7, -v7, v12, v13
	v_div_fmas_f32 v7, v7, v8, v12
	v_div_fixup_f32 v6, v7, s14, v6
	v_add_f32_e32 v5, v5, v6
	v_div_scale_f32 v7, null, v5, v5, v6
	v_rcp_f32_e32 v8, v7
	v_fma_f32 v12, -v7, v8, 1.0
	v_fmac_f32_e32 v8, v12, v8
	v_div_scale_f32 v12, vcc_lo, v6, v5, v6
	v_mul_f32_e32 v13, v12, v8
	v_fma_f32 v14, -v7, v13, v12
	v_fmac_f32_e32 v13, v14, v8
	v_fma_f32 v7, -v7, v13, v12
	v_div_fmas_f32 v7, v7, v8, v13
                                        ; implicit-def: $vgpr8
	v_div_fixup_f32 v6, v7, v5, v6
                                        ; implicit-def: $vgpr7
	v_cmp_ngt_f32_e64 s16, 0x25000000, |v6|
                                        ; implicit-def: $vgpr6
	s_and_saveexec_b32 s14, s16
	s_cbranch_execz .LBB93_47
; %bb.51:                               ;   in Loop: Header=BB93_49 Depth=1
	v_div_scale_f32 v6, null, v2, v2, v10
	v_div_scale_f32 v12, vcc_lo, v10, v2, v10
	v_add_f32_e32 v11, 1.0, v11
	v_rcp_f32_e32 v7, v6
	s_add_u32 s6, s6, 8
	s_addc_u32 s7, s7, 0
	s_cmp_eq_u32 s6, 48
	s_cselect_b32 s15, -1, 0
	s_orn2_b32 s15, s15, exec_lo
	v_fma_f32 v8, -v6, v7, 1.0
	v_fmac_f32_e32 v7, v8, v7
	v_mul_f32_e32 v8, v12, v7
	v_fma_f32 v13, -v6, v8, v12
	v_fmac_f32_e32 v8, v13, v7
	v_fma_f32 v6, -v6, v8, v12
	v_add_f32_e32 v12, v11, v4
	v_div_fmas_f32 v6, v6, v7, v8
	v_mul_f32_e32 v8, v12, v9
	v_add_f32_e32 v7, 1.0, v11
	v_div_fixup_f32 v6, v6, v2, v10
	s_branch .LBB93_47
.LBB93_52:
	s_or_b32 exec_lo, exec_lo, s11
.LBB93_53:
	s_or_b32 exec_lo, exec_lo, s5
.LBB93_54:
	s_or_b32 exec_lo, exec_lo, s10
.LBB93_55:
	s_or_b32 exec_lo, exec_lo, s9
.LBB93_56:
	s_or_b32 exec_lo, exec_lo, s8
	v_cmp_gt_f32_e64 s5, 0x4b000000, |v1|
	v_and_b32_e32 v0, 1, v0
	s_or_b32 vcc_lo, s4, s5
	v_cmp_class_f32_e64 s4, v1, 0x244
	s_waitcnt vmcnt(0) lgkmcnt(0)
	v_cndmask_b32_e32 v2, 0x7f800000, v3, vcc_lo
	v_cndmask_b32_e64 v1, v2, 0x7f800000, s4
	v_mul_f32_e32 v2, 0x3fb8aa3b, v1
	v_cmp_ngt_f32_e32 vcc_lo, 0xc2ce8ed0, v1
	v_fma_f32 v3, 0x3fb8aa3b, v1, -v2
	v_rndne_f32_e32 v4, v2
	v_fmamk_f32 v3, v1, 0x32a5705f, v3
	v_sub_f32_e32 v2, v2, v4
	v_add_f32_e32 v2, v2, v3
	v_cvt_i32_f32_e32 v3, v4
	v_exp_f32_e32 v2, v2
	v_ldexp_f32 v2, v2, v3
	v_cndmask_b32_e32 v2, 0, v2, vcc_lo
	v_cmp_nlt_f32_e32 vcc_lo, 0x42b17218, v1
	v_cndmask_b32_e32 v1, 0x7f800000, v2, vcc_lo
	v_cmp_eq_u32_e32 vcc_lo, 0, v0
	v_cndmask_b32_e64 v0, v1, -v1, vcc_lo
	v_mul_f32_e32 v0, v0, v5
	s_setpc_b64 s[30:31]
.Lfunc_end93:
	.size	_ZN2at6native6invokeIZZZNS0_21polygamma_kernel_cudaERNS_18TensorIteratorBaseElENKUlvE_clEvENKUlvE0_clEvEUlfE_j15function_traitsIS6_EEENT1_11result_typeERKT_PrKPcPKT0_i, .Lfunc_end93-_ZN2at6native6invokeIZZZNS0_21polygamma_kernel_cudaERNS_18TensorIteratorBaseElENKUlvE_clEvENKUlvE0_clEvEUlfE_j15function_traitsIS6_EEENT1_11result_typeERKT_PrKPcPKT0_i
                                        ; -- End function
	.set .L_ZN2at6native6invokeIZZZNS0_21polygamma_kernel_cudaERNS_18TensorIteratorBaseElENKUlvE_clEvENKUlvE0_clEvEUlfE_j15function_traitsIS6_EEENT1_11result_typeERKT_PrKPcPKT0_i.num_vgpr, 18
	.set .L_ZN2at6native6invokeIZZZNS0_21polygamma_kernel_cudaERNS_18TensorIteratorBaseElENKUlvE_clEvENKUlvE0_clEvEUlfE_j15function_traitsIS6_EEENT1_11result_typeERKT_PrKPcPKT0_i.num_agpr, 0
	.set .L_ZN2at6native6invokeIZZZNS0_21polygamma_kernel_cudaERNS_18TensorIteratorBaseElENKUlvE_clEvENKUlvE0_clEvEUlfE_j15function_traitsIS6_EEENT1_11result_typeERKT_PrKPcPKT0_i.numbered_sgpr, 32
	.set .L_ZN2at6native6invokeIZZZNS0_21polygamma_kernel_cudaERNS_18TensorIteratorBaseElENKUlvE_clEvENKUlvE0_clEvEUlfE_j15function_traitsIS6_EEENT1_11result_typeERKT_PrKPcPKT0_i.num_named_barrier, 0
	.set .L_ZN2at6native6invokeIZZZNS0_21polygamma_kernel_cudaERNS_18TensorIteratorBaseElENKUlvE_clEvENKUlvE0_clEvEUlfE_j15function_traitsIS6_EEENT1_11result_typeERKT_PrKPcPKT0_i.private_seg_size, 0
	.set .L_ZN2at6native6invokeIZZZNS0_21polygamma_kernel_cudaERNS_18TensorIteratorBaseElENKUlvE_clEvENKUlvE0_clEvEUlfE_j15function_traitsIS6_EEENT1_11result_typeERKT_PrKPcPKT0_i.uses_vcc, 1
	.set .L_ZN2at6native6invokeIZZZNS0_21polygamma_kernel_cudaERNS_18TensorIteratorBaseElENKUlvE_clEvENKUlvE0_clEvEUlfE_j15function_traitsIS6_EEENT1_11result_typeERKT_PrKPcPKT0_i.uses_flat_scratch, 0
	.set .L_ZN2at6native6invokeIZZZNS0_21polygamma_kernel_cudaERNS_18TensorIteratorBaseElENKUlvE_clEvENKUlvE0_clEvEUlfE_j15function_traitsIS6_EEENT1_11result_typeERKT_PrKPcPKT0_i.has_dyn_sized_stack, 0
	.set .L_ZN2at6native6invokeIZZZNS0_21polygamma_kernel_cudaERNS_18TensorIteratorBaseElENKUlvE_clEvENKUlvE0_clEvEUlfE_j15function_traitsIS6_EEENT1_11result_typeERKT_PrKPcPKT0_i.has_recursion, 0
	.set .L_ZN2at6native6invokeIZZZNS0_21polygamma_kernel_cudaERNS_18TensorIteratorBaseElENKUlvE_clEvENKUlvE0_clEvEUlfE_j15function_traitsIS6_EEENT1_11result_typeERKT_PrKPcPKT0_i.has_indirect_call, 0
	.section	.AMDGPU.csdata,"",@progbits
; Function info:
; codeLenInByte = 5264
; TotalNumSgprs: 34
; NumVgprs: 18
; ScratchSize: 0
; MemoryBound: 0
	.section	.text._ZN2at6native32elementwise_kernel_manual_unrollILi128ELi4EZNS0_22gpu_kernel_impl_nocastIZZZNS0_21polygamma_kernel_cudaERNS_18TensorIteratorBaseElENKUlvE_clEvENKUlvE0_clEvEUlfE_EEvS4_RKT_EUlibE_EEviT1_,"axG",@progbits,_ZN2at6native32elementwise_kernel_manual_unrollILi128ELi4EZNS0_22gpu_kernel_impl_nocastIZZZNS0_21polygamma_kernel_cudaERNS_18TensorIteratorBaseElENKUlvE_clEvENKUlvE0_clEvEUlfE_EEvS4_RKT_EUlibE_EEviT1_,comdat
	.globl	_ZN2at6native32elementwise_kernel_manual_unrollILi128ELi4EZNS0_22gpu_kernel_impl_nocastIZZZNS0_21polygamma_kernel_cudaERNS_18TensorIteratorBaseElENKUlvE_clEvENKUlvE0_clEvEUlfE_EEvS4_RKT_EUlibE_EEviT1_ ; -- Begin function _ZN2at6native32elementwise_kernel_manual_unrollILi128ELi4EZNS0_22gpu_kernel_impl_nocastIZZZNS0_21polygamma_kernel_cudaERNS_18TensorIteratorBaseElENKUlvE_clEvENKUlvE0_clEvEUlfE_EEvS4_RKT_EUlibE_EEviT1_
	.p2align	8
	.type	_ZN2at6native32elementwise_kernel_manual_unrollILi128ELi4EZNS0_22gpu_kernel_impl_nocastIZZZNS0_21polygamma_kernel_cudaERNS_18TensorIteratorBaseElENKUlvE_clEvENKUlvE0_clEvEUlfE_EEvS4_RKT_EUlibE_EEviT1_,@function
_ZN2at6native32elementwise_kernel_manual_unrollILi128ELi4EZNS0_22gpu_kernel_impl_nocastIZZZNS0_21polygamma_kernel_cudaERNS_18TensorIteratorBaseElENKUlvE_clEvENKUlvE0_clEvEUlfE_EEvS4_RKT_EUlibE_EEviT1_: ; @_ZN2at6native32elementwise_kernel_manual_unrollILi128ELi4EZNS0_22gpu_kernel_impl_nocastIZZZNS0_21polygamma_kernel_cudaERNS_18TensorIteratorBaseElENKUlvE_clEvENKUlvE0_clEvEUlfE_EEvS4_RKT_EUlibE_EEviT1_
; %bb.0:
	s_clause 0x1
	s_load_dword s17, s[4:5], 0x8
	s_load_dword s45, s[4:5], 0x0
	v_lshl_or_b32 v20, s6, 9, v0
	s_add_u32 s0, s0, s7
	s_addc_u32 s1, s1, 0
	s_add_u32 s18, s4, 8
	s_addc_u32 s19, s5, 0
	v_or_b32_e32 v0, 0x180, v20
	s_mov_b32 s32, 0
	s_mov_b32 s4, exec_lo
	s_waitcnt lgkmcnt(0)
	s_add_i32 s33, s17, -1
	s_cmp_gt_u32 s33, 1
	s_cselect_b32 s42, -1, 0
	v_cmpx_le_i32_e64 s45, v0
	s_xor_b32 s43, exec_lo, s4
	s_cbranch_execz .LBB94_7
; %bb.1:
	s_clause 0x4
	s_load_dwordx4 s[24:27], s[18:19], 0x4
	s_load_dwordx2 s[34:35], s[18:19], 0x14
	s_load_dwordx2 s[28:29], s[18:19], 0x158
	s_load_dwordx4 s[36:39], s[18:19], 0xc4
	s_load_dwordx4 s[20:23], s[18:19], 0x148
	s_cmp_lg_u32 s17, 0
	s_mov_b32 s48, exec_lo
	s_cselect_b32 s47, -1, 0
	s_add_u32 s40, s18, 0xc4
	s_addc_u32 s41, s19, 0
	s_min_u32 s46, s33, 15
	s_cmp_gt_u32 s17, 1
	s_cselect_b32 s44, -1, 0
	v_cmpx_gt_i32_e64 s45, v20
	s_cbranch_execz .LBB94_14
; %bb.2:
	s_andn2_b32 vcc_lo, exec_lo, s42
	s_cbranch_vccnz .LBB94_21
; %bb.3:
	s_andn2_b32 vcc_lo, exec_lo, s47
	s_cbranch_vccnz .LBB94_73
; %bb.4:
	s_add_i32 s9, s46, 1
	s_cmp_eq_u32 s33, 2
	s_cbranch_scc1 .LBB94_75
; %bb.5:
	v_mov_b32_e32 v4, 0
	v_mov_b32_e32 v18, 0
	v_mov_b32_e32 v0, v20
	s_and_b32 s8, s9, 28
	s_mov_b32 s10, 0
	s_mov_b64 s[4:5], s[18:19]
	s_mov_b64 s[6:7], s[40:41]
.LBB94_6:                               ; =>This Inner Loop Header: Depth=1
	s_clause 0x1
	s_load_dwordx8 s[52:59], s[4:5], 0x4
	s_load_dwordx4 s[12:15], s[4:5], 0x24
	s_load_dwordx8 s[60:67], s[6:7], 0x0
	s_add_u32 s4, s4, 48
	s_addc_u32 s5, s5, 0
	s_add_i32 s10, s10, 4
	s_add_u32 s6, s6, 32
	s_addc_u32 s7, s7, 0
	s_cmp_lg_u32 s8, s10
	s_waitcnt lgkmcnt(0)
	v_mul_hi_u32 v1, s53, v0
	v_add_nc_u32_e32 v1, v0, v1
	v_lshrrev_b32_e32 v1, s54, v1
	v_mul_hi_u32 v2, s56, v1
	v_mul_lo_u32 v5, v1, s52
	v_add_nc_u32_e32 v2, v1, v2
	v_sub_nc_u32_e32 v0, v0, v5
	v_lshrrev_b32_e32 v2, s57, v2
	v_mul_lo_u32 v5, v0, s60
	v_mul_lo_u32 v7, v0, s61
	v_mul_hi_u32 v3, s59, v2
	v_add_nc_u32_e32 v3, v2, v3
	v_lshrrev_b32_e32 v3, s12, v3
	v_mul_hi_u32 v6, s14, v3
	v_mul_lo_u32 v8, v3, s58
	v_add_nc_u32_e32 v0, v3, v6
	v_mul_lo_u32 v6, v2, s55
	v_sub_nc_u32_e32 v2, v2, v8
	v_lshrrev_b32_e32 v0, s15, v0
	v_mul_lo_u32 v8, v2, s64
	v_mul_lo_u32 v2, v2, s65
	v_sub_nc_u32_e32 v1, v1, v6
	v_mul_lo_u32 v9, v0, s13
	v_mul_lo_u32 v6, v1, s62
	;; [unrolled: 1-line block ×3, first 2 shown]
	v_sub_nc_u32_e32 v3, v3, v9
	v_add3_u32 v5, v5, v18, v6
	v_mul_lo_u32 v9, v3, s66
	v_mul_lo_u32 v3, v3, s67
	v_add3_u32 v1, v7, v4, v1
	v_add3_u32 v18, v8, v5, v9
	;; [unrolled: 1-line block ×3, first 2 shown]
	s_cbranch_scc1 .LBB94_6
	s_branch .LBB94_76
.LBB94_7:
	s_andn2_saveexec_b32 s4, s43
	s_cbranch_execz .LBB94_101
.LBB94_8:
	v_cndmask_b32_e64 v1, 0, 1, s42
	s_andn2_b32 vcc_lo, exec_lo, s42
	s_cbranch_vccnz .LBB94_20
; %bb.9:
	s_cmp_lg_u32 s17, 0
	s_mov_b32 s8, 0
	s_cbranch_scc0 .LBB94_23
; %bb.10:
	s_min_u32 s10, s33, 15
	s_add_i32 s10, s10, 1
	s_cmp_eq_u32 s33, 2
	s_cbranch_scc1 .LBB94_24
; %bb.11:
	v_mov_b32_e32 v4, 0
	v_mov_b32_e32 v22, 0
	;; [unrolled: 1-line block ×3, first 2 shown]
	s_and_b32 s9, s10, 28
	s_add_u32 s4, s18, 0xc4
	s_addc_u32 s5, s19, 0
	s_mov_b32 s11, 0
	s_mov_b64 s[6:7], s[18:19]
.LBB94_12:                              ; =>This Inner Loop Header: Depth=1
	s_waitcnt lgkmcnt(0)
	s_clause 0x1
	s_load_dwordx8 s[20:27], s[6:7], 0x4
	s_load_dwordx4 s[12:15], s[6:7], 0x24
	s_load_dwordx8 s[36:43], s[4:5], 0x0
	s_add_u32 s6, s6, 48
	s_addc_u32 s7, s7, 0
	s_add_i32 s11, s11, 4
	s_add_u32 s4, s4, 32
	s_addc_u32 s5, s5, 0
	s_cmp_lg_u32 s9, s11
	s_waitcnt lgkmcnt(0)
	v_mul_hi_u32 v3, s21, v2
	v_add_nc_u32_e32 v3, v2, v3
	v_lshrrev_b32_e32 v3, s22, v3
	v_mul_hi_u32 v5, s24, v3
	v_mul_lo_u32 v7, v3, s20
	v_add_nc_u32_e32 v5, v3, v5
	v_sub_nc_u32_e32 v2, v2, v7
	v_lshrrev_b32_e32 v5, s25, v5
	v_mul_lo_u32 v7, v2, s36
	v_mul_lo_u32 v9, v2, s37
	v_mul_hi_u32 v6, s27, v5
	v_add_nc_u32_e32 v6, v5, v6
	v_lshrrev_b32_e32 v6, s12, v6
	v_mul_hi_u32 v8, s14, v6
	v_mul_lo_u32 v10, v6, s26
	v_add_nc_u32_e32 v2, v6, v8
	v_mul_lo_u32 v8, v5, s23
	v_sub_nc_u32_e32 v5, v5, v10
	v_lshrrev_b32_e32 v2, s15, v2
	v_mul_lo_u32 v10, v5, s40
	v_mul_lo_u32 v5, v5, s41
	v_sub_nc_u32_e32 v3, v3, v8
	v_mul_lo_u32 v11, v2, s13
	v_mul_lo_u32 v8, v3, s38
	;; [unrolled: 1-line block ×3, first 2 shown]
	v_sub_nc_u32_e32 v6, v6, v11
	v_add3_u32 v7, v7, v22, v8
	v_mul_lo_u32 v11, v6, s42
	v_mul_lo_u32 v6, v6, s43
	v_add3_u32 v3, v9, v4, v3
	v_add3_u32 v22, v10, v7, v11
	v_add3_u32 v4, v5, v3, v6
	s_cbranch_scc1 .LBB94_12
; %bb.13:
	s_and_b32 s10, s10, 3
	s_cmp_eq_u32 s10, 0
	s_cbranch_scc0 .LBB94_25
	s_branch .LBB94_27
.LBB94_14:
	s_or_b32 exec_lo, exec_lo, s48
	s_mov_b32 s48, exec_lo
	v_cmpx_gt_i32_e64 s45, v20
	s_cbranch_execz .LBB94_83
.LBB94_15:
	s_andn2_b32 vcc_lo, exec_lo, s42
	s_cbranch_vccnz .LBB94_22
; %bb.16:
	s_andn2_b32 vcc_lo, exec_lo, s47
	s_cbranch_vccnz .LBB94_74
; %bb.17:
	s_add_i32 s9, s46, 1
	s_cmp_eq_u32 s33, 2
	s_cbranch_scc1 .LBB94_91
; %bb.18:
	v_mov_b32_e32 v4, 0
	v_mov_b32_e32 v18, 0
	;; [unrolled: 1-line block ×3, first 2 shown]
	s_and_b32 s8, s9, 28
	s_mov_b32 s10, 0
	s_mov_b64 s[4:5], s[18:19]
	s_mov_b64 s[6:7], s[40:41]
.LBB94_19:                              ; =>This Inner Loop Header: Depth=1
	s_clause 0x1
	s_load_dwordx8 s[52:59], s[4:5], 0x4
	s_load_dwordx4 s[12:15], s[4:5], 0x24
	s_load_dwordx8 s[60:67], s[6:7], 0x0
	s_add_u32 s4, s4, 48
	s_addc_u32 s5, s5, 0
	s_add_i32 s10, s10, 4
	s_add_u32 s6, s6, 32
	s_addc_u32 s7, s7, 0
	s_cmp_eq_u32 s8, s10
	s_waitcnt lgkmcnt(0)
	v_mul_hi_u32 v1, s53, v0
	v_add_nc_u32_e32 v1, v0, v1
	v_lshrrev_b32_e32 v1, s54, v1
	v_mul_hi_u32 v2, s56, v1
	v_mul_lo_u32 v5, v1, s52
	v_add_nc_u32_e32 v2, v1, v2
	v_sub_nc_u32_e32 v0, v0, v5
	v_lshrrev_b32_e32 v2, s57, v2
	v_mul_lo_u32 v5, v0, s60
	v_mul_lo_u32 v7, v0, s61
	v_mul_hi_u32 v3, s59, v2
	v_add_nc_u32_e32 v3, v2, v3
	v_lshrrev_b32_e32 v3, s12, v3
	v_mul_hi_u32 v6, s14, v3
	v_mul_lo_u32 v8, v3, s58
	v_add_nc_u32_e32 v0, v3, v6
	v_mul_lo_u32 v6, v2, s55
	v_sub_nc_u32_e32 v2, v2, v8
	v_lshrrev_b32_e32 v0, s15, v0
	v_mul_lo_u32 v8, v2, s64
	v_mul_lo_u32 v2, v2, s65
	v_sub_nc_u32_e32 v1, v1, v6
	v_mul_lo_u32 v9, v0, s13
	v_mul_lo_u32 v6, v1, s62
	;; [unrolled: 1-line block ×3, first 2 shown]
	v_sub_nc_u32_e32 v3, v3, v9
	v_add3_u32 v5, v5, v18, v6
	v_mul_lo_u32 v9, v3, s66
	v_mul_lo_u32 v3, v3, s67
	v_add3_u32 v1, v7, v4, v1
	v_add3_u32 v18, v8, v5, v9
	;; [unrolled: 1-line block ×3, first 2 shown]
	s_cbranch_scc0 .LBB94_19
	s_branch .LBB94_92
.LBB94_20:
	s_mov_b32 s8, -1
                                        ; implicit-def: $vgpr22
                                        ; implicit-def: $vgpr4
	s_branch .LBB94_27
.LBB94_21:
                                        ; implicit-def: $vgpr18
                                        ; implicit-def: $vgpr4
	s_branch .LBB94_80
.LBB94_22:
                                        ; implicit-def: $vgpr18
                                        ; implicit-def: $vgpr4
	s_branch .LBB94_96
.LBB94_23:
	v_mov_b32_e32 v22, 0
	v_mov_b32_e32 v4, 0
	s_branch .LBB94_27
.LBB94_24:
	v_mov_b32_e32 v22, 0
	v_mov_b32_e32 v4, 0
	;; [unrolled: 1-line block ×3, first 2 shown]
	s_mov_b32 s9, 0
	s_and_b32 s10, s10, 3
	s_cmp_eq_u32 s10, 0
	s_cbranch_scc1 .LBB94_27
.LBB94_25:
	s_lshl_b32 s4, s9, 3
	s_mul_i32 s6, s9, 12
	s_add_u32 s4, s18, s4
	s_addc_u32 s5, s19, 0
	s_add_u32 s4, s4, 0xc4
	s_addc_u32 s5, s5, 0
	;; [unrolled: 2-line block ×3, first 2 shown]
	.p2align	6
.LBB94_26:                              ; =>This Inner Loop Header: Depth=1
	s_clause 0x1
	s_load_dwordx2 s[12:13], s[6:7], 0x4
	s_load_dword s9, s[6:7], 0xc
	s_load_dwordx2 s[14:15], s[4:5], 0x0
	s_add_u32 s6, s6, 12
	s_addc_u32 s7, s7, 0
	s_add_u32 s4, s4, 8
	s_addc_u32 s5, s5, 0
	s_add_i32 s10, s10, -1
	s_cmp_lg_u32 s10, 0
	s_waitcnt lgkmcnt(0)
	v_mul_hi_u32 v3, s13, v2
	v_add_nc_u32_e32 v3, v2, v3
	v_lshrrev_b32_e32 v3, s9, v3
	v_mul_lo_u32 v5, v3, s12
	v_sub_nc_u32_e32 v2, v2, v5
	v_mad_u64_u32 v[22:23], null, v2, s14, v[22:23]
	v_mad_u64_u32 v[4:5], null, v2, s15, v[4:5]
	v_mov_b32_e32 v2, v3
	s_cbranch_scc1 .LBB94_26
.LBB94_27:
	s_andn2_b32 vcc_lo, exec_lo, s8
	s_cbranch_vccnz .LBB94_30
; %bb.28:
	s_clause 0x1
	s_load_dwordx4 s[4:7], s[18:19], 0x4
	s_load_dwordx2 s[8:9], s[18:19], 0xc4
	s_cmp_lt_u32 s17, 2
	s_waitcnt lgkmcnt(0)
	v_mul_hi_u32 v2, s5, v20
	v_add_nc_u32_e32 v2, v20, v2
	v_lshrrev_b32_e32 v2, s6, v2
	v_mul_lo_u32 v3, v2, s4
	v_sub_nc_u32_e32 v3, v20, v3
	v_mul_lo_u32 v22, v3, s8
	v_mul_lo_u32 v4, v3, s9
	s_cbranch_scc1 .LBB94_30
; %bb.29:
	s_clause 0x1
	s_load_dwordx4 s[4:7], s[18:19], 0x10
	s_load_dwordx2 s[8:9], s[18:19], 0xcc
	s_waitcnt lgkmcnt(0)
	v_mul_hi_u32 v3, s5, v2
	v_add_nc_u32_e32 v3, v2, v3
	v_lshrrev_b32_e32 v3, s6, v3
	v_mul_lo_u32 v3, v3, s4
	v_sub_nc_u32_e32 v2, v2, v3
	v_mad_u64_u32 v[22:23], null, v2, s8, v[22:23]
	v_mad_u64_u32 v[4:5], null, v2, s9, v[4:5]
.LBB94_30:
	v_cmp_ne_u32_e32 vcc_lo, 1, v1
	v_add_nc_u32_e32 v2, 0x80, v20
	s_cbranch_vccnz .LBB94_36
; %bb.31:
	s_cmp_lg_u32 s17, 0
	s_mov_b32 s8, 0
	s_cbranch_scc0 .LBB94_37
; %bb.32:
	s_min_u32 s10, s33, 15
	s_add_i32 s10, s10, 1
	s_cmp_eq_u32 s33, 2
	s_cbranch_scc1 .LBB94_38
; %bb.33:
	v_mov_b32_e32 v18, 0
	v_mov_b32_e32 v23, 0
	;; [unrolled: 1-line block ×3, first 2 shown]
	s_and_b32 s9, s10, 28
	s_add_u32 s4, s18, 0xc4
	s_addc_u32 s5, s19, 0
	s_mov_b32 s11, 0
	s_mov_b64 s[6:7], s[18:19]
.LBB94_34:                              ; =>This Inner Loop Header: Depth=1
	s_waitcnt lgkmcnt(0)
	s_clause 0x1
	s_load_dwordx8 s[20:27], s[6:7], 0x4
	s_load_dwordx4 s[12:15], s[6:7], 0x24
	s_load_dwordx8 s[36:43], s[4:5], 0x0
	s_add_u32 s6, s6, 48
	s_addc_u32 s7, s7, 0
	s_add_i32 s11, s11, 4
	s_add_u32 s4, s4, 32
	s_addc_u32 s5, s5, 0
	s_cmp_lg_u32 s9, s11
	s_waitcnt lgkmcnt(0)
	v_mul_hi_u32 v5, s21, v3
	v_add_nc_u32_e32 v5, v3, v5
	v_lshrrev_b32_e32 v5, s22, v5
	v_mul_hi_u32 v6, s24, v5
	v_mul_lo_u32 v8, v5, s20
	v_add_nc_u32_e32 v6, v5, v6
	v_sub_nc_u32_e32 v3, v3, v8
	v_lshrrev_b32_e32 v6, s25, v6
	v_mul_lo_u32 v8, v3, s36
	v_mul_lo_u32 v10, v3, s37
	v_mul_hi_u32 v7, s27, v6
	v_add_nc_u32_e32 v7, v6, v7
	v_lshrrev_b32_e32 v7, s12, v7
	v_mul_hi_u32 v9, s14, v7
	v_mul_lo_u32 v11, v7, s26
	v_add_nc_u32_e32 v3, v7, v9
	v_mul_lo_u32 v9, v6, s23
	v_sub_nc_u32_e32 v6, v6, v11
	v_lshrrev_b32_e32 v3, s15, v3
	v_mul_lo_u32 v11, v6, s40
	v_mul_lo_u32 v6, v6, s41
	v_sub_nc_u32_e32 v5, v5, v9
	v_mul_lo_u32 v12, v3, s13
	v_mul_lo_u32 v9, v5, s38
	;; [unrolled: 1-line block ×3, first 2 shown]
	v_sub_nc_u32_e32 v7, v7, v12
	v_add3_u32 v8, v8, v23, v9
	v_mul_lo_u32 v12, v7, s42
	v_mul_lo_u32 v7, v7, s43
	v_add3_u32 v5, v10, v18, v5
	v_add3_u32 v23, v11, v8, v12
	;; [unrolled: 1-line block ×3, first 2 shown]
	s_cbranch_scc1 .LBB94_34
; %bb.35:
	s_and_b32 s10, s10, 3
	s_cmp_eq_u32 s10, 0
	s_cbranch_scc0 .LBB94_39
	s_branch .LBB94_41
.LBB94_36:
	s_mov_b32 s8, -1
                                        ; implicit-def: $vgpr23
                                        ; implicit-def: $vgpr18
	s_branch .LBB94_41
.LBB94_37:
	v_mov_b32_e32 v23, 0
	v_mov_b32_e32 v18, 0
	s_branch .LBB94_41
.LBB94_38:
	v_mov_b32_e32 v23, 0
	v_mov_b32_e32 v18, 0
	;; [unrolled: 1-line block ×3, first 2 shown]
	s_mov_b32 s9, 0
	s_and_b32 s10, s10, 3
	s_cmp_eq_u32 s10, 0
	s_cbranch_scc1 .LBB94_41
.LBB94_39:
	s_lshl_b32 s4, s9, 3
	s_mul_i32 s6, s9, 12
	s_add_u32 s4, s18, s4
	s_addc_u32 s5, s19, 0
	s_add_u32 s4, s4, 0xc4
	s_addc_u32 s5, s5, 0
	;; [unrolled: 2-line block ×3, first 2 shown]
	.p2align	6
.LBB94_40:                              ; =>This Inner Loop Header: Depth=1
	s_clause 0x1
	s_load_dwordx2 s[12:13], s[6:7], 0x4
	s_load_dword s9, s[6:7], 0xc
	s_load_dwordx2 s[14:15], s[4:5], 0x0
	s_add_u32 s6, s6, 12
	s_addc_u32 s7, s7, 0
	s_add_u32 s4, s4, 8
	s_addc_u32 s5, s5, 0
	s_add_i32 s10, s10, -1
	s_cmp_lg_u32 s10, 0
	s_waitcnt lgkmcnt(0)
	v_mul_hi_u32 v5, s13, v3
	v_add_nc_u32_e32 v5, v3, v5
	v_lshrrev_b32_e32 v5, s9, v5
	v_mul_lo_u32 v6, v5, s12
	v_sub_nc_u32_e32 v3, v3, v6
	v_mad_u64_u32 v[23:24], null, v3, s14, v[23:24]
	v_mad_u64_u32 v[18:19], null, v3, s15, v[18:19]
	v_mov_b32_e32 v3, v5
	s_cbranch_scc1 .LBB94_40
.LBB94_41:
	s_andn2_b32 vcc_lo, exec_lo, s8
	s_cbranch_vccnz .LBB94_44
; %bb.42:
	s_clause 0x1
	s_load_dwordx4 s[4:7], s[18:19], 0x4
	s_load_dwordx2 s[8:9], s[18:19], 0xc4
	s_cmp_lt_u32 s17, 2
	s_waitcnt lgkmcnt(0)
	v_mul_hi_u32 v3, s5, v2
	v_add_nc_u32_e32 v3, v2, v3
	v_lshrrev_b32_e32 v3, s6, v3
	v_mul_lo_u32 v5, v3, s4
	v_sub_nc_u32_e32 v2, v2, v5
	v_mul_lo_u32 v23, v2, s8
	v_mul_lo_u32 v18, v2, s9
	s_cbranch_scc1 .LBB94_44
; %bb.43:
	s_clause 0x1
	s_load_dwordx4 s[4:7], s[18:19], 0x10
	s_load_dwordx2 s[8:9], s[18:19], 0xcc
	s_waitcnt lgkmcnt(0)
	v_mul_hi_u32 v2, s5, v3
	v_add_nc_u32_e32 v2, v3, v2
	v_lshrrev_b32_e32 v2, s6, v2
	v_mul_lo_u32 v2, v2, s4
	v_sub_nc_u32_e32 v2, v3, v2
	v_mad_u64_u32 v[23:24], null, v2, s8, v[23:24]
	v_mad_u64_u32 v[18:19], null, v2, s9, v[18:19]
.LBB94_44:
	v_cmp_ne_u32_e32 vcc_lo, 1, v1
	v_add_nc_u32_e32 v2, 0x100, v20
	s_cbranch_vccnz .LBB94_50
; %bb.45:
	s_cmp_lg_u32 s17, 0
	s_mov_b32 s8, 0
	s_cbranch_scc0 .LBB94_51
; %bb.46:
	s_min_u32 s10, s33, 15
	s_add_i32 s10, s10, 1
	s_cmp_eq_u32 s33, 2
	s_cbranch_scc1 .LBB94_52
; %bb.47:
	v_mov_b32_e32 v19, 0
	v_mov_b32_e32 v24, 0
	;; [unrolled: 1-line block ×3, first 2 shown]
	s_and_b32 s9, s10, 28
	s_add_u32 s4, s18, 0xc4
	s_addc_u32 s5, s19, 0
	s_mov_b32 s11, 0
	s_mov_b64 s[6:7], s[18:19]
.LBB94_48:                              ; =>This Inner Loop Header: Depth=1
	s_waitcnt lgkmcnt(0)
	s_clause 0x1
	s_load_dwordx8 s[20:27], s[6:7], 0x4
	s_load_dwordx4 s[12:15], s[6:7], 0x24
	s_load_dwordx8 s[36:43], s[4:5], 0x0
	s_add_u32 s6, s6, 48
	s_addc_u32 s7, s7, 0
	s_add_i32 s11, s11, 4
	s_add_u32 s4, s4, 32
	s_addc_u32 s5, s5, 0
	s_cmp_lg_u32 s9, s11
	s_waitcnt lgkmcnt(0)
	v_mul_hi_u32 v5, s21, v3
	v_add_nc_u32_e32 v5, v3, v5
	v_lshrrev_b32_e32 v5, s22, v5
	v_mul_hi_u32 v6, s24, v5
	v_mul_lo_u32 v8, v5, s20
	v_add_nc_u32_e32 v6, v5, v6
	v_sub_nc_u32_e32 v3, v3, v8
	v_lshrrev_b32_e32 v6, s25, v6
	v_mul_lo_u32 v8, v3, s36
	v_mul_lo_u32 v10, v3, s37
	v_mul_hi_u32 v7, s27, v6
	v_add_nc_u32_e32 v7, v6, v7
	v_lshrrev_b32_e32 v7, s12, v7
	v_mul_hi_u32 v9, s14, v7
	v_mul_lo_u32 v11, v7, s26
	v_add_nc_u32_e32 v3, v7, v9
	v_mul_lo_u32 v9, v6, s23
	v_sub_nc_u32_e32 v6, v6, v11
	v_lshrrev_b32_e32 v3, s15, v3
	v_mul_lo_u32 v11, v6, s40
	v_mul_lo_u32 v6, v6, s41
	v_sub_nc_u32_e32 v5, v5, v9
	v_mul_lo_u32 v12, v3, s13
	v_mul_lo_u32 v9, v5, s38
	;; [unrolled: 1-line block ×3, first 2 shown]
	v_sub_nc_u32_e32 v7, v7, v12
	v_add3_u32 v8, v8, v24, v9
	v_mul_lo_u32 v12, v7, s42
	v_mul_lo_u32 v7, v7, s43
	v_add3_u32 v5, v10, v19, v5
	v_add3_u32 v24, v11, v8, v12
	v_add3_u32 v19, v6, v5, v7
	s_cbranch_scc1 .LBB94_48
; %bb.49:
	s_and_b32 s10, s10, 3
	s_cmp_eq_u32 s10, 0
	s_cbranch_scc0 .LBB94_53
	s_branch .LBB94_55
.LBB94_50:
	s_mov_b32 s8, -1
                                        ; implicit-def: $vgpr24
                                        ; implicit-def: $vgpr19
	s_branch .LBB94_55
.LBB94_51:
	v_mov_b32_e32 v24, 0
	v_mov_b32_e32 v19, 0
	s_branch .LBB94_55
.LBB94_52:
	v_mov_b32_e32 v24, 0
	v_mov_b32_e32 v19, 0
	;; [unrolled: 1-line block ×3, first 2 shown]
	s_mov_b32 s9, 0
	s_and_b32 s10, s10, 3
	s_cmp_eq_u32 s10, 0
	s_cbranch_scc1 .LBB94_55
.LBB94_53:
	s_lshl_b32 s4, s9, 3
	s_mul_i32 s6, s9, 12
	s_add_u32 s4, s18, s4
	s_addc_u32 s5, s19, 0
	s_add_u32 s4, s4, 0xc4
	s_addc_u32 s5, s5, 0
	;; [unrolled: 2-line block ×3, first 2 shown]
	.p2align	6
.LBB94_54:                              ; =>This Inner Loop Header: Depth=1
	s_clause 0x1
	s_load_dwordx2 s[12:13], s[6:7], 0x4
	s_load_dword s9, s[6:7], 0xc
	s_load_dwordx2 s[14:15], s[4:5], 0x0
	s_add_u32 s6, s6, 12
	s_addc_u32 s7, s7, 0
	s_add_u32 s4, s4, 8
	s_addc_u32 s5, s5, 0
	s_add_i32 s10, s10, -1
	s_cmp_lg_u32 s10, 0
	s_waitcnt lgkmcnt(0)
	v_mul_hi_u32 v5, s13, v3
	v_add_nc_u32_e32 v5, v3, v5
	v_lshrrev_b32_e32 v5, s9, v5
	v_mul_lo_u32 v6, v5, s12
	v_sub_nc_u32_e32 v3, v3, v6
	v_mad_u64_u32 v[24:25], null, v3, s14, v[24:25]
	v_mad_u64_u32 v[19:20], null, v3, s15, v[19:20]
	v_mov_b32_e32 v3, v5
	s_cbranch_scc1 .LBB94_54
.LBB94_55:
	s_andn2_b32 vcc_lo, exec_lo, s8
	s_cbranch_vccnz .LBB94_58
; %bb.56:
	s_clause 0x1
	s_load_dwordx4 s[4:7], s[18:19], 0x4
	s_load_dwordx2 s[8:9], s[18:19], 0xc4
	s_cmp_lt_u32 s17, 2
	s_waitcnt lgkmcnt(0)
	v_mul_hi_u32 v3, s5, v2
	v_add_nc_u32_e32 v3, v2, v3
	v_lshrrev_b32_e32 v3, s6, v3
	v_mul_lo_u32 v5, v3, s4
	v_sub_nc_u32_e32 v2, v2, v5
	v_mul_lo_u32 v24, v2, s8
	v_mul_lo_u32 v19, v2, s9
	s_cbranch_scc1 .LBB94_58
; %bb.57:
	s_clause 0x1
	s_load_dwordx4 s[4:7], s[18:19], 0x10
	s_load_dwordx2 s[8:9], s[18:19], 0xcc
	s_waitcnt lgkmcnt(0)
	v_mul_hi_u32 v2, s5, v3
	v_add_nc_u32_e32 v2, v3, v2
	v_lshrrev_b32_e32 v2, s6, v2
	v_mul_lo_u32 v2, v2, s4
	v_sub_nc_u32_e32 v2, v3, v2
	v_mad_u64_u32 v[24:25], null, v2, s8, v[24:25]
	v_mad_u64_u32 v[19:20], null, v2, s9, v[19:20]
.LBB94_58:
	v_cmp_ne_u32_e32 vcc_lo, 1, v1
	s_cbranch_vccnz .LBB94_64
; %bb.59:
	s_cmp_lg_u32 s17, 0
	s_mov_b32 s8, 0
	s_cbranch_scc0 .LBB94_65
; %bb.60:
	s_min_u32 s10, s33, 15
	s_add_i32 s10, s10, 1
	s_cmp_eq_u32 s33, 2
	s_cbranch_scc1 .LBB94_66
; %bb.61:
	v_mov_b32_e32 v20, 0
	v_mov_b32_e32 v25, 0
	;; [unrolled: 1-line block ×3, first 2 shown]
	s_and_b32 s9, s10, 28
	s_add_u32 s4, s18, 0xc4
	s_addc_u32 s5, s19, 0
	s_mov_b32 s11, 0
	s_mov_b64 s[6:7], s[18:19]
.LBB94_62:                              ; =>This Inner Loop Header: Depth=1
	s_waitcnt lgkmcnt(0)
	s_clause 0x1
	s_load_dwordx8 s[20:27], s[6:7], 0x4
	s_load_dwordx4 s[12:15], s[6:7], 0x24
	s_load_dwordx8 s[36:43], s[4:5], 0x0
	s_add_u32 s6, s6, 48
	s_addc_u32 s7, s7, 0
	s_add_i32 s11, s11, 4
	s_add_u32 s4, s4, 32
	s_addc_u32 s5, s5, 0
	s_cmp_lg_u32 s9, s11
	s_waitcnt lgkmcnt(0)
	v_mul_hi_u32 v2, s21, v1
	v_add_nc_u32_e32 v2, v1, v2
	v_lshrrev_b32_e32 v2, s22, v2
	v_mul_hi_u32 v3, s24, v2
	v_mul_lo_u32 v6, v2, s20
	v_add_nc_u32_e32 v3, v2, v3
	v_sub_nc_u32_e32 v1, v1, v6
	v_lshrrev_b32_e32 v3, s25, v3
	v_mul_lo_u32 v6, v1, s36
	v_mul_lo_u32 v8, v1, s37
	v_mul_hi_u32 v5, s27, v3
	v_add_nc_u32_e32 v5, v3, v5
	v_lshrrev_b32_e32 v5, s12, v5
	v_mul_hi_u32 v7, s14, v5
	v_mul_lo_u32 v9, v5, s26
	v_add_nc_u32_e32 v1, v5, v7
	v_mul_lo_u32 v7, v3, s23
	v_sub_nc_u32_e32 v3, v3, v9
	v_lshrrev_b32_e32 v1, s15, v1
	v_mul_lo_u32 v9, v3, s40
	v_mul_lo_u32 v3, v3, s41
	v_sub_nc_u32_e32 v2, v2, v7
	v_mul_lo_u32 v10, v1, s13
	v_mul_lo_u32 v7, v2, s38
	;; [unrolled: 1-line block ×3, first 2 shown]
	v_sub_nc_u32_e32 v5, v5, v10
	v_add3_u32 v6, v6, v25, v7
	v_mul_lo_u32 v10, v5, s42
	v_mul_lo_u32 v5, v5, s43
	v_add3_u32 v2, v8, v20, v2
	v_add3_u32 v25, v9, v6, v10
	;; [unrolled: 1-line block ×3, first 2 shown]
	s_cbranch_scc1 .LBB94_62
; %bb.63:
	s_and_b32 s10, s10, 3
	s_cmp_eq_u32 s10, 0
	s_cbranch_scc0 .LBB94_67
	s_branch .LBB94_69
.LBB94_64:
	s_mov_b32 s8, -1
                                        ; implicit-def: $vgpr25
                                        ; implicit-def: $vgpr20
	s_branch .LBB94_69
.LBB94_65:
	v_mov_b32_e32 v25, 0
	v_mov_b32_e32 v20, 0
	s_branch .LBB94_69
.LBB94_66:
	v_mov_b32_e32 v25, 0
	v_mov_b32_e32 v20, 0
	;; [unrolled: 1-line block ×3, first 2 shown]
	s_mov_b32 s9, 0
	s_and_b32 s10, s10, 3
	s_cmp_eq_u32 s10, 0
	s_cbranch_scc1 .LBB94_69
.LBB94_67:
	s_lshl_b32 s4, s9, 3
	s_mul_i32 s6, s9, 12
	s_add_u32 s4, s18, s4
	s_addc_u32 s5, s19, 0
	s_add_u32 s4, s4, 0xc4
	s_addc_u32 s5, s5, 0
	;; [unrolled: 2-line block ×3, first 2 shown]
	.p2align	6
.LBB94_68:                              ; =>This Inner Loop Header: Depth=1
	s_clause 0x1
	s_load_dwordx2 s[12:13], s[6:7], 0x4
	s_load_dword s9, s[6:7], 0xc
	s_load_dwordx2 s[14:15], s[4:5], 0x0
	s_add_u32 s6, s6, 12
	s_addc_u32 s7, s7, 0
	s_add_u32 s4, s4, 8
	s_addc_u32 s5, s5, 0
	s_add_i32 s10, s10, -1
	s_cmp_lg_u32 s10, 0
	s_waitcnt lgkmcnt(0)
	v_mul_hi_u32 v2, s13, v1
	v_add_nc_u32_e32 v2, v1, v2
	v_lshrrev_b32_e32 v2, s9, v2
	v_mul_lo_u32 v3, v2, s12
	v_sub_nc_u32_e32 v1, v1, v3
	v_mad_u64_u32 v[25:26], null, v1, s14, v[25:26]
	v_mad_u64_u32 v[20:21], null, v1, s15, v[20:21]
	v_mov_b32_e32 v1, v2
	s_cbranch_scc1 .LBB94_68
.LBB94_69:
	s_andn2_b32 vcc_lo, exec_lo, s8
	s_cbranch_vccnz .LBB94_72
; %bb.70:
	s_clause 0x1
	s_load_dwordx4 s[4:7], s[18:19], 0x4
	s_load_dwordx2 s[8:9], s[18:19], 0xc4
	s_cmp_lt_u32 s17, 2
	s_waitcnt lgkmcnt(0)
	v_mul_hi_u32 v1, s5, v0
	v_add_nc_u32_e32 v1, v0, v1
	v_lshrrev_b32_e32 v1, s6, v1
	v_mul_lo_u32 v2, v1, s4
	v_sub_nc_u32_e32 v0, v0, v2
	v_mul_lo_u32 v25, v0, s8
	v_mul_lo_u32 v20, v0, s9
	s_cbranch_scc1 .LBB94_72
; %bb.71:
	s_clause 0x1
	s_load_dwordx4 s[4:7], s[18:19], 0x10
	s_load_dwordx2 s[8:9], s[18:19], 0xcc
	s_waitcnt lgkmcnt(0)
	v_mul_hi_u32 v0, s5, v1
	v_add_nc_u32_e32 v0, v1, v0
	v_lshrrev_b32_e32 v0, s6, v0
	v_mul_lo_u32 v0, v0, s4
	v_sub_nc_u32_e32 v0, v1, v0
	v_mad_u64_u32 v[25:26], null, v0, s8, v[25:26]
	v_mad_u64_u32 v[20:21], null, v0, s9, v[20:21]
.LBB94_72:
	s_waitcnt lgkmcnt(0)
	s_clause 0x1
	s_load_dwordx2 s[24:25], s[18:19], 0x158
	s_load_dwordx4 s[20:23], s[18:19], 0x148
	s_getpc_b64 s[18:19]
	s_add_u32 s18, s18, _ZN2at6native6invokeIZZZNS0_21polygamma_kernel_cudaERNS_18TensorIteratorBaseElENKUlvE_clEvENKUlvE0_clEvEUlfE_j15function_traitsIS6_EEENT1_11result_typeERKT_PrKPcPKT0_i@rel32@lo+4
	s_addc_u32 s19, s19, _ZN2at6native6invokeIZZZNS0_21polygamma_kernel_cudaERNS_18TensorIteratorBaseElENKUlvE_clEvENKUlvE0_clEvEUlfE_j15function_traitsIS6_EEENT1_11result_typeERKT_PrKPcPKT0_i@rel32@hi+12
	s_waitcnt lgkmcnt(0)
	v_mov_b32_e32 v0, s24
	v_mov_b32_e32 v1, s25
	v_mov_b32_e32 v2, s22
	v_mov_b32_e32 v3, s23
	s_swappc_b64 s[30:31], s[18:19]
	v_mov_b32_e32 v21, v0
	v_mov_b32_e32 v0, s24
	v_mov_b32_e32 v1, s25
	v_mov_b32_e32 v2, s22
	v_mov_b32_e32 v3, s23
	v_mov_b32_e32 v4, v18
	s_swappc_b64 s[30:31], s[18:19]
	v_mov_b32_e32 v18, v0
	v_mov_b32_e32 v0, s24
	;; [unrolled: 7-line block ×3, first 2 shown]
	v_mov_b32_e32 v1, s25
	v_mov_b32_e32 v2, s22
	;; [unrolled: 1-line block ×4, first 2 shown]
	s_swappc_b64 s[30:31], s[18:19]
	global_store_dword v22, v21, s[20:21]
	global_store_dword v23, v18, s[20:21]
	global_store_dword v24, v19, s[20:21]
	global_store_dword v25, v0, s[20:21]
	s_endpgm
.LBB94_73:
	v_mov_b32_e32 v18, 0
	v_mov_b32_e32 v4, 0
	s_branch .LBB94_79
.LBB94_74:
	v_mov_b32_e32 v18, 0
	v_mov_b32_e32 v4, 0
	s_branch .LBB94_95
.LBB94_75:
	v_mov_b32_e32 v18, 0
	v_mov_b32_e32 v4, 0
	;; [unrolled: 1-line block ×3, first 2 shown]
	s_mov_b32 s8, 0
.LBB94_76:
	s_and_b32 s9, s9, 3
	s_cmp_eq_u32 s9, 0
	s_cbranch_scc1 .LBB94_79
; %bb.77:
	s_lshl_b32 s4, s8, 3
	s_mul_i32 s6, s8, 12
	s_add_u32 s4, s18, s4
	s_addc_u32 s5, s19, 0
	s_add_u32 s4, s4, 0xc4
	s_addc_u32 s5, s5, 0
	;; [unrolled: 2-line block ×3, first 2 shown]
	.p2align	6
.LBB94_78:                              ; =>This Inner Loop Header: Depth=1
	s_clause 0x1
	s_load_dwordx2 s[10:11], s[6:7], 0x4
	s_load_dword s8, s[6:7], 0xc
	s_load_dwordx2 s[12:13], s[4:5], 0x0
	s_add_u32 s6, s6, 12
	s_addc_u32 s7, s7, 0
	s_add_u32 s4, s4, 8
	s_addc_u32 s5, s5, 0
	s_add_i32 s9, s9, -1
	s_cmp_lg_u32 s9, 0
	s_waitcnt lgkmcnt(0)
	v_mul_hi_u32 v1, s11, v0
	v_add_nc_u32_e32 v1, v0, v1
	v_lshrrev_b32_e32 v1, s8, v1
	v_mul_lo_u32 v2, v1, s10
	v_sub_nc_u32_e32 v0, v0, v2
	v_mad_u64_u32 v[18:19], null, v0, s12, v[18:19]
	v_mad_u64_u32 v[4:5], null, v0, s13, v[4:5]
	v_mov_b32_e32 v0, v1
	s_cbranch_scc1 .LBB94_78
.LBB94_79:
	s_cbranch_execnz .LBB94_82
.LBB94_80:
	s_waitcnt lgkmcnt(0)
	v_mul_hi_u32 v0, s25, v20
	s_andn2_b32 vcc_lo, exec_lo, s44
	v_add_nc_u32_e32 v0, v20, v0
	v_lshrrev_b32_e32 v0, s26, v0
	v_mul_lo_u32 v1, v0, s24
	v_sub_nc_u32_e32 v1, v20, v1
	v_mul_lo_u32 v18, v1, s36
	v_mul_lo_u32 v4, v1, s37
	s_cbranch_vccnz .LBB94_82
; %bb.81:
	v_mul_hi_u32 v1, s34, v0
	v_add_nc_u32_e32 v1, v0, v1
	v_lshrrev_b32_e32 v1, s35, v1
	v_mul_lo_u32 v1, v1, s27
	v_sub_nc_u32_e32 v0, v0, v1
	v_mad_u64_u32 v[18:19], null, v0, s38, v[18:19]
	v_mad_u64_u32 v[4:5], null, v0, s39, v[4:5]
.LBB94_82:
	s_waitcnt lgkmcnt(0)
	v_mov_b32_e32 v0, s28
	v_mov_b32_e32 v1, s29
	;; [unrolled: 1-line block ×4, first 2 shown]
	s_getpc_b64 s[4:5]
	s_add_u32 s4, s4, _ZN2at6native6invokeIZZZNS0_21polygamma_kernel_cudaERNS_18TensorIteratorBaseElENKUlvE_clEvENKUlvE0_clEvEUlfE_j15function_traitsIS6_EEENT1_11result_typeERKT_PrKPcPKT0_i@rel32@lo+4
	s_addc_u32 s5, s5, _ZN2at6native6invokeIZZZNS0_21polygamma_kernel_cudaERNS_18TensorIteratorBaseElENKUlvE_clEvENKUlvE0_clEvEUlfE_j15function_traitsIS6_EEENT1_11result_typeERKT_PrKPcPKT0_i@rel32@hi+12
	s_swappc_b64 s[30:31], s[4:5]
	v_add_nc_u32_e32 v20, 0x80, v20
	global_store_dword v18, v0, s[20:21]
	s_or_b32 exec_lo, exec_lo, s48
	s_mov_b32 s48, exec_lo
	v_cmpx_gt_i32_e64 s45, v20
	s_cbranch_execnz .LBB94_15
.LBB94_83:
	s_or_b32 exec_lo, exec_lo, s48
	s_mov_b32 s48, exec_lo
	v_cmpx_gt_i32_e64 s45, v20
	s_cbranch_execz .LBB94_99
.LBB94_84:
	s_andn2_b32 vcc_lo, exec_lo, s42
	s_cbranch_vccnz .LBB94_89
; %bb.85:
	s_andn2_b32 vcc_lo, exec_lo, s47
	s_cbranch_vccnz .LBB94_90
; %bb.86:
	s_add_i32 s9, s46, 1
	s_cmp_eq_u32 s33, 2
	s_cbranch_scc1 .LBB94_102
; %bb.87:
	v_mov_b32_e32 v4, 0
	v_mov_b32_e32 v18, 0
	;; [unrolled: 1-line block ×3, first 2 shown]
	s_and_b32 s8, s9, 28
	s_mov_b32 s10, 0
	s_mov_b64 s[4:5], s[18:19]
	s_mov_b64 s[6:7], s[40:41]
.LBB94_88:                              ; =>This Inner Loop Header: Depth=1
	s_clause 0x1
	s_load_dwordx8 s[52:59], s[4:5], 0x4
	s_load_dwordx4 s[12:15], s[4:5], 0x24
	s_load_dwordx8 s[60:67], s[6:7], 0x0
	s_add_u32 s4, s4, 48
	s_addc_u32 s5, s5, 0
	s_add_i32 s10, s10, 4
	s_add_u32 s6, s6, 32
	s_addc_u32 s7, s7, 0
	s_cmp_eq_u32 s8, s10
	s_waitcnt lgkmcnt(0)
	v_mul_hi_u32 v1, s53, v0
	v_add_nc_u32_e32 v1, v0, v1
	v_lshrrev_b32_e32 v1, s54, v1
	v_mul_hi_u32 v2, s56, v1
	v_mul_lo_u32 v5, v1, s52
	v_add_nc_u32_e32 v2, v1, v2
	v_sub_nc_u32_e32 v0, v0, v5
	v_lshrrev_b32_e32 v2, s57, v2
	v_mul_lo_u32 v5, v0, s60
	v_mul_lo_u32 v7, v0, s61
	v_mul_hi_u32 v3, s59, v2
	v_add_nc_u32_e32 v3, v2, v3
	v_lshrrev_b32_e32 v3, s12, v3
	v_mul_hi_u32 v6, s14, v3
	v_mul_lo_u32 v8, v3, s58
	v_add_nc_u32_e32 v0, v3, v6
	v_mul_lo_u32 v6, v2, s55
	v_sub_nc_u32_e32 v2, v2, v8
	v_lshrrev_b32_e32 v0, s15, v0
	v_mul_lo_u32 v8, v2, s64
	v_mul_lo_u32 v2, v2, s65
	v_sub_nc_u32_e32 v1, v1, v6
	v_mul_lo_u32 v9, v0, s13
	v_mul_lo_u32 v6, v1, s62
	v_mul_lo_u32 v1, v1, s63
	v_sub_nc_u32_e32 v3, v3, v9
	v_add3_u32 v5, v5, v18, v6
	v_mul_lo_u32 v9, v3, s66
	v_mul_lo_u32 v3, v3, s67
	v_add3_u32 v1, v7, v4, v1
	v_add3_u32 v18, v8, v5, v9
	;; [unrolled: 1-line block ×3, first 2 shown]
	s_cbranch_scc0 .LBB94_88
	s_branch .LBB94_103
.LBB94_89:
                                        ; implicit-def: $vgpr18
                                        ; implicit-def: $vgpr4
	s_branch .LBB94_107
.LBB94_90:
	v_mov_b32_e32 v18, 0
	v_mov_b32_e32 v4, 0
	s_branch .LBB94_106
.LBB94_91:
	v_mov_b32_e32 v18, 0
	v_mov_b32_e32 v4, 0
	;; [unrolled: 1-line block ×3, first 2 shown]
	s_mov_b32 s8, 0
.LBB94_92:
	s_and_b32 s9, s9, 3
	s_cmp_eq_u32 s9, 0
	s_cbranch_scc1 .LBB94_95
; %bb.93:
	s_lshl_b32 s4, s8, 3
	s_mul_i32 s6, s8, 12
	s_add_u32 s4, s18, s4
	s_addc_u32 s5, s19, 0
	s_add_u32 s4, s4, 0xc4
	s_addc_u32 s5, s5, 0
	;; [unrolled: 2-line block ×3, first 2 shown]
	.p2align	6
.LBB94_94:                              ; =>This Inner Loop Header: Depth=1
	s_clause 0x1
	s_load_dwordx2 s[10:11], s[6:7], 0x4
	s_load_dword s8, s[6:7], 0xc
	s_load_dwordx2 s[12:13], s[4:5], 0x0
	s_add_u32 s6, s6, 12
	s_addc_u32 s7, s7, 0
	s_add_u32 s4, s4, 8
	s_addc_u32 s5, s5, 0
	s_add_i32 s9, s9, -1
	s_cmp_lg_u32 s9, 0
	s_waitcnt lgkmcnt(0)
	v_mul_hi_u32 v1, s11, v0
	v_add_nc_u32_e32 v1, v0, v1
	v_lshrrev_b32_e32 v1, s8, v1
	v_mul_lo_u32 v2, v1, s10
	v_sub_nc_u32_e32 v0, v0, v2
	v_mad_u64_u32 v[18:19], null, v0, s12, v[18:19]
	v_mad_u64_u32 v[4:5], null, v0, s13, v[4:5]
	v_mov_b32_e32 v0, v1
	s_cbranch_scc1 .LBB94_94
.LBB94_95:
	s_cbranch_execnz .LBB94_98
.LBB94_96:
	s_waitcnt lgkmcnt(0)
	v_mul_hi_u32 v0, s25, v20
	s_andn2_b32 vcc_lo, exec_lo, s44
	v_add_nc_u32_e32 v0, v20, v0
	v_lshrrev_b32_e32 v0, s26, v0
	v_mul_lo_u32 v1, v0, s24
	v_sub_nc_u32_e32 v1, v20, v1
	v_mul_lo_u32 v18, v1, s36
	v_mul_lo_u32 v4, v1, s37
	s_cbranch_vccnz .LBB94_98
; %bb.97:
	v_mul_hi_u32 v1, s34, v0
	v_add_nc_u32_e32 v1, v0, v1
	v_lshrrev_b32_e32 v1, s35, v1
	v_mul_lo_u32 v1, v1, s27
	v_sub_nc_u32_e32 v0, v0, v1
	v_mad_u64_u32 v[18:19], null, v0, s38, v[18:19]
	v_mad_u64_u32 v[4:5], null, v0, s39, v[4:5]
.LBB94_98:
	s_waitcnt lgkmcnt(0)
	v_mov_b32_e32 v0, s28
	v_mov_b32_e32 v1, s29
	;; [unrolled: 1-line block ×4, first 2 shown]
	s_getpc_b64 s[4:5]
	s_add_u32 s4, s4, _ZN2at6native6invokeIZZZNS0_21polygamma_kernel_cudaERNS_18TensorIteratorBaseElENKUlvE_clEvENKUlvE0_clEvEUlfE_j15function_traitsIS6_EEENT1_11result_typeERKT_PrKPcPKT0_i@rel32@lo+4
	s_addc_u32 s5, s5, _ZN2at6native6invokeIZZZNS0_21polygamma_kernel_cudaERNS_18TensorIteratorBaseElENKUlvE_clEvENKUlvE0_clEvEUlfE_j15function_traitsIS6_EEENT1_11result_typeERKT_PrKPcPKT0_i@rel32@hi+12
	s_swappc_b64 s[30:31], s[4:5]
	v_add_nc_u32_e32 v20, 0x80, v20
	global_store_dword v18, v0, s[20:21]
	s_or_b32 exec_lo, exec_lo, s48
	s_mov_b32 s48, exec_lo
	v_cmpx_gt_i32_e64 s45, v20
	s_cbranch_execnz .LBB94_84
.LBB94_99:
	s_or_b32 exec_lo, exec_lo, s48
	v_cmp_gt_i32_e32 vcc_lo, s45, v20
	s_and_saveexec_b32 s45, vcc_lo
	s_cbranch_execnz .LBB94_110
.LBB94_100:
	s_or_b32 exec_lo, exec_lo, s45
                                        ; implicit-def: $vgpr0
                                        ; implicit-def: $vgpr20
	s_andn2_saveexec_b32 s4, s43
	s_cbranch_execnz .LBB94_8
.LBB94_101:
	s_endpgm
.LBB94_102:
	v_mov_b32_e32 v18, 0
	v_mov_b32_e32 v4, 0
	;; [unrolled: 1-line block ×3, first 2 shown]
	s_mov_b32 s8, 0
.LBB94_103:
	s_and_b32 s9, s9, 3
	s_cmp_eq_u32 s9, 0
	s_cbranch_scc1 .LBB94_106
; %bb.104:
	s_lshl_b32 s4, s8, 3
	s_mul_i32 s6, s8, 12
	s_add_u32 s4, s18, s4
	s_addc_u32 s5, s19, 0
	s_add_u32 s4, s4, 0xc4
	s_addc_u32 s5, s5, 0
	;; [unrolled: 2-line block ×3, first 2 shown]
	.p2align	6
.LBB94_105:                             ; =>This Inner Loop Header: Depth=1
	s_clause 0x1
	s_load_dwordx2 s[10:11], s[6:7], 0x4
	s_load_dword s8, s[6:7], 0xc
	s_load_dwordx2 s[12:13], s[4:5], 0x0
	s_add_u32 s6, s6, 12
	s_addc_u32 s7, s7, 0
	s_add_u32 s4, s4, 8
	s_addc_u32 s5, s5, 0
	s_add_i32 s9, s9, -1
	s_cmp_lg_u32 s9, 0
	s_waitcnt lgkmcnt(0)
	v_mul_hi_u32 v1, s11, v0
	v_add_nc_u32_e32 v1, v0, v1
	v_lshrrev_b32_e32 v1, s8, v1
	v_mul_lo_u32 v2, v1, s10
	v_sub_nc_u32_e32 v0, v0, v2
	v_mad_u64_u32 v[18:19], null, v0, s12, v[18:19]
	v_mad_u64_u32 v[4:5], null, v0, s13, v[4:5]
	v_mov_b32_e32 v0, v1
	s_cbranch_scc1 .LBB94_105
.LBB94_106:
	s_cbranch_execnz .LBB94_109
.LBB94_107:
	s_waitcnt lgkmcnt(0)
	v_mul_hi_u32 v0, s25, v20
	s_andn2_b32 vcc_lo, exec_lo, s44
	v_add_nc_u32_e32 v0, v20, v0
	v_lshrrev_b32_e32 v0, s26, v0
	v_mul_lo_u32 v1, v0, s24
	v_sub_nc_u32_e32 v1, v20, v1
	v_mul_lo_u32 v18, v1, s36
	v_mul_lo_u32 v4, v1, s37
	s_cbranch_vccnz .LBB94_109
; %bb.108:
	v_mul_hi_u32 v1, s34, v0
	v_add_nc_u32_e32 v1, v0, v1
	v_lshrrev_b32_e32 v1, s35, v1
	v_mul_lo_u32 v1, v1, s27
	v_sub_nc_u32_e32 v0, v0, v1
	v_mad_u64_u32 v[18:19], null, v0, s38, v[18:19]
	v_mad_u64_u32 v[4:5], null, v0, s39, v[4:5]
.LBB94_109:
	s_waitcnt lgkmcnt(0)
	v_mov_b32_e32 v0, s28
	v_mov_b32_e32 v1, s29
	;; [unrolled: 1-line block ×4, first 2 shown]
	s_getpc_b64 s[4:5]
	s_add_u32 s4, s4, _ZN2at6native6invokeIZZZNS0_21polygamma_kernel_cudaERNS_18TensorIteratorBaseElENKUlvE_clEvENKUlvE0_clEvEUlfE_j15function_traitsIS6_EEENT1_11result_typeERKT_PrKPcPKT0_i@rel32@lo+4
	s_addc_u32 s5, s5, _ZN2at6native6invokeIZZZNS0_21polygamma_kernel_cudaERNS_18TensorIteratorBaseElENKUlvE_clEvENKUlvE0_clEvEUlfE_j15function_traitsIS6_EEENT1_11result_typeERKT_PrKPcPKT0_i@rel32@hi+12
	s_swappc_b64 s[30:31], s[4:5]
	v_add_nc_u32_e32 v20, 0x80, v20
	global_store_dword v18, v0, s[20:21]
	s_or_b32 exec_lo, exec_lo, s48
	v_cmp_gt_i32_e32 vcc_lo, s45, v20
	s_and_saveexec_b32 s45, vcc_lo
	s_cbranch_execz .LBB94_100
.LBB94_110:
	s_andn2_b32 vcc_lo, exec_lo, s42
	s_cbranch_vccnz .LBB94_115
; %bb.111:
	s_andn2_b32 vcc_lo, exec_lo, s47
	s_cbranch_vccnz .LBB94_116
; %bb.112:
	s_add_i32 s46, s46, 1
	s_cmp_eq_u32 s33, 2
	s_cbranch_scc1 .LBB94_117
; %bb.113:
	v_mov_b32_e32 v4, 0
	v_mov_b32_e32 v18, 0
	;; [unrolled: 1-line block ×3, first 2 shown]
	s_and_b32 s6, s46, 28
	s_mov_b32 s7, 0
	s_mov_b64 s[4:5], s[18:19]
.LBB94_114:                             ; =>This Inner Loop Header: Depth=1
	s_clause 0x1
	s_load_dwordx8 s[8:15], s[4:5], 0x4
	s_load_dwordx4 s[56:59], s[4:5], 0x24
	s_load_dwordx8 s[48:55], s[40:41], 0x0
	s_add_u32 s4, s4, 48
	s_addc_u32 s5, s5, 0
	s_add_i32 s7, s7, 4
	s_add_u32 s40, s40, 32
	s_addc_u32 s41, s41, 0
	s_cmp_eq_u32 s6, s7
	s_waitcnt lgkmcnt(0)
	v_mul_hi_u32 v1, s9, v0
	v_add_nc_u32_e32 v1, v0, v1
	v_lshrrev_b32_e32 v1, s10, v1
	v_mul_hi_u32 v2, s12, v1
	v_mul_lo_u32 v5, v1, s8
	v_add_nc_u32_e32 v2, v1, v2
	v_sub_nc_u32_e32 v0, v0, v5
	v_lshrrev_b32_e32 v2, s13, v2
	v_mul_lo_u32 v5, v0, s48
	v_mul_lo_u32 v7, v0, s49
	v_mul_hi_u32 v3, s15, v2
	v_add_nc_u32_e32 v3, v2, v3
	v_lshrrev_b32_e32 v3, s56, v3
	v_mul_hi_u32 v6, s58, v3
	v_mul_lo_u32 v8, v3, s14
	v_add_nc_u32_e32 v0, v3, v6
	v_mul_lo_u32 v6, v2, s11
	v_sub_nc_u32_e32 v2, v2, v8
	v_lshrrev_b32_e32 v0, s59, v0
	v_mul_lo_u32 v8, v2, s52
	v_mul_lo_u32 v2, v2, s53
	v_sub_nc_u32_e32 v1, v1, v6
	v_mul_lo_u32 v9, v0, s57
	v_mul_lo_u32 v6, v1, s50
	v_mul_lo_u32 v1, v1, s51
	v_sub_nc_u32_e32 v3, v3, v9
	v_add3_u32 v5, v5, v18, v6
	v_mul_lo_u32 v9, v3, s54
	v_mul_lo_u32 v3, v3, s55
	v_add3_u32 v1, v7, v4, v1
	v_add3_u32 v18, v8, v5, v9
	;; [unrolled: 1-line block ×3, first 2 shown]
	s_cbranch_scc0 .LBB94_114
	s_branch .LBB94_118
.LBB94_115:
                                        ; implicit-def: $vgpr18
                                        ; implicit-def: $vgpr4
	s_branch .LBB94_122
.LBB94_116:
	v_mov_b32_e32 v18, 0
	v_mov_b32_e32 v4, 0
	s_branch .LBB94_121
.LBB94_117:
	v_mov_b32_e32 v18, 0
	v_mov_b32_e32 v4, 0
	;; [unrolled: 1-line block ×3, first 2 shown]
	s_mov_b32 s6, 0
.LBB94_118:
	s_and_b32 s8, s46, 3
	s_cmp_eq_u32 s8, 0
	s_cbranch_scc1 .LBB94_121
; %bb.119:
	s_lshl_b32 s4, s6, 3
	s_mul_i32 s6, s6, 12
	s_add_u32 s4, s18, s4
	s_addc_u32 s5, s19, 0
	s_add_u32 s4, s4, 0xc4
	s_addc_u32 s5, s5, 0
	;; [unrolled: 2-line block ×3, first 2 shown]
	.p2align	6
.LBB94_120:                             ; =>This Inner Loop Header: Depth=1
	s_clause 0x1
	s_load_dwordx2 s[10:11], s[6:7], 0x4
	s_load_dword s9, s[6:7], 0xc
	s_load_dwordx2 s[12:13], s[4:5], 0x0
	s_add_u32 s6, s6, 12
	s_addc_u32 s7, s7, 0
	s_add_u32 s4, s4, 8
	s_addc_u32 s5, s5, 0
	s_add_i32 s8, s8, -1
	s_cmp_lg_u32 s8, 0
	s_waitcnt lgkmcnt(0)
	v_mul_hi_u32 v1, s11, v0
	v_add_nc_u32_e32 v1, v0, v1
	v_lshrrev_b32_e32 v1, s9, v1
	v_mul_lo_u32 v2, v1, s10
	v_sub_nc_u32_e32 v0, v0, v2
	v_mad_u64_u32 v[18:19], null, v0, s12, v[18:19]
	v_mad_u64_u32 v[4:5], null, v0, s13, v[4:5]
	v_mov_b32_e32 v0, v1
	s_cbranch_scc1 .LBB94_120
.LBB94_121:
	s_cbranch_execnz .LBB94_124
.LBB94_122:
	s_waitcnt lgkmcnt(0)
	v_mul_hi_u32 v0, s25, v20
	s_andn2_b32 vcc_lo, exec_lo, s44
	v_add_nc_u32_e32 v0, v20, v0
	v_lshrrev_b32_e32 v0, s26, v0
	v_mul_lo_u32 v1, v0, s24
	v_sub_nc_u32_e32 v1, v20, v1
	v_mul_lo_u32 v18, v1, s36
	v_mul_lo_u32 v4, v1, s37
	s_cbranch_vccnz .LBB94_124
; %bb.123:
	v_mul_hi_u32 v1, s34, v0
	v_add_nc_u32_e32 v1, v0, v1
	v_lshrrev_b32_e32 v1, s35, v1
	v_mul_lo_u32 v1, v1, s27
	v_sub_nc_u32_e32 v0, v0, v1
	v_mad_u64_u32 v[18:19], null, v0, s38, v[18:19]
	v_mad_u64_u32 v[4:5], null, v0, s39, v[4:5]
.LBB94_124:
	s_waitcnt lgkmcnt(0)
	v_mov_b32_e32 v0, s28
	v_mov_b32_e32 v1, s29
	;; [unrolled: 1-line block ×4, first 2 shown]
	s_getpc_b64 s[4:5]
	s_add_u32 s4, s4, _ZN2at6native6invokeIZZZNS0_21polygamma_kernel_cudaERNS_18TensorIteratorBaseElENKUlvE_clEvENKUlvE0_clEvEUlfE_j15function_traitsIS6_EEENT1_11result_typeERKT_PrKPcPKT0_i@rel32@lo+4
	s_addc_u32 s5, s5, _ZN2at6native6invokeIZZZNS0_21polygamma_kernel_cudaERNS_18TensorIteratorBaseElENKUlvE_clEvENKUlvE0_clEvEUlfE_j15function_traitsIS6_EEENT1_11result_typeERKT_PrKPcPKT0_i@rel32@hi+12
	s_swappc_b64 s[30:31], s[4:5]
	global_store_dword v18, v0, s[20:21]
	s_or_b32 exec_lo, exec_lo, s45
                                        ; implicit-def: $vgpr0
                                        ; implicit-def: $vgpr20
	s_andn2_saveexec_b32 s4, s43
	s_cbranch_execz .LBB94_101
	s_branch .LBB94_8
	.section	.rodata,"a",@progbits
	.p2align	6, 0x0
	.amdhsa_kernel _ZN2at6native32elementwise_kernel_manual_unrollILi128ELi4EZNS0_22gpu_kernel_impl_nocastIZZZNS0_21polygamma_kernel_cudaERNS_18TensorIteratorBaseElENKUlvE_clEvENKUlvE0_clEvEUlfE_EEvS4_RKT_EUlibE_EEviT1_
		.amdhsa_group_segment_fixed_size 0
		.amdhsa_private_segment_fixed_size 0
		.amdhsa_kernarg_size 360
		.amdhsa_user_sgpr_count 6
		.amdhsa_user_sgpr_private_segment_buffer 1
		.amdhsa_user_sgpr_dispatch_ptr 0
		.amdhsa_user_sgpr_queue_ptr 0
		.amdhsa_user_sgpr_kernarg_segment_ptr 1
		.amdhsa_user_sgpr_dispatch_id 0
		.amdhsa_user_sgpr_flat_scratch_init 0
		.amdhsa_user_sgpr_private_segment_size 0
		.amdhsa_wavefront_size32 1
		.amdhsa_uses_dynamic_stack 0
		.amdhsa_system_sgpr_private_segment_wavefront_offset 0
		.amdhsa_system_sgpr_workgroup_id_x 1
		.amdhsa_system_sgpr_workgroup_id_y 0
		.amdhsa_system_sgpr_workgroup_id_z 0
		.amdhsa_system_sgpr_workgroup_info 0
		.amdhsa_system_vgpr_workitem_id 0
		.amdhsa_next_free_vgpr 27
		.amdhsa_next_free_sgpr 68
		.amdhsa_reserve_vcc 1
		.amdhsa_reserve_flat_scratch 0
		.amdhsa_float_round_mode_32 0
		.amdhsa_float_round_mode_16_64 0
		.amdhsa_float_denorm_mode_32 3
		.amdhsa_float_denorm_mode_16_64 3
		.amdhsa_dx10_clamp 1
		.amdhsa_ieee_mode 1
		.amdhsa_fp16_overflow 0
		.amdhsa_workgroup_processor_mode 1
		.amdhsa_memory_ordered 1
		.amdhsa_forward_progress 1
		.amdhsa_shared_vgpr_count 0
		.amdhsa_exception_fp_ieee_invalid_op 0
		.amdhsa_exception_fp_denorm_src 0
		.amdhsa_exception_fp_ieee_div_zero 0
		.amdhsa_exception_fp_ieee_overflow 0
		.amdhsa_exception_fp_ieee_underflow 0
		.amdhsa_exception_fp_ieee_inexact 0
		.amdhsa_exception_int_div_zero 0
	.end_amdhsa_kernel
	.section	.text._ZN2at6native32elementwise_kernel_manual_unrollILi128ELi4EZNS0_22gpu_kernel_impl_nocastIZZZNS0_21polygamma_kernel_cudaERNS_18TensorIteratorBaseElENKUlvE_clEvENKUlvE0_clEvEUlfE_EEvS4_RKT_EUlibE_EEviT1_,"axG",@progbits,_ZN2at6native32elementwise_kernel_manual_unrollILi128ELi4EZNS0_22gpu_kernel_impl_nocastIZZZNS0_21polygamma_kernel_cudaERNS_18TensorIteratorBaseElENKUlvE_clEvENKUlvE0_clEvEUlfE_EEvS4_RKT_EUlibE_EEviT1_,comdat
.Lfunc_end94:
	.size	_ZN2at6native32elementwise_kernel_manual_unrollILi128ELi4EZNS0_22gpu_kernel_impl_nocastIZZZNS0_21polygamma_kernel_cudaERNS_18TensorIteratorBaseElENKUlvE_clEvENKUlvE0_clEvEUlfE_EEvS4_RKT_EUlibE_EEviT1_, .Lfunc_end94-_ZN2at6native32elementwise_kernel_manual_unrollILi128ELi4EZNS0_22gpu_kernel_impl_nocastIZZZNS0_21polygamma_kernel_cudaERNS_18TensorIteratorBaseElENKUlvE_clEvENKUlvE0_clEvEUlfE_EEvS4_RKT_EUlibE_EEviT1_
                                        ; -- End function
	.set _ZN2at6native32elementwise_kernel_manual_unrollILi128ELi4EZNS0_22gpu_kernel_impl_nocastIZZZNS0_21polygamma_kernel_cudaERNS_18TensorIteratorBaseElENKUlvE_clEvENKUlvE0_clEvEUlfE_EEvS4_RKT_EUlibE_EEviT1_.num_vgpr, max(27, .L_ZN2at6native6invokeIZZZNS0_21polygamma_kernel_cudaERNS_18TensorIteratorBaseElENKUlvE_clEvENKUlvE0_clEvEUlfE_j15function_traitsIS6_EEENT1_11result_typeERKT_PrKPcPKT0_i.num_vgpr)
	.set _ZN2at6native32elementwise_kernel_manual_unrollILi128ELi4EZNS0_22gpu_kernel_impl_nocastIZZZNS0_21polygamma_kernel_cudaERNS_18TensorIteratorBaseElENKUlvE_clEvENKUlvE0_clEvEUlfE_EEvS4_RKT_EUlibE_EEviT1_.num_agpr, max(0, .L_ZN2at6native6invokeIZZZNS0_21polygamma_kernel_cudaERNS_18TensorIteratorBaseElENKUlvE_clEvENKUlvE0_clEvEUlfE_j15function_traitsIS6_EEENT1_11result_typeERKT_PrKPcPKT0_i.num_agpr)
	.set _ZN2at6native32elementwise_kernel_manual_unrollILi128ELi4EZNS0_22gpu_kernel_impl_nocastIZZZNS0_21polygamma_kernel_cudaERNS_18TensorIteratorBaseElENKUlvE_clEvENKUlvE0_clEvEUlfE_EEvS4_RKT_EUlibE_EEviT1_.numbered_sgpr, max(68, .L_ZN2at6native6invokeIZZZNS0_21polygamma_kernel_cudaERNS_18TensorIteratorBaseElENKUlvE_clEvENKUlvE0_clEvEUlfE_j15function_traitsIS6_EEENT1_11result_typeERKT_PrKPcPKT0_i.numbered_sgpr)
	.set _ZN2at6native32elementwise_kernel_manual_unrollILi128ELi4EZNS0_22gpu_kernel_impl_nocastIZZZNS0_21polygamma_kernel_cudaERNS_18TensorIteratorBaseElENKUlvE_clEvENKUlvE0_clEvEUlfE_EEvS4_RKT_EUlibE_EEviT1_.num_named_barrier, max(0, .L_ZN2at6native6invokeIZZZNS0_21polygamma_kernel_cudaERNS_18TensorIteratorBaseElENKUlvE_clEvENKUlvE0_clEvEUlfE_j15function_traitsIS6_EEENT1_11result_typeERKT_PrKPcPKT0_i.num_named_barrier)
	.set _ZN2at6native32elementwise_kernel_manual_unrollILi128ELi4EZNS0_22gpu_kernel_impl_nocastIZZZNS0_21polygamma_kernel_cudaERNS_18TensorIteratorBaseElENKUlvE_clEvENKUlvE0_clEvEUlfE_EEvS4_RKT_EUlibE_EEviT1_.private_seg_size, 0+max(.L_ZN2at6native6invokeIZZZNS0_21polygamma_kernel_cudaERNS_18TensorIteratorBaseElENKUlvE_clEvENKUlvE0_clEvEUlfE_j15function_traitsIS6_EEENT1_11result_typeERKT_PrKPcPKT0_i.private_seg_size)
	.set _ZN2at6native32elementwise_kernel_manual_unrollILi128ELi4EZNS0_22gpu_kernel_impl_nocastIZZZNS0_21polygamma_kernel_cudaERNS_18TensorIteratorBaseElENKUlvE_clEvENKUlvE0_clEvEUlfE_EEvS4_RKT_EUlibE_EEviT1_.uses_vcc, or(1, .L_ZN2at6native6invokeIZZZNS0_21polygamma_kernel_cudaERNS_18TensorIteratorBaseElENKUlvE_clEvENKUlvE0_clEvEUlfE_j15function_traitsIS6_EEENT1_11result_typeERKT_PrKPcPKT0_i.uses_vcc)
	.set _ZN2at6native32elementwise_kernel_manual_unrollILi128ELi4EZNS0_22gpu_kernel_impl_nocastIZZZNS0_21polygamma_kernel_cudaERNS_18TensorIteratorBaseElENKUlvE_clEvENKUlvE0_clEvEUlfE_EEvS4_RKT_EUlibE_EEviT1_.uses_flat_scratch, or(0, .L_ZN2at6native6invokeIZZZNS0_21polygamma_kernel_cudaERNS_18TensorIteratorBaseElENKUlvE_clEvENKUlvE0_clEvEUlfE_j15function_traitsIS6_EEENT1_11result_typeERKT_PrKPcPKT0_i.uses_flat_scratch)
	.set _ZN2at6native32elementwise_kernel_manual_unrollILi128ELi4EZNS0_22gpu_kernel_impl_nocastIZZZNS0_21polygamma_kernel_cudaERNS_18TensorIteratorBaseElENKUlvE_clEvENKUlvE0_clEvEUlfE_EEvS4_RKT_EUlibE_EEviT1_.has_dyn_sized_stack, or(0, .L_ZN2at6native6invokeIZZZNS0_21polygamma_kernel_cudaERNS_18TensorIteratorBaseElENKUlvE_clEvENKUlvE0_clEvEUlfE_j15function_traitsIS6_EEENT1_11result_typeERKT_PrKPcPKT0_i.has_dyn_sized_stack)
	.set _ZN2at6native32elementwise_kernel_manual_unrollILi128ELi4EZNS0_22gpu_kernel_impl_nocastIZZZNS0_21polygamma_kernel_cudaERNS_18TensorIteratorBaseElENKUlvE_clEvENKUlvE0_clEvEUlfE_EEvS4_RKT_EUlibE_EEviT1_.has_recursion, or(0, .L_ZN2at6native6invokeIZZZNS0_21polygamma_kernel_cudaERNS_18TensorIteratorBaseElENKUlvE_clEvENKUlvE0_clEvEUlfE_j15function_traitsIS6_EEENT1_11result_typeERKT_PrKPcPKT0_i.has_recursion)
	.set _ZN2at6native32elementwise_kernel_manual_unrollILi128ELi4EZNS0_22gpu_kernel_impl_nocastIZZZNS0_21polygamma_kernel_cudaERNS_18TensorIteratorBaseElENKUlvE_clEvENKUlvE0_clEvEUlfE_EEvS4_RKT_EUlibE_EEviT1_.has_indirect_call, or(0, .L_ZN2at6native6invokeIZZZNS0_21polygamma_kernel_cudaERNS_18TensorIteratorBaseElENKUlvE_clEvENKUlvE0_clEvEUlfE_j15function_traitsIS6_EEENT1_11result_typeERKT_PrKPcPKT0_i.has_indirect_call)
	.section	.AMDGPU.csdata,"",@progbits
; Kernel info:
; codeLenInByte = 6360
; TotalNumSgprs: 70
; NumVgprs: 27
; ScratchSize: 0
; MemoryBound: 0
; FloatMode: 240
; IeeeMode: 1
; LDSByteSize: 0 bytes/workgroup (compile time only)
; SGPRBlocks: 0
; VGPRBlocks: 3
; NumSGPRsForWavesPerEU: 70
; NumVGPRsForWavesPerEU: 27
; Occupancy: 16
; WaveLimiterHint : 1
; COMPUTE_PGM_RSRC2:SCRATCH_EN: 0
; COMPUTE_PGM_RSRC2:USER_SGPR: 6
; COMPUTE_PGM_RSRC2:TRAP_HANDLER: 0
; COMPUTE_PGM_RSRC2:TGID_X_EN: 1
; COMPUTE_PGM_RSRC2:TGID_Y_EN: 0
; COMPUTE_PGM_RSRC2:TGID_Z_EN: 0
; COMPUTE_PGM_RSRC2:TIDIG_COMP_CNT: 0
	.text
	.p2align	2                               ; -- Begin function _ZN2at6native6invokeIZZZNS0_21polygamma_kernel_cudaERNS_18TensorIteratorBaseElENKUlvE_clEvENKUlvE0_clEvEUlfE_i15function_traitsIS6_EEENT1_11result_typeERKT_PrKPcPKT0_PKN3c1010ScalarTypeEi
	.type	_ZN2at6native6invokeIZZZNS0_21polygamma_kernel_cudaERNS_18TensorIteratorBaseElENKUlvE_clEvENKUlvE0_clEvEUlfE_i15function_traitsIS6_EEENT1_11result_typeERKT_PrKPcPKT0_PKN3c1010ScalarTypeEi,@function
_ZN2at6native6invokeIZZZNS0_21polygamma_kernel_cudaERNS_18TensorIteratorBaseElENKUlvE_clEvENKUlvE0_clEvEUlfE_i15function_traitsIS6_EEENT1_11result_typeERKT_PrKPcPKT0_PKN3c1010ScalarTypeEi: ; @_ZN2at6native6invokeIZZZNS0_21polygamma_kernel_cudaERNS_18TensorIteratorBaseElENKUlvE_clEvENKUlvE0_clEvEUlfE_i15function_traitsIS6_EEENT1_11result_typeERKT_PrKPcPKT0_PKN3c1010ScalarTypeEi
; %bb.0:
	s_waitcnt vmcnt(0) expcnt(0) lgkmcnt(0)
	v_mul_lo_u32 v1, v6, v4
	v_mov_b32_e32 v6, 10
	s_mov_b32 s5, 0
	v_cmp_gt_i16_sdwa s4, v5, v6 src0_sel:BYTE_0 src1_sel:DWORD
	v_ashrrev_i32_e32 v4, 31, v1
	v_add_co_u32 v1, vcc_lo, v2, v1
	v_add_co_ci_u32_e64 v2, null, v3, v4, vcc_lo
                                        ; implicit-def: $vgpr3
	s_and_saveexec_b32 s6, s4
	s_xor_b32 s4, exec_lo, s6
	s_cbranch_execnz .LBB95_4
; %bb.1:
	s_andn2_saveexec_b32 s4, s4
	s_cbranch_execnz .LBB95_10
.LBB95_2:
	s_or_b32 exec_lo, exec_lo, s4
                                        ; implicit-def: $vgpr1
	s_and_saveexec_b32 s8, s5
	s_cbranch_execnz .LBB95_51
.LBB95_3:
	s_or_b32 exec_lo, exec_lo, s8
	v_mov_b32_e32 v0, v1
	s_waitcnt vmcnt(0) lgkmcnt(0)
	s_setpc_b64 s[30:31]
.LBB95_4:
	v_mov_b32_e32 v3, 25
	s_mov_b32 s8, 0
	s_mov_b32 s7, 0
	v_cmp_gt_i16_sdwa s6, v5, v3 src0_sel:BYTE_0 src1_sel:DWORD
                                        ; implicit-def: $vgpr3
	s_and_saveexec_b32 s9, s6
	s_xor_b32 s6, exec_lo, s9
	s_cbranch_execnz .LBB95_96
; %bb.5:
	s_andn2_saveexec_b32 s6, s6
	s_cbranch_execnz .LBB95_127
.LBB95_6:
	s_or_b32 exec_lo, exec_lo, s6
	s_and_saveexec_b32 s6, s8
	s_cbranch_execnz .LBB95_150
.LBB95_7:
	s_or_b32 exec_lo, exec_lo, s6
	s_and_saveexec_b32 s6, s5
	s_xor_b32 s5, exec_lo, s6
	s_cbranch_execz .LBB95_9
.LBB95_8:
	flat_load_ubyte v1, v[1:2]
	s_or_b32 s7, s7, exec_lo
	s_waitcnt vmcnt(0) lgkmcnt(0)
	v_cmp_ne_u16_e32 vcc_lo, 0, v1
	v_cndmask_b32_e64 v3, 0, 1.0, vcc_lo
.LBB95_9:
	s_or_b32 exec_lo, exec_lo, s5
	s_and_b32 s5, s7, exec_lo
                                        ; implicit-def: $vgpr5
                                        ; implicit-def: $vgpr1_vgpr2
	s_andn2_saveexec_b32 s4, s4
	s_cbranch_execz .LBB95_2
.LBB95_10:
	v_mov_b32_e32 v3, 4
	v_cmp_gt_i16_sdwa s6, v5, v3 src0_sel:BYTE_0 src1_sel:DWORD
                                        ; implicit-def: $vgpr3
	s_and_saveexec_b32 s7, s6
	s_xor_b32 s6, exec_lo, s7
	s_cbranch_execz .LBB95_32
; %bb.11:
	v_mov_b32_e32 v3, 7
	v_cmp_gt_i16_sdwa s7, v5, v3 src0_sel:BYTE_0 src1_sel:DWORD
                                        ; implicit-def: $vgpr3
	s_and_saveexec_b32 s8, s7
	s_xor_b32 s7, exec_lo, s8
	s_cbranch_execz .LBB95_21
; %bb.12:
	;; [unrolled: 7-line block ×4, first 2 shown]
	flat_load_dwordx2 v[1:2], v[1:2]
	s_waitcnt vmcnt(0) lgkmcnt(0)
	v_cvt_f32_f64_e32 v3, v[1:2]
                                        ; implicit-def: $vgpr1_vgpr2
.LBB95_15:
	s_andn2_saveexec_b32 s9, s9
	s_cbranch_execz .LBB95_17
; %bb.16:
	flat_load_dword v3, v[1:2]
.LBB95_17:
	s_or_b32 exec_lo, exec_lo, s9
                                        ; implicit-def: $vgpr1_vgpr2
.LBB95_18:
	s_andn2_saveexec_b32 s8, s8
	s_cbranch_execz .LBB95_20
; %bb.19:
	flat_load_dword v1, v[1:2]
	s_waitcnt vmcnt(0) lgkmcnt(0)
	v_cvt_f32_f16_e32 v3, v1
.LBB95_20:
	s_or_b32 exec_lo, exec_lo, s8
                                        ; implicit-def: $vgpr1_vgpr2
                                        ; implicit-def: $vgpr5
.LBB95_21:
	s_andn2_saveexec_b32 s7, s7
	s_cbranch_execz .LBB95_31
; %bb.22:
	s_waitcnt vmcnt(0) lgkmcnt(0)
	v_mov_b32_e32 v3, 5
	v_cmp_gt_i16_sdwa s8, v5, v3 src0_sel:BYTE_0 src1_sel:DWORD
                                        ; implicit-def: $vgpr3
	s_and_saveexec_b32 s9, s8
	s_xor_b32 s8, exec_lo, s9
	s_cbranch_execz .LBB95_28
; %bb.23:
	v_mov_b32_e32 v3, 6
	v_cmp_gt_i16_sdwa s9, v5, v3 src0_sel:BYTE_0 src1_sel:DWORD
                                        ; implicit-def: $vgpr3
	s_and_saveexec_b32 s10, s9
	s_xor_b32 s9, exec_lo, s10
	s_cbranch_execz .LBB95_25
; %bb.24:
	flat_load_dwordx2 v[1:2], v[1:2]
	s_waitcnt vmcnt(0) lgkmcnt(0)
	v_cvt_f32_f64_e32 v3, v[1:2]
                                        ; implicit-def: $vgpr1_vgpr2
.LBB95_25:
	s_andn2_saveexec_b32 s9, s9
	s_cbranch_execz .LBB95_27
; %bb.26:
	flat_load_dword v3, v[1:2]
.LBB95_27:
	s_or_b32 exec_lo, exec_lo, s9
                                        ; implicit-def: $vgpr1_vgpr2
.LBB95_28:
	s_andn2_saveexec_b32 s8, s8
	s_cbranch_execz .LBB95_30
; %bb.29:
	flat_load_ushort v1, v[1:2]
	s_waitcnt vmcnt(0) lgkmcnt(0)
	v_cvt_f32_f16_e32 v3, v1
.LBB95_30:
	s_or_b32 exec_lo, exec_lo, s8
.LBB95_31:
	s_or_b32 exec_lo, exec_lo, s7
                                        ; implicit-def: $vgpr5
                                        ; implicit-def: $vgpr1_vgpr2
.LBB95_32:
	s_andn2_saveexec_b32 s6, s6
	s_cbranch_execz .LBB95_50
; %bb.33:
	s_waitcnt vmcnt(0) lgkmcnt(0)
	v_mov_b32_e32 v3, 1
	v_cmp_gt_i16_sdwa s7, v5, v3 src0_sel:BYTE_0 src1_sel:DWORD
                                        ; implicit-def: $vgpr3
	s_and_saveexec_b32 s8, s7
	s_xor_b32 s7, exec_lo, s8
	s_cbranch_execz .LBB95_43
; %bb.34:
	v_mov_b32_e32 v3, 2
	v_cmp_gt_i16_sdwa s8, v5, v3 src0_sel:BYTE_0 src1_sel:DWORD
                                        ; implicit-def: $vgpr3
	s_and_saveexec_b32 s9, s8
	s_xor_b32 s8, exec_lo, s9
	s_cbranch_execz .LBB95_40
; %bb.35:
	;; [unrolled: 7-line block ×3, first 2 shown]
	flat_load_dwordx2 v[1:2], v[1:2]
	s_waitcnt vmcnt(0) lgkmcnt(0)
	v_xor_b32_e32 v3, v1, v2
	v_ffbh_i32_e32 v4, v2
	v_ashrrev_i32_e32 v3, 31, v3
	v_add_nc_u32_e32 v4, -1, v4
	v_add_nc_u32_e32 v3, 32, v3
	v_min_u32_e32 v3, v4, v3
	v_lshlrev_b64 v[1:2], v3, v[1:2]
	v_min_u32_e32 v1, 1, v1
	v_or_b32_e32 v1, v2, v1
	v_sub_nc_u32_e32 v2, 32, v3
	v_cvt_f32_i32_e32 v1, v1
	v_ldexp_f32 v3, v1, v2
                                        ; implicit-def: $vgpr1_vgpr2
.LBB95_37:
	s_andn2_saveexec_b32 s9, s9
	s_cbranch_execz .LBB95_39
; %bb.38:
	flat_load_dword v1, v[1:2]
	s_waitcnt vmcnt(0) lgkmcnt(0)
	v_cvt_f32_i32_e32 v3, v1
.LBB95_39:
	s_or_b32 exec_lo, exec_lo, s9
                                        ; implicit-def: $vgpr1_vgpr2
.LBB95_40:
	s_andn2_saveexec_b32 s8, s8
	s_cbranch_execz .LBB95_42
; %bb.41:
	flat_load_sshort v1, v[1:2]
	s_waitcnt vmcnt(0) lgkmcnt(0)
	v_cvt_f32_i32_e32 v3, v1
.LBB95_42:
	s_or_b32 exec_lo, exec_lo, s8
                                        ; implicit-def: $vgpr1_vgpr2
                                        ; implicit-def: $vgpr5
.LBB95_43:
	s_andn2_saveexec_b32 s7, s7
	s_cbranch_execz .LBB95_49
; %bb.44:
	v_mov_b32_e32 v3, 0
	v_cmp_gt_i16_sdwa s8, v5, v3 src0_sel:BYTE_0 src1_sel:DWORD
                                        ; implicit-def: $vgpr3
	s_and_saveexec_b32 s9, s8
	s_xor_b32 s8, exec_lo, s9
	s_cbranch_execz .LBB95_46
; %bb.45:
	flat_load_sbyte v1, v[1:2]
	s_waitcnt vmcnt(0) lgkmcnt(0)
	v_cvt_f32_i32_e32 v3, v1
                                        ; implicit-def: $vgpr1_vgpr2
.LBB95_46:
	s_andn2_saveexec_b32 s8, s8
	s_cbranch_execz .LBB95_48
; %bb.47:
	flat_load_ubyte v1, v[1:2]
	s_waitcnt vmcnt(0) lgkmcnt(0)
	v_cvt_f32_ubyte0_e32 v3, v1
.LBB95_48:
	s_or_b32 exec_lo, exec_lo, s8
.LBB95_49:
	s_or_b32 exec_lo, exec_lo, s7
.LBB95_50:
	s_or_b32 exec_lo, exec_lo, s6
	s_or_b32 s5, s5, exec_lo
	s_or_b32 exec_lo, exec_lo, s4
                                        ; implicit-def: $vgpr1
	s_and_saveexec_b32 s8, s5
	s_cbranch_execz .LBB95_3
.LBB95_51:
	v_cvt_f32_i32_e32 v1, v0
	s_mov_b32 s5, exec_lo
                                        ; implicit-def: $vgpr2
	v_add_f32_e32 v1, 1.0, v1
	v_and_b32_e32 v4, 0x7fffffff, v1
	v_cmpx_ngt_f32_e64 0x3c800000, |v1|
	s_xor_b32 s5, exec_lo, s5
	s_cbranch_execz .LBB95_81
; %bb.52:
	s_mov_b32 s6, exec_lo
                                        ; implicit-def: $vgpr2
	v_cmpx_nlt_f32_e64 |v1|, 2.0
	s_xor_b32 s6, exec_lo, s6
	s_cbranch_execz .LBB95_62
; %bb.53:
	v_cmp_ngt_f32_e64 s4, 0x41000000, |v1|
                                        ; implicit-def: $vgpr2
	s_and_saveexec_b32 s7, s4
	s_xor_b32 s4, exec_lo, s7
	s_cbranch_execz .LBB95_59
; %bb.54:
	v_cmp_ngt_f32_e64 s7, 0x5c800000, |v1|
                                        ; implicit-def: $vgpr2
	s_and_saveexec_b32 s9, s7
	s_xor_b32 s7, exec_lo, s9
	s_cbranch_execz .LBB95_56
; %bb.55:
	v_cmp_gt_f32_e64 s9, 0x800000, |v1|
	v_cndmask_b32_e64 v2, 0, 32, s9
	v_ldexp_f32 v2, |v1|, v2
	v_log_f32_e32 v2, v2
	v_mul_f32_e32 v5, 0x3f317217, v2
	v_cmp_gt_f32_e64 vcc_lo, 0x7f800000, |v2|
	v_fma_f32 v6, 0x3f317217, v2, -v5
	v_fmamk_f32 v6, v2, 0x3377d1cf, v6
	v_add_f32_e32 v5, v5, v6
	v_cndmask_b32_e32 v2, v2, v5, vcc_lo
	v_cndmask_b32_e64 v5, 0, 0x41b17218, s9
	v_sub_f32_e32 v2, v2, v5
	v_fma_f32 v2, |v1|, v2, -|v1|
.LBB95_56:
	s_andn2_saveexec_b32 s7, s7
	s_cbranch_execz .LBB95_58
; %bb.57:
	v_cmp_gt_f32_e64 s9, 0x800000, |v1|
	v_rcp_f32_e64 v5, |v1|
	s_mov_b32 s10, 0xbad5c4e8
	v_cndmask_b32_e64 v2, 0, 32, s9
	v_ldexp_f32 v2, |v1|, v2
	v_mul_f32_e32 v6, v5, v5
	v_log_f32_e32 v2, v2
	v_fmaak_f32 v8, s10, v6, 0x3a5b3dd2
	v_fmaak_f32 v8, v6, v8, 0xba1c065c
	v_mul_f32_e32 v7, 0x3f317217, v2
	v_fmaak_f32 v8, v6, v8, 0x3a500cfd
	v_cmp_gt_f32_e64 vcc_lo, 0x7f800000, |v2|
	v_fma_f32 v9, 0x3f317217, v2, -v7
	v_fmaak_f32 v8, v6, v8, 0xbb360b61
	v_fmamk_f32 v9, v2, 0x3377d1cf, v9
	v_fmaak_f32 v6, v6, v8, 0x3daaaaab
	v_add_f32_e32 v7, v7, v9
	v_cndmask_b32_e32 v2, v2, v7, vcc_lo
	v_cndmask_b32_e64 v7, 0, 0x41b17218, s9
	v_sub_f32_e32 v7, v2, v7
	v_fmaak_f32 v2, v5, v6, 0x3ed67f1d
	v_add_f32_e64 v5, |v1|, -0.5
	v_add_f32_e32 v6, -1.0, v7
	v_fmac_f32_e32 v2, v5, v6
.LBB95_58:
	s_or_b32 exec_lo, exec_lo, s7
.LBB95_59:
	s_andn2_saveexec_b32 s7, s4
	s_cbranch_execz .LBB95_61
; %bb.60:
	v_cvt_i32_f32_e32 v2, v4
	s_mov_b32 s4, 0x36f5d7bd
	s_mov_b32 s9, 0x3805ff67
	v_cvt_f32_i32_e32 v5, v2
	v_cmp_lt_i32_e32 vcc_lo, 2, v2
	v_sub_f32_e64 v5, |v1|, v5
	v_add_f32_e32 v6, 2.0, v5
	v_add_f32_e32 v7, 0x40400000, v5
	v_add_f32_e32 v8, 4.0, v5
	v_add_f32_e32 v9, 0x40a00000, v5
	v_cndmask_b32_e32 v6, 1.0, v6, vcc_lo
	v_cmp_lt_i32_e32 vcc_lo, 3, v2
	v_cndmask_b32_e32 v7, 1.0, v7, vcc_lo
	v_cmp_lt_i32_e32 vcc_lo, 4, v2
	v_mul_f32_e32 v6, v6, v7
	v_cndmask_b32_e32 v8, 1.0, v8, vcc_lo
	v_cmp_lt_i32_e32 vcc_lo, 5, v2
	v_add_f32_e32 v7, 0x40c00000, v5
	v_mul_f32_e32 v6, v8, v6
	v_cndmask_b32_e32 v9, 1.0, v9, vcc_lo
	v_cmp_lt_i32_e32 vcc_lo, 6, v2
	v_fmaak_f32 v8, s9, v5, 0x3af135b4
	v_mul_f32_e32 v6, v9, v6
	v_cndmask_b32_e32 v2, 1.0, v7, vcc_lo
	v_mul_f32_e32 v2, v2, v6
	v_fmaak_f32 v6, s4, v5, 0x3a4beed6
	v_cmp_gt_f32_e32 vcc_lo, 0x800000, v2
	v_fmaak_f32 v6, v5, v6, 0x3c98bf54
	v_cndmask_b32_e64 v7, 0, 32, vcc_lo
	v_fmaak_f32 v6, v5, v6, 0x3e300f6e
	v_ldexp_f32 v2, v2, v7
	v_fmaak_f32 v7, v5, v8, 0x3cda40e4
	v_fmaak_f32 v6, v5, v6, 0x3f38d0c5
	v_log_f32_e32 v2, v2
	v_fmaak_f32 v7, v5, v7, 0x3e15dce6
	v_fmaak_f32 v6, v5, v6, 0x3fb22d3b
	;; [unrolled: 1-line block ×3, first 2 shown]
	v_fma_f32 v6, v5, v6, 1.0
	v_mul_f32_e32 v8, 0x3f317217, v2
	v_fmaak_f32 v7, v5, v7, 0x3e5c245a
	v_rcp_f32_e32 v6, v6
	v_cmp_gt_f32_e64 s4, 0x7f800000, |v2|
	v_fma_f32 v9, 0x3f317217, v2, -v8
	v_fmaak_f32 v7, v5, v7, 0xbd9e233f
	v_fmamk_f32 v9, v2, 0x3377d1cf, v9
	v_mul_f32_e32 v7, v5, v7
	v_add_f32_e32 v8, v8, v9
	v_mul_f32_e32 v6, v7, v6
	v_cndmask_b32_e64 v7, 0, 0x41b17218, vcc_lo
	v_cndmask_b32_e64 v2, v2, v8, s4
	v_fmac_f32_e32 v6, 0.5, v5
	v_sub_f32_e32 v2, v2, v7
	v_add_f32_e32 v2, v2, v6
.LBB95_61:
	s_or_b32 exec_lo, exec_lo, s7
.LBB95_62:
	s_andn2_saveexec_b32 s6, s6
	s_cbranch_execz .LBB95_80
; %bb.63:
	s_mov_b32 s7, exec_lo
                                        ; implicit-def: $vgpr2
                                        ; implicit-def: $vgpr6
                                        ; implicit-def: $vgpr5
	v_cmpx_ge_f32_e64 0x3f666666, |v1|
	s_xor_b32 s7, exec_lo, s7
	s_cbranch_execz .LBB95_65
; %bb.64:
	v_cmp_gt_f32_e64 s4, 0x800000, |v1|
	v_sub_f32_e64 v7, 1.0, |v1|
	v_cmp_gt_f32_e64 vcc_lo, 0x3f3b4a23, |v1|
	v_cndmask_b32_e64 v2, 0, 32, s4
	v_cndmask_b32_e64 v8, 0, 0x41b17218, s4
	v_ldexp_f32 v2, |v1|, v2
	v_log_f32_e32 v2, v2
	v_mul_f32_e32 v5, 0x3f317217, v2
	v_cmp_gt_f32_e64 s4, 0x7f800000, |v2|
	v_fma_f32 v6, 0x3f317217, v2, -v5
	v_fmamk_f32 v6, v2, 0x3377d1cf, v6
	v_add_f32_e32 v5, v5, v6
	v_add_f32_e64 v6, 0xbeec5b0c, |v1|
	v_cndmask_b32_e64 v2, v2, v5, s4
	v_cndmask_b32_e32 v5, v7, v6, vcc_lo
	v_cndmask_b32_e64 v6, 0, 1, vcc_lo
	v_cmp_gt_f32_e64 s4, 0x3e6d3309, |v1|
	v_sub_f32_e32 v2, v2, v8
	v_cndmask_b32_e64 v5, v5, |v1|, s4
	v_cndmask_b32_e64 v6, v6, 2, s4
	v_xor_b32_e32 v2, 0x80000000, v2
.LBB95_65:
	s_andn2_saveexec_b32 s4, s7
	s_cbranch_execz .LBB95_67
; %bb.66:
	v_sub_f32_e64 v2, 2.0, |v1|
	v_add_f32_e64 v5, 0xbfbb16c3, |v1|
	v_cmp_gt_f32_e64 vcc_lo, 0x3fdda512, |v1|
	v_add_f32_e64 v6, |v1|, -1.0
	v_cndmask_b32_e32 v5, v2, v5, vcc_lo
	v_cndmask_b32_e64 v2, v2, 1.0, vcc_lo
	v_cmp_gt_f32_e64 vcc_lo, 0x3f9d70a4, |v1|
	v_cvt_i32_f32_e32 v2, v2
	v_cndmask_b32_e32 v5, v5, v6, vcc_lo
	v_cndmask_b32_e64 v6, v2, 2, vcc_lo
	v_mov_b32_e32 v2, 0
.LBB95_67:
	s_or_b32 exec_lo, exec_lo, s4
	s_mov_b32 s4, exec_lo
	v_cmpx_lt_i32_e32 0, v6
	s_xor_b32 s4, exec_lo, s4
	s_cbranch_execz .LBB95_75
; %bb.68:
	s_mov_b32 s7, exec_lo
	v_cmpx_lt_i32_e32 1, v6
	s_xor_b32 s7, exec_lo, s7
	s_cbranch_execz .LBB95_72
; %bb.69:
	s_mov_b32 s9, exec_lo
	v_cmpx_eq_u32_e32 2, v6
	s_cbranch_execz .LBB95_71
; %bb.70:
	s_mov_b32 s10, 0x3b52d5db
	v_fmaak_f32 v6, s10, v5, 0x3dd572af
	s_mov_b32 s10, 0x3c5b3c5e
	v_fmaak_f32 v7, s10, v5, 0x3e6a7578
	v_fmaak_f32 v6, v5, v6, 0x3f44efdf
	;; [unrolled: 1-line block ×7, first 2 shown]
	v_fma_f32 v6, v5, v6, 1.0
	v_fmaak_f32 v7, v5, v7, 0xbd9e233f
	v_rcp_f32_e32 v6, v6
	v_mul_f32_e32 v7, v5, v7
	v_mul_f32_e32 v6, v7, v6
	v_fmac_f32_e32 v6, -0.5, v5
	v_add_f32_e32 v2, v2, v6
.LBB95_71:
	s_or_b32 exec_lo, exec_lo, s9
                                        ; implicit-def: $vgpr5
.LBB95_72:
	s_andn2_saveexec_b32 s7, s7
	s_cbranch_execz .LBB95_74
; %bb.73:
	v_mul_f32_e32 v6, v5, v5
	s_mov_b32 s9, 0xb9a3f927
	s_mov_b32 s10, 0x39afe9f7
	v_mul_f32_e32 v7, v5, v6
	v_fmaak_f32 v8, s9, v7, 0x3a66f867
	v_fmaak_f32 v9, s10, v7, 0xba0d3085
	s_mov_b32 s9, 0x39a57b6b
	v_fmaak_f32 v10, s9, v7, 0xbab7f476
	v_fmaak_f32 v8, v7, v8, 0xbb7177fe
	;; [unrolled: 1-line block ×9, first 2 shown]
	v_fmac_f32_e32 v8, v5, v9
	v_fmaak_f32 v5, v7, v10, 0x3ef7b95e
	v_fma_f32 v7, v7, -v8, 0xa2863e55
	v_fma_f32 v5, v6, v5, -v7
	v_add_f32_e32 v5, 0xbdf8cdce, v5
	v_add_f32_e32 v2, v2, v5
.LBB95_74:
	s_or_b32 exec_lo, exec_lo, s7
                                        ; implicit-def: $vgpr6
                                        ; implicit-def: $vgpr5
.LBB95_75:
	s_andn2_saveexec_b32 s4, s4
	s_cbranch_execz .LBB95_79
; %bb.76:
	s_mov_b32 s7, exec_lo
	v_cmpx_eq_u32_e32 0, v6
	s_cbranch_execz .LBB95_78
; %bb.77:
	v_mul_f32_e32 v6, v5, v5
	s_mov_b32 s9, 0x383c2c75
	v_fmaak_f32 v7, s9, v6, 0x38e28445
	s_mov_b32 s9, 0x37d383a2
	v_fmaak_f32 v8, s9, v6, 0x39679767
	v_fmaak_f32 v7, v6, v7, 0x3a05b634
	;; [unrolled: 1-line block ×9, first 2 shown]
	v_mul_f32_e32 v6, v6, v7
	v_fmac_f32_e32 v6, v5, v8
	v_fmac_f32_e32 v6, -0.5, v5
	v_add_f32_e32 v2, v2, v6
.LBB95_78:
	s_or_b32 exec_lo, exec_lo, s7
.LBB95_79:
	s_or_b32 exec_lo, exec_lo, s4
.LBB95_80:
	s_or_b32 exec_lo, exec_lo, s6
.LBB95_81:
	s_andn2_saveexec_b32 s4, s5
	s_cbranch_execz .LBB95_83
; %bb.82:
	v_cmp_gt_f32_e64 s5, 0x800000, |v1|
	s_mov_b32 s6, 0x3e8a8991
	v_fma_f32 v7, |v1|, s6, 0xbecd26ab
	v_cndmask_b32_e64 v2, 0, 32, s5
	v_ldexp_f32 v2, |v1|, v2
	v_log_f32_e32 v2, v2
	v_mul_f32_e32 v5, 0x3f317217, v2
	v_cmp_gt_f32_e64 vcc_lo, 0x7f800000, |v2|
	v_fma_f32 v6, 0x3f317217, v2, -v5
	v_fmamk_f32 v6, v2, 0x3377d1cf, v6
	v_add_f32_e32 v5, v5, v6
	v_fma_f32 v6, |v1|, v7, 0x3f528d33
	v_cndmask_b32_e32 v2, v2, v5, vcc_lo
	v_cndmask_b32_e64 v5, 0, 0x41b17218, s5
	v_fma_f32 v6, |v1|, v6, 0xbf13c468
	v_sub_f32_e32 v2, v2, v5
	v_fma_f32 v2, |v1|, v6, -v2
.LBB95_83:
	s_or_b32 exec_lo, exec_lo, s4
	v_cmp_le_f32_e64 s4, 0, v1
	s_mov_b32 s5, exec_lo
	v_cmpx_nle_f32_e32 0, v1
	s_xor_b32 s6, exec_lo, s5
	s_cbranch_execz .LBB95_87
; %bb.84:
	v_cmp_gt_f32_e64 s5, 0x4b000000, |v1|
	v_cmp_lt_f32_e64 s7, 0x35000000, |v1|
	s_and_b32 s5, s5, s7
	s_and_saveexec_b32 s7, s5
	s_cbranch_execz .LBB95_86
; %bb.85:
	v_mul_f32_e64 v5, |v1|, 0.5
	v_cmp_gt_f32_e64 s5, |v1|, 1.0
	s_mov_b32 s9, 0x3d4be544
	v_xor_b32_e32 v4, v4, v1
	v_fract_f32_e32 v6, v5
	v_cmp_neq_f32_e32 vcc_lo, 0x7f800000, v5
	v_add_f32_e32 v6, v6, v6
	v_cndmask_b32_e32 v5, 0, v6, vcc_lo
	v_cndmask_b32_e64 v5, |v1|, v5, s5
	s_mov_b32 s5, 0x3e75aa41
	v_add_f32_e32 v6, v5, v5
	v_rndne_f32_e32 v6, v6
	v_fmac_f32_e32 v5, -0.5, v6
	v_cvt_i32_f32_e32 v6, v6
	v_mul_f32_e32 v7, v5, v5
	v_fmaak_f32 v8, s5, v7, 0xbf1f24be
	v_fmaak_f32 v9, s9, v7, 0x3e642e9d
	v_mul_f32_e32 v10, v5, v7
	v_fmaak_f32 v8, v7, v8, 0x40234736
	v_fmaak_f32 v9, v7, v9, 0xbfaad1da
	;; [unrolled: 1-line block ×4, first 2 shown]
	v_mul_f32_e32 v8, v10, v8
	v_fmaak_f32 v9, v7, v9, 0xc09de9e6
	v_and_b32_e32 v10, 1, v6
	v_lshlrev_b32_e32 v6, 30, v6
	v_fmamk_f32 v5, v5, 0x40490fdb, v8
	v_fma_f32 v7, v7, v9, 1.0
	v_cmp_eq_u32_e32 vcc_lo, 0, v10
	v_and_b32_e32 v6, 0x80000000, v6
	v_cndmask_b32_e32 v5, v7, v5, vcc_lo
	v_xor3_b32 v4, v4, v6, v5
	v_mul_f32_e32 v4, v1, v4
	v_frexp_mant_f32_e64 v5, |v4|
	v_frexp_exp_i32_f32_e32 v4, v4
	v_rcp_f32_e32 v5, v5
	v_sub_nc_u32_e32 v4, 2, v4
	v_mul_f32_e32 v5, 0x3f490fdb, v5
	v_ldexp_f32 v4, v5, v4
	v_cmp_gt_f32_e32 vcc_lo, 0x800000, v4
	v_cndmask_b32_e64 v5, 0, 32, vcc_lo
	v_ldexp_f32 v4, v4, v5
	v_log_f32_e32 v4, v4
	v_mul_f32_e32 v5, 0x3f317217, v4
	v_cmp_gt_f32_e64 s5, 0x7f800000, |v4|
	v_fma_f32 v6, 0x3f317217, v4, -v5
	v_fmamk_f32 v6, v4, 0x3377d1cf, v6
	v_add_f32_e32 v5, v5, v6
	v_cndmask_b32_e64 v4, v4, v5, s5
	v_cndmask_b32_e64 v5, 0, 0x41b17218, vcc_lo
	v_sub_f32_e32 v4, v4, v5
	v_fract_f32_e32 v5, v1
	v_sub_f32_e32 v2, v4, v2
	v_cmp_neq_f32_e32 vcc_lo, 0, v5
	v_cndmask_b32_e32 v2, 0x7f800000, v2, vcc_lo
.LBB95_86:
	s_or_b32 exec_lo, exec_lo, s7
.LBB95_87:
	s_andn2_saveexec_b32 s6, s6
; %bb.88:
	v_cmp_eq_f32_e32 vcc_lo, 1.0, v1
	v_cmp_eq_f32_e64 s5, 2.0, v1
	s_or_b32 s5, vcc_lo, s5
	v_cndmask_b32_e64 v2, v2, 0, s5
; %bb.89:
	s_or_b32 exec_lo, exec_lo, s6
	v_mov_b32_e32 v5, 0x7f800000
	s_mov_b32 s9, exec_lo
	v_cmpx_ne_u32_e32 0, v0
	s_cbranch_execz .LBB95_166
; %bb.90:
	v_mov_b32_e32 v5, 0x7fc00000
	s_mov_b32 s10, exec_lo
	v_cmpx_lt_i32_e32 -1, v0
	s_cbranch_execz .LBB95_165
; %bb.91:
	s_waitcnt vmcnt(0) lgkmcnt(0)
	v_floor_f32_e32 v4, v3
	v_cmp_nge_f32_e32 vcc_lo, 0, v3
	v_mov_b32_e32 v5, 0x7f800000
	s_mov_b32 s12, 0
	v_cmp_neq_f32_e64 s5, v3, v4
	s_or_b32 s5, vcc_lo, s5
	s_and_saveexec_b32 s11, s5
	s_cbranch_execz .LBB95_164
; %bb.92:
	v_frexp_mant_f32_e64 v4, |v3|
	s_mov_b32 s13, 0x3e76c4e1
	s_mov_b32 s17, 0
                                        ; implicit-def: $sgpr14
                                        ; implicit-def: $sgpr16
                                        ; implicit-def: $sgpr15
	v_cmp_gt_f32_e32 vcc_lo, 0x3f2aaaab, v4
	v_cndmask_b32_e64 v5, 1.0, 2.0, vcc_lo
	v_mul_f32_e32 v4, v4, v5
	v_add_f32_e32 v5, 1.0, v4
	v_add_f32_e32 v7, -1.0, v4
	v_rcp_f32_e32 v6, v5
	v_add_f32_e32 v9, -1.0, v5
	v_sub_f32_e32 v4, v4, v9
	v_mul_f32_e32 v8, v7, v6
	v_mul_f32_e32 v10, v5, v8
	v_fma_f32 v5, v8, v5, -v10
	v_fmac_f32_e32 v5, v8, v4
	v_add_f32_e32 v4, v10, v5
	v_sub_f32_e32 v9, v7, v4
	v_sub_f32_e32 v10, v4, v10
	v_sub_f32_e32 v7, v7, v9
	v_sub_f32_e32 v5, v10, v5
	v_sub_f32_e32 v4, v7, v4
	v_add_f32_e32 v4, v5, v4
	v_add_f32_e32 v4, v9, v4
	v_mul_f32_e32 v4, v6, v4
	v_add_f32_e32 v6, v8, v4
	v_sub_f32_e32 v5, v6, v8
	v_mul_f32_e32 v7, v6, v6
	v_sub_f32_e32 v8, v4, v5
	v_fma_f32 v4, v6, v6, -v7
	v_add_f32_e32 v5, v8, v8
	v_fmac_f32_e32 v4, v6, v5
	v_add_f32_e32 v9, v7, v4
	v_fmaak_f32 v5, s13, v9, 0x3e91f4c4
	v_sub_f32_e32 v7, v9, v7
	v_mul_f32_e32 v14, v6, v9
	v_fmaak_f32 v5, v9, v5, 0x3ecccdef
	v_sub_f32_e32 v7, v4, v7
	v_fma_f32 v15, v9, v6, -v14
	v_mul_f32_e32 v10, v9, v5
	v_fmac_f32_e32 v15, v9, v8
	v_ldexp_f32 v8, v8, 1
	v_fma_f32 v11, v9, v5, -v10
	v_fmac_f32_e32 v15, v7, v6
	v_fmac_f32_e32 v11, v7, v5
	v_cvt_f64_f32_e64 v[4:5], |v3|
	v_add_f32_e32 v12, v10, v11
	v_sub_f32_e32 v10, v12, v10
	v_add_f32_e32 v13, 0x3f2aaaaa, v12
	v_sub_f32_e32 v10, v11, v10
	v_add_f32_e32 v11, 0xbf2aaaaa, v13
	v_add_f32_e32 v10, 0x31739010, v10
	v_sub_f32_e32 v11, v12, v11
	v_frexp_exp_i32_f64_e32 v4, v[4:5]
	v_add_f32_e32 v9, v10, v11
	v_add_f32_e32 v10, v14, v15
	v_add_f32_e32 v7, v13, v9
	v_sub_f32_e32 v12, v10, v14
	v_sub_f32_e32 v5, v13, v7
	v_mul_f32_e32 v11, v10, v7
	v_sub_f32_e32 v12, v15, v12
	v_add_f32_e32 v5, v9, v5
	v_fma_f32 v9, v10, v7, -v11
	v_subrev_co_ci_u32_e64 v4, null, 0, v4, vcc_lo
	v_fmac_f32_e32 v9, v10, v5
	v_ldexp_f32 v5, v6, 1
	v_cmp_neq_f32_e32 vcc_lo, 1.0, v3
	v_cvt_f32_i32_e32 v4, v4
	v_fmac_f32_e32 v9, v12, v7
	v_add_f32_e32 v6, v11, v9
	v_add_f32_e32 v7, v5, v6
	v_sub_f32_e32 v10, v6, v11
	v_mul_f32_e32 v11, 0x3f317218, v4
	v_sub_f32_e32 v5, v7, v5
	v_sub_f32_e32 v9, v9, v10
	v_fma_f32 v10, 0x3f317218, v4, -v11
	v_sub_f32_e32 v5, v6, v5
	v_add_f32_e32 v6, v8, v9
	v_fmac_f32_e32 v10, 0xb102e308, v4
	v_add_f32_e32 v4, v6, v5
	v_add_f32_e32 v5, v11, v10
	v_add_f32_e32 v6, v7, v4
	v_sub_f32_e32 v11, v5, v11
	v_add_f32_e32 v8, v5, v6
	v_sub_f32_e32 v7, v6, v7
	v_sub_f32_e32 v10, v10, v11
	;; [unrolled: 1-line block ×6, first 2 shown]
	v_add_f32_e32 v7, v10, v4
	v_sub_f32_e32 v5, v5, v12
	v_add_f32_e32 v5, v6, v5
	v_sub_f32_e32 v6, v7, v10
	;; [unrolled: 2-line block ×3, first 2 shown]
	v_sub_f32_e32 v4, v4, v6
	v_add_f32_e32 v9, v8, v5
	v_sub_f32_e32 v6, v10, v7
	v_sub_f32_e32 v7, v9, v8
	v_add_f32_e32 v4, v4, v6
	v_add_nc_u32_e32 v6, 1, v0
	v_sub_f32_e32 v5, v5, v7
	v_add_f32_e32 v5, v4, v5
	v_cvt_f32_i32_e32 v4, v6
	v_add_f32_e32 v6, v9, v5
	v_cndmask_b32_e64 v7, 1.0, -v4, vcc_lo
	v_sub_f32_e32 v8, v6, v9
	v_mul_f32_e32 v9, v7, v6
	v_cmp_gt_f32_e64 s7, 0, v7
	v_sub_f32_e32 v5, v5, v8
	v_fma_f32 v6, v7, v6, -v9
	v_cmp_class_f32_e64 vcc_lo, v9, 0x204
	v_fmac_f32_e32 v6, v7, v5
	v_add_f32_e32 v5, v9, v6
	v_cndmask_b32_e32 v8, v5, v9, vcc_lo
	v_sub_f32_e32 v5, v5, v9
	v_cmp_eq_f32_e32 vcc_lo, 0x42b17218, v8
	v_sub_f32_e32 v5, v6, v5
	v_cndmask_b32_e64 v10, 0, 0x37000000, vcc_lo
	v_cmp_neq_f32_e64 vcc_lo, 0x7f800000, |v8|
	v_sub_f32_e32 v11, v8, v10
	v_cndmask_b32_e32 v5, 0, v5, vcc_lo
	v_trunc_f32_e32 v8, v7
	v_mul_f32_e32 v12, 0x3fb8aa3b, v11
	v_cmp_ngt_f32_e32 vcc_lo, 0xc2ce8ed0, v11
	v_add_f32_e32 v5, v10, v5
	v_fma_f32 v13, 0x3fb8aa3b, v11, -v12
	v_rndne_f32_e32 v14, v12
	v_fmac_f32_e32 v13, 0x32a5705f, v11
	v_sub_f32_e32 v12, v12, v14
	v_cvt_i32_f32_e32 v9, v14
	v_add_f32_e32 v12, v12, v13
	v_exp_f32_e32 v12, v12
	v_ldexp_f32 v6, v12, v9
	v_mul_f32_e32 v9, 0.5, v7
	v_cndmask_b32_e32 v6, 0, v6, vcc_lo
	v_cmp_nlt_f32_e32 vcc_lo, 0x42b17218, v11
	v_trunc_f32_e32 v12, v9
	v_cndmask_b32_e32 v6, 0x7f800000, v6, vcc_lo
	v_cmp_eq_f32_e32 vcc_lo, v8, v7
	v_cmp_neq_f32_e64 s5, v12, v9
	v_fma_f32 v5, v6, v5, v6
	v_cmp_class_f32_e64 s6, v6, 0x204
	s_and_b32 s5, vcc_lo, s5
	v_cndmask_b32_e64 v8, 1.0, v3, s5
	v_cndmask_b32_e64 v5, v5, v6, s6
	v_cmp_eq_f32_e64 s6, 0, v3
	v_bfi_b32 v5, 0x7fffffff, v5, v8
	s_xor_b32 s7, s6, s7
	v_cndmask_b32_e64 v8, 0, v3, s5
	v_cndmask_b32_e64 v6, 0x7f800000, 0, s7
	v_cmp_class_f32_e64 s5, v3, 0x204
	v_cndmask_b32_e32 v7, 0x7fc00000, v5, vcc_lo
	v_cmp_gt_f32_e32 vcc_lo, 0, v3
	v_bfi_b32 v6, 0x7fffffff, v6, v8
	v_cndmask_b32_e32 v5, v5, v7, vcc_lo
	s_or_b32 vcc_lo, s6, s5
	v_cndmask_b32_e32 v5, v5, v6, vcc_lo
	v_cmp_o_f32_e32 vcc_lo, v3, v3
	v_cndmask_b32_e32 v5, 0x7fc00000, v5, vcc_lo
	s_branch .LBB95_94
.LBB95_93:                              ;   in Loop: Header=BB95_94 Depth=1
	s_or_b32 exec_lo, exec_lo, s5
	s_and_b32 s5, exec_lo, s16
	s_or_b32 s12, s5, s12
	s_andn2_b32 s5, s14, exec_lo
	s_and_b32 s6, s15, exec_lo
	s_or_b32 s14, s5, s6
	s_andn2_b32 exec_lo, exec_lo, s12
	s_cbranch_execz .LBB95_151
.LBB95_94:                              ; =>This Inner Loop Header: Depth=1
	v_add_f32_e32 v3, 1.0, v3
	s_or_b32 s15, s15, exec_lo
	s_or_b32 s16, s16, exec_lo
	v_frexp_mant_f32_e64 v6, |v3|
	v_cmp_eq_f32_e64 s6, 0, v3
	v_cmp_gt_f32_e32 vcc_lo, 0x3f2aaaab, v6
	v_cndmask_b32_e64 v7, 1.0, 2.0, vcc_lo
	v_mul_f32_e32 v6, v6, v7
	v_add_f32_e32 v7, 1.0, v6
	v_add_f32_e32 v9, -1.0, v6
	v_rcp_f32_e32 v8, v7
	v_add_f32_e32 v11, -1.0, v7
	v_sub_f32_e32 v6, v6, v11
	v_mul_f32_e32 v10, v9, v8
	v_mul_f32_e32 v12, v7, v10
	v_fma_f32 v7, v10, v7, -v12
	v_fmac_f32_e32 v7, v10, v6
	v_add_f32_e32 v6, v12, v7
	v_sub_f32_e32 v11, v9, v6
	v_sub_f32_e32 v12, v6, v12
	;; [unrolled: 1-line block ×5, first 2 shown]
	v_add_f32_e32 v6, v7, v6
	v_add_f32_e32 v6, v11, v6
	v_mul_f32_e32 v6, v8, v6
	v_add_f32_e32 v8, v10, v6
	v_sub_f32_e32 v7, v8, v10
	v_mul_f32_e32 v9, v8, v8
	v_sub_f32_e32 v10, v6, v7
	v_fma_f32 v6, v8, v8, -v9
	v_add_f32_e32 v7, v10, v10
	v_fmac_f32_e32 v6, v8, v7
	v_add_f32_e32 v11, v9, v6
	v_fmaak_f32 v7, s13, v11, 0x3e91f4c4
	v_sub_f32_e32 v9, v11, v9
	v_mul_f32_e32 v16, v8, v11
	v_fmaak_f32 v7, v11, v7, 0x3ecccdef
	v_sub_f32_e32 v9, v6, v9
	v_fma_f32 v17, v11, v8, -v16
	v_mul_f32_e32 v12, v11, v7
	v_fmac_f32_e32 v17, v11, v10
	v_ldexp_f32 v10, v10, 1
	v_fma_f32 v13, v11, v7, -v12
	v_fmac_f32_e32 v17, v9, v8
	v_fmac_f32_e32 v13, v9, v7
	v_cvt_f64_f32_e64 v[6:7], |v3|
	v_add_f32_e32 v14, v12, v13
	v_sub_f32_e32 v12, v14, v12
	v_add_f32_e32 v15, 0x3f2aaaaa, v14
	v_sub_f32_e32 v12, v13, v12
	v_add_f32_e32 v13, 0xbf2aaaaa, v15
	v_add_f32_e32 v12, 0x31739010, v12
	v_sub_f32_e32 v13, v14, v13
	v_frexp_exp_i32_f64_e32 v6, v[6:7]
	v_add_f32_e32 v11, v12, v13
	v_add_f32_e32 v12, v16, v17
	;; [unrolled: 1-line block ×3, first 2 shown]
	v_sub_f32_e32 v14, v12, v16
	v_sub_f32_e32 v7, v15, v9
	v_mul_f32_e32 v13, v12, v9
	v_sub_f32_e32 v14, v17, v14
	v_add_f32_e32 v7, v11, v7
	v_fma_f32 v11, v12, v9, -v13
	v_subrev_co_ci_u32_e64 v6, null, 0, v6, vcc_lo
	v_fmac_f32_e32 v11, v12, v7
	v_ldexp_f32 v7, v8, 1
	v_cmp_neq_f32_e32 vcc_lo, 1.0, v3
	v_cvt_f32_i32_e32 v6, v6
	v_fmac_f32_e32 v11, v14, v9
	v_add_f32_e32 v8, v13, v11
	v_add_f32_e32 v9, v7, v8
	v_sub_f32_e32 v12, v8, v13
	v_mul_f32_e32 v13, 0x3f317218, v6
	v_sub_f32_e32 v7, v9, v7
	v_sub_f32_e32 v11, v11, v12
	v_fma_f32 v12, 0x3f317218, v6, -v13
	v_sub_f32_e32 v7, v8, v7
	v_add_f32_e32 v8, v10, v11
	v_fmac_f32_e32 v12, 0xb102e308, v6
	v_add_f32_e32 v6, v8, v7
	v_add_f32_e32 v7, v13, v12
	;; [unrolled: 1-line block ×3, first 2 shown]
	v_sub_f32_e32 v13, v7, v13
	v_add_f32_e32 v10, v7, v8
	v_sub_f32_e32 v9, v8, v9
	v_sub_f32_e32 v12, v12, v13
	;; [unrolled: 1-line block ×6, first 2 shown]
	v_add_f32_e32 v9, v12, v6
	v_sub_f32_e32 v7, v7, v14
	v_add_f32_e32 v7, v8, v7
	v_sub_f32_e32 v8, v9, v12
	v_add_f32_e32 v7, v9, v7
	v_sub_f32_e32 v9, v9, v8
	v_sub_f32_e32 v6, v6, v8
	v_add_f32_e32 v11, v10, v7
	v_sub_f32_e32 v8, v12, v9
	v_sub_f32_e32 v9, v11, v10
	v_add_f32_e32 v6, v6, v8
	v_cndmask_b32_e64 v8, 1.0, -v4, vcc_lo
	v_sub_f32_e32 v7, v7, v9
	v_add_f32_e32 v6, v6, v7
	v_add_f32_e32 v7, v11, v6
	v_sub_f32_e32 v9, v7, v11
	v_mul_f32_e32 v10, v8, v7
	v_sub_f32_e32 v6, v6, v9
	v_fma_f32 v7, v8, v7, -v10
	v_cmp_class_f32_e64 vcc_lo, v10, 0x204
	v_fmac_f32_e32 v7, v8, v6
	v_add_f32_e32 v6, v10, v7
	v_cndmask_b32_e32 v9, v6, v10, vcc_lo
	v_sub_f32_e32 v6, v6, v10
	v_cmp_eq_f32_e32 vcc_lo, 0x42b17218, v9
	v_sub_f32_e32 v6, v7, v6
	v_cndmask_b32_e64 v11, 0, 0x37000000, vcc_lo
	v_cmp_neq_f32_e64 vcc_lo, 0x7f800000, |v9|
	v_sub_f32_e32 v12, v9, v11
	v_cndmask_b32_e32 v6, 0, v6, vcc_lo
	v_trunc_f32_e32 v9, v8
	v_mul_f32_e32 v13, 0x3fb8aa3b, v12
	v_cmp_ngt_f32_e32 vcc_lo, 0xc2ce8ed0, v12
	v_add_f32_e32 v6, v11, v6
	v_fma_f32 v14, 0x3fb8aa3b, v12, -v13
	v_rndne_f32_e32 v15, v13
	v_fmac_f32_e32 v14, 0x32a5705f, v12
	v_sub_f32_e32 v13, v13, v15
	v_cvt_i32_f32_e32 v10, v15
	v_add_f32_e32 v13, v13, v14
	v_exp_f32_e32 v13, v13
	v_ldexp_f32 v7, v13, v10
	v_mul_f32_e32 v10, 0.5, v8
	v_cndmask_b32_e32 v7, 0, v7, vcc_lo
	v_cmp_nlt_f32_e32 vcc_lo, 0x42b17218, v12
	v_trunc_f32_e32 v13, v10
	v_cndmask_b32_e32 v7, 0x7f800000, v7, vcc_lo
	v_cmp_eq_f32_e32 vcc_lo, v9, v8
	v_cmp_neq_f32_e64 s5, v13, v10
	v_fma_f32 v6, v7, v6, v7
	v_cmp_class_f32_e64 s7, v7, 0x204
	s_and_b32 s5, vcc_lo, s5
	v_cndmask_b32_e64 v9, 1.0, v3, s5
	v_cndmask_b32_e64 v6, v6, v7, s7
	v_cmp_gt_f32_e64 s7, 0, v8
	v_cndmask_b32_e64 v8, 0, v3, s5
	v_cmp_class_f32_e64 s5, v3, 0x204
	v_bfi_b32 v6, 0x7fffffff, v6, v9
	s_xor_b32 s7, s6, s7
	v_cndmask_b32_e64 v7, 0x7f800000, 0, s7
	v_cndmask_b32_e32 v9, 0x7fc00000, v6, vcc_lo
	v_cmp_gt_f32_e32 vcc_lo, 0, v3
	v_bfi_b32 v7, 0x7fffffff, v7, v8
	v_cndmask_b32_e32 v6, v6, v9, vcc_lo
	s_or_b32 vcc_lo, s6, s5
	v_cndmask_b32_e32 v6, v6, v7, vcc_lo
	v_cmp_o_f32_e32 vcc_lo, v3, v3
	v_cndmask_b32_e32 v6, 0x7fc00000, v6, vcc_lo
	v_add_f32_e32 v5, v5, v6
	v_mul_f32_e32 v7, 0xa5000000, v5
	v_mul_f32_e32 v8, 0x25000000, v5
	v_cmp_nlt_f32_e32 vcc_lo, v7, v6
	v_cmp_nlt_f32_e64 s5, v6, v8
	s_or_b32 s6, vcc_lo, s5
	s_and_saveexec_b32 s5, s6
	s_cbranch_execz .LBB95_93
; %bb.95:                               ;   in Loop: Header=BB95_94 Depth=1
	s_add_i32 s6, s17, 1
	v_cmp_nge_f32_e32 vcc_lo, 0x41100000, v3
	s_cmp_gt_u32 s17, 7
	s_mov_b32 s17, s6
	s_cselect_b32 s7, -1, 0
	s_andn2_b32 s16, s16, exec_lo
	s_and_b32 s7, s7, vcc_lo
	s_andn2_b32 s15, s15, exec_lo
	s_and_b32 s7, s7, exec_lo
	s_or_b32 s16, s16, s7
	s_branch .LBB95_93
.LBB95_96:
	v_mov_b32_e32 v3, 28
	s_mov_b32 s9, 0
	v_cmp_gt_i16_sdwa s7, v5, v3 src0_sel:BYTE_0 src1_sel:DWORD
                                        ; implicit-def: $vgpr3
	s_and_saveexec_b32 s10, s7
	s_xor_b32 s7, exec_lo, s10
	s_cbranch_execz .LBB95_112
; %bb.97:
	v_mov_b32_e32 v3, 43
	s_mov_b32 s10, 0
	s_mov_b32 s11, 0
	v_cmp_gt_i16_sdwa s8, v5, v3 src0_sel:BYTE_0 src1_sel:DWORD
                                        ; implicit-def: $vgpr3
	s_and_saveexec_b32 s9, s8
	s_xor_b32 s8, exec_lo, s9
	s_cbranch_execz .LBB95_107
; %bb.98:
	v_mov_b32_e32 v3, 45
	s_mov_b32 s9, 0
	v_cmp_gt_i16_sdwa s11, v5, v3 src0_sel:BYTE_0 src1_sel:DWORD
                                        ; implicit-def: $vgpr3
	s_and_saveexec_b32 s12, s11
	s_xor_b32 s11, exec_lo, s12
	s_cbranch_execz .LBB95_102
; %bb.99:
	v_mov_b32_e32 v3, 46
	s_mov_b32 s12, -1
	v_cmp_eq_u16_sdwa s13, v5, v3 src0_sel:BYTE_0 src1_sel:DWORD
                                        ; implicit-def: $vgpr3
	s_and_saveexec_b32 s10, s13
	s_cbranch_execz .LBB95_101
; %bb.100:
	flat_load_dword v3, v[1:2]
	s_mov_b32 s9, exec_lo
	s_xor_b32 s12, exec_lo, -1
	s_waitcnt vmcnt(0) lgkmcnt(0)
	v_lshlrev_b32_e32 v3, 16, v3
.LBB95_101:
	s_or_b32 exec_lo, exec_lo, s10
	s_and_b32 s10, s9, exec_lo
	s_and_b32 s9, s12, exec_lo
                                        ; implicit-def: $vgpr5
.LBB95_102:
	s_andn2_saveexec_b32 s11, s11
	s_cbranch_execz .LBB95_106
; %bb.103:
	v_mov_b32_e32 v3, 44
	s_mov_b32 s12, -1
	s_mov_b32 s14, s10
	v_cmp_eq_u16_sdwa s15, v5, v3 src0_sel:BYTE_0 src1_sel:DWORD
                                        ; implicit-def: $vgpr3
	s_and_saveexec_b32 s13, s15
	s_cbranch_execz .LBB95_105
; %bb.104:
	flat_load_ubyte v3, v[1:2]
	s_or_b32 s14, s10, exec_lo
	s_xor_b32 s12, exec_lo, -1
	s_waitcnt vmcnt(0) lgkmcnt(0)
	v_lshlrev_b32_e32 v4, 23, v3
	v_cmp_ne_u32_e32 vcc_lo, 0xff, v3
	v_cndmask_b32_e32 v4, 0x7f800001, v4, vcc_lo
	v_cmp_ne_u32_e32 vcc_lo, 0, v3
	v_cndmask_b32_e32 v3, 0x400000, v4, vcc_lo
.LBB95_105:
	s_or_b32 exec_lo, exec_lo, s13
	s_andn2_b32 s10, s10, exec_lo
	s_and_b32 s13, s14, exec_lo
	s_andn2_b32 s9, s9, exec_lo
	s_and_b32 s12, s12, exec_lo
	s_or_b32 s10, s10, s13
	s_or_b32 s9, s9, s12
.LBB95_106:
	s_or_b32 exec_lo, exec_lo, s11
	s_and_b32 s11, s10, exec_lo
	s_and_b32 s10, s9, exec_lo
                                        ; implicit-def: $vgpr5
.LBB95_107:
	s_andn2_saveexec_b32 s8, s8
	s_cbranch_execz .LBB95_111
; %bb.108:
	v_mov_b32_e32 v3, 29
	s_mov_b32 s9, -1
	s_mov_b32 s13, s11
	v_cmp_eq_u16_sdwa s14, v5, v3 src0_sel:BYTE_0 src1_sel:DWORD
                                        ; implicit-def: $vgpr3
	s_and_saveexec_b32 s12, s14
	s_cbranch_execz .LBB95_110
; %bb.109:
	flat_load_dwordx2 v[3:4], v[1:2]
	s_or_b32 s13, s11, exec_lo
	s_xor_b32 s9, exec_lo, -1
	s_waitcnt vmcnt(0) lgkmcnt(0)
	v_ffbh_u32_e32 v5, v4
	v_min_u32_e32 v5, 32, v5
	v_lshlrev_b64 v[3:4], v5, v[3:4]
	v_min_u32_e32 v3, 1, v3
	v_or_b32_e32 v3, v4, v3
	v_sub_nc_u32_e32 v4, 32, v5
	v_cvt_f32_u32_e32 v3, v3
	v_ldexp_f32 v3, v3, v4
.LBB95_110:
	s_or_b32 exec_lo, exec_lo, s12
	s_andn2_b32 s11, s11, exec_lo
	s_and_b32 s12, s13, exec_lo
	s_andn2_b32 s10, s10, exec_lo
	s_and_b32 s9, s9, exec_lo
	s_or_b32 s11, s11, s12
	s_or_b32 s10, s10, s9
.LBB95_111:
	s_or_b32 exec_lo, exec_lo, s8
	s_and_b32 s9, s11, exec_lo
	s_and_b32 s8, s10, exec_lo
                                        ; implicit-def: $vgpr5
.LBB95_112:
	s_andn2_saveexec_b32 s7, s7
	s_cbranch_execz .LBB95_126
; %bb.113:
	v_mov_b32_e32 v3, 26
	v_cmp_gt_i16_sdwa s10, v5, v3 src0_sel:BYTE_0 src1_sel:DWORD
                                        ; implicit-def: $vgpr3
	s_and_saveexec_b32 s11, s10
	s_xor_b32 s10, exec_lo, s11
	s_cbranch_execz .LBB95_119
; %bb.114:
	v_mov_b32_e32 v3, 27
	v_cmp_gt_i16_sdwa s11, v5, v3 src0_sel:BYTE_0 src1_sel:DWORD
                                        ; implicit-def: $vgpr3
	s_and_saveexec_b32 s12, s11
	s_xor_b32 s11, exec_lo, s12
	s_cbranch_execz .LBB95_116
; %bb.115:
	flat_load_dword v3, v[1:2]
	s_waitcnt vmcnt(0) lgkmcnt(0)
	v_cvt_f32_u32_e32 v3, v3
.LBB95_116:
	s_andn2_saveexec_b32 s11, s11
	s_cbranch_execz .LBB95_118
; %bb.117:
	flat_load_ushort v3, v[1:2]
	s_waitcnt vmcnt(0) lgkmcnt(0)
	v_cvt_f32_u32_e32 v3, v3
.LBB95_118:
	s_or_b32 exec_lo, exec_lo, s11
.LBB95_119:
	s_andn2_saveexec_b32 s10, s10
	s_cbranch_execz .LBB95_125
; %bb.120:
	flat_load_ubyte v4, v[1:2]
	s_mov_b32 s11, 0
	s_mov_b32 s12, exec_lo
	s_waitcnt vmcnt(0) lgkmcnt(0)
	v_cmpx_lt_i16_e32 0x7f, v4
	s_xor_b32 s12, exec_lo, s12
	s_cbranch_execnz .LBB95_158
; %bb.121:
	s_or_saveexec_b32 s12, s12
	v_mov_b32_e32 v3, 0x7f800001
	s_xor_b32 exec_lo, exec_lo, s12
	s_cbranch_execnz .LBB95_161
.LBB95_122:
	s_or_b32 exec_lo, exec_lo, s12
	s_and_saveexec_b32 s12, s11
	s_cbranch_execz .LBB95_124
.LBB95_123:
	v_and_b32_e32 v3, 0xffff, v4
	v_lshlrev_b32_e32 v4, 24, v4
	v_and_b32_e32 v5, 7, v3
	v_bfe_u32 v8, v3, 3, 4
	v_and_b32_e32 v4, 0x80000000, v4
	v_ffbh_u32_e32 v6, v5
	v_cmp_eq_u32_e32 vcc_lo, 0, v8
	v_min_u32_e32 v6, 32, v6
	v_subrev_nc_u32_e32 v7, 28, v6
	v_sub_nc_u32_e32 v6, 29, v6
	v_lshlrev_b32_e32 v3, v7, v3
	v_cndmask_b32_e32 v6, v8, v6, vcc_lo
	v_and_b32_e32 v3, 7, v3
	v_cndmask_b32_e32 v3, v5, v3, vcc_lo
	v_lshl_add_u32 v5, v6, 23, 0x3b800000
	v_lshlrev_b32_e32 v3, 20, v3
	v_or3_b32 v3, v4, v5, v3
.LBB95_124:
	s_or_b32 exec_lo, exec_lo, s12
.LBB95_125:
	s_or_b32 exec_lo, exec_lo, s10
	s_or_b32 s9, s9, exec_lo
.LBB95_126:
	s_or_b32 exec_lo, exec_lo, s7
	s_and_b32 s7, s9, exec_lo
	s_and_b32 s8, s8, exec_lo
                                        ; implicit-def: $vgpr5
	s_andn2_saveexec_b32 s6, s6
	s_cbranch_execz .LBB95_6
.LBB95_127:
	v_mov_b32_e32 v3, 22
	s_mov_b32 s9, s7
	v_cmp_gt_i16_sdwa s5, v5, v3 src0_sel:BYTE_0 src1_sel:DWORD
                                        ; implicit-def: $vgpr3
	s_and_saveexec_b32 s10, s5
	s_xor_b32 s5, exec_lo, s10
	s_cbranch_execz .LBB95_141
; %bb.128:
	v_mov_b32_e32 v3, 23
	v_cmp_gt_i16_sdwa s9, v5, v3 src0_sel:BYTE_0 src1_sel:DWORD
                                        ; implicit-def: $vgpr3
	s_and_saveexec_b32 s10, s9
	s_xor_b32 s9, exec_lo, s10
	s_cbranch_execz .LBB95_138
; %bb.129:
	v_mov_b32_e32 v3, 24
	v_cmp_gt_i16_sdwa s10, v5, v3 src0_sel:BYTE_0 src1_sel:DWORD
                                        ; implicit-def: $vgpr3
	s_and_saveexec_b32 s11, s10
	s_xor_b32 s10, exec_lo, s11
	s_cbranch_execz .LBB95_135
; %bb.130:
	flat_load_ubyte v4, v[1:2]
	s_mov_b32 s11, 0
	s_mov_b32 s12, exec_lo
	s_waitcnt vmcnt(0) lgkmcnt(0)
	v_cmpx_lt_i16_e32 0x7f, v4
	s_xor_b32 s12, exec_lo, s12
	s_cbranch_execnz .LBB95_167
; %bb.131:
	s_or_saveexec_b32 s12, s12
	v_mov_b32_e32 v3, 0x7f800001
	s_xor_b32 exec_lo, exec_lo, s12
	s_cbranch_execnz .LBB95_170
.LBB95_132:
	s_or_b32 exec_lo, exec_lo, s12
	s_and_saveexec_b32 s12, s11
	s_cbranch_execz .LBB95_134
.LBB95_133:
	v_and_b32_e32 v3, 0xffff, v4
	v_lshlrev_b32_e32 v4, 24, v4
	v_and_b32_e32 v5, 3, v3
	v_bfe_u32 v8, v3, 2, 5
	v_and_b32_e32 v4, 0x80000000, v4
	v_ffbh_u32_e32 v6, v5
	v_cmp_eq_u32_e32 vcc_lo, 0, v8
	v_min_u32_e32 v6, 32, v6
	v_subrev_nc_u32_e32 v7, 29, v6
	v_sub_nc_u32_e32 v6, 30, v6
	v_lshlrev_b32_e32 v3, v7, v3
	v_cndmask_b32_e32 v6, v8, v6, vcc_lo
	v_and_b32_e32 v3, 3, v3
	v_cndmask_b32_e32 v3, v5, v3, vcc_lo
	v_lshl_add_u32 v5, v6, 23, 0x37800000
	v_lshlrev_b32_e32 v3, 21, v3
	v_or3_b32 v3, v4, v5, v3
.LBB95_134:
	s_or_b32 exec_lo, exec_lo, s12
.LBB95_135:
	s_andn2_saveexec_b32 s10, s10
	s_cbranch_execz .LBB95_137
; %bb.136:
	flat_load_ubyte v3, v[1:2]
	s_waitcnt vmcnt(0) lgkmcnt(0)
	v_lshlrev_b32_e32 v3, 24, v3
	v_and_b32_e32 v4, 0x7f000000, v3
	v_ffbh_u32_e32 v5, v4
	v_add_nc_u32_e32 v7, 0x1000000, v4
	v_cmp_ne_u32_e32 vcc_lo, 0, v4
	v_min_u32_e32 v5, 32, v5
	v_sub_nc_u32_e64 v5, v5, 4 clamp
	v_lshlrev_b32_e32 v6, v5, v4
	v_lshlrev_b32_e32 v5, 23, v5
	v_lshrrev_b32_e32 v6, 4, v6
	v_sub_nc_u32_e32 v5, v6, v5
	v_ashrrev_i32_e32 v6, 8, v7
	v_add_nc_u32_e32 v5, 0x3c000000, v5
	v_and_or_b32 v5, 0x7f800000, v6, v5
	v_cndmask_b32_e32 v4, 0, v5, vcc_lo
	v_and_or_b32 v3, 0x80000000, v3, v4
.LBB95_137:
	s_or_b32 exec_lo, exec_lo, s10
.LBB95_138:
	s_andn2_saveexec_b32 s9, s9
	s_cbranch_execz .LBB95_140
; %bb.139:
	flat_load_ubyte v3, v[1:2]
	s_waitcnt vmcnt(0) lgkmcnt(0)
	v_lshlrev_b32_e32 v4, 25, v3
	v_lshlrev_b16 v3, 8, v3
	v_lshrrev_b32_e32 v5, 4, v4
	v_and_or_b32 v6, 0x7f00, v3, 0.5
	v_cmp_gt_u32_e32 vcc_lo, 0x8000000, v4
	v_bfe_i32 v3, v3, 0, 16
	v_or_b32_e32 v5, 0x70000000, v5
	v_add_f32_e32 v6, -0.5, v6
	v_mul_f32_e32 v5, 0x7800000, v5
	v_cndmask_b32_e32 v4, v5, v6, vcc_lo
	v_and_or_b32 v3, 0x80000000, v3, v4
.LBB95_140:
	s_or_b32 exec_lo, exec_lo, s9
	s_or_b32 s9, s7, exec_lo
                                        ; implicit-def: $vgpr5
.LBB95_141:
	s_or_saveexec_b32 s5, s5
	s_mov_b32 s10, 0
	s_mov_b32 s11, s8
	s_xor_b32 exec_lo, exec_lo, s5
	s_cbranch_execz .LBB95_149
; %bb.142:
	v_mov_b32_e32 v3, 14
	s_mov_b32 s10, s8
	s_mov_b32 s11, s9
	v_cmp_gt_i16_sdwa s12, v5, v3 src0_sel:BYTE_0 src1_sel:DWORD
                                        ; implicit-def: $vgpr3
	s_and_saveexec_b32 s13, s12
	s_xor_b32 s12, exec_lo, s13
	s_cbranch_execz .LBB95_146
; %bb.143:
	v_mov_b32_e32 v3, 15
	s_mov_b32 s10, -1
	s_mov_b32 s11, s9
	v_cmp_eq_u16_sdwa s14, v5, v3 src0_sel:BYTE_0 src1_sel:DWORD
                                        ; implicit-def: $vgpr3
	s_and_saveexec_b32 s13, s14
	s_cbranch_execz .LBB95_145
; %bb.144:
	flat_load_ushort v3, v[1:2]
	s_or_b32 s11, s9, exec_lo
	s_xor_b32 s10, exec_lo, -1
	s_waitcnt vmcnt(0) lgkmcnt(0)
	v_lshlrev_b32_e32 v3, 16, v3
.LBB95_145:
	s_or_b32 exec_lo, exec_lo, s13
	s_andn2_b32 s13, s9, exec_lo
	s_and_b32 s11, s11, exec_lo
	s_andn2_b32 s14, s8, exec_lo
	s_and_b32 s10, s10, exec_lo
	s_or_b32 s11, s13, s11
	s_or_b32 s10, s14, s10
                                        ; implicit-def: $vgpr5
.LBB95_146:
	s_or_saveexec_b32 s12, s12
	s_mov_b32 s13, 0
	s_xor_b32 exec_lo, exec_lo, s12
; %bb.147:
	v_mov_b32_e32 v4, 11
	s_andn2_b32 s10, s10, exec_lo
	s_mov_b32 s13, exec_lo
	v_cmp_ne_u16_sdwa s14, v5, v4 src0_sel:BYTE_0 src1_sel:DWORD
	s_and_b32 s14, s14, exec_lo
	s_or_b32 s10, s10, s14
; %bb.148:
	s_or_b32 exec_lo, exec_lo, s12
	s_andn2_b32 s9, s9, exec_lo
	s_and_b32 s11, s11, exec_lo
	s_and_b32 s12, s10, exec_lo
	s_or_b32 s9, s9, s11
	s_andn2_b32 s11, s8, exec_lo
	s_and_b32 s10, s13, exec_lo
	s_or_b32 s11, s11, s12
.LBB95_149:
	s_or_b32 exec_lo, exec_lo, s5
	s_andn2_b32 s5, s7, exec_lo
	s_and_b32 s7, s9, exec_lo
	s_andn2_b32 s8, s8, exec_lo
	s_and_b32 s9, s11, exec_lo
	s_or_b32 s7, s5, s7
	s_and_b32 s5, s10, exec_lo
	s_or_b32 s8, s8, s9
	s_or_b32 exec_lo, exec_lo, s6
	s_and_saveexec_b32 s6, s8
	s_cbranch_execz .LBB95_7
.LBB95_150:
	s_trap 2
	; divergent unreachable
	s_andn2_b32 s5, s5, exec_lo
	s_or_b32 exec_lo, exec_lo, s6
	s_and_saveexec_b32 s6, s5
	s_xor_b32 s5, exec_lo, s6
	s_cbranch_execnz .LBB95_8
	s_branch .LBB95_9
.LBB95_151:
	s_or_b32 exec_lo, exec_lo, s12
	s_xor_b32 s5, s14, -1
	s_and_saveexec_b32 s6, s5
	s_xor_b32 s5, exec_lo, s6
	s_cbranch_execz .LBB95_163
; %bb.152:
	v_mul_f32_e32 v7, v3, v6
	v_add_f32_e32 v8, -1.0, v4
	s_mov_b64 s[6:7], 0
	s_mov_b32 s12, 0
                                        ; implicit-def: $sgpr13
	v_div_scale_f32 v9, null, v8, v8, v7
	v_div_scale_f32 v12, vcc_lo, v7, v8, v7
	v_rcp_f32_e32 v10, v9
	v_fma_f32 v11, -v9, v10, 1.0
	v_fmac_f32_e32 v10, v11, v10
	v_mul_f32_e32 v11, v12, v10
	v_fma_f32 v13, -v9, v11, v12
	v_fmac_f32_e32 v11, v13, v10
	v_fma_f32 v9, -v9, v11, v12
	v_div_fmas_f32 v9, v9, v10, v11
	v_div_fixup_f32 v7, v9, v8, v7
	v_mov_b32_e32 v8, 1.0
	v_add_f32_e32 v5, v5, v7
	v_mov_b32_e32 v7, 0
	v_fmac_f32_e32 v5, -0.5, v6
	s_branch .LBB95_155
.LBB95_153:                             ;   in Loop: Header=BB95_155 Depth=1
	s_or_b32 exec_lo, exec_lo, s15
	s_andn2_b32 s13, s13, exec_lo
	s_and_b32 s15, s16, exec_lo
	s_or_b32 s13, s13, s15
.LBB95_154:                             ;   in Loop: Header=BB95_155 Depth=1
	s_or_b32 exec_lo, exec_lo, s14
	s_and_b32 s14, exec_lo, s13
	s_or_b32 s12, s14, s12
	s_andn2_b32 exec_lo, exec_lo, s12
	s_cbranch_execz .LBB95_162
.LBB95_155:                             ; =>This Inner Loop Header: Depth=1
	v_div_scale_f32 v9, null, v3, v3, v6
	v_div_scale_f32 v12, vcc_lo, v6, v3, v6
	s_getpc_b64 s[14:15]
	s_add_u32 s14, s14, _ZZ4zetaIfLb1EET_S0_S0_E1A@rel32@lo+4
	s_addc_u32 s15, s15, _ZZ4zetaIfLb1EET_S0_S0_E1A@rel32@hi+12
	v_rcp_f32_e32 v10, v9
	s_add_u32 s14, s14, s6
	s_addc_u32 s15, s15, s7
	s_or_b32 s13, s13, exec_lo
	s_load_dword s14, s[14:15], 0x0
	v_fma_f32 v11, -v9, v10, 1.0
	v_fmac_f32_e32 v10, v11, v10
	v_mul_f32_e32 v11, v12, v10
	v_fma_f32 v13, -v9, v11, v12
	v_fmac_f32_e32 v11, v13, v10
	v_fma_f32 v9, -v9, v11, v12
	v_add_f32_e32 v12, v7, v4
	v_div_fmas_f32 v10, v9, v10, v11
	v_mul_f32_e32 v9, v8, v12
	v_div_fixup_f32 v10, v10, v3, v6
	v_mul_f32_e32 v6, v10, v9
	s_waitcnt lgkmcnt(0)
	v_div_scale_f32 v8, null, s14, s14, v6
	v_div_scale_f32 v13, vcc_lo, v6, s14, v6
	v_rcp_f32_e32 v11, v8
	v_fma_f32 v12, -v8, v11, 1.0
	v_fmac_f32_e32 v11, v12, v11
	v_mul_f32_e32 v12, v13, v11
	v_fma_f32 v14, -v8, v12, v13
	v_fmac_f32_e32 v12, v14, v11
	v_fma_f32 v8, -v8, v12, v13
	v_div_fmas_f32 v8, v8, v11, v12
	v_div_fixup_f32 v6, v8, s14, v6
	v_add_f32_e32 v5, v5, v6
	v_div_scale_f32 v8, null, v5, v5, v6
	v_rcp_f32_e32 v11, v8
	v_fma_f32 v12, -v8, v11, 1.0
	v_fmac_f32_e32 v11, v12, v11
	v_div_scale_f32 v12, vcc_lo, v6, v5, v6
	v_mul_f32_e32 v13, v12, v11
	v_fma_f32 v14, -v8, v13, v12
	v_fmac_f32_e32 v13, v14, v11
	v_fma_f32 v8, -v8, v13, v12
	v_div_fmas_f32 v8, v8, v11, v13
	v_div_fixup_f32 v6, v8, v5, v6
                                        ; implicit-def: $vgpr8
	v_cmp_ngt_f32_e64 s15, 0x25000000, |v6|
                                        ; implicit-def: $vgpr6
	s_and_saveexec_b32 s14, s15
	s_cbranch_execz .LBB95_154
; %bb.156:                              ;   in Loop: Header=BB95_155 Depth=1
	v_div_scale_f32 v6, null, v3, v3, v10
	v_div_scale_f32 v12, vcc_lo, v10, v3, v10
	v_add_f32_e32 v7, 1.0, v7
	v_rcp_f32_e32 v8, v6
	s_getpc_b64 s[16:17]
	s_add_u32 s16, s16, _ZZ4zetaIfLb1EET_S0_S0_E1A@rel32@lo+8
	s_addc_u32 s17, s17, _ZZ4zetaIfLb1EET_S0_S0_E1A@rel32@hi+16
	s_add_u32 s16, s16, s6
	s_addc_u32 s17, s17, s7
	v_add_f32_e32 v15, v7, v4
	s_load_dword s15, s[16:17], 0x0
	s_mov_b32 s16, -1
	v_fma_f32 v11, -v6, v8, 1.0
	v_fmac_f32_e32 v8, v11, v8
	v_mul_f32_e32 v11, v12, v8
	v_fma_f32 v13, -v6, v11, v12
	v_fmac_f32_e32 v11, v13, v8
	v_fma_f32 v6, -v6, v11, v12
	v_div_fmas_f32 v6, v6, v8, v11
	v_div_fixup_f32 v6, v6, v3, v10
	v_div_scale_f32 v8, null, v3, v3, v6
	v_div_scale_f32 v12, vcc_lo, v6, v3, v6
	v_rcp_f32_e32 v10, v8
	v_fma_f32 v11, -v8, v10, 1.0
	v_fmac_f32_e32 v10, v11, v10
	v_add_f32_e32 v11, 1.0, v7
	v_mul_f32_e32 v13, v12, v10
	v_fma_f32 v14, -v8, v13, v12
	v_fmac_f32_e32 v13, v14, v10
	v_fma_f32 v7, -v8, v13, v12
	v_mul_f32_e32 v8, v15, v9
	v_add_f32_e32 v9, v11, v4
	v_div_fmas_f32 v7, v7, v10, v13
	v_mul_f32_e32 v9, v8, v9
	v_div_fixup_f32 v10, v7, v3, v6
	v_mul_f32_e32 v6, v10, v9
	s_waitcnt lgkmcnt(0)
	v_div_scale_f32 v7, null, s15, s15, v6
	v_div_scale_f32 v13, vcc_lo, v6, s15, v6
	v_rcp_f32_e32 v8, v7
	v_fma_f32 v12, -v7, v8, 1.0
	v_fmac_f32_e32 v8, v12, v8
	v_mul_f32_e32 v12, v13, v8
	v_fma_f32 v14, -v7, v12, v13
	v_fmac_f32_e32 v12, v14, v8
	v_fma_f32 v7, -v7, v12, v13
	v_div_fmas_f32 v7, v7, v8, v12
	v_div_fixup_f32 v6, v7, s15, v6
	v_add_f32_e32 v5, v5, v6
	v_div_scale_f32 v7, null, v5, v5, v6
	v_rcp_f32_e32 v8, v7
	v_fma_f32 v12, -v7, v8, 1.0
	v_fmac_f32_e32 v8, v12, v8
	v_div_scale_f32 v12, vcc_lo, v6, v5, v6
	v_mul_f32_e32 v13, v12, v8
	v_fma_f32 v14, -v7, v13, v12
	v_fmac_f32_e32 v13, v14, v8
	v_fma_f32 v7, -v7, v13, v12
	v_div_fmas_f32 v7, v7, v8, v13
                                        ; implicit-def: $vgpr8
	v_div_fixup_f32 v6, v7, v5, v6
                                        ; implicit-def: $vgpr7
	v_cmp_ngt_f32_e64 s17, 0x25000000, |v6|
                                        ; implicit-def: $vgpr6
	s_and_saveexec_b32 s15, s17
	s_cbranch_execz .LBB95_153
; %bb.157:                              ;   in Loop: Header=BB95_155 Depth=1
	v_div_scale_f32 v6, null, v3, v3, v10
	v_div_scale_f32 v12, vcc_lo, v10, v3, v10
	v_add_f32_e32 v11, 1.0, v11
	v_rcp_f32_e32 v7, v6
	s_add_u32 s6, s6, 8
	s_addc_u32 s7, s7, 0
	s_cmp_eq_u32 s6, 48
	s_cselect_b32 s16, -1, 0
	s_orn2_b32 s16, s16, exec_lo
	v_fma_f32 v8, -v6, v7, 1.0
	v_fmac_f32_e32 v7, v8, v7
	v_mul_f32_e32 v8, v12, v7
	v_fma_f32 v13, -v6, v8, v12
	v_fmac_f32_e32 v8, v13, v7
	v_fma_f32 v6, -v6, v8, v12
	v_add_f32_e32 v12, v11, v4
	v_div_fmas_f32 v6, v6, v7, v8
	v_mul_f32_e32 v8, v12, v9
	v_add_f32_e32 v7, 1.0, v11
	v_div_fixup_f32 v6, v6, v3, v10
	s_branch .LBB95_153
.LBB95_158:
	s_mov_b32 s11, -1
	s_mov_b32 s13, exec_lo
	v_cmpx_eq_u16_e32 0x80, v4
; %bb.159:
	s_xor_b32 s11, exec_lo, -1
; %bb.160:
	s_or_b32 exec_lo, exec_lo, s13
	s_and_b32 s11, s11, exec_lo
	s_or_saveexec_b32 s12, s12
	v_mov_b32_e32 v3, 0x7f800001
	s_xor_b32 exec_lo, exec_lo, s12
	s_cbranch_execz .LBB95_122
.LBB95_161:
	v_cmp_ne_u16_e32 vcc_lo, 0, v4
	v_mov_b32_e32 v3, 0
	s_andn2_b32 s11, s11, exec_lo
	s_and_b32 s13, vcc_lo, exec_lo
	s_or_b32 s11, s11, s13
	s_or_b32 exec_lo, exec_lo, s12
	s_and_saveexec_b32 s12, s11
	s_cbranch_execnz .LBB95_123
	s_branch .LBB95_124
.LBB95_162:
	s_or_b32 exec_lo, exec_lo, s12
.LBB95_163:
	s_or_b32 exec_lo, exec_lo, s5
.LBB95_164:
	s_or_b32 exec_lo, exec_lo, s11
.LBB95_165:
	s_or_b32 exec_lo, exec_lo, s10
.LBB95_166:
	s_or_b32 exec_lo, exec_lo, s9
	v_cmp_gt_f32_e64 s5, 0x4b000000, |v1|
	v_and_b32_e32 v0, 1, v0
	s_or_b32 vcc_lo, s4, s5
	v_cmp_class_f32_e64 s4, v1, 0x244
	v_cndmask_b32_e32 v2, 0x7f800000, v2, vcc_lo
	v_cndmask_b32_e64 v1, v2, 0x7f800000, s4
	v_mul_f32_e32 v2, 0x3fb8aa3b, v1
	v_cmp_ngt_f32_e32 vcc_lo, 0xc2ce8ed0, v1
	s_waitcnt vmcnt(0) lgkmcnt(0)
	v_fma_f32 v3, 0x3fb8aa3b, v1, -v2
	v_rndne_f32_e32 v4, v2
	v_fmamk_f32 v3, v1, 0x32a5705f, v3
	v_sub_f32_e32 v2, v2, v4
	v_add_f32_e32 v2, v2, v3
	v_cvt_i32_f32_e32 v3, v4
	v_exp_f32_e32 v2, v2
	v_ldexp_f32 v2, v2, v3
	v_cndmask_b32_e32 v2, 0, v2, vcc_lo
	v_cmp_nlt_f32_e32 vcc_lo, 0x42b17218, v1
	v_cndmask_b32_e32 v1, 0x7f800000, v2, vcc_lo
	v_cmp_eq_u32_e32 vcc_lo, 0, v0
	v_cndmask_b32_e64 v0, v1, -v1, vcc_lo
	v_mul_f32_e32 v1, v0, v5
	s_or_b32 exec_lo, exec_lo, s8
	v_mov_b32_e32 v0, v1
	s_setpc_b64 s[30:31]
.LBB95_167:
	s_mov_b32 s11, -1
	s_mov_b32 s13, exec_lo
	v_cmpx_eq_u16_e32 0x80, v4
; %bb.168:
	s_xor_b32 s11, exec_lo, -1
; %bb.169:
	s_or_b32 exec_lo, exec_lo, s13
	s_and_b32 s11, s11, exec_lo
	s_or_saveexec_b32 s12, s12
	v_mov_b32_e32 v3, 0x7f800001
	s_xor_b32 exec_lo, exec_lo, s12
	s_cbranch_execz .LBB95_132
.LBB95_170:
	v_cmp_ne_u16_e32 vcc_lo, 0, v4
	v_mov_b32_e32 v3, 0
	s_andn2_b32 s11, s11, exec_lo
	s_and_b32 s13, vcc_lo, exec_lo
	s_or_b32 s11, s11, s13
	s_or_b32 exec_lo, exec_lo, s12
	s_and_saveexec_b32 s12, s11
	s_cbranch_execnz .LBB95_133
	s_branch .LBB95_134
.Lfunc_end95:
	.size	_ZN2at6native6invokeIZZZNS0_21polygamma_kernel_cudaERNS_18TensorIteratorBaseElENKUlvE_clEvENKUlvE0_clEvEUlfE_i15function_traitsIS6_EEENT1_11result_typeERKT_PrKPcPKT0_PKN3c1010ScalarTypeEi, .Lfunc_end95-_ZN2at6native6invokeIZZZNS0_21polygamma_kernel_cudaERNS_18TensorIteratorBaseElENKUlvE_clEvENKUlvE0_clEvEUlfE_i15function_traitsIS6_EEENT1_11result_typeERKT_PrKPcPKT0_PKN3c1010ScalarTypeEi
                                        ; -- End function
	.set .L_ZN2at6native6invokeIZZZNS0_21polygamma_kernel_cudaERNS_18TensorIteratorBaseElENKUlvE_clEvENKUlvE0_clEvEUlfE_i15function_traitsIS6_EEENT1_11result_typeERKT_PrKPcPKT0_PKN3c1010ScalarTypeEi.num_vgpr, 18
	.set .L_ZN2at6native6invokeIZZZNS0_21polygamma_kernel_cudaERNS_18TensorIteratorBaseElENKUlvE_clEvENKUlvE0_clEvEUlfE_i15function_traitsIS6_EEENT1_11result_typeERKT_PrKPcPKT0_PKN3c1010ScalarTypeEi.num_agpr, 0
	.set .L_ZN2at6native6invokeIZZZNS0_21polygamma_kernel_cudaERNS_18TensorIteratorBaseElENKUlvE_clEvENKUlvE0_clEvEUlfE_i15function_traitsIS6_EEENT1_11result_typeERKT_PrKPcPKT0_PKN3c1010ScalarTypeEi.numbered_sgpr, 32
	.set .L_ZN2at6native6invokeIZZZNS0_21polygamma_kernel_cudaERNS_18TensorIteratorBaseElENKUlvE_clEvENKUlvE0_clEvEUlfE_i15function_traitsIS6_EEENT1_11result_typeERKT_PrKPcPKT0_PKN3c1010ScalarTypeEi.num_named_barrier, 0
	.set .L_ZN2at6native6invokeIZZZNS0_21polygamma_kernel_cudaERNS_18TensorIteratorBaseElENKUlvE_clEvENKUlvE0_clEvEUlfE_i15function_traitsIS6_EEENT1_11result_typeERKT_PrKPcPKT0_PKN3c1010ScalarTypeEi.private_seg_size, 0
	.set .L_ZN2at6native6invokeIZZZNS0_21polygamma_kernel_cudaERNS_18TensorIteratorBaseElENKUlvE_clEvENKUlvE0_clEvEUlfE_i15function_traitsIS6_EEENT1_11result_typeERKT_PrKPcPKT0_PKN3c1010ScalarTypeEi.uses_vcc, 1
	.set .L_ZN2at6native6invokeIZZZNS0_21polygamma_kernel_cudaERNS_18TensorIteratorBaseElENKUlvE_clEvENKUlvE0_clEvEUlfE_i15function_traitsIS6_EEENT1_11result_typeERKT_PrKPcPKT0_PKN3c1010ScalarTypeEi.uses_flat_scratch, 0
	.set .L_ZN2at6native6invokeIZZZNS0_21polygamma_kernel_cudaERNS_18TensorIteratorBaseElENKUlvE_clEvENKUlvE0_clEvEUlfE_i15function_traitsIS6_EEENT1_11result_typeERKT_PrKPcPKT0_PKN3c1010ScalarTypeEi.has_dyn_sized_stack, 0
	.set .L_ZN2at6native6invokeIZZZNS0_21polygamma_kernel_cudaERNS_18TensorIteratorBaseElENKUlvE_clEvENKUlvE0_clEvEUlfE_i15function_traitsIS6_EEENT1_11result_typeERKT_PrKPcPKT0_PKN3c1010ScalarTypeEi.has_recursion, 0
	.set .L_ZN2at6native6invokeIZZZNS0_21polygamma_kernel_cudaERNS_18TensorIteratorBaseElENKUlvE_clEvENKUlvE0_clEvEUlfE_i15function_traitsIS6_EEENT1_11result_typeERKT_PrKPcPKT0_PKN3c1010ScalarTypeEi.has_indirect_call, 0
	.section	.AMDGPU.csdata,"",@progbits
; Function info:
; codeLenInByte = 7672
; TotalNumSgprs: 34
; NumVgprs: 18
; ScratchSize: 0
; MemoryBound: 1
	.section	.text._ZN2at6native32elementwise_kernel_manual_unrollILi128ELi4EZNS0_15gpu_kernel_implIZZZNS0_21polygamma_kernel_cudaERNS_18TensorIteratorBaseElENKUlvE_clEvENKUlvE0_clEvEUlfE_EEvS4_RKT_EUlibE_EEviT1_,"axG",@progbits,_ZN2at6native32elementwise_kernel_manual_unrollILi128ELi4EZNS0_15gpu_kernel_implIZZZNS0_21polygamma_kernel_cudaERNS_18TensorIteratorBaseElENKUlvE_clEvENKUlvE0_clEvEUlfE_EEvS4_RKT_EUlibE_EEviT1_,comdat
	.globl	_ZN2at6native32elementwise_kernel_manual_unrollILi128ELi4EZNS0_15gpu_kernel_implIZZZNS0_21polygamma_kernel_cudaERNS_18TensorIteratorBaseElENKUlvE_clEvENKUlvE0_clEvEUlfE_EEvS4_RKT_EUlibE_EEviT1_ ; -- Begin function _ZN2at6native32elementwise_kernel_manual_unrollILi128ELi4EZNS0_15gpu_kernel_implIZZZNS0_21polygamma_kernel_cudaERNS_18TensorIteratorBaseElENKUlvE_clEvENKUlvE0_clEvEUlfE_EEvS4_RKT_EUlibE_EEviT1_
	.p2align	8
	.type	_ZN2at6native32elementwise_kernel_manual_unrollILi128ELi4EZNS0_15gpu_kernel_implIZZZNS0_21polygamma_kernel_cudaERNS_18TensorIteratorBaseElENKUlvE_clEvENKUlvE0_clEvEUlfE_EEvS4_RKT_EUlibE_EEviT1_,@function
_ZN2at6native32elementwise_kernel_manual_unrollILi128ELi4EZNS0_15gpu_kernel_implIZZZNS0_21polygamma_kernel_cudaERNS_18TensorIteratorBaseElENKUlvE_clEvENKUlvE0_clEvEUlfE_EEvS4_RKT_EUlibE_EEviT1_: ; @_ZN2at6native32elementwise_kernel_manual_unrollILi128ELi4EZNS0_15gpu_kernel_implIZZZNS0_21polygamma_kernel_cudaERNS_18TensorIteratorBaseElENKUlvE_clEvENKUlvE0_clEvEUlfE_EEvS4_RKT_EUlibE_EEviT1_
; %bb.0:
	s_clause 0x2
	s_load_dword s34, s[4:5], 0x0
	s_load_dword s18, s[4:5], 0x28
	s_load_dwordx8 s[20:27], s[4:5], 0x8
	v_lshl_or_b32 v21, s6, 9, v0
	s_add_u32 s0, s0, s7
	s_addc_u32 s1, s1, 0
	s_mov_b32 s28, 0
	s_mov_b32 s33, 0
	v_or_b32_e32 v22, 0x180, v21
	s_mov_b32 s32, 0
	s_mov_b32 s4, exec_lo
	s_waitcnt lgkmcnt(0)
	s_bfe_u32 s19, s18, 0x80008
	v_cmpx_le_i32_e64 s34, v22
	s_xor_b32 s29, exec_lo, s4
	s_cbranch_execz .LBB96_512
; %bb.1:
	s_mov_b32 s4, -1
	s_mov_b32 s36, 0
	s_mov_b32 s35, exec_lo
	v_cmpx_gt_i32_e64 s34, v21
	s_cbranch_execz .LBB96_124
; %bb.2:
	v_mov_b32_e32 v0, s26
	v_mov_b32_e32 v1, s27
	;; [unrolled: 1-line block ×7, first 2 shown]
	s_getpc_b64 s[4:5]
	s_add_u32 s4, s4, _ZN2at6native6invokeIZZZNS0_21polygamma_kernel_cudaERNS_18TensorIteratorBaseElENKUlvE_clEvENKUlvE0_clEvEUlfE_i15function_traitsIS6_EEENT1_11result_typeERKT_PrKPcPKT0_PKN3c1010ScalarTypeEi@rel32@lo+4
	s_addc_u32 s5, s5, _ZN2at6native6invokeIZZZNS0_21polygamma_kernel_cudaERNS_18TensorIteratorBaseElENKUlvE_clEvENKUlvE0_clEvEUlfE_i15function_traitsIS6_EEENT1_11result_typeERKT_PrKPcPKT0_PKN3c1010ScalarTypeEi@rel32@hi+12
	s_swappc_b64 s[30:31], s[4:5]
	v_mul_lo_u32 v1, v21, s24
	s_and_b32 s5, s18, 0xff
	s_cmp_lt_i32 s5, 11
	v_ashrrev_i32_e32 v3, 31, v1
	v_add_co_u32 v2, vcc_lo, s20, v1
	v_add_co_ci_u32_e64 v3, null, s21, v3, vcc_lo
	s_cbranch_scc1 .LBB96_9
; %bb.3:
	s_and_b32 s6, 0xffff, s5
	s_cmp_gt_i32 s6, 25
	s_cbranch_scc0 .LBB96_12
; %bb.4:
	s_cmp_gt_i32 s6, 28
	s_cbranch_scc0 .LBB96_13
; %bb.5:
	;; [unrolled: 3-line block ×4, first 2 shown]
	s_mov_b32 s8, 0
	s_mov_b32 s4, -1
	s_cmp_eq_u32 s6, 46
	s_mov_b32 s7, 0
	s_cbranch_scc0 .LBB96_16
; %bb.8:
	v_bfe_u32 v1, v0, 16, 1
	v_cmp_o_f32_e32 vcc_lo, v0, v0
	v_mov_b32_e32 v4, 0x7fc0
	s_mov_b32 s7, -1
	s_mov_b32 s4, 0
	v_add3_u32 v1, v0, v1, 0x7fff
	v_cndmask_b32_sdwa v1, v4, v1, vcc_lo dst_sel:DWORD dst_unused:UNUSED_PAD src0_sel:DWORD src1_sel:WORD_1
	global_store_dword v[2:3], v1, off
	s_branch .LBB96_16
.LBB96_9:
	s_mov_b32 s4, 0
	s_mov_b32 s7, 0
	s_cbranch_execnz .LBB96_84
.LBB96_10:
	s_andn2_b32 vcc_lo, exec_lo, s7
	s_cbranch_vccnz .LBB96_122
.LBB96_11:
	v_add_nc_u32_e32 v21, 0x80, v21
	s_mov_b32 s5, -1
	s_branch .LBB96_123
.LBB96_12:
	s_mov_b32 s4, 0
	s_mov_b32 s7, 0
	s_cbranch_execnz .LBB96_43
	s_branch .LBB96_83
.LBB96_13:
	s_mov_b32 s8, -1
	s_mov_b32 s4, 0
	s_mov_b32 s7, 0
	s_branch .LBB96_26
.LBB96_14:
	s_mov_b32 s8, -1
	s_mov_b32 s4, 0
	s_mov_b32 s7, 0
	s_branch .LBB96_22
.LBB96_15:
	s_mov_b32 s8, -1
	s_mov_b32 s4, 0
	s_mov_b32 s7, 0
.LBB96_16:
	s_and_b32 vcc_lo, exec_lo, s8
	s_cbranch_vccz .LBB96_21
; %bb.17:
	s_cmp_eq_u32 s6, 44
	s_mov_b32 s4, -1
	s_cbranch_scc0 .LBB96_21
; %bb.18:
	v_bfe_u32 v4, v0, 23, 8
	v_mov_b32_e32 v1, 0xff
	s_mov_b32 s7, exec_lo
	v_cmpx_ne_u32_e32 0xff, v4
	s_cbranch_execz .LBB96_20
; %bb.19:
	v_and_b32_e32 v1, 0x400000, v0
	v_and_or_b32 v4, 0x3fffff, v0, v4
	v_cmp_ne_u32_e32 vcc_lo, 0, v1
	v_cmp_ne_u32_e64 s4, 0, v4
	v_lshrrev_b32_e32 v1, 23, v0
	s_and_b32 s4, vcc_lo, s4
	v_cndmask_b32_e64 v4, 0, 1, s4
	v_add_nc_u32_e32 v1, v1, v4
.LBB96_20:
	s_or_b32 exec_lo, exec_lo, s7
	s_mov_b32 s7, -1
	s_mov_b32 s4, 0
	global_store_byte v[2:3], v1, off
.LBB96_21:
	s_mov_b32 s8, 0
.LBB96_22:
	s_and_b32 vcc_lo, exec_lo, s8
	s_cbranch_vccz .LBB96_25
; %bb.23:
	s_cmp_eq_u32 s6, 29
	s_mov_b32 s4, -1
	s_cbranch_scc0 .LBB96_25
; %bb.24:
	v_trunc_f32_e32 v1, v0
	s_mov_b32 s7, -1
	s_mov_b32 s4, 0
	s_mov_b32 s8, 0
	v_mul_f32_e32 v4, 0x2f800000, v1
	v_floor_f32_e32 v4, v4
	v_fmamk_f32 v1, v4, 0xcf800000, v1
	v_cvt_u32_f32_e32 v5, v4
	v_cvt_u32_f32_e32 v4, v1
	global_store_dwordx2 v[2:3], v[4:5], off
	s_branch .LBB96_26
.LBB96_25:
	s_mov_b32 s8, 0
.LBB96_26:
	s_and_b32 vcc_lo, exec_lo, s8
	s_cbranch_vccz .LBB96_42
; %bb.27:
	s_cmp_lt_i32 s6, 27
	s_mov_b32 s7, -1
	s_cbranch_scc1 .LBB96_33
; %bb.28:
	v_cvt_u32_f32_e32 v1, v0
	s_cmp_gt_i32 s6, 27
	s_cbranch_scc0 .LBB96_30
; %bb.29:
	s_mov_b32 s7, 0
	global_store_dword v[2:3], v1, off
.LBB96_30:
	s_andn2_b32 vcc_lo, exec_lo, s7
	s_cbranch_vccnz .LBB96_32
; %bb.31:
	global_store_short v[2:3], v1, off
.LBB96_32:
	s_mov_b32 s7, 0
.LBB96_33:
	s_andn2_b32 vcc_lo, exec_lo, s7
	s_cbranch_vccnz .LBB96_41
; %bb.34:
	v_and_b32_e32 v1, 0x7fffffff, v0
	v_mov_b32_e32 v4, 0x80
	s_mov_b32 s7, exec_lo
	v_cmpx_gt_u32_e32 0x43800000, v1
	s_cbranch_execz .LBB96_40
; %bb.35:
	v_cmp_lt_u32_e32 vcc_lo, 0x3bffffff, v1
	s_mov_b32 s8, 0
                                        ; implicit-def: $vgpr1
	s_and_saveexec_b32 s9, vcc_lo
	s_xor_b32 s9, exec_lo, s9
	s_cbranch_execz .LBB96_141
; %bb.36:
	v_bfe_u32 v1, v0, 20, 1
	s_mov_b32 s8, exec_lo
	v_add3_u32 v1, v0, v1, 0x487ffff
	v_lshrrev_b32_e32 v1, 20, v1
	s_andn2_saveexec_b32 s9, s9
	s_cbranch_execnz .LBB96_142
.LBB96_37:
	s_or_b32 exec_lo, exec_lo, s9
	v_mov_b32_e32 v4, 0
	s_and_saveexec_b32 s9, s8
.LBB96_38:
	v_lshrrev_b32_e32 v4, 24, v0
	v_and_or_b32 v4, 0x80, v4, v1
.LBB96_39:
	s_or_b32 exec_lo, exec_lo, s9
.LBB96_40:
	s_or_b32 exec_lo, exec_lo, s7
	global_store_byte v[2:3], v4, off
.LBB96_41:
	s_mov_b32 s7, -1
.LBB96_42:
	s_branch .LBB96_83
.LBB96_43:
	s_cmp_gt_i32 s6, 22
	s_mov_b32 s8, -1
	s_cbranch_scc0 .LBB96_75
; %bb.44:
	s_cmp_lt_i32 s6, 24
	s_mov_b32 s7, -1
	s_cbranch_scc1 .LBB96_64
; %bb.45:
	s_cmp_gt_i32 s6, 24
	s_cbranch_scc0 .LBB96_53
; %bb.46:
	v_and_b32_e32 v1, 0x7fffffff, v0
	v_mov_b32_e32 v4, 0x80
	s_mov_b32 s7, exec_lo
	v_cmpx_gt_u32_e32 0x47800000, v1
	s_cbranch_execz .LBB96_52
; %bb.47:
	v_cmp_lt_u32_e32 vcc_lo, 0x37ffffff, v1
	s_mov_b32 s8, 0
                                        ; implicit-def: $vgpr1
	s_and_saveexec_b32 s9, vcc_lo
	s_xor_b32 s9, exec_lo, s9
	s_cbranch_execz .LBB96_144
; %bb.48:
	v_bfe_u32 v1, v0, 21, 1
	s_mov_b32 s8, exec_lo
	v_add3_u32 v1, v0, v1, 0x88fffff
	v_lshrrev_b32_e32 v1, 21, v1
	s_andn2_saveexec_b32 s9, s9
	s_cbranch_execnz .LBB96_145
.LBB96_49:
	s_or_b32 exec_lo, exec_lo, s9
	v_mov_b32_e32 v4, 0
	s_and_saveexec_b32 s9, s8
.LBB96_50:
	v_lshrrev_b32_e32 v4, 24, v0
	v_and_or_b32 v4, 0x80, v4, v1
.LBB96_51:
	s_or_b32 exec_lo, exec_lo, s9
.LBB96_52:
	s_or_b32 exec_lo, exec_lo, s7
	s_mov_b32 s7, 0
	global_store_byte v[2:3], v4, off
.LBB96_53:
	s_and_b32 vcc_lo, exec_lo, s7
	s_cbranch_vccz .LBB96_63
; %bb.54:
	v_and_b32_e32 v4, 0x7fffffff, v0
	s_mov_b32 s7, exec_lo
                                        ; implicit-def: $vgpr1
	v_cmpx_gt_u32_e32 0x43f00000, v4
	s_xor_b32 s7, exec_lo, s7
	s_cbranch_execz .LBB96_60
; %bb.55:
	s_mov_b32 s8, exec_lo
                                        ; implicit-def: $vgpr1
	v_cmpx_lt_u32_e32 0x3c7fffff, v4
	s_xor_b32 s8, exec_lo, s8
; %bb.56:
	v_bfe_u32 v1, v0, 20, 1
	v_add3_u32 v1, v0, v1, 0x407ffff
	v_and_b32_e32 v4, 0xff00000, v1
	v_lshrrev_b32_e32 v1, 20, v1
	v_cmp_ne_u32_e32 vcc_lo, 0x7f00000, v4
	v_cndmask_b32_e32 v1, 0x7e, v1, vcc_lo
; %bb.57:
	s_andn2_saveexec_b32 s8, s8
; %bb.58:
	v_add_f32_e64 v1, 0x46800000, |v0|
; %bb.59:
	s_or_b32 exec_lo, exec_lo, s8
                                        ; implicit-def: $vgpr4
.LBB96_60:
	s_andn2_saveexec_b32 s7, s7
; %bb.61:
	v_mov_b32_e32 v1, 0x7f
	v_cmp_lt_u32_e32 vcc_lo, 0x7f800000, v4
	v_cndmask_b32_e32 v1, 0x7e, v1, vcc_lo
; %bb.62:
	s_or_b32 exec_lo, exec_lo, s7
	v_lshrrev_b32_e32 v4, 24, v0
	v_and_or_b32 v1, 0x80, v4, v1
	global_store_byte v[2:3], v1, off
.LBB96_63:
	s_mov_b32 s7, 0
.LBB96_64:
	s_andn2_b32 vcc_lo, exec_lo, s7
	s_cbranch_vccnz .LBB96_74
; %bb.65:
	v_and_b32_e32 v4, 0x7fffffff, v0
	s_mov_b32 s7, exec_lo
                                        ; implicit-def: $vgpr1
	v_cmpx_gt_u32_e32 0x47800000, v4
	s_xor_b32 s7, exec_lo, s7
	s_cbranch_execz .LBB96_71
; %bb.66:
	s_mov_b32 s8, exec_lo
                                        ; implicit-def: $vgpr1
	v_cmpx_lt_u32_e32 0x387fffff, v4
	s_xor_b32 s8, exec_lo, s8
; %bb.67:
	v_bfe_u32 v1, v0, 21, 1
	v_add3_u32 v1, v0, v1, 0x80fffff
	v_lshrrev_b32_e32 v1, 21, v1
; %bb.68:
	s_andn2_saveexec_b32 s8, s8
; %bb.69:
	v_add_f32_e64 v1, 0x43000000, |v0|
; %bb.70:
	s_or_b32 exec_lo, exec_lo, s8
                                        ; implicit-def: $vgpr4
.LBB96_71:
	s_andn2_saveexec_b32 s7, s7
; %bb.72:
	v_mov_b32_e32 v1, 0x7f
	v_cmp_lt_u32_e32 vcc_lo, 0x7f800000, v4
	v_cndmask_b32_e32 v1, 0x7c, v1, vcc_lo
; %bb.73:
	s_or_b32 exec_lo, exec_lo, s7
	v_lshrrev_b32_e32 v4, 24, v0
	v_and_or_b32 v1, 0x80, v4, v1
	global_store_byte v[2:3], v1, off
.LBB96_74:
	s_mov_b32 s8, 0
	s_mov_b32 s7, -1
.LBB96_75:
	s_andn2_b32 vcc_lo, exec_lo, s8
	s_cbranch_vccnz .LBB96_83
; %bb.76:
	s_cmp_gt_i32 s6, 14
	s_mov_b32 s8, -1
	s_cbranch_scc0 .LBB96_80
; %bb.77:
	s_cmp_eq_u32 s6, 15
	s_mov_b32 s4, -1
	s_cbranch_scc0 .LBB96_79
; %bb.78:
	v_bfe_u32 v1, v0, 16, 1
	v_cmp_o_f32_e32 vcc_lo, v0, v0
	v_mov_b32_e32 v4, 0x7fc0
	s_mov_b32 s7, -1
	s_mov_b32 s4, 0
	v_add3_u32 v1, v0, v1, 0x7fff
	v_cndmask_b32_sdwa v1, v4, v1, vcc_lo dst_sel:DWORD dst_unused:UNUSED_PAD src0_sel:DWORD src1_sel:WORD_1
	global_store_short v[2:3], v1, off
.LBB96_79:
	s_mov_b32 s8, 0
.LBB96_80:
	s_and_b32 vcc_lo, exec_lo, s8
	s_cbranch_vccz .LBB96_83
; %bb.81:
	s_cmp_eq_u32 s6, 11
	s_mov_b32 s4, -1
	s_cbranch_scc0 .LBB96_83
; %bb.82:
	v_cmp_neq_f32_e32 vcc_lo, 0, v0
	s_mov_b32 s4, 0
	s_mov_b32 s7, -1
	v_cndmask_b32_e64 v1, 0, 1, vcc_lo
	global_store_byte v[2:3], v1, off
.LBB96_83:
	s_branch .LBB96_10
.LBB96_84:
	s_and_b32 s5, 0xffff, s5
	s_mov_b32 s6, -1
	s_cmp_lt_i32 s5, 5
	s_cbranch_scc1 .LBB96_105
; %bb.85:
	s_cmp_lt_i32 s5, 8
	s_cbranch_scc1 .LBB96_95
; %bb.86:
	;; [unrolled: 3-line block ×3, first 2 shown]
	s_cmp_gt_i32 s5, 9
	s_cbranch_scc0 .LBB96_89
; %bb.88:
	v_cvt_f64_f32_e32 v[4:5], v0
	v_mov_b32_e32 v6, 0
	s_mov_b32 s6, 0
	v_mov_b32_e32 v7, v6
	global_store_dwordx4 v[2:3], v[4:7], off
.LBB96_89:
	s_andn2_b32 vcc_lo, exec_lo, s6
	s_cbranch_vccnz .LBB96_91
; %bb.90:
	v_mov_b32_e32 v1, 0
	global_store_dwordx2 v[2:3], v[0:1], off
.LBB96_91:
	s_mov_b32 s6, 0
.LBB96_92:
	s_andn2_b32 vcc_lo, exec_lo, s6
	s_cbranch_vccnz .LBB96_94
; %bb.93:
	v_cvt_f16_f32_e32 v1, v0
	v_and_b32_e32 v1, 0xffff, v1
	global_store_dword v[2:3], v1, off
.LBB96_94:
	s_mov_b32 s6, 0
.LBB96_95:
	s_andn2_b32 vcc_lo, exec_lo, s6
	s_cbranch_vccnz .LBB96_104
; %bb.96:
	s_cmp_lt_i32 s5, 6
	s_mov_b32 s6, -1
	s_cbranch_scc1 .LBB96_102
; %bb.97:
	s_cmp_gt_i32 s5, 6
	s_cbranch_scc0 .LBB96_99
; %bb.98:
	v_cvt_f64_f32_e32 v[4:5], v0
	s_mov_b32 s6, 0
	global_store_dwordx2 v[2:3], v[4:5], off
.LBB96_99:
	s_andn2_b32 vcc_lo, exec_lo, s6
	s_cbranch_vccnz .LBB96_101
; %bb.100:
	global_store_dword v[2:3], v0, off
.LBB96_101:
	s_mov_b32 s6, 0
.LBB96_102:
	s_andn2_b32 vcc_lo, exec_lo, s6
	s_cbranch_vccnz .LBB96_104
; %bb.103:
	v_cvt_f16_f32_e32 v1, v0
	global_store_short v[2:3], v1, off
.LBB96_104:
	s_mov_b32 s6, 0
.LBB96_105:
	s_andn2_b32 vcc_lo, exec_lo, s6
	s_cbranch_vccnz .LBB96_121
; %bb.106:
	s_cmp_lt_i32 s5, 2
	s_mov_b32 s6, -1
	s_cbranch_scc1 .LBB96_116
; %bb.107:
	s_cmp_lt_i32 s5, 3
	s_cbranch_scc1 .LBB96_113
; %bb.108:
	s_cmp_gt_i32 s5, 3
	s_cbranch_scc0 .LBB96_110
; %bb.109:
	v_trunc_f32_e32 v1, v0
	s_mov_b32 s6, 0
	v_mul_f32_e64 v4, 0x2f800000, |v1|
	v_floor_f32_e32 v4, v4
	v_fma_f32 v5, 0xcf800000, v4, |v1|
	v_ashrrev_i32_e32 v1, 31, v1
	v_cvt_u32_f32_e32 v4, v4
	v_cvt_u32_f32_e32 v5, v5
	v_xor_b32_e32 v6, v4, v1
	v_xor_b32_e32 v5, v5, v1
	v_sub_co_u32 v4, vcc_lo, v5, v1
	v_sub_co_ci_u32_e64 v5, null, v6, v1, vcc_lo
	global_store_dwordx2 v[2:3], v[4:5], off
.LBB96_110:
	s_andn2_b32 vcc_lo, exec_lo, s6
	s_cbranch_vccnz .LBB96_112
; %bb.111:
	v_cvt_i32_f32_e32 v1, v0
	global_store_dword v[2:3], v1, off
.LBB96_112:
	s_mov_b32 s6, 0
.LBB96_113:
	s_andn2_b32 vcc_lo, exec_lo, s6
	s_cbranch_vccnz .LBB96_115
; %bb.114:
	v_cvt_i32_f32_e32 v1, v0
	global_store_short v[2:3], v1, off
.LBB96_115:
	s_mov_b32 s6, 0
.LBB96_116:
	s_andn2_b32 vcc_lo, exec_lo, s6
	s_cbranch_vccnz .LBB96_121
; %bb.117:
	s_cmp_gt_i32 s5, 0
	s_mov_b32 s5, -1
	s_cbranch_scc0 .LBB96_119
; %bb.118:
	v_cvt_i32_f32_e32 v1, v0
	s_mov_b32 s5, 0
	global_store_byte v[2:3], v1, off
.LBB96_119:
	s_andn2_b32 vcc_lo, exec_lo, s5
	s_cbranch_vccnz .LBB96_121
; %bb.120:
	v_trunc_f32_e32 v0, v0
	v_mul_f32_e64 v1, 0x2f800000, |v0|
	v_floor_f32_e32 v1, v1
	v_fma_f32 v1, 0xcf800000, v1, |v0|
	v_ashrrev_i32_e32 v0, 31, v0
	v_cvt_u32_f32_e32 v1, v1
	v_xor_b32_e32 v1, v1, v0
	v_sub_nc_u32_e32 v0, v1, v0
	global_store_byte v[2:3], v0, off
.LBB96_121:
	s_branch .LBB96_11
.LBB96_122:
	s_mov_b32 s5, 0
                                        ; implicit-def: $vgpr21
.LBB96_123:
	s_and_b32 s33, s4, exec_lo
	s_orn2_b32 s4, s5, exec_lo
.LBB96_124:
	s_or_b32 exec_lo, exec_lo, s35
	s_mov_b32 s6, 0
                                        ; implicit-def: $sgpr5
                                        ; implicit-def: $vgpr2_vgpr3
                                        ; implicit-def: $vgpr0
	s_and_saveexec_b32 s35, s4
	s_cbranch_execz .LBB96_133
; %bb.125:
	s_mov_b32 s7, -1
	s_mov_b32 s36, s33
	s_mov_b32 s37, exec_lo
	v_cmpx_gt_i32_e64 s34, v21
	s_cbranch_execz .LBB96_256
; %bb.126:
	v_mov_b32_e32 v0, s26
	v_mov_b32_e32 v1, s27
	;; [unrolled: 1-line block ×7, first 2 shown]
	s_getpc_b64 s[4:5]
	s_add_u32 s4, s4, _ZN2at6native6invokeIZZZNS0_21polygamma_kernel_cudaERNS_18TensorIteratorBaseElENKUlvE_clEvENKUlvE0_clEvEUlfE_i15function_traitsIS6_EEENT1_11result_typeERKT_PrKPcPKT0_PKN3c1010ScalarTypeEi@rel32@lo+4
	s_addc_u32 s5, s5, _ZN2at6native6invokeIZZZNS0_21polygamma_kernel_cudaERNS_18TensorIteratorBaseElENKUlvE_clEvENKUlvE0_clEvEUlfE_i15function_traitsIS6_EEENT1_11result_typeERKT_PrKPcPKT0_PKN3c1010ScalarTypeEi@rel32@hi+12
	s_swappc_b64 s[30:31], s[4:5]
	v_mul_lo_u32 v1, v21, s24
	s_and_b32 s5, s18, 0xff
	s_cmp_lt_i32 s5, 11
	v_ashrrev_i32_e32 v3, 31, v1
	v_add_co_u32 v2, vcc_lo, s20, v1
	v_add_co_ci_u32_e64 v3, null, s21, v3, vcc_lo
	s_cbranch_scc1 .LBB96_136
; %bb.127:
	s_and_b32 s6, 0xffff, s5
	s_cmp_gt_i32 s6, 25
	s_cbranch_scc0 .LBB96_139
; %bb.128:
	s_cmp_gt_i32 s6, 28
	s_cbranch_scc0 .LBB96_140
; %bb.129:
	;; [unrolled: 3-line block ×4, first 2 shown]
	s_mov_b32 s8, 0
	s_mov_b32 s4, -1
	s_cmp_eq_u32 s6, 46
	s_mov_b32 s7, 0
	s_cbranch_scc0 .LBB96_147
; %bb.132:
	v_bfe_u32 v1, v0, 16, 1
	v_cmp_o_f32_e32 vcc_lo, v0, v0
	v_mov_b32_e32 v4, 0x7fc0
	s_mov_b32 s7, -1
	s_mov_b32 s4, 0
	v_add3_u32 v1, v0, v1, 0x7fff
	v_cndmask_b32_sdwa v1, v4, v1, vcc_lo dst_sel:DWORD dst_unused:UNUSED_PAD src0_sel:DWORD src1_sel:WORD_1
	global_store_dword v[2:3], v1, off
	s_branch .LBB96_147
.LBB96_133:
	s_or_b32 exec_lo, exec_lo, s35
	s_mov_b32 s4, 0
	s_and_saveexec_b32 s7, s33
	s_cbranch_execnz .LBB96_472
.LBB96_134:
	s_or_b32 exec_lo, exec_lo, s7
	s_and_saveexec_b32 s7, s36
	s_xor_b32 s7, exec_lo, s7
	s_cbranch_execz .LBB96_473
.LBB96_135:
	v_cmp_neq_f32_e32 vcc_lo, 0, v0
	v_cndmask_b32_e64 v1, 0, 1, vcc_lo
	global_store_byte v[2:3], v1, off
	s_or_b32 exec_lo, exec_lo, s7
	s_and_saveexec_b32 s7, s6
	s_xor_b32 s6, exec_lo, s7
	s_cbranch_execz .LBB96_511
	s_branch .LBB96_474
.LBB96_136:
	s_mov_b32 s7, 0
	s_mov_b32 s4, s33
	s_cbranch_execnz .LBB96_216
.LBB96_137:
	s_andn2_b32 vcc_lo, exec_lo, s7
	s_cbranch_vccnz .LBB96_254
.LBB96_138:
	v_add_nc_u32_e32 v21, 0x80, v21
	s_mov_b32 s5, -1
	s_branch .LBB96_255
.LBB96_139:
	s_mov_b32 s8, -1
	s_mov_b32 s7, 0
	s_mov_b32 s4, s33
	s_branch .LBB96_174
.LBB96_140:
	s_mov_b32 s8, -1
	s_mov_b32 s7, 0
	s_mov_b32 s4, s33
	s_branch .LBB96_157
.LBB96_141:
	s_andn2_saveexec_b32 s9, s9
	s_cbranch_execz .LBB96_37
.LBB96_142:
	v_add_f32_e64 v1, 0x46000000, |v0|
	s_andn2_b32 s8, s8, exec_lo
	v_and_b32_e32 v1, 0xff, v1
	v_cmp_ne_u32_e32 vcc_lo, 0, v1
	s_and_b32 s10, vcc_lo, exec_lo
	s_or_b32 s8, s8, s10
	s_or_b32 exec_lo, exec_lo, s9
	v_mov_b32_e32 v4, 0
	s_and_saveexec_b32 s9, s8
	s_cbranch_execnz .LBB96_38
	s_branch .LBB96_39
.LBB96_143:
	s_mov_b32 s8, -1
	s_mov_b32 s7, 0
	s_mov_b32 s4, s33
	s_branch .LBB96_153
.LBB96_144:
	s_andn2_saveexec_b32 s9, s9
	s_cbranch_execz .LBB96_49
.LBB96_145:
	v_add_f32_e64 v1, 0x42800000, |v0|
	s_andn2_b32 s8, s8, exec_lo
	v_and_b32_e32 v1, 0xff, v1
	v_cmp_ne_u32_e32 vcc_lo, 0, v1
	s_and_b32 s10, vcc_lo, exec_lo
	s_or_b32 s8, s8, s10
	s_or_b32 exec_lo, exec_lo, s9
	v_mov_b32_e32 v4, 0
	s_and_saveexec_b32 s9, s8
	s_cbranch_execnz .LBB96_50
	s_branch .LBB96_51
.LBB96_146:
	s_mov_b32 s8, -1
	s_mov_b32 s7, 0
	s_mov_b32 s4, s33
.LBB96_147:
	s_and_b32 vcc_lo, exec_lo, s8
	s_cbranch_vccz .LBB96_152
; %bb.148:
	s_cmp_eq_u32 s6, 44
	s_mov_b32 s4, -1
	s_cbranch_scc0 .LBB96_152
; %bb.149:
	v_bfe_u32 v4, v0, 23, 8
	v_mov_b32_e32 v1, 0xff
	s_mov_b32 s7, exec_lo
	v_cmpx_ne_u32_e32 0xff, v4
	s_cbranch_execz .LBB96_151
; %bb.150:
	v_and_b32_e32 v1, 0x400000, v0
	v_and_or_b32 v4, 0x3fffff, v0, v4
	v_cmp_ne_u32_e32 vcc_lo, 0, v1
	v_cmp_ne_u32_e64 s4, 0, v4
	v_lshrrev_b32_e32 v1, 23, v0
	s_and_b32 s4, vcc_lo, s4
	v_cndmask_b32_e64 v4, 0, 1, s4
	v_add_nc_u32_e32 v1, v1, v4
.LBB96_151:
	s_or_b32 exec_lo, exec_lo, s7
	s_mov_b32 s7, -1
	s_mov_b32 s4, 0
	global_store_byte v[2:3], v1, off
.LBB96_152:
	s_mov_b32 s8, 0
.LBB96_153:
	s_and_b32 vcc_lo, exec_lo, s8
	s_cbranch_vccz .LBB96_156
; %bb.154:
	s_cmp_eq_u32 s6, 29
	s_mov_b32 s4, -1
	s_cbranch_scc0 .LBB96_156
; %bb.155:
	v_trunc_f32_e32 v1, v0
	s_mov_b32 s7, -1
	s_mov_b32 s4, 0
	s_mov_b32 s8, 0
	v_mul_f32_e32 v4, 0x2f800000, v1
	v_floor_f32_e32 v4, v4
	v_fmamk_f32 v1, v4, 0xcf800000, v1
	v_cvt_u32_f32_e32 v5, v4
	v_cvt_u32_f32_e32 v4, v1
	global_store_dwordx2 v[2:3], v[4:5], off
	s_branch .LBB96_157
.LBB96_156:
	s_mov_b32 s8, 0
.LBB96_157:
	s_and_b32 vcc_lo, exec_lo, s8
	s_cbranch_vccz .LBB96_173
; %bb.158:
	s_cmp_lt_i32 s6, 27
	s_mov_b32 s7, -1
	s_cbranch_scc1 .LBB96_164
; %bb.159:
	v_cvt_u32_f32_e32 v1, v0
	s_cmp_gt_i32 s6, 27
	s_cbranch_scc0 .LBB96_161
; %bb.160:
	s_mov_b32 s7, 0
	global_store_dword v[2:3], v1, off
.LBB96_161:
	s_andn2_b32 vcc_lo, exec_lo, s7
	s_cbranch_vccnz .LBB96_163
; %bb.162:
	global_store_short v[2:3], v1, off
.LBB96_163:
	s_mov_b32 s7, 0
.LBB96_164:
	s_andn2_b32 vcc_lo, exec_lo, s7
	s_cbranch_vccnz .LBB96_172
; %bb.165:
	v_and_b32_e32 v1, 0x7fffffff, v0
	v_mov_b32_e32 v4, 0x80
	s_mov_b32 s7, exec_lo
	v_cmpx_gt_u32_e32 0x43800000, v1
	s_cbranch_execz .LBB96_171
; %bb.166:
	v_cmp_lt_u32_e32 vcc_lo, 0x3bffffff, v1
	s_mov_b32 s8, 0
                                        ; implicit-def: $vgpr1
	s_and_saveexec_b32 s9, vcc_lo
	s_xor_b32 s9, exec_lo, s9
	s_cbranch_execz .LBB96_268
; %bb.167:
	v_bfe_u32 v1, v0, 20, 1
	s_mov_b32 s8, exec_lo
	v_add3_u32 v1, v0, v1, 0x487ffff
	v_lshrrev_b32_e32 v1, 20, v1
	s_andn2_saveexec_b32 s9, s9
	s_cbranch_execnz .LBB96_269
.LBB96_168:
	s_or_b32 exec_lo, exec_lo, s9
	v_mov_b32_e32 v4, 0
	s_and_saveexec_b32 s9, s8
.LBB96_169:
	v_lshrrev_b32_e32 v4, 24, v0
	v_and_or_b32 v4, 0x80, v4, v1
.LBB96_170:
	s_or_b32 exec_lo, exec_lo, s9
.LBB96_171:
	s_or_b32 exec_lo, exec_lo, s7
	global_store_byte v[2:3], v4, off
.LBB96_172:
	s_mov_b32 s7, -1
.LBB96_173:
	s_mov_b32 s8, 0
.LBB96_174:
	s_and_b32 vcc_lo, exec_lo, s8
	s_cbranch_vccz .LBB96_215
; %bb.175:
	s_cmp_gt_i32 s6, 22
	s_mov_b32 s8, -1
	s_cbranch_scc0 .LBB96_207
; %bb.176:
	s_cmp_lt_i32 s6, 24
	s_mov_b32 s7, -1
	s_cbranch_scc1 .LBB96_196
; %bb.177:
	s_cmp_gt_i32 s6, 24
	s_cbranch_scc0 .LBB96_185
; %bb.178:
	v_and_b32_e32 v1, 0x7fffffff, v0
	v_mov_b32_e32 v4, 0x80
	s_mov_b32 s7, exec_lo
	v_cmpx_gt_u32_e32 0x47800000, v1
	s_cbranch_execz .LBB96_184
; %bb.179:
	v_cmp_lt_u32_e32 vcc_lo, 0x37ffffff, v1
	s_mov_b32 s8, 0
                                        ; implicit-def: $vgpr1
	s_and_saveexec_b32 s9, vcc_lo
	s_xor_b32 s9, exec_lo, s9
	s_cbranch_execz .LBB96_271
; %bb.180:
	v_bfe_u32 v1, v0, 21, 1
	s_mov_b32 s8, exec_lo
	v_add3_u32 v1, v0, v1, 0x88fffff
	v_lshrrev_b32_e32 v1, 21, v1
	s_andn2_saveexec_b32 s9, s9
	s_cbranch_execnz .LBB96_272
.LBB96_181:
	s_or_b32 exec_lo, exec_lo, s9
	v_mov_b32_e32 v4, 0
	s_and_saveexec_b32 s9, s8
.LBB96_182:
	v_lshrrev_b32_e32 v4, 24, v0
	v_and_or_b32 v4, 0x80, v4, v1
.LBB96_183:
	s_or_b32 exec_lo, exec_lo, s9
.LBB96_184:
	s_or_b32 exec_lo, exec_lo, s7
	s_mov_b32 s7, 0
	global_store_byte v[2:3], v4, off
.LBB96_185:
	s_and_b32 vcc_lo, exec_lo, s7
	s_cbranch_vccz .LBB96_195
; %bb.186:
	v_and_b32_e32 v4, 0x7fffffff, v0
	s_mov_b32 s7, exec_lo
                                        ; implicit-def: $vgpr1
	v_cmpx_gt_u32_e32 0x43f00000, v4
	s_xor_b32 s7, exec_lo, s7
	s_cbranch_execz .LBB96_192
; %bb.187:
	s_mov_b32 s8, exec_lo
                                        ; implicit-def: $vgpr1
	v_cmpx_lt_u32_e32 0x3c7fffff, v4
	s_xor_b32 s8, exec_lo, s8
; %bb.188:
	v_bfe_u32 v1, v0, 20, 1
	v_add3_u32 v1, v0, v1, 0x407ffff
	v_and_b32_e32 v4, 0xff00000, v1
	v_lshrrev_b32_e32 v1, 20, v1
	v_cmp_ne_u32_e32 vcc_lo, 0x7f00000, v4
	v_cndmask_b32_e32 v1, 0x7e, v1, vcc_lo
; %bb.189:
	s_andn2_saveexec_b32 s8, s8
; %bb.190:
	v_add_f32_e64 v1, 0x46800000, |v0|
; %bb.191:
	s_or_b32 exec_lo, exec_lo, s8
                                        ; implicit-def: $vgpr4
.LBB96_192:
	s_andn2_saveexec_b32 s7, s7
; %bb.193:
	v_mov_b32_e32 v1, 0x7f
	v_cmp_lt_u32_e32 vcc_lo, 0x7f800000, v4
	v_cndmask_b32_e32 v1, 0x7e, v1, vcc_lo
; %bb.194:
	s_or_b32 exec_lo, exec_lo, s7
	v_lshrrev_b32_e32 v4, 24, v0
	v_and_or_b32 v1, 0x80, v4, v1
	global_store_byte v[2:3], v1, off
.LBB96_195:
	s_mov_b32 s7, 0
.LBB96_196:
	s_andn2_b32 vcc_lo, exec_lo, s7
	s_cbranch_vccnz .LBB96_206
; %bb.197:
	v_and_b32_e32 v4, 0x7fffffff, v0
	s_mov_b32 s7, exec_lo
                                        ; implicit-def: $vgpr1
	v_cmpx_gt_u32_e32 0x47800000, v4
	s_xor_b32 s7, exec_lo, s7
	s_cbranch_execz .LBB96_203
; %bb.198:
	s_mov_b32 s8, exec_lo
                                        ; implicit-def: $vgpr1
	v_cmpx_lt_u32_e32 0x387fffff, v4
	s_xor_b32 s8, exec_lo, s8
; %bb.199:
	v_bfe_u32 v1, v0, 21, 1
	v_add3_u32 v1, v0, v1, 0x80fffff
	v_lshrrev_b32_e32 v1, 21, v1
; %bb.200:
	s_andn2_saveexec_b32 s8, s8
; %bb.201:
	v_add_f32_e64 v1, 0x43000000, |v0|
; %bb.202:
	s_or_b32 exec_lo, exec_lo, s8
                                        ; implicit-def: $vgpr4
.LBB96_203:
	s_andn2_saveexec_b32 s7, s7
; %bb.204:
	v_mov_b32_e32 v1, 0x7f
	v_cmp_lt_u32_e32 vcc_lo, 0x7f800000, v4
	v_cndmask_b32_e32 v1, 0x7c, v1, vcc_lo
; %bb.205:
	s_or_b32 exec_lo, exec_lo, s7
	v_lshrrev_b32_e32 v4, 24, v0
	v_and_or_b32 v1, 0x80, v4, v1
	global_store_byte v[2:3], v1, off
.LBB96_206:
	s_mov_b32 s8, 0
	s_mov_b32 s7, -1
.LBB96_207:
	s_andn2_b32 vcc_lo, exec_lo, s8
	s_cbranch_vccnz .LBB96_215
; %bb.208:
	s_cmp_gt_i32 s6, 14
	s_mov_b32 s8, -1
	s_cbranch_scc0 .LBB96_212
; %bb.209:
	s_cmp_eq_u32 s6, 15
	s_mov_b32 s4, -1
	s_cbranch_scc0 .LBB96_211
; %bb.210:
	v_bfe_u32 v1, v0, 16, 1
	v_cmp_o_f32_e32 vcc_lo, v0, v0
	v_mov_b32_e32 v4, 0x7fc0
	s_mov_b32 s7, -1
	s_mov_b32 s4, 0
	v_add3_u32 v1, v0, v1, 0x7fff
	v_cndmask_b32_sdwa v1, v4, v1, vcc_lo dst_sel:DWORD dst_unused:UNUSED_PAD src0_sel:DWORD src1_sel:WORD_1
	global_store_short v[2:3], v1, off
.LBB96_211:
	s_mov_b32 s8, 0
.LBB96_212:
	s_and_b32 vcc_lo, exec_lo, s8
	s_cbranch_vccz .LBB96_215
; %bb.213:
	s_cmp_eq_u32 s6, 11
	s_mov_b32 s4, -1
	s_cbranch_scc0 .LBB96_215
; %bb.214:
	v_cmp_neq_f32_e32 vcc_lo, 0, v0
	s_mov_b32 s4, 0
	s_mov_b32 s7, -1
	v_cndmask_b32_e64 v1, 0, 1, vcc_lo
	global_store_byte v[2:3], v1, off
.LBB96_215:
	s_branch .LBB96_137
.LBB96_216:
	s_and_b32 s5, 0xffff, s5
	s_mov_b32 s6, -1
	s_cmp_lt_i32 s5, 5
	s_cbranch_scc1 .LBB96_237
; %bb.217:
	s_cmp_lt_i32 s5, 8
	s_cbranch_scc1 .LBB96_227
; %bb.218:
	;; [unrolled: 3-line block ×3, first 2 shown]
	s_cmp_gt_i32 s5, 9
	s_cbranch_scc0 .LBB96_221
; %bb.220:
	v_cvt_f64_f32_e32 v[4:5], v0
	v_mov_b32_e32 v6, 0
	s_mov_b32 s6, 0
	v_mov_b32_e32 v7, v6
	global_store_dwordx4 v[2:3], v[4:7], off
.LBB96_221:
	s_andn2_b32 vcc_lo, exec_lo, s6
	s_cbranch_vccnz .LBB96_223
; %bb.222:
	v_mov_b32_e32 v1, 0
	global_store_dwordx2 v[2:3], v[0:1], off
.LBB96_223:
	s_mov_b32 s6, 0
.LBB96_224:
	s_andn2_b32 vcc_lo, exec_lo, s6
	s_cbranch_vccnz .LBB96_226
; %bb.225:
	v_cvt_f16_f32_e32 v1, v0
	v_and_b32_e32 v1, 0xffff, v1
	global_store_dword v[2:3], v1, off
.LBB96_226:
	s_mov_b32 s6, 0
.LBB96_227:
	s_andn2_b32 vcc_lo, exec_lo, s6
	s_cbranch_vccnz .LBB96_236
; %bb.228:
	s_cmp_lt_i32 s5, 6
	s_mov_b32 s6, -1
	s_cbranch_scc1 .LBB96_234
; %bb.229:
	s_cmp_gt_i32 s5, 6
	s_cbranch_scc0 .LBB96_231
; %bb.230:
	v_cvt_f64_f32_e32 v[4:5], v0
	s_mov_b32 s6, 0
	global_store_dwordx2 v[2:3], v[4:5], off
.LBB96_231:
	s_andn2_b32 vcc_lo, exec_lo, s6
	s_cbranch_vccnz .LBB96_233
; %bb.232:
	global_store_dword v[2:3], v0, off
.LBB96_233:
	s_mov_b32 s6, 0
.LBB96_234:
	s_andn2_b32 vcc_lo, exec_lo, s6
	s_cbranch_vccnz .LBB96_236
; %bb.235:
	v_cvt_f16_f32_e32 v1, v0
	global_store_short v[2:3], v1, off
.LBB96_236:
	s_mov_b32 s6, 0
.LBB96_237:
	s_andn2_b32 vcc_lo, exec_lo, s6
	s_cbranch_vccnz .LBB96_253
; %bb.238:
	s_cmp_lt_i32 s5, 2
	s_mov_b32 s6, -1
	s_cbranch_scc1 .LBB96_248
; %bb.239:
	s_cmp_lt_i32 s5, 3
	s_cbranch_scc1 .LBB96_245
; %bb.240:
	s_cmp_gt_i32 s5, 3
	s_cbranch_scc0 .LBB96_242
; %bb.241:
	v_trunc_f32_e32 v1, v0
	s_mov_b32 s6, 0
	v_mul_f32_e64 v4, 0x2f800000, |v1|
	v_floor_f32_e32 v4, v4
	v_fma_f32 v5, 0xcf800000, v4, |v1|
	v_ashrrev_i32_e32 v1, 31, v1
	v_cvt_u32_f32_e32 v4, v4
	v_cvt_u32_f32_e32 v5, v5
	v_xor_b32_e32 v6, v4, v1
	v_xor_b32_e32 v5, v5, v1
	v_sub_co_u32 v4, vcc_lo, v5, v1
	v_sub_co_ci_u32_e64 v5, null, v6, v1, vcc_lo
	global_store_dwordx2 v[2:3], v[4:5], off
.LBB96_242:
	s_andn2_b32 vcc_lo, exec_lo, s6
	s_cbranch_vccnz .LBB96_244
; %bb.243:
	v_cvt_i32_f32_e32 v1, v0
	global_store_dword v[2:3], v1, off
.LBB96_244:
	s_mov_b32 s6, 0
.LBB96_245:
	s_andn2_b32 vcc_lo, exec_lo, s6
	s_cbranch_vccnz .LBB96_247
; %bb.246:
	v_cvt_i32_f32_e32 v1, v0
	global_store_short v[2:3], v1, off
.LBB96_247:
	s_mov_b32 s6, 0
.LBB96_248:
	s_andn2_b32 vcc_lo, exec_lo, s6
	s_cbranch_vccnz .LBB96_253
; %bb.249:
	s_cmp_gt_i32 s5, 0
	s_mov_b32 s5, -1
	s_cbranch_scc0 .LBB96_251
; %bb.250:
	v_cvt_i32_f32_e32 v1, v0
	s_mov_b32 s5, 0
	global_store_byte v[2:3], v1, off
.LBB96_251:
	s_andn2_b32 vcc_lo, exec_lo, s5
	s_cbranch_vccnz .LBB96_253
; %bb.252:
	v_trunc_f32_e32 v0, v0
	v_mul_f32_e64 v1, 0x2f800000, |v0|
	v_floor_f32_e32 v1, v1
	v_fma_f32 v1, 0xcf800000, v1, |v0|
	v_ashrrev_i32_e32 v0, 31, v0
	v_cvt_u32_f32_e32 v1, v1
	v_xor_b32_e32 v1, v1, v0
	v_sub_nc_u32_e32 v0, v1, v0
	global_store_byte v[2:3], v0, off
.LBB96_253:
	s_branch .LBB96_138
.LBB96_254:
	s_mov_b32 s5, 0
                                        ; implicit-def: $vgpr21
.LBB96_255:
	s_andn2_b32 s6, s33, exec_lo
	s_and_b32 s4, s4, exec_lo
	s_orn2_b32 s7, s5, exec_lo
	s_or_b32 s36, s6, s4
.LBB96_256:
	s_or_b32 exec_lo, exec_lo, s37
	s_mov_b32 s4, 0
	s_mov_b32 s6, 0
                                        ; implicit-def: $sgpr5
                                        ; implicit-def: $vgpr2_vgpr3
                                        ; implicit-def: $vgpr0
	s_and_saveexec_b32 s37, s7
	s_cbranch_execz .LBB96_471
; %bb.257:
	s_mov_b32 s7, -1
	s_mov_b32 s39, s36
	s_mov_b32 s38, exec_lo
	v_cmpx_gt_i32_e64 s34, v21
	s_cbranch_execz .LBB96_386
; %bb.258:
	v_mov_b32_e32 v0, s26
	v_mov_b32_e32 v1, s27
	;; [unrolled: 1-line block ×7, first 2 shown]
	s_getpc_b64 s[4:5]
	s_add_u32 s4, s4, _ZN2at6native6invokeIZZZNS0_21polygamma_kernel_cudaERNS_18TensorIteratorBaseElENKUlvE_clEvENKUlvE0_clEvEUlfE_i15function_traitsIS6_EEENT1_11result_typeERKT_PrKPcPKT0_PKN3c1010ScalarTypeEi@rel32@lo+4
	s_addc_u32 s5, s5, _ZN2at6native6invokeIZZZNS0_21polygamma_kernel_cudaERNS_18TensorIteratorBaseElENKUlvE_clEvENKUlvE0_clEvEUlfE_i15function_traitsIS6_EEENT1_11result_typeERKT_PrKPcPKT0_PKN3c1010ScalarTypeEi@rel32@hi+12
	s_swappc_b64 s[30:31], s[4:5]
	v_mul_lo_u32 v1, v21, s24
	s_and_b32 s5, s18, 0xff
	s_cmp_lt_i32 s5, 11
	v_ashrrev_i32_e32 v3, 31, v1
	v_add_co_u32 v2, vcc_lo, s20, v1
	v_add_co_ci_u32_e64 v3, null, s21, v3, vcc_lo
	s_cbranch_scc1 .LBB96_265
; %bb.259:
	s_and_b32 s6, 0xffff, s5
	s_cmp_gt_i32 s6, 25
	s_cbranch_scc0 .LBB96_266
; %bb.260:
	s_cmp_gt_i32 s6, 28
	s_cbranch_scc0 .LBB96_267
; %bb.261:
	;; [unrolled: 3-line block ×4, first 2 shown]
	s_mov_b32 s8, 0
	s_mov_b32 s4, -1
	s_cmp_eq_u32 s6, 46
	s_mov_b32 s7, 0
	s_cbranch_scc0 .LBB96_274
; %bb.264:
	v_bfe_u32 v1, v0, 16, 1
	v_cmp_o_f32_e32 vcc_lo, v0, v0
	v_mov_b32_e32 v4, 0x7fc0
	s_mov_b32 s7, -1
	s_mov_b32 s4, 0
	v_add3_u32 v1, v0, v1, 0x7fff
	v_cndmask_b32_sdwa v1, v4, v1, vcc_lo dst_sel:DWORD dst_unused:UNUSED_PAD src0_sel:DWORD src1_sel:WORD_1
	global_store_dword v[2:3], v1, off
	s_branch .LBB96_274
.LBB96_265:
	s_mov_b32 s6, -1
	s_mov_b32 s7, 0
	s_mov_b32 s4, s36
	s_branch .LBB96_343
.LBB96_266:
	s_mov_b32 s8, -1
	s_mov_b32 s7, 0
	s_mov_b32 s4, s36
	s_branch .LBB96_301
.LBB96_267:
	s_mov_b32 s8, -1
	s_mov_b32 s7, 0
	s_mov_b32 s4, s36
	s_branch .LBB96_284
.LBB96_268:
	s_andn2_saveexec_b32 s9, s9
	s_cbranch_execz .LBB96_168
.LBB96_269:
	v_add_f32_e64 v1, 0x46000000, |v0|
	s_andn2_b32 s8, s8, exec_lo
	v_and_b32_e32 v1, 0xff, v1
	v_cmp_ne_u32_e32 vcc_lo, 0, v1
	s_and_b32 s10, vcc_lo, exec_lo
	s_or_b32 s8, s8, s10
	s_or_b32 exec_lo, exec_lo, s9
	v_mov_b32_e32 v4, 0
	s_and_saveexec_b32 s9, s8
	s_cbranch_execnz .LBB96_169
	s_branch .LBB96_170
.LBB96_270:
	s_mov_b32 s8, -1
	s_mov_b32 s7, 0
	s_mov_b32 s4, s36
	s_branch .LBB96_280
.LBB96_271:
	s_andn2_saveexec_b32 s9, s9
	s_cbranch_execz .LBB96_181
.LBB96_272:
	v_add_f32_e64 v1, 0x42800000, |v0|
	s_andn2_b32 s8, s8, exec_lo
	v_and_b32_e32 v1, 0xff, v1
	v_cmp_ne_u32_e32 vcc_lo, 0, v1
	s_and_b32 s10, vcc_lo, exec_lo
	s_or_b32 s8, s8, s10
	s_or_b32 exec_lo, exec_lo, s9
	v_mov_b32_e32 v4, 0
	s_and_saveexec_b32 s9, s8
	s_cbranch_execnz .LBB96_182
	s_branch .LBB96_183
.LBB96_273:
	s_mov_b32 s8, -1
	s_mov_b32 s7, 0
	s_mov_b32 s4, s36
.LBB96_274:
	s_and_b32 vcc_lo, exec_lo, s8
	s_cbranch_vccz .LBB96_279
; %bb.275:
	s_cmp_eq_u32 s6, 44
	s_mov_b32 s4, -1
	s_cbranch_scc0 .LBB96_279
; %bb.276:
	v_bfe_u32 v4, v0, 23, 8
	v_mov_b32_e32 v1, 0xff
	s_mov_b32 s7, exec_lo
	v_cmpx_ne_u32_e32 0xff, v4
	s_cbranch_execz .LBB96_278
; %bb.277:
	v_and_b32_e32 v1, 0x400000, v0
	v_and_or_b32 v4, 0x3fffff, v0, v4
	v_cmp_ne_u32_e32 vcc_lo, 0, v1
	v_cmp_ne_u32_e64 s4, 0, v4
	v_lshrrev_b32_e32 v1, 23, v0
	s_and_b32 s4, vcc_lo, s4
	v_cndmask_b32_e64 v4, 0, 1, s4
	v_add_nc_u32_e32 v1, v1, v4
.LBB96_278:
	s_or_b32 exec_lo, exec_lo, s7
	s_mov_b32 s7, -1
	s_mov_b32 s4, 0
	global_store_byte v[2:3], v1, off
.LBB96_279:
	s_mov_b32 s8, 0
.LBB96_280:
	s_and_b32 vcc_lo, exec_lo, s8
	s_cbranch_vccz .LBB96_283
; %bb.281:
	s_cmp_eq_u32 s6, 29
	s_mov_b32 s4, -1
	s_cbranch_scc0 .LBB96_283
; %bb.282:
	v_trunc_f32_e32 v1, v0
	s_mov_b32 s7, -1
	s_mov_b32 s4, 0
	s_mov_b32 s8, 0
	v_mul_f32_e32 v4, 0x2f800000, v1
	v_floor_f32_e32 v4, v4
	v_fmamk_f32 v1, v4, 0xcf800000, v1
	v_cvt_u32_f32_e32 v5, v4
	v_cvt_u32_f32_e32 v4, v1
	global_store_dwordx2 v[2:3], v[4:5], off
	s_branch .LBB96_284
.LBB96_283:
	s_mov_b32 s8, 0
.LBB96_284:
	s_and_b32 vcc_lo, exec_lo, s8
	s_cbranch_vccz .LBB96_300
; %bb.285:
	s_cmp_lt_i32 s6, 27
	s_mov_b32 s7, -1
	s_cbranch_scc1 .LBB96_291
; %bb.286:
	v_cvt_u32_f32_e32 v1, v0
	s_cmp_gt_i32 s6, 27
	s_cbranch_scc0 .LBB96_288
; %bb.287:
	s_mov_b32 s7, 0
	global_store_dword v[2:3], v1, off
.LBB96_288:
	s_andn2_b32 vcc_lo, exec_lo, s7
	s_cbranch_vccnz .LBB96_290
; %bb.289:
	global_store_short v[2:3], v1, off
.LBB96_290:
	s_mov_b32 s7, 0
.LBB96_291:
	s_andn2_b32 vcc_lo, exec_lo, s7
	s_cbranch_vccnz .LBB96_299
; %bb.292:
	v_and_b32_e32 v1, 0x7fffffff, v0
	v_mov_b32_e32 v4, 0x80
	s_mov_b32 s7, exec_lo
	v_cmpx_gt_u32_e32 0x43800000, v1
	s_cbranch_execz .LBB96_298
; %bb.293:
	v_cmp_lt_u32_e32 vcc_lo, 0x3bffffff, v1
	s_mov_b32 s8, 0
                                        ; implicit-def: $vgpr1
	s_and_saveexec_b32 s9, vcc_lo
	s_xor_b32 s9, exec_lo, s9
	s_cbranch_execz .LBB96_396
; %bb.294:
	v_bfe_u32 v1, v0, 20, 1
	s_mov_b32 s8, exec_lo
	v_add3_u32 v1, v0, v1, 0x487ffff
	v_lshrrev_b32_e32 v1, 20, v1
	s_andn2_saveexec_b32 s9, s9
	s_cbranch_execnz .LBB96_397
.LBB96_295:
	s_or_b32 exec_lo, exec_lo, s9
	v_mov_b32_e32 v4, 0
	s_and_saveexec_b32 s9, s8
.LBB96_296:
	v_lshrrev_b32_e32 v4, 24, v0
	v_and_or_b32 v4, 0x80, v4, v1
.LBB96_297:
	s_or_b32 exec_lo, exec_lo, s9
.LBB96_298:
	s_or_b32 exec_lo, exec_lo, s7
	global_store_byte v[2:3], v4, off
.LBB96_299:
	s_mov_b32 s7, -1
.LBB96_300:
	s_mov_b32 s8, 0
.LBB96_301:
	s_and_b32 vcc_lo, exec_lo, s8
	s_cbranch_vccz .LBB96_342
; %bb.302:
	s_cmp_gt_i32 s6, 22
	s_mov_b32 s8, -1
	s_cbranch_scc0 .LBB96_334
; %bb.303:
	s_cmp_lt_i32 s6, 24
	s_mov_b32 s7, -1
	s_cbranch_scc1 .LBB96_323
; %bb.304:
	s_cmp_gt_i32 s6, 24
	s_cbranch_scc0 .LBB96_312
; %bb.305:
	v_and_b32_e32 v1, 0x7fffffff, v0
	v_mov_b32_e32 v4, 0x80
	s_mov_b32 s7, exec_lo
	v_cmpx_gt_u32_e32 0x47800000, v1
	s_cbranch_execz .LBB96_311
; %bb.306:
	v_cmp_lt_u32_e32 vcc_lo, 0x37ffffff, v1
	s_mov_b32 s8, 0
                                        ; implicit-def: $vgpr1
	s_and_saveexec_b32 s9, vcc_lo
	s_xor_b32 s9, exec_lo, s9
	s_cbranch_execz .LBB96_398
; %bb.307:
	v_bfe_u32 v1, v0, 21, 1
	s_mov_b32 s8, exec_lo
	v_add3_u32 v1, v0, v1, 0x88fffff
	v_lshrrev_b32_e32 v1, 21, v1
	s_andn2_saveexec_b32 s9, s9
	s_cbranch_execnz .LBB96_399
.LBB96_308:
	s_or_b32 exec_lo, exec_lo, s9
	v_mov_b32_e32 v4, 0
	s_and_saveexec_b32 s9, s8
.LBB96_309:
	v_lshrrev_b32_e32 v4, 24, v0
	v_and_or_b32 v4, 0x80, v4, v1
.LBB96_310:
	s_or_b32 exec_lo, exec_lo, s9
.LBB96_311:
	s_or_b32 exec_lo, exec_lo, s7
	s_mov_b32 s7, 0
	global_store_byte v[2:3], v4, off
.LBB96_312:
	s_and_b32 vcc_lo, exec_lo, s7
	s_cbranch_vccz .LBB96_322
; %bb.313:
	v_and_b32_e32 v4, 0x7fffffff, v0
	s_mov_b32 s7, exec_lo
                                        ; implicit-def: $vgpr1
	v_cmpx_gt_u32_e32 0x43f00000, v4
	s_xor_b32 s7, exec_lo, s7
	s_cbranch_execz .LBB96_319
; %bb.314:
	s_mov_b32 s8, exec_lo
                                        ; implicit-def: $vgpr1
	v_cmpx_lt_u32_e32 0x3c7fffff, v4
	s_xor_b32 s8, exec_lo, s8
; %bb.315:
	v_bfe_u32 v1, v0, 20, 1
	v_add3_u32 v1, v0, v1, 0x407ffff
	v_and_b32_e32 v4, 0xff00000, v1
	v_lshrrev_b32_e32 v1, 20, v1
	v_cmp_ne_u32_e32 vcc_lo, 0x7f00000, v4
	v_cndmask_b32_e32 v1, 0x7e, v1, vcc_lo
; %bb.316:
	s_andn2_saveexec_b32 s8, s8
; %bb.317:
	v_add_f32_e64 v1, 0x46800000, |v0|
; %bb.318:
	s_or_b32 exec_lo, exec_lo, s8
                                        ; implicit-def: $vgpr4
.LBB96_319:
	s_andn2_saveexec_b32 s7, s7
; %bb.320:
	v_mov_b32_e32 v1, 0x7f
	v_cmp_lt_u32_e32 vcc_lo, 0x7f800000, v4
	v_cndmask_b32_e32 v1, 0x7e, v1, vcc_lo
; %bb.321:
	s_or_b32 exec_lo, exec_lo, s7
	v_lshrrev_b32_e32 v4, 24, v0
	v_and_or_b32 v1, 0x80, v4, v1
	global_store_byte v[2:3], v1, off
.LBB96_322:
	s_mov_b32 s7, 0
.LBB96_323:
	s_andn2_b32 vcc_lo, exec_lo, s7
	s_cbranch_vccnz .LBB96_333
; %bb.324:
	v_and_b32_e32 v4, 0x7fffffff, v0
	s_mov_b32 s7, exec_lo
                                        ; implicit-def: $vgpr1
	v_cmpx_gt_u32_e32 0x47800000, v4
	s_xor_b32 s7, exec_lo, s7
	s_cbranch_execz .LBB96_330
; %bb.325:
	s_mov_b32 s8, exec_lo
                                        ; implicit-def: $vgpr1
	v_cmpx_lt_u32_e32 0x387fffff, v4
	s_xor_b32 s8, exec_lo, s8
; %bb.326:
	v_bfe_u32 v1, v0, 21, 1
	v_add3_u32 v1, v0, v1, 0x80fffff
	v_lshrrev_b32_e32 v1, 21, v1
; %bb.327:
	s_andn2_saveexec_b32 s8, s8
; %bb.328:
	v_add_f32_e64 v1, 0x43000000, |v0|
; %bb.329:
	s_or_b32 exec_lo, exec_lo, s8
                                        ; implicit-def: $vgpr4
.LBB96_330:
	s_andn2_saveexec_b32 s7, s7
; %bb.331:
	v_mov_b32_e32 v1, 0x7f
	v_cmp_lt_u32_e32 vcc_lo, 0x7f800000, v4
	v_cndmask_b32_e32 v1, 0x7c, v1, vcc_lo
; %bb.332:
	s_or_b32 exec_lo, exec_lo, s7
	v_lshrrev_b32_e32 v4, 24, v0
	v_and_or_b32 v1, 0x80, v4, v1
	global_store_byte v[2:3], v1, off
.LBB96_333:
	s_mov_b32 s8, 0
	s_mov_b32 s7, -1
.LBB96_334:
	s_andn2_b32 vcc_lo, exec_lo, s8
	s_cbranch_vccnz .LBB96_342
; %bb.335:
	s_cmp_gt_i32 s6, 14
	s_mov_b32 s8, -1
	s_cbranch_scc0 .LBB96_339
; %bb.336:
	s_cmp_eq_u32 s6, 15
	s_mov_b32 s4, -1
	s_cbranch_scc0 .LBB96_338
; %bb.337:
	v_bfe_u32 v1, v0, 16, 1
	v_cmp_o_f32_e32 vcc_lo, v0, v0
	v_mov_b32_e32 v4, 0x7fc0
	s_mov_b32 s7, -1
	s_mov_b32 s4, 0
	v_add3_u32 v1, v0, v1, 0x7fff
	v_cndmask_b32_sdwa v1, v4, v1, vcc_lo dst_sel:DWORD dst_unused:UNUSED_PAD src0_sel:DWORD src1_sel:WORD_1
	global_store_short v[2:3], v1, off
.LBB96_338:
	s_mov_b32 s8, 0
.LBB96_339:
	s_and_b32 vcc_lo, exec_lo, s8
	s_cbranch_vccz .LBB96_342
; %bb.340:
	s_cmp_eq_u32 s6, 11
	s_mov_b32 s4, -1
	s_cbranch_scc0 .LBB96_342
; %bb.341:
	v_cmp_neq_f32_e32 vcc_lo, 0, v0
	s_mov_b32 s4, 0
	s_mov_b32 s7, -1
	v_cndmask_b32_e64 v1, 0, 1, vcc_lo
	global_store_byte v[2:3], v1, off
.LBB96_342:
	s_mov_b32 s6, 0
.LBB96_343:
	s_and_b32 vcc_lo, exec_lo, s6
	s_cbranch_vccz .LBB96_382
; %bb.344:
	s_and_b32 s5, 0xffff, s5
	s_mov_b32 s6, -1
	s_cmp_lt_i32 s5, 5
	s_cbranch_scc1 .LBB96_365
; %bb.345:
	s_cmp_lt_i32 s5, 8
	s_cbranch_scc1 .LBB96_355
; %bb.346:
	;; [unrolled: 3-line block ×3, first 2 shown]
	s_cmp_gt_i32 s5, 9
	s_cbranch_scc0 .LBB96_349
; %bb.348:
	v_cvt_f64_f32_e32 v[4:5], v0
	v_mov_b32_e32 v6, 0
	s_mov_b32 s6, 0
	v_mov_b32_e32 v7, v6
	global_store_dwordx4 v[2:3], v[4:7], off
.LBB96_349:
	s_andn2_b32 vcc_lo, exec_lo, s6
	s_cbranch_vccnz .LBB96_351
; %bb.350:
	v_mov_b32_e32 v1, 0
	global_store_dwordx2 v[2:3], v[0:1], off
.LBB96_351:
	s_mov_b32 s6, 0
.LBB96_352:
	s_andn2_b32 vcc_lo, exec_lo, s6
	s_cbranch_vccnz .LBB96_354
; %bb.353:
	v_cvt_f16_f32_e32 v1, v0
	v_and_b32_e32 v1, 0xffff, v1
	global_store_dword v[2:3], v1, off
.LBB96_354:
	s_mov_b32 s6, 0
.LBB96_355:
	s_andn2_b32 vcc_lo, exec_lo, s6
	s_cbranch_vccnz .LBB96_364
; %bb.356:
	s_cmp_lt_i32 s5, 6
	s_mov_b32 s6, -1
	s_cbranch_scc1 .LBB96_362
; %bb.357:
	s_cmp_gt_i32 s5, 6
	s_cbranch_scc0 .LBB96_359
; %bb.358:
	v_cvt_f64_f32_e32 v[4:5], v0
	s_mov_b32 s6, 0
	global_store_dwordx2 v[2:3], v[4:5], off
.LBB96_359:
	s_andn2_b32 vcc_lo, exec_lo, s6
	s_cbranch_vccnz .LBB96_361
; %bb.360:
	global_store_dword v[2:3], v0, off
.LBB96_361:
	s_mov_b32 s6, 0
.LBB96_362:
	s_andn2_b32 vcc_lo, exec_lo, s6
	s_cbranch_vccnz .LBB96_364
; %bb.363:
	v_cvt_f16_f32_e32 v1, v0
	global_store_short v[2:3], v1, off
.LBB96_364:
	s_mov_b32 s6, 0
.LBB96_365:
	s_andn2_b32 vcc_lo, exec_lo, s6
	s_cbranch_vccnz .LBB96_381
; %bb.366:
	s_cmp_lt_i32 s5, 2
	s_mov_b32 s6, -1
	s_cbranch_scc1 .LBB96_376
; %bb.367:
	s_cmp_lt_i32 s5, 3
	s_cbranch_scc1 .LBB96_373
; %bb.368:
	s_cmp_gt_i32 s5, 3
	s_cbranch_scc0 .LBB96_370
; %bb.369:
	v_trunc_f32_e32 v1, v0
	s_mov_b32 s6, 0
	v_mul_f32_e64 v4, 0x2f800000, |v1|
	v_floor_f32_e32 v4, v4
	v_fma_f32 v5, 0xcf800000, v4, |v1|
	v_ashrrev_i32_e32 v1, 31, v1
	v_cvt_u32_f32_e32 v4, v4
	v_cvt_u32_f32_e32 v5, v5
	v_xor_b32_e32 v6, v4, v1
	v_xor_b32_e32 v5, v5, v1
	v_sub_co_u32 v4, vcc_lo, v5, v1
	v_sub_co_ci_u32_e64 v5, null, v6, v1, vcc_lo
	global_store_dwordx2 v[2:3], v[4:5], off
.LBB96_370:
	s_andn2_b32 vcc_lo, exec_lo, s6
	s_cbranch_vccnz .LBB96_372
; %bb.371:
	v_cvt_i32_f32_e32 v1, v0
	global_store_dword v[2:3], v1, off
.LBB96_372:
	s_mov_b32 s6, 0
.LBB96_373:
	s_andn2_b32 vcc_lo, exec_lo, s6
	s_cbranch_vccnz .LBB96_375
; %bb.374:
	v_cvt_i32_f32_e32 v1, v0
	global_store_short v[2:3], v1, off
.LBB96_375:
	s_mov_b32 s6, 0
.LBB96_376:
	s_andn2_b32 vcc_lo, exec_lo, s6
	s_cbranch_vccnz .LBB96_381
; %bb.377:
	s_cmp_gt_i32 s5, 0
	s_mov_b32 s5, -1
	s_cbranch_scc0 .LBB96_379
; %bb.378:
	v_cvt_i32_f32_e32 v1, v0
	s_mov_b32 s5, 0
	global_store_byte v[2:3], v1, off
.LBB96_379:
	s_andn2_b32 vcc_lo, exec_lo, s5
	s_cbranch_vccnz .LBB96_381
; %bb.380:
	v_trunc_f32_e32 v0, v0
	v_mul_f32_e64 v1, 0x2f800000, |v0|
	v_floor_f32_e32 v1, v1
	v_fma_f32 v1, 0xcf800000, v1, |v0|
	v_ashrrev_i32_e32 v0, 31, v0
	v_cvt_u32_f32_e32 v1, v1
	v_xor_b32_e32 v1, v1, v0
	v_sub_nc_u32_e32 v0, v1, v0
	global_store_byte v[2:3], v0, off
.LBB96_381:
	s_mov_b32 s7, -1
.LBB96_382:
	s_andn2_b32 vcc_lo, exec_lo, s7
	s_cbranch_vccnz .LBB96_384
; %bb.383:
	v_add_nc_u32_e32 v21, 0x80, v21
	s_mov_b32 s5, -1
	s_branch .LBB96_385
.LBB96_384:
	s_mov_b32 s5, 0
                                        ; implicit-def: $vgpr21
.LBB96_385:
	s_andn2_b32 s6, s36, exec_lo
	s_and_b32 s4, s4, exec_lo
	s_orn2_b32 s7, s5, exec_lo
	s_or_b32 s39, s6, s4
.LBB96_386:
	s_or_b32 exec_lo, exec_lo, s38
	s_mov_b32 s4, 0
	s_mov_b32 s6, 0
                                        ; implicit-def: $sgpr5
                                        ; implicit-def: $vgpr2_vgpr3
                                        ; implicit-def: $vgpr0
	s_and_saveexec_b32 s38, s7
	s_cbranch_execz .LBB96_470
; %bb.387:
	v_cmp_gt_i32_e32 vcc_lo, s34, v21
	s_mov_b32 s7, s39
                                        ; implicit-def: $sgpr5
                                        ; implicit-def: $vgpr2_vgpr3
                                        ; implicit-def: $vgpr0
	s_and_saveexec_b32 s34, vcc_lo
	s_cbranch_execz .LBB96_469
; %bb.388:
	v_mov_b32_e32 v0, s26
	v_mov_b32_e32 v1, s27
	;; [unrolled: 1-line block ×7, first 2 shown]
	s_getpc_b64 s[4:5]
	s_add_u32 s4, s4, _ZN2at6native6invokeIZZZNS0_21polygamma_kernel_cudaERNS_18TensorIteratorBaseElENKUlvE_clEvENKUlvE0_clEvEUlfE_i15function_traitsIS6_EEENT1_11result_typeERKT_PrKPcPKT0_PKN3c1010ScalarTypeEi@rel32@lo+4
	s_addc_u32 s5, s5, _ZN2at6native6invokeIZZZNS0_21polygamma_kernel_cudaERNS_18TensorIteratorBaseElENKUlvE_clEvENKUlvE0_clEvEUlfE_i15function_traitsIS6_EEENT1_11result_typeERKT_PrKPcPKT0_PKN3c1010ScalarTypeEi@rel32@hi+12
	s_swappc_b64 s[30:31], s[4:5]
	v_mul_lo_u32 v1, v21, s24
	s_and_b32 s5, s18, 0xff
	s_cmp_lt_i32 s5, 11
	v_ashrrev_i32_e32 v3, 31, v1
	v_add_co_u32 v2, vcc_lo, s20, v1
	v_add_co_ci_u32_e64 v3, null, s21, v3, vcc_lo
	s_cbranch_scc1 .LBB96_395
; %bb.389:
	s_and_b32 s6, 0xffff, s5
	s_mov_b32 s7, -1
	s_cmp_gt_i32 s6, 25
	s_mov_b32 s4, s39
	s_cbranch_scc0 .LBB96_427
; %bb.390:
	s_cmp_gt_i32 s6, 28
	s_mov_b32 s4, s39
	s_cbranch_scc0 .LBB96_411
; %bb.391:
	;; [unrolled: 4-line block ×4, first 2 shown]
	s_cmp_eq_u32 s6, 46
	s_mov_b32 s4, -1
	s_cbranch_scc0 .LBB96_400
; %bb.394:
	v_bfe_u32 v1, v0, 16, 1
	v_cmp_o_f32_e32 vcc_lo, v0, v0
	v_mov_b32_e32 v4, 0x7fc0
	s_mov_b32 s4, 0
	s_mov_b32 s7, 0
	v_add3_u32 v1, v0, v1, 0x7fff
	v_cndmask_b32_sdwa v1, v4, v1, vcc_lo dst_sel:DWORD dst_unused:UNUSED_PAD src0_sel:DWORD src1_sel:WORD_1
	global_store_dword v[2:3], v1, off
	s_branch .LBB96_401
.LBB96_395:
	s_mov_b32 s8, 0
	s_mov_b32 s7, -1
	s_mov_b32 s4, s39
	s_branch .LBB96_468
.LBB96_396:
	s_andn2_saveexec_b32 s9, s9
	s_cbranch_execz .LBB96_295
.LBB96_397:
	v_add_f32_e64 v1, 0x46000000, |v0|
	s_andn2_b32 s8, s8, exec_lo
	v_and_b32_e32 v1, 0xff, v1
	v_cmp_ne_u32_e32 vcc_lo, 0, v1
	s_and_b32 s10, vcc_lo, exec_lo
	s_or_b32 s8, s8, s10
	s_or_b32 exec_lo, exec_lo, s9
	v_mov_b32_e32 v4, 0
	s_and_saveexec_b32 s9, s8
	s_cbranch_execnz .LBB96_296
	s_branch .LBB96_297
.LBB96_398:
	s_andn2_saveexec_b32 s9, s9
	s_cbranch_execz .LBB96_308
.LBB96_399:
	v_add_f32_e64 v1, 0x42800000, |v0|
	s_andn2_b32 s8, s8, exec_lo
	v_and_b32_e32 v1, 0xff, v1
	v_cmp_ne_u32_e32 vcc_lo, 0, v1
	s_and_b32 s10, vcc_lo, exec_lo
	s_or_b32 s8, s8, s10
	s_or_b32 exec_lo, exec_lo, s9
	v_mov_b32_e32 v4, 0
	s_and_saveexec_b32 s9, s8
	s_cbranch_execnz .LBB96_309
	s_branch .LBB96_310
.LBB96_400:
	s_mov_b32 s7, 0
.LBB96_401:
	s_and_b32 vcc_lo, exec_lo, s7
	s_cbranch_vccz .LBB96_406
; %bb.402:
	s_cmp_eq_u32 s6, 44
	s_mov_b32 s4, -1
	s_cbranch_scc0 .LBB96_406
; %bb.403:
	v_bfe_u32 v4, v0, 23, 8
	v_mov_b32_e32 v1, 0xff
	s_mov_b32 s7, exec_lo
	v_cmpx_ne_u32_e32 0xff, v4
	s_cbranch_execz .LBB96_405
; %bb.404:
	v_and_b32_e32 v1, 0x400000, v0
	v_and_or_b32 v4, 0x3fffff, v0, v4
	v_cmp_ne_u32_e32 vcc_lo, 0, v1
	v_cmp_ne_u32_e64 s4, 0, v4
	v_lshrrev_b32_e32 v1, 23, v0
	s_and_b32 s4, vcc_lo, s4
	v_cndmask_b32_e64 v4, 0, 1, s4
	v_add_nc_u32_e32 v1, v1, v4
.LBB96_405:
	s_or_b32 exec_lo, exec_lo, s7
	s_mov_b32 s4, 0
	global_store_byte v[2:3], v1, off
.LBB96_406:
	s_mov_b32 s7, 0
.LBB96_407:
	s_and_b32 vcc_lo, exec_lo, s7
	s_cbranch_vccz .LBB96_410
; %bb.408:
	s_cmp_eq_u32 s6, 29
	s_mov_b32 s4, -1
	s_cbranch_scc0 .LBB96_410
; %bb.409:
	v_trunc_f32_e32 v1, v0
	s_mov_b32 s4, 0
	s_mov_b32 s7, 0
	v_mul_f32_e32 v4, 0x2f800000, v1
	v_floor_f32_e32 v4, v4
	v_fmamk_f32 v1, v4, 0xcf800000, v1
	v_cvt_u32_f32_e32 v5, v4
	v_cvt_u32_f32_e32 v4, v1
	global_store_dwordx2 v[2:3], v[4:5], off
	s_branch .LBB96_411
.LBB96_410:
	s_mov_b32 s7, 0
.LBB96_411:
	s_and_b32 vcc_lo, exec_lo, s7
	s_cbranch_vccz .LBB96_426
; %bb.412:
	s_cmp_lt_i32 s6, 27
	s_mov_b32 s7, -1
	s_cbranch_scc1 .LBB96_418
; %bb.413:
	v_cvt_u32_f32_e32 v1, v0
	s_cmp_gt_i32 s6, 27
	s_cbranch_scc0 .LBB96_415
; %bb.414:
	s_mov_b32 s7, 0
	global_store_dword v[2:3], v1, off
.LBB96_415:
	s_andn2_b32 vcc_lo, exec_lo, s7
	s_cbranch_vccnz .LBB96_417
; %bb.416:
	global_store_short v[2:3], v1, off
.LBB96_417:
	s_mov_b32 s7, 0
.LBB96_418:
	s_andn2_b32 vcc_lo, exec_lo, s7
	s_cbranch_vccnz .LBB96_426
; %bb.419:
	v_and_b32_e32 v1, 0x7fffffff, v0
	v_mov_b32_e32 v4, 0x80
	s_mov_b32 s7, exec_lo
	v_cmpx_gt_u32_e32 0x43800000, v1
	s_cbranch_execz .LBB96_425
; %bb.420:
	v_cmp_lt_u32_e32 vcc_lo, 0x3bffffff, v1
	s_mov_b32 s8, 0
                                        ; implicit-def: $vgpr1
	s_and_saveexec_b32 s9, vcc_lo
	s_xor_b32 s9, exec_lo, s9
	s_cbranch_execz .LBB96_1007
; %bb.421:
	v_bfe_u32 v1, v0, 20, 1
	s_mov_b32 s8, exec_lo
	v_add3_u32 v1, v0, v1, 0x487ffff
	v_lshrrev_b32_e32 v1, 20, v1
	s_andn2_saveexec_b32 s9, s9
	s_cbranch_execnz .LBB96_1008
.LBB96_422:
	s_or_b32 exec_lo, exec_lo, s9
	v_mov_b32_e32 v4, 0
	s_and_saveexec_b32 s9, s8
.LBB96_423:
	v_lshrrev_b32_e32 v4, 24, v0
	v_and_or_b32 v4, 0x80, v4, v1
.LBB96_424:
	s_or_b32 exec_lo, exec_lo, s9
.LBB96_425:
	s_or_b32 exec_lo, exec_lo, s7
	global_store_byte v[2:3], v4, off
.LBB96_426:
	s_mov_b32 s7, 0
.LBB96_427:
	s_and_b32 vcc_lo, exec_lo, s7
	s_mov_b32 s7, 0
	s_cbranch_vccz .LBB96_467
; %bb.428:
	s_cmp_gt_i32 s6, 22
	s_mov_b32 s8, -1
	s_cbranch_scc0 .LBB96_460
; %bb.429:
	s_cmp_lt_i32 s6, 24
	s_cbranch_scc1 .LBB96_449
; %bb.430:
	s_cmp_gt_i32 s6, 24
	s_cbranch_scc0 .LBB96_438
; %bb.431:
	v_and_b32_e32 v1, 0x7fffffff, v0
	v_mov_b32_e32 v4, 0x80
	s_mov_b32 s8, exec_lo
	v_cmpx_gt_u32_e32 0x47800000, v1
	s_cbranch_execz .LBB96_437
; %bb.432:
	v_cmp_lt_u32_e32 vcc_lo, 0x37ffffff, v1
	s_mov_b32 s9, 0
                                        ; implicit-def: $vgpr1
	s_and_saveexec_b32 s10, vcc_lo
	s_xor_b32 s10, exec_lo, s10
	s_cbranch_execz .LBB96_1011
; %bb.433:
	v_bfe_u32 v1, v0, 21, 1
	s_mov_b32 s9, exec_lo
	v_add3_u32 v1, v0, v1, 0x88fffff
	v_lshrrev_b32_e32 v1, 21, v1
	s_andn2_saveexec_b32 s10, s10
	s_cbranch_execnz .LBB96_1012
.LBB96_434:
	s_or_b32 exec_lo, exec_lo, s10
	v_mov_b32_e32 v4, 0
	s_and_saveexec_b32 s10, s9
.LBB96_435:
	v_lshrrev_b32_e32 v4, 24, v0
	v_and_or_b32 v4, 0x80, v4, v1
.LBB96_436:
	s_or_b32 exec_lo, exec_lo, s10
.LBB96_437:
	s_or_b32 exec_lo, exec_lo, s8
	s_mov_b32 s8, 0
	global_store_byte v[2:3], v4, off
.LBB96_438:
	s_and_b32 vcc_lo, exec_lo, s8
	s_cbranch_vccz .LBB96_448
; %bb.439:
	v_and_b32_e32 v4, 0x7fffffff, v0
	s_mov_b32 s8, exec_lo
                                        ; implicit-def: $vgpr1
	v_cmpx_gt_u32_e32 0x43f00000, v4
	s_xor_b32 s8, exec_lo, s8
	s_cbranch_execz .LBB96_445
; %bb.440:
	s_mov_b32 s9, exec_lo
                                        ; implicit-def: $vgpr1
	v_cmpx_lt_u32_e32 0x3c7fffff, v4
	s_xor_b32 s9, exec_lo, s9
; %bb.441:
	v_bfe_u32 v1, v0, 20, 1
	v_add3_u32 v1, v0, v1, 0x407ffff
	v_and_b32_e32 v4, 0xff00000, v1
	v_lshrrev_b32_e32 v1, 20, v1
	v_cmp_ne_u32_e32 vcc_lo, 0x7f00000, v4
	v_cndmask_b32_e32 v1, 0x7e, v1, vcc_lo
; %bb.442:
	s_andn2_saveexec_b32 s9, s9
; %bb.443:
	v_add_f32_e64 v1, 0x46800000, |v0|
; %bb.444:
	s_or_b32 exec_lo, exec_lo, s9
                                        ; implicit-def: $vgpr4
.LBB96_445:
	s_andn2_saveexec_b32 s8, s8
; %bb.446:
	v_mov_b32_e32 v1, 0x7f
	v_cmp_lt_u32_e32 vcc_lo, 0x7f800000, v4
	v_cndmask_b32_e32 v1, 0x7e, v1, vcc_lo
; %bb.447:
	s_or_b32 exec_lo, exec_lo, s8
	v_lshrrev_b32_e32 v4, 24, v0
	v_and_or_b32 v1, 0x80, v4, v1
	global_store_byte v[2:3], v1, off
.LBB96_448:
	s_mov_b32 s8, 0
.LBB96_449:
	s_andn2_b32 vcc_lo, exec_lo, s8
	s_cbranch_vccnz .LBB96_459
; %bb.450:
	v_and_b32_e32 v4, 0x7fffffff, v0
	s_mov_b32 s8, exec_lo
                                        ; implicit-def: $vgpr1
	v_cmpx_gt_u32_e32 0x47800000, v4
	s_xor_b32 s8, exec_lo, s8
	s_cbranch_execz .LBB96_456
; %bb.451:
	s_mov_b32 s9, exec_lo
                                        ; implicit-def: $vgpr1
	v_cmpx_lt_u32_e32 0x387fffff, v4
	s_xor_b32 s9, exec_lo, s9
; %bb.452:
	v_bfe_u32 v1, v0, 21, 1
	v_add3_u32 v1, v0, v1, 0x80fffff
	v_lshrrev_b32_e32 v1, 21, v1
; %bb.453:
	s_andn2_saveexec_b32 s9, s9
; %bb.454:
	v_add_f32_e64 v1, 0x43000000, |v0|
; %bb.455:
	s_or_b32 exec_lo, exec_lo, s9
                                        ; implicit-def: $vgpr4
.LBB96_456:
	s_andn2_saveexec_b32 s8, s8
; %bb.457:
	v_mov_b32_e32 v1, 0x7f
	v_cmp_lt_u32_e32 vcc_lo, 0x7f800000, v4
	v_cndmask_b32_e32 v1, 0x7c, v1, vcc_lo
; %bb.458:
	s_or_b32 exec_lo, exec_lo, s8
	v_lshrrev_b32_e32 v4, 24, v0
	v_and_or_b32 v1, 0x80, v4, v1
	global_store_byte v[2:3], v1, off
.LBB96_459:
	s_mov_b32 s8, 0
.LBB96_460:
	s_andn2_b32 vcc_lo, exec_lo, s8
	s_mov_b32 s8, 0
	s_cbranch_vccnz .LBB96_468
; %bb.461:
	s_cmp_gt_i32 s6, 14
	s_mov_b32 s8, -1
	s_cbranch_scc0 .LBB96_465
; %bb.462:
	s_cmp_eq_u32 s6, 15
	s_mov_b32 s4, -1
	s_cbranch_scc0 .LBB96_464
; %bb.463:
	v_bfe_u32 v1, v0, 16, 1
	v_cmp_o_f32_e32 vcc_lo, v0, v0
	v_mov_b32_e32 v4, 0x7fc0
	s_mov_b32 s4, 0
	v_add3_u32 v1, v0, v1, 0x7fff
	v_cndmask_b32_sdwa v1, v4, v1, vcc_lo dst_sel:DWORD dst_unused:UNUSED_PAD src0_sel:DWORD src1_sel:WORD_1
	global_store_short v[2:3], v1, off
.LBB96_464:
	s_mov_b32 s8, 0
.LBB96_465:
	s_and_b32 vcc_lo, exec_lo, s8
	s_mov_b32 s8, 0
	s_cbranch_vccz .LBB96_468
; %bb.466:
	s_cmp_lg_u32 s6, 11
	s_mov_b32 s8, -1
	s_cselect_b32 s6, -1, 0
	s_andn2_b32 s4, s4, exec_lo
	s_and_b32 s6, s6, exec_lo
	s_or_b32 s4, s4, s6
	s_branch .LBB96_468
.LBB96_467:
	s_mov_b32 s8, 0
.LBB96_468:
	s_and_b32 s6, s7, exec_lo
	s_andn2_b32 s7, s39, exec_lo
	s_and_b32 s9, s4, exec_lo
	s_and_b32 s4, s8, exec_lo
	s_or_b32 s7, s7, s9
.LBB96_469:
	s_or_b32 exec_lo, exec_lo, s34
	s_andn2_b32 s8, s39, exec_lo
	s_and_b32 s7, s7, exec_lo
	s_and_b32 s6, s6, exec_lo
	;; [unrolled: 1-line block ×3, first 2 shown]
	s_or_b32 s39, s8, s7
.LBB96_470:
	s_or_b32 exec_lo, exec_lo, s38
	s_andn2_b32 s7, s36, exec_lo
	s_and_b32 s8, s39, exec_lo
	s_and_b32 s6, s6, exec_lo
	;; [unrolled: 1-line block ×3, first 2 shown]
	s_or_b32 s36, s7, s8
.LBB96_471:
	s_or_b32 exec_lo, exec_lo, s37
	s_andn2_b32 s7, s33, exec_lo
	s_and_b32 s8, s36, exec_lo
	s_and_b32 s6, s6, exec_lo
	;; [unrolled: 1-line block ×3, first 2 shown]
	s_or_b32 s33, s7, s8
	s_or_b32 exec_lo, exec_lo, s35
	s_mov_b32 s4, 0
	s_and_saveexec_b32 s7, s33
	s_cbranch_execz .LBB96_134
.LBB96_472:
	s_mov_b32 s4, exec_lo
	s_andn2_b32 s36, s36, exec_lo
	s_trap 2
	s_or_b32 exec_lo, exec_lo, s7
	s_and_saveexec_b32 s7, s36
	s_xor_b32 s7, exec_lo, s7
	s_cbranch_execnz .LBB96_135
.LBB96_473:
	s_or_b32 exec_lo, exec_lo, s7
	s_and_saveexec_b32 s7, s6
	s_xor_b32 s6, exec_lo, s7
	s_cbranch_execz .LBB96_511
.LBB96_474:
	s_sext_i32_i16 s8, s5
	s_mov_b32 s7, -1
	s_cmp_lt_i32 s8, 5
	s_cbranch_scc1 .LBB96_495
; %bb.475:
	s_cmp_lt_i32 s8, 8
	s_cbranch_scc1 .LBB96_485
; %bb.476:
	;; [unrolled: 3-line block ×3, first 2 shown]
	s_cmp_gt_i32 s8, 9
	s_cbranch_scc0 .LBB96_479
; %bb.478:
	v_cvt_f64_f32_e32 v[4:5], v0
	v_mov_b32_e32 v6, 0
	s_mov_b32 s7, 0
	v_mov_b32_e32 v7, v6
	global_store_dwordx4 v[2:3], v[4:7], off
.LBB96_479:
	s_andn2_b32 vcc_lo, exec_lo, s7
	s_cbranch_vccnz .LBB96_481
; %bb.480:
	v_mov_b32_e32 v1, 0
	global_store_dwordx2 v[2:3], v[0:1], off
.LBB96_481:
	s_mov_b32 s7, 0
.LBB96_482:
	s_andn2_b32 vcc_lo, exec_lo, s7
	s_cbranch_vccnz .LBB96_484
; %bb.483:
	v_cvt_f16_f32_e32 v1, v0
	v_and_b32_e32 v1, 0xffff, v1
	global_store_dword v[2:3], v1, off
.LBB96_484:
	s_mov_b32 s7, 0
.LBB96_485:
	s_andn2_b32 vcc_lo, exec_lo, s7
	s_cbranch_vccnz .LBB96_494
; %bb.486:
	s_sext_i32_i16 s8, s5
	s_mov_b32 s7, -1
	s_cmp_lt_i32 s8, 6
	s_cbranch_scc1 .LBB96_492
; %bb.487:
	s_cmp_gt_i32 s8, 6
	s_cbranch_scc0 .LBB96_489
; %bb.488:
	v_cvt_f64_f32_e32 v[4:5], v0
	s_mov_b32 s7, 0
	global_store_dwordx2 v[2:3], v[4:5], off
.LBB96_489:
	s_andn2_b32 vcc_lo, exec_lo, s7
	s_cbranch_vccnz .LBB96_491
; %bb.490:
	global_store_dword v[2:3], v0, off
.LBB96_491:
	s_mov_b32 s7, 0
.LBB96_492:
	s_andn2_b32 vcc_lo, exec_lo, s7
	s_cbranch_vccnz .LBB96_494
; %bb.493:
	v_cvt_f16_f32_e32 v1, v0
	global_store_short v[2:3], v1, off
.LBB96_494:
	s_mov_b32 s7, 0
.LBB96_495:
	s_andn2_b32 vcc_lo, exec_lo, s7
	s_cbranch_vccnz .LBB96_511
; %bb.496:
	s_sext_i32_i16 s8, s5
	s_mov_b32 s7, -1
	s_cmp_lt_i32 s8, 2
	s_cbranch_scc1 .LBB96_506
; %bb.497:
	s_cmp_lt_i32 s8, 3
	s_cbranch_scc1 .LBB96_503
; %bb.498:
	s_cmp_gt_i32 s8, 3
	s_cbranch_scc0 .LBB96_500
; %bb.499:
	v_trunc_f32_e32 v1, v0
	s_mov_b32 s7, 0
	v_mul_f32_e64 v4, 0x2f800000, |v1|
	v_floor_f32_e32 v4, v4
	v_fma_f32 v5, 0xcf800000, v4, |v1|
	v_ashrrev_i32_e32 v1, 31, v1
	v_cvt_u32_f32_e32 v4, v4
	v_cvt_u32_f32_e32 v5, v5
	v_xor_b32_e32 v6, v4, v1
	v_xor_b32_e32 v5, v5, v1
	v_sub_co_u32 v4, vcc_lo, v5, v1
	v_sub_co_ci_u32_e64 v5, null, v6, v1, vcc_lo
	global_store_dwordx2 v[2:3], v[4:5], off
.LBB96_500:
	s_andn2_b32 vcc_lo, exec_lo, s7
	s_cbranch_vccnz .LBB96_502
; %bb.501:
	v_cvt_i32_f32_e32 v1, v0
	global_store_dword v[2:3], v1, off
.LBB96_502:
	s_mov_b32 s7, 0
.LBB96_503:
	s_andn2_b32 vcc_lo, exec_lo, s7
	s_cbranch_vccnz .LBB96_505
; %bb.504:
	v_cvt_i32_f32_e32 v1, v0
	global_store_short v[2:3], v1, off
.LBB96_505:
	s_mov_b32 s7, 0
.LBB96_506:
	s_andn2_b32 vcc_lo, exec_lo, s7
	s_cbranch_vccnz .LBB96_511
; %bb.507:
	s_sext_i32_i16 s5, s5
	s_cmp_gt_i32 s5, 0
	s_mov_b32 s5, -1
	s_cbranch_scc0 .LBB96_509
; %bb.508:
	v_cvt_i32_f32_e32 v1, v0
	s_mov_b32 s5, 0
	global_store_byte v[2:3], v1, off
.LBB96_509:
	s_andn2_b32 vcc_lo, exec_lo, s5
	s_cbranch_vccnz .LBB96_511
; %bb.510:
	v_trunc_f32_e32 v0, v0
	v_mul_f32_e64 v1, 0x2f800000, |v0|
	v_floor_f32_e32 v1, v1
	v_fma_f32 v1, 0xcf800000, v1, |v0|
	v_ashrrev_i32_e32 v0, 31, v0
	v_cvt_u32_f32_e32 v1, v1
	v_xor_b32_e32 v1, v1, v0
	v_sub_nc_u32_e32 v0, v1, v0
	global_store_byte v[2:3], v0, off
.LBB96_511:
	s_or_b32 exec_lo, exec_lo, s6
	s_and_b32 s33, s4, exec_lo
                                        ; implicit-def: $vgpr21
                                        ; implicit-def: $vgpr22
.LBB96_512:
	s_or_saveexec_b32 s29, s29
	s_mov_b32 s4, 0
                                        ; implicit-def: $sgpr5
                                        ; implicit-def: $vgpr2_vgpr3
                                        ; implicit-def: $vgpr0
	s_xor_b32 exec_lo, exec_lo, s29
	s_cbranch_execz .LBB96_945
; %bb.513:
	v_mov_b32_e32 v0, s26
	v_mov_b32_e32 v1, s27
	;; [unrolled: 1-line block ×7, first 2 shown]
	s_getpc_b64 s[34:35]
	s_add_u32 s34, s34, _ZN2at6native6invokeIZZZNS0_21polygamma_kernel_cudaERNS_18TensorIteratorBaseElENKUlvE_clEvENKUlvE0_clEvEUlfE_i15function_traitsIS6_EEENT1_11result_typeERKT_PrKPcPKT0_PKN3c1010ScalarTypeEi@rel32@lo+4
	s_addc_u32 s35, s35, _ZN2at6native6invokeIZZZNS0_21polygamma_kernel_cudaERNS_18TensorIteratorBaseElENKUlvE_clEvENKUlvE0_clEvEUlfE_i15function_traitsIS6_EEENT1_11result_typeERKT_PrKPcPKT0_PKN3c1010ScalarTypeEi@rel32@hi+12
	v_add_nc_u32_e32 v18, 0x80, v21
	v_add_nc_u32_e32 v23, 0x100, v21
	s_swappc_b64 s[30:31], s[34:35]
	v_mov_b32_e32 v20, v0
	v_mov_b32_e32 v0, s26
	v_mov_b32_e32 v1, s27
	v_mov_b32_e32 v2, s22
	v_mov_b32_e32 v3, s23
	v_mov_b32_e32 v4, s25
	v_mov_b32_e32 v5, s19
	v_mov_b32_e32 v6, v18
	s_swappc_b64 s[30:31], s[34:35]
	v_mov_b32_e32 v19, v0
	v_mov_b32_e32 v0, s26
	v_mov_b32_e32 v1, s27
	v_mov_b32_e32 v2, s22
	v_mov_b32_e32 v3, s23
	v_mov_b32_e32 v4, s25
	v_mov_b32_e32 v5, s19
	v_mov_b32_e32 v6, v23
	;; [unrolled: 9-line block ×3, first 2 shown]
	s_swappc_b64 s[30:31], s[34:35]
	v_mul_lo_u32 v3, s24, v21
	s_and_b32 s5, s18, 0xff
	s_cmp_lt_i32 s5, 11
	v_ashrrev_i32_e32 v2, 31, v3
	v_add_co_u32 v1, vcc_lo, s20, v3
	v_add_co_ci_u32_e64 v2, null, s21, v2, vcc_lo
	s_cbranch_scc1 .LBB96_592
; %bb.514:
	s_and_b32 s6, 0xffff, s5
	s_mov_b32 s9, -1
	s_mov_b32 s7, 0
	s_cmp_gt_i32 s6, 25
	s_mov_b32 s8, 0
	s_mov_b32 s4, 0
	s_cbranch_scc0 .LBB96_547
; %bb.515:
	s_cmp_gt_i32 s6, 28
	s_cbranch_scc0 .LBB96_530
; %bb.516:
	s_cmp_gt_i32 s6, 43
	;; [unrolled: 3-line block ×3, first 2 shown]
	s_cbranch_scc0 .LBB96_520
; %bb.518:
	s_mov_b32 s4, -1
	s_mov_b32 s9, 0
	s_cmp_eq_u32 s6, 46
	s_cbranch_scc0 .LBB96_520
; %bb.519:
	v_bfe_u32 v4, v20, 16, 1
	v_cmp_o_f32_e32 vcc_lo, v20, v20
	v_mov_b32_e32 v5, 0x7fc0
	s_mov_b32 s4, 0
	s_mov_b32 s8, -1
	v_add3_u32 v4, v20, v4, 0x7fff
	v_cndmask_b32_sdwa v4, v5, v4, vcc_lo dst_sel:DWORD dst_unused:UNUSED_PAD src0_sel:DWORD src1_sel:WORD_1
	global_store_dword v[1:2], v4, off
.LBB96_520:
	s_and_b32 vcc_lo, exec_lo, s9
	s_cbranch_vccz .LBB96_525
; %bb.521:
	s_cmp_eq_u32 s6, 44
	s_mov_b32 s4, -1
	s_cbranch_scc0 .LBB96_525
; %bb.522:
	v_bfe_u32 v5, v20, 23, 8
	v_mov_b32_e32 v4, 0xff
	s_mov_b32 s8, exec_lo
	v_cmpx_ne_u32_e32 0xff, v5
	s_cbranch_execz .LBB96_524
; %bb.523:
	v_and_b32_e32 v4, 0x400000, v20
	v_and_or_b32 v5, 0x3fffff, v20, v5
	v_cmp_ne_u32_e32 vcc_lo, 0, v4
	v_cmp_ne_u32_e64 s4, 0, v5
	v_lshrrev_b32_e32 v4, 23, v20
	s_and_b32 s4, vcc_lo, s4
	v_cndmask_b32_e64 v5, 0, 1, s4
	v_add_nc_u32_e32 v4, v4, v5
.LBB96_524:
	s_or_b32 exec_lo, exec_lo, s8
	s_mov_b32 s4, 0
	s_mov_b32 s8, -1
	global_store_byte v[1:2], v4, off
.LBB96_525:
	s_mov_b32 s9, 0
.LBB96_526:
	s_and_b32 vcc_lo, exec_lo, s9
	s_cbranch_vccz .LBB96_529
; %bb.527:
	s_cmp_eq_u32 s6, 29
	s_mov_b32 s4, -1
	s_cbranch_scc0 .LBB96_529
; %bb.528:
	v_trunc_f32_e32 v4, v20
	s_mov_b32 s4, 0
	s_mov_b32 s8, -1
	v_mul_f32_e32 v5, 0x2f800000, v4
	v_floor_f32_e32 v5, v5
	v_fmamk_f32 v4, v5, 0xcf800000, v4
	v_cvt_u32_f32_e32 v5, v5
	v_cvt_u32_f32_e32 v4, v4
	global_store_dwordx2 v[1:2], v[4:5], off
.LBB96_529:
	s_mov_b32 s9, 0
.LBB96_530:
	s_and_b32 vcc_lo, exec_lo, s9
	s_cbranch_vccz .LBB96_546
; %bb.531:
	s_cmp_lt_i32 s6, 27
	s_mov_b32 s8, -1
	s_cbranch_scc1 .LBB96_537
; %bb.532:
	v_cvt_u32_f32_e32 v4, v20
	s_cmp_gt_i32 s6, 27
	s_cbranch_scc0 .LBB96_534
; %bb.533:
	s_mov_b32 s8, 0
	global_store_dword v[1:2], v4, off
.LBB96_534:
	s_andn2_b32 vcc_lo, exec_lo, s8
	s_cbranch_vccnz .LBB96_536
; %bb.535:
	global_store_short v[1:2], v4, off
.LBB96_536:
	s_mov_b32 s8, 0
.LBB96_537:
	s_andn2_b32 vcc_lo, exec_lo, s8
	s_cbranch_vccnz .LBB96_545
; %bb.538:
	v_and_b32_e32 v4, 0x7fffffff, v20
	v_mov_b32_e32 v5, 0x80
	s_mov_b32 s8, exec_lo
	v_cmpx_gt_u32_e32 0x43800000, v4
	s_cbranch_execz .LBB96_544
; %bb.539:
	v_cmp_lt_u32_e32 vcc_lo, 0x3bffffff, v4
	s_mov_b32 s9, 0
                                        ; implicit-def: $vgpr4
	s_and_saveexec_b32 s10, vcc_lo
	s_xor_b32 s10, exec_lo, s10
	s_cbranch_execz .LBB96_989
; %bb.540:
	v_bfe_u32 v4, v20, 20, 1
	s_mov_b32 s9, exec_lo
	v_add3_u32 v4, v20, v4, 0x487ffff
	v_lshrrev_b32_e32 v4, 20, v4
	s_andn2_saveexec_b32 s10, s10
	s_cbranch_execnz .LBB96_990
.LBB96_541:
	s_or_b32 exec_lo, exec_lo, s10
	v_mov_b32_e32 v5, 0
	s_and_saveexec_b32 s10, s9
.LBB96_542:
	v_lshrrev_b32_e32 v5, 24, v20
	v_and_or_b32 v5, 0x80, v5, v4
.LBB96_543:
	s_or_b32 exec_lo, exec_lo, s10
.LBB96_544:
	s_or_b32 exec_lo, exec_lo, s8
	global_store_byte v[1:2], v5, off
.LBB96_545:
	s_mov_b32 s8, -1
.LBB96_546:
	s_mov_b32 s9, 0
.LBB96_547:
	s_and_b32 vcc_lo, exec_lo, s9
	s_cbranch_vccz .LBB96_587
; %bb.548:
	s_cmp_gt_i32 s6, 22
	s_mov_b32 s7, -1
	s_cbranch_scc0 .LBB96_580
; %bb.549:
	s_cmp_lt_i32 s6, 24
	s_cbranch_scc1 .LBB96_569
; %bb.550:
	s_cmp_gt_i32 s6, 24
	s_cbranch_scc0 .LBB96_558
; %bb.551:
	v_and_b32_e32 v4, 0x7fffffff, v20
	v_mov_b32_e32 v5, 0x80
	s_mov_b32 s7, exec_lo
	v_cmpx_gt_u32_e32 0x47800000, v4
	s_cbranch_execz .LBB96_557
; %bb.552:
	v_cmp_lt_u32_e32 vcc_lo, 0x37ffffff, v4
	s_mov_b32 s8, 0
                                        ; implicit-def: $vgpr4
	s_and_saveexec_b32 s9, vcc_lo
	s_xor_b32 s9, exec_lo, s9
	s_cbranch_execz .LBB96_992
; %bb.553:
	v_bfe_u32 v4, v20, 21, 1
	s_mov_b32 s8, exec_lo
	v_add3_u32 v4, v20, v4, 0x88fffff
	v_lshrrev_b32_e32 v4, 21, v4
	s_andn2_saveexec_b32 s9, s9
	s_cbranch_execnz .LBB96_993
.LBB96_554:
	s_or_b32 exec_lo, exec_lo, s9
	v_mov_b32_e32 v5, 0
	s_and_saveexec_b32 s9, s8
.LBB96_555:
	v_lshrrev_b32_e32 v5, 24, v20
	v_and_or_b32 v5, 0x80, v5, v4
.LBB96_556:
	s_or_b32 exec_lo, exec_lo, s9
.LBB96_557:
	s_or_b32 exec_lo, exec_lo, s7
	s_mov_b32 s7, 0
	global_store_byte v[1:2], v5, off
.LBB96_558:
	s_and_b32 vcc_lo, exec_lo, s7
	s_cbranch_vccz .LBB96_568
; %bb.559:
	v_and_b32_e32 v5, 0x7fffffff, v20
	s_mov_b32 s7, exec_lo
                                        ; implicit-def: $vgpr4
	v_cmpx_gt_u32_e32 0x43f00000, v5
	s_xor_b32 s7, exec_lo, s7
	s_cbranch_execz .LBB96_565
; %bb.560:
	s_mov_b32 s8, exec_lo
                                        ; implicit-def: $vgpr4
	v_cmpx_lt_u32_e32 0x3c7fffff, v5
	s_xor_b32 s8, exec_lo, s8
; %bb.561:
	v_bfe_u32 v4, v20, 20, 1
	v_add3_u32 v4, v20, v4, 0x407ffff
	v_and_b32_e32 v5, 0xff00000, v4
	v_lshrrev_b32_e32 v4, 20, v4
	v_cmp_ne_u32_e32 vcc_lo, 0x7f00000, v5
	v_cndmask_b32_e32 v4, 0x7e, v4, vcc_lo
; %bb.562:
	s_andn2_saveexec_b32 s8, s8
; %bb.563:
	v_add_f32_e64 v4, 0x46800000, |v20|
; %bb.564:
	s_or_b32 exec_lo, exec_lo, s8
                                        ; implicit-def: $vgpr5
.LBB96_565:
	s_andn2_saveexec_b32 s7, s7
; %bb.566:
	v_mov_b32_e32 v4, 0x7f
	v_cmp_lt_u32_e32 vcc_lo, 0x7f800000, v5
	v_cndmask_b32_e32 v4, 0x7e, v4, vcc_lo
; %bb.567:
	s_or_b32 exec_lo, exec_lo, s7
	v_lshrrev_b32_e32 v5, 24, v20
	v_and_or_b32 v4, 0x80, v5, v4
	global_store_byte v[1:2], v4, off
.LBB96_568:
	s_mov_b32 s7, 0
.LBB96_569:
	s_andn2_b32 vcc_lo, exec_lo, s7
	s_cbranch_vccnz .LBB96_579
; %bb.570:
	v_and_b32_e32 v5, 0x7fffffff, v20
	s_mov_b32 s7, exec_lo
                                        ; implicit-def: $vgpr4
	v_cmpx_gt_u32_e32 0x47800000, v5
	s_xor_b32 s7, exec_lo, s7
	s_cbranch_execz .LBB96_576
; %bb.571:
	s_mov_b32 s8, exec_lo
                                        ; implicit-def: $vgpr4
	v_cmpx_lt_u32_e32 0x387fffff, v5
	s_xor_b32 s8, exec_lo, s8
; %bb.572:
	v_bfe_u32 v4, v20, 21, 1
	v_add3_u32 v4, v20, v4, 0x80fffff
	v_lshrrev_b32_e32 v4, 21, v4
; %bb.573:
	s_andn2_saveexec_b32 s8, s8
; %bb.574:
	v_add_f32_e64 v4, 0x43000000, |v20|
; %bb.575:
	s_or_b32 exec_lo, exec_lo, s8
                                        ; implicit-def: $vgpr5
.LBB96_576:
	s_andn2_saveexec_b32 s7, s7
; %bb.577:
	v_mov_b32_e32 v4, 0x7f
	v_cmp_lt_u32_e32 vcc_lo, 0x7f800000, v5
	v_cndmask_b32_e32 v4, 0x7c, v4, vcc_lo
; %bb.578:
	s_or_b32 exec_lo, exec_lo, s7
	v_lshrrev_b32_e32 v5, 24, v20
	v_and_or_b32 v4, 0x80, v5, v4
	global_store_byte v[1:2], v4, off
.LBB96_579:
	s_mov_b32 s7, 0
	s_mov_b32 s8, -1
.LBB96_580:
	s_andn2_b32 vcc_lo, exec_lo, s7
	s_mov_b32 s7, 0
	s_cbranch_vccnz .LBB96_587
; %bb.581:
	s_cmp_gt_i32 s6, 14
	s_mov_b32 s7, -1
	s_cbranch_scc0 .LBB96_585
; %bb.582:
	s_cmp_eq_u32 s6, 15
	s_mov_b32 s4, -1
	s_cbranch_scc0 .LBB96_584
; %bb.583:
	v_bfe_u32 v4, v20, 16, 1
	v_cmp_o_f32_e32 vcc_lo, v20, v20
	v_mov_b32_e32 v5, 0x7fc0
	s_mov_b32 s4, 0
	s_mov_b32 s8, -1
	v_add3_u32 v4, v20, v4, 0x7fff
	v_cndmask_b32_sdwa v4, v5, v4, vcc_lo dst_sel:DWORD dst_unused:UNUSED_PAD src0_sel:DWORD src1_sel:WORD_1
	global_store_short v[1:2], v4, off
.LBB96_584:
	s_mov_b32 s7, 0
.LBB96_585:
	s_and_b32 vcc_lo, exec_lo, s7
	s_mov_b32 s7, 0
	s_cbranch_vccz .LBB96_587
; %bb.586:
	s_cmp_lg_u32 s6, 11
	s_mov_b32 s7, -1
	s_cselect_b32 s4, -1, 0
.LBB96_587:
	s_and_b32 vcc_lo, exec_lo, s4
	s_mov_b32 s6, s33
	s_cbranch_vccnz .LBB96_991
; %bb.588:
	s_andn2_b32 vcc_lo, exec_lo, s7
	s_cbranch_vccnz .LBB96_590
.LBB96_589:
	v_cmp_neq_f32_e32 vcc_lo, 0, v20
	s_mov_b32 s8, -1
	v_cndmask_b32_e64 v4, 0, 1, vcc_lo
	global_store_byte v[1:2], v4, off
.LBB96_590:
.LBB96_591:
	s_andn2_b32 vcc_lo, exec_lo, s8
	s_cbranch_vccz .LBB96_631
	s_branch .LBB96_943
.LBB96_592:
	s_mov_b32 s8, 0
	s_mov_b32 s6, s33
	s_cbranch_execz .LBB96_591
; %bb.593:
	s_and_b32 s4, 0xffff, s5
	s_mov_b32 s7, -1
	s_cmp_lt_i32 s4, 5
	s_cbranch_scc1 .LBB96_614
; %bb.594:
	s_cmp_lt_i32 s4, 8
	s_cbranch_scc1 .LBB96_604
; %bb.595:
	;; [unrolled: 3-line block ×3, first 2 shown]
	s_cmp_gt_i32 s4, 9
	s_cbranch_scc0 .LBB96_598
; %bb.597:
	v_cvt_f64_f32_e32 v[4:5], v20
	v_mov_b32_e32 v6, 0
	s_mov_b32 s7, 0
	v_mov_b32_e32 v7, v6
	global_store_dwordx4 v[1:2], v[4:7], off
.LBB96_598:
	s_andn2_b32 vcc_lo, exec_lo, s7
	s_cbranch_vccnz .LBB96_600
; %bb.599:
	v_mov_b32_e32 v21, 0
	global_store_dwordx2 v[1:2], v[20:21], off
.LBB96_600:
	s_mov_b32 s7, 0
.LBB96_601:
	s_andn2_b32 vcc_lo, exec_lo, s7
	s_cbranch_vccnz .LBB96_603
; %bb.602:
	v_cvt_f16_f32_e32 v4, v20
	v_and_b32_e32 v4, 0xffff, v4
	global_store_dword v[1:2], v4, off
.LBB96_603:
	s_mov_b32 s7, 0
.LBB96_604:
	s_andn2_b32 vcc_lo, exec_lo, s7
	s_cbranch_vccnz .LBB96_613
; %bb.605:
	s_cmp_lt_i32 s4, 6
	s_mov_b32 s7, -1
	s_cbranch_scc1 .LBB96_611
; %bb.606:
	s_cmp_gt_i32 s4, 6
	s_cbranch_scc0 .LBB96_608
; %bb.607:
	v_cvt_f64_f32_e32 v[4:5], v20
	s_mov_b32 s7, 0
	global_store_dwordx2 v[1:2], v[4:5], off
.LBB96_608:
	s_andn2_b32 vcc_lo, exec_lo, s7
	s_cbranch_vccnz .LBB96_610
; %bb.609:
	global_store_dword v[1:2], v20, off
.LBB96_610:
	s_mov_b32 s7, 0
.LBB96_611:
	s_andn2_b32 vcc_lo, exec_lo, s7
	s_cbranch_vccnz .LBB96_613
; %bb.612:
	v_cvt_f16_f32_e32 v4, v20
	global_store_short v[1:2], v4, off
.LBB96_613:
	s_mov_b32 s7, 0
.LBB96_614:
	s_andn2_b32 vcc_lo, exec_lo, s7
	s_cbranch_vccnz .LBB96_630
; %bb.615:
	s_cmp_lt_i32 s4, 2
	s_mov_b32 s7, -1
	s_cbranch_scc1 .LBB96_625
; %bb.616:
	s_cmp_lt_i32 s4, 3
	s_cbranch_scc1 .LBB96_622
; %bb.617:
	s_cmp_gt_i32 s4, 3
	s_cbranch_scc0 .LBB96_619
; %bb.618:
	v_trunc_f32_e32 v4, v20
	s_mov_b32 s7, 0
	v_mul_f32_e64 v5, 0x2f800000, |v4|
	v_ashrrev_i32_e32 v7, 31, v4
	v_floor_f32_e32 v5, v5
	v_fma_f32 v6, 0xcf800000, v5, |v4|
	v_cvt_u32_f32_e32 v5, v5
	v_cvt_u32_f32_e32 v4, v6
	v_xor_b32_e32 v5, v5, v7
	v_xor_b32_e32 v4, v4, v7
	v_sub_co_u32 v4, vcc_lo, v4, v7
	v_sub_co_ci_u32_e64 v5, null, v5, v7, vcc_lo
	global_store_dwordx2 v[1:2], v[4:5], off
.LBB96_619:
	s_andn2_b32 vcc_lo, exec_lo, s7
	s_cbranch_vccnz .LBB96_621
; %bb.620:
	v_cvt_i32_f32_e32 v4, v20
	global_store_dword v[1:2], v4, off
.LBB96_621:
	s_mov_b32 s7, 0
.LBB96_622:
	s_andn2_b32 vcc_lo, exec_lo, s7
	s_cbranch_vccnz .LBB96_624
; %bb.623:
	v_cvt_i32_f32_e32 v4, v20
	global_store_short v[1:2], v4, off
.LBB96_624:
	s_mov_b32 s7, 0
.LBB96_625:
	s_andn2_b32 vcc_lo, exec_lo, s7
	s_cbranch_vccnz .LBB96_630
; %bb.626:
	s_cmp_gt_i32 s4, 0
	s_mov_b32 s4, -1
	s_cbranch_scc0 .LBB96_628
; %bb.627:
	v_cvt_i32_f32_e32 v4, v20
	s_mov_b32 s4, 0
	global_store_byte v[1:2], v4, off
.LBB96_628:
	s_andn2_b32 vcc_lo, exec_lo, s4
	s_cbranch_vccnz .LBB96_630
; %bb.629:
	v_trunc_f32_e32 v4, v20
	v_mul_f32_e64 v5, 0x2f800000, |v4|
	v_floor_f32_e32 v5, v5
	v_fma_f32 v5, 0xcf800000, v5, |v4|
	v_ashrrev_i32_e32 v4, 31, v4
	v_cvt_u32_f32_e32 v5, v5
	v_xor_b32_e32 v5, v5, v4
	v_sub_nc_u32_e32 v4, v5, v4
	global_store_byte v[1:2], v4, off
.LBB96_630:
.LBB96_631:
	s_lshl_b32 s7, s24, 7
	s_cmp_lt_i32 s5, 11
	v_add_nc_u32_e32 v3, s7, v3
	v_ashrrev_i32_e32 v2, 31, v3
	v_add_co_u32 v1, vcc_lo, s20, v3
	v_add_co_ci_u32_e64 v2, null, s21, v2, vcc_lo
	s_cbranch_scc1 .LBB96_710
; %bb.632:
	s_and_b32 s8, 0xffff, s5
	s_mov_b32 s11, -1
	s_mov_b32 s9, 0
	s_cmp_gt_i32 s8, 25
	s_mov_b32 s10, 0
	s_mov_b32 s4, 0
	s_cbranch_scc0 .LBB96_665
; %bb.633:
	s_cmp_gt_i32 s8, 28
	s_cbranch_scc0 .LBB96_648
; %bb.634:
	s_cmp_gt_i32 s8, 43
	;; [unrolled: 3-line block ×3, first 2 shown]
	s_cbranch_scc0 .LBB96_638
; %bb.636:
	s_mov_b32 s4, -1
	s_mov_b32 s11, 0
	s_cmp_eq_u32 s8, 46
	s_cbranch_scc0 .LBB96_638
; %bb.637:
	v_bfe_u32 v4, v19, 16, 1
	v_cmp_o_f32_e32 vcc_lo, v19, v19
	v_mov_b32_e32 v5, 0x7fc0
	s_mov_b32 s4, 0
	s_mov_b32 s10, -1
	v_add3_u32 v4, v19, v4, 0x7fff
	v_cndmask_b32_sdwa v4, v5, v4, vcc_lo dst_sel:DWORD dst_unused:UNUSED_PAD src0_sel:DWORD src1_sel:WORD_1
	global_store_dword v[1:2], v4, off
.LBB96_638:
	s_and_b32 vcc_lo, exec_lo, s11
	s_cbranch_vccz .LBB96_643
; %bb.639:
	s_cmp_eq_u32 s8, 44
	s_mov_b32 s4, -1
	s_cbranch_scc0 .LBB96_643
; %bb.640:
	v_bfe_u32 v5, v19, 23, 8
	v_mov_b32_e32 v4, 0xff
	s_mov_b32 s10, exec_lo
	v_cmpx_ne_u32_e32 0xff, v5
	s_cbranch_execz .LBB96_642
; %bb.641:
	v_and_b32_e32 v4, 0x400000, v19
	v_and_or_b32 v5, 0x3fffff, v19, v5
	v_cmp_ne_u32_e32 vcc_lo, 0, v4
	v_cmp_ne_u32_e64 s4, 0, v5
	v_lshrrev_b32_e32 v4, 23, v19
	s_and_b32 s4, vcc_lo, s4
	v_cndmask_b32_e64 v5, 0, 1, s4
	v_add_nc_u32_e32 v4, v4, v5
.LBB96_642:
	s_or_b32 exec_lo, exec_lo, s10
	s_mov_b32 s4, 0
	s_mov_b32 s10, -1
	global_store_byte v[1:2], v4, off
.LBB96_643:
	s_mov_b32 s11, 0
.LBB96_644:
	s_and_b32 vcc_lo, exec_lo, s11
	s_cbranch_vccz .LBB96_647
; %bb.645:
	s_cmp_eq_u32 s8, 29
	s_mov_b32 s4, -1
	s_cbranch_scc0 .LBB96_647
; %bb.646:
	v_trunc_f32_e32 v4, v19
	s_mov_b32 s4, 0
	s_mov_b32 s10, -1
	v_mul_f32_e32 v5, 0x2f800000, v4
	v_floor_f32_e32 v5, v5
	v_fmamk_f32 v4, v5, 0xcf800000, v4
	v_cvt_u32_f32_e32 v5, v5
	v_cvt_u32_f32_e32 v4, v4
	global_store_dwordx2 v[1:2], v[4:5], off
.LBB96_647:
	s_mov_b32 s11, 0
.LBB96_648:
	s_and_b32 vcc_lo, exec_lo, s11
	s_cbranch_vccz .LBB96_664
; %bb.649:
	s_cmp_lt_i32 s8, 27
	s_mov_b32 s10, -1
	s_cbranch_scc1 .LBB96_655
; %bb.650:
	v_cvt_u32_f32_e32 v4, v19
	s_cmp_gt_i32 s8, 27
	s_cbranch_scc0 .LBB96_652
; %bb.651:
	s_mov_b32 s10, 0
	global_store_dword v[1:2], v4, off
.LBB96_652:
	s_andn2_b32 vcc_lo, exec_lo, s10
	s_cbranch_vccnz .LBB96_654
; %bb.653:
	global_store_short v[1:2], v4, off
.LBB96_654:
	s_mov_b32 s10, 0
.LBB96_655:
	s_andn2_b32 vcc_lo, exec_lo, s10
	s_cbranch_vccnz .LBB96_663
; %bb.656:
	v_and_b32_e32 v4, 0x7fffffff, v19
	v_mov_b32_e32 v5, 0x80
	s_mov_b32 s10, exec_lo
	v_cmpx_gt_u32_e32 0x43800000, v4
	s_cbranch_execz .LBB96_662
; %bb.657:
	v_cmp_lt_u32_e32 vcc_lo, 0x3bffffff, v4
	s_mov_b32 s11, 0
                                        ; implicit-def: $vgpr4
	s_and_saveexec_b32 s12, vcc_lo
	s_xor_b32 s12, exec_lo, s12
	s_cbranch_execz .LBB96_994
; %bb.658:
	v_bfe_u32 v4, v19, 20, 1
	s_mov_b32 s11, exec_lo
	v_add3_u32 v4, v19, v4, 0x487ffff
	v_lshrrev_b32_e32 v4, 20, v4
	s_andn2_saveexec_b32 s12, s12
	s_cbranch_execnz .LBB96_995
.LBB96_659:
	s_or_b32 exec_lo, exec_lo, s12
	v_mov_b32_e32 v5, 0
	s_and_saveexec_b32 s12, s11
.LBB96_660:
	v_lshrrev_b32_e32 v5, 24, v19
	v_and_or_b32 v5, 0x80, v5, v4
.LBB96_661:
	s_or_b32 exec_lo, exec_lo, s12
.LBB96_662:
	s_or_b32 exec_lo, exec_lo, s10
	global_store_byte v[1:2], v5, off
.LBB96_663:
	s_mov_b32 s10, -1
.LBB96_664:
	s_mov_b32 s11, 0
.LBB96_665:
	s_and_b32 vcc_lo, exec_lo, s11
	s_cbranch_vccz .LBB96_705
; %bb.666:
	s_cmp_gt_i32 s8, 22
	s_mov_b32 s9, -1
	s_cbranch_scc0 .LBB96_698
; %bb.667:
	s_cmp_lt_i32 s8, 24
	s_cbranch_scc1 .LBB96_687
; %bb.668:
	s_cmp_gt_i32 s8, 24
	s_cbranch_scc0 .LBB96_676
; %bb.669:
	v_and_b32_e32 v4, 0x7fffffff, v19
	v_mov_b32_e32 v5, 0x80
	s_mov_b32 s9, exec_lo
	v_cmpx_gt_u32_e32 0x47800000, v4
	s_cbranch_execz .LBB96_675
; %bb.670:
	v_cmp_lt_u32_e32 vcc_lo, 0x37ffffff, v4
	s_mov_b32 s10, 0
                                        ; implicit-def: $vgpr4
	s_and_saveexec_b32 s11, vcc_lo
	s_xor_b32 s11, exec_lo, s11
	s_cbranch_execz .LBB96_997
; %bb.671:
	v_bfe_u32 v4, v19, 21, 1
	s_mov_b32 s10, exec_lo
	v_add3_u32 v4, v19, v4, 0x88fffff
	v_lshrrev_b32_e32 v4, 21, v4
	s_andn2_saveexec_b32 s11, s11
	s_cbranch_execnz .LBB96_998
.LBB96_672:
	s_or_b32 exec_lo, exec_lo, s11
	v_mov_b32_e32 v5, 0
	s_and_saveexec_b32 s11, s10
.LBB96_673:
	v_lshrrev_b32_e32 v5, 24, v19
	v_and_or_b32 v5, 0x80, v5, v4
.LBB96_674:
	s_or_b32 exec_lo, exec_lo, s11
.LBB96_675:
	s_or_b32 exec_lo, exec_lo, s9
	s_mov_b32 s9, 0
	global_store_byte v[1:2], v5, off
.LBB96_676:
	s_and_b32 vcc_lo, exec_lo, s9
	s_cbranch_vccz .LBB96_686
; %bb.677:
	v_and_b32_e32 v5, 0x7fffffff, v19
	s_mov_b32 s9, exec_lo
                                        ; implicit-def: $vgpr4
	v_cmpx_gt_u32_e32 0x43f00000, v5
	s_xor_b32 s9, exec_lo, s9
	s_cbranch_execz .LBB96_683
; %bb.678:
	s_mov_b32 s10, exec_lo
                                        ; implicit-def: $vgpr4
	v_cmpx_lt_u32_e32 0x3c7fffff, v5
	s_xor_b32 s10, exec_lo, s10
; %bb.679:
	v_bfe_u32 v4, v19, 20, 1
	v_add3_u32 v4, v19, v4, 0x407ffff
	v_and_b32_e32 v5, 0xff00000, v4
	v_lshrrev_b32_e32 v4, 20, v4
	v_cmp_ne_u32_e32 vcc_lo, 0x7f00000, v5
	v_cndmask_b32_e32 v4, 0x7e, v4, vcc_lo
; %bb.680:
	s_andn2_saveexec_b32 s10, s10
; %bb.681:
	v_add_f32_e64 v4, 0x46800000, |v19|
; %bb.682:
	s_or_b32 exec_lo, exec_lo, s10
                                        ; implicit-def: $vgpr5
.LBB96_683:
	s_andn2_saveexec_b32 s9, s9
; %bb.684:
	v_mov_b32_e32 v4, 0x7f
	v_cmp_lt_u32_e32 vcc_lo, 0x7f800000, v5
	v_cndmask_b32_e32 v4, 0x7e, v4, vcc_lo
; %bb.685:
	s_or_b32 exec_lo, exec_lo, s9
	v_lshrrev_b32_e32 v5, 24, v19
	v_and_or_b32 v4, 0x80, v5, v4
	global_store_byte v[1:2], v4, off
.LBB96_686:
	s_mov_b32 s9, 0
.LBB96_687:
	s_andn2_b32 vcc_lo, exec_lo, s9
	s_cbranch_vccnz .LBB96_697
; %bb.688:
	v_and_b32_e32 v5, 0x7fffffff, v19
	s_mov_b32 s9, exec_lo
                                        ; implicit-def: $vgpr4
	v_cmpx_gt_u32_e32 0x47800000, v5
	s_xor_b32 s9, exec_lo, s9
	s_cbranch_execz .LBB96_694
; %bb.689:
	s_mov_b32 s10, exec_lo
                                        ; implicit-def: $vgpr4
	v_cmpx_lt_u32_e32 0x387fffff, v5
	s_xor_b32 s10, exec_lo, s10
; %bb.690:
	v_bfe_u32 v4, v19, 21, 1
	v_add3_u32 v4, v19, v4, 0x80fffff
	v_lshrrev_b32_e32 v4, 21, v4
; %bb.691:
	s_andn2_saveexec_b32 s10, s10
; %bb.692:
	v_add_f32_e64 v4, 0x43000000, |v19|
; %bb.693:
	s_or_b32 exec_lo, exec_lo, s10
                                        ; implicit-def: $vgpr5
.LBB96_694:
	s_andn2_saveexec_b32 s9, s9
; %bb.695:
	v_mov_b32_e32 v4, 0x7f
	v_cmp_lt_u32_e32 vcc_lo, 0x7f800000, v5
	v_cndmask_b32_e32 v4, 0x7c, v4, vcc_lo
; %bb.696:
	s_or_b32 exec_lo, exec_lo, s9
	v_lshrrev_b32_e32 v5, 24, v19
	v_and_or_b32 v4, 0x80, v5, v4
	global_store_byte v[1:2], v4, off
.LBB96_697:
	s_mov_b32 s9, 0
	s_mov_b32 s10, -1
.LBB96_698:
	s_andn2_b32 vcc_lo, exec_lo, s9
	s_mov_b32 s9, 0
	s_cbranch_vccnz .LBB96_705
; %bb.699:
	s_cmp_gt_i32 s8, 14
	s_mov_b32 s9, -1
	s_cbranch_scc0 .LBB96_703
; %bb.700:
	s_cmp_eq_u32 s8, 15
	s_mov_b32 s4, -1
	s_cbranch_scc0 .LBB96_702
; %bb.701:
	v_bfe_u32 v4, v19, 16, 1
	v_cmp_o_f32_e32 vcc_lo, v19, v19
	v_mov_b32_e32 v5, 0x7fc0
	s_mov_b32 s4, 0
	s_mov_b32 s10, -1
	v_add3_u32 v4, v19, v4, 0x7fff
	v_cndmask_b32_sdwa v4, v5, v4, vcc_lo dst_sel:DWORD dst_unused:UNUSED_PAD src0_sel:DWORD src1_sel:WORD_1
	global_store_short v[1:2], v4, off
.LBB96_702:
	s_mov_b32 s9, 0
.LBB96_703:
	s_and_b32 vcc_lo, exec_lo, s9
	s_mov_b32 s9, 0
	s_cbranch_vccz .LBB96_705
; %bb.704:
	s_cmp_lg_u32 s8, 11
	s_mov_b32 s9, -1
	s_cselect_b32 s4, -1, 0
.LBB96_705:
	s_and_b32 vcc_lo, exec_lo, s4
	s_cbranch_vccnz .LBB96_996
; %bb.706:
	s_andn2_b32 vcc_lo, exec_lo, s9
	s_cbranch_vccnz .LBB96_708
.LBB96_707:
	v_cmp_neq_f32_e32 vcc_lo, 0, v19
	s_mov_b32 s10, -1
	v_cndmask_b32_e64 v4, 0, 1, vcc_lo
	global_store_byte v[1:2], v4, off
.LBB96_708:
.LBB96_709:
	s_andn2_b32 vcc_lo, exec_lo, s10
	s_cbranch_vccz .LBB96_749
	s_branch .LBB96_943
.LBB96_710:
	s_mov_b32 s10, 0
	s_cbranch_execz .LBB96_709
; %bb.711:
	s_and_b32 s4, 0xffff, s5
	s_mov_b32 s8, -1
	s_cmp_lt_i32 s4, 5
	s_cbranch_scc1 .LBB96_732
; %bb.712:
	s_cmp_lt_i32 s4, 8
	s_cbranch_scc1 .LBB96_722
; %bb.713:
	;; [unrolled: 3-line block ×3, first 2 shown]
	s_cmp_gt_i32 s4, 9
	s_cbranch_scc0 .LBB96_716
; %bb.715:
	v_cvt_f64_f32_e32 v[4:5], v19
	v_mov_b32_e32 v6, 0
	s_mov_b32 s8, 0
	v_mov_b32_e32 v7, v6
	global_store_dwordx4 v[1:2], v[4:7], off
.LBB96_716:
	s_andn2_b32 vcc_lo, exec_lo, s8
	s_cbranch_vccnz .LBB96_718
; %bb.717:
	v_mov_b32_e32 v20, 0
	global_store_dwordx2 v[1:2], v[19:20], off
.LBB96_718:
	s_mov_b32 s8, 0
.LBB96_719:
	s_andn2_b32 vcc_lo, exec_lo, s8
	s_cbranch_vccnz .LBB96_721
; %bb.720:
	v_cvt_f16_f32_e32 v4, v19
	v_and_b32_e32 v4, 0xffff, v4
	global_store_dword v[1:2], v4, off
.LBB96_721:
	s_mov_b32 s8, 0
.LBB96_722:
	s_andn2_b32 vcc_lo, exec_lo, s8
	s_cbranch_vccnz .LBB96_731
; %bb.723:
	s_cmp_lt_i32 s4, 6
	s_mov_b32 s8, -1
	s_cbranch_scc1 .LBB96_729
; %bb.724:
	s_cmp_gt_i32 s4, 6
	s_cbranch_scc0 .LBB96_726
; %bb.725:
	v_cvt_f64_f32_e32 v[4:5], v19
	s_mov_b32 s8, 0
	global_store_dwordx2 v[1:2], v[4:5], off
.LBB96_726:
	s_andn2_b32 vcc_lo, exec_lo, s8
	s_cbranch_vccnz .LBB96_728
; %bb.727:
	global_store_dword v[1:2], v19, off
.LBB96_728:
	s_mov_b32 s8, 0
.LBB96_729:
	s_andn2_b32 vcc_lo, exec_lo, s8
	s_cbranch_vccnz .LBB96_731
; %bb.730:
	v_cvt_f16_f32_e32 v4, v19
	global_store_short v[1:2], v4, off
.LBB96_731:
	s_mov_b32 s8, 0
.LBB96_732:
	s_andn2_b32 vcc_lo, exec_lo, s8
	s_cbranch_vccnz .LBB96_748
; %bb.733:
	s_cmp_lt_i32 s4, 2
	s_mov_b32 s8, -1
	s_cbranch_scc1 .LBB96_743
; %bb.734:
	s_cmp_lt_i32 s4, 3
	s_cbranch_scc1 .LBB96_740
; %bb.735:
	s_cmp_gt_i32 s4, 3
	s_cbranch_scc0 .LBB96_737
; %bb.736:
	v_trunc_f32_e32 v4, v19
	s_mov_b32 s8, 0
	v_mul_f32_e64 v5, 0x2f800000, |v4|
	v_ashrrev_i32_e32 v7, 31, v4
	v_floor_f32_e32 v5, v5
	v_fma_f32 v6, 0xcf800000, v5, |v4|
	v_cvt_u32_f32_e32 v5, v5
	v_cvt_u32_f32_e32 v4, v6
	v_xor_b32_e32 v5, v5, v7
	v_xor_b32_e32 v4, v4, v7
	v_sub_co_u32 v4, vcc_lo, v4, v7
	v_sub_co_ci_u32_e64 v5, null, v5, v7, vcc_lo
	global_store_dwordx2 v[1:2], v[4:5], off
.LBB96_737:
	s_andn2_b32 vcc_lo, exec_lo, s8
	s_cbranch_vccnz .LBB96_739
; %bb.738:
	v_cvt_i32_f32_e32 v4, v19
	global_store_dword v[1:2], v4, off
.LBB96_739:
	s_mov_b32 s8, 0
.LBB96_740:
	s_andn2_b32 vcc_lo, exec_lo, s8
	s_cbranch_vccnz .LBB96_742
; %bb.741:
	v_cvt_i32_f32_e32 v4, v19
	global_store_short v[1:2], v4, off
.LBB96_742:
	s_mov_b32 s8, 0
.LBB96_743:
	s_andn2_b32 vcc_lo, exec_lo, s8
	s_cbranch_vccnz .LBB96_748
; %bb.744:
	s_cmp_gt_i32 s4, 0
	s_mov_b32 s4, -1
	s_cbranch_scc0 .LBB96_746
; %bb.745:
	v_cvt_i32_f32_e32 v4, v19
	s_mov_b32 s4, 0
	global_store_byte v[1:2], v4, off
.LBB96_746:
	s_andn2_b32 vcc_lo, exec_lo, s4
	s_cbranch_vccnz .LBB96_748
; %bb.747:
	v_trunc_f32_e32 v4, v19
	v_mul_f32_e64 v5, 0x2f800000, |v4|
	v_floor_f32_e32 v5, v5
	v_fma_f32 v5, 0xcf800000, v5, |v4|
	v_ashrrev_i32_e32 v4, 31, v4
	v_cvt_u32_f32_e32 v5, v5
	v_xor_b32_e32 v5, v5, v4
	v_sub_nc_u32_e32 v4, v5, v4
	global_store_byte v[1:2], v4, off
.LBB96_748:
.LBB96_749:
	v_add_nc_u32_e32 v3, s7, v3
	s_cmp_lt_i32 s5, 11
	v_ashrrev_i32_e32 v2, 31, v3
	v_add_co_u32 v1, vcc_lo, s20, v3
	v_add_co_ci_u32_e64 v2, null, s21, v2, vcc_lo
	s_cbranch_scc1 .LBB96_904
; %bb.750:
	s_and_b32 s8, 0xffff, s5
	s_mov_b32 s11, -1
	s_mov_b32 s9, 0
	s_cmp_gt_i32 s8, 25
	s_mov_b32 s10, 0
	s_mov_b32 s4, 0
	s_cbranch_scc0 .LBB96_783
; %bb.751:
	s_cmp_gt_i32 s8, 28
	s_cbranch_scc0 .LBB96_766
; %bb.752:
	s_cmp_gt_i32 s8, 43
	;; [unrolled: 3-line block ×3, first 2 shown]
	s_cbranch_scc0 .LBB96_756
; %bb.754:
	s_mov_b32 s4, -1
	s_mov_b32 s11, 0
	s_cmp_eq_u32 s8, 46
	s_cbranch_scc0 .LBB96_756
; %bb.755:
	v_bfe_u32 v4, v18, 16, 1
	v_cmp_o_f32_e32 vcc_lo, v18, v18
	v_mov_b32_e32 v5, 0x7fc0
	s_mov_b32 s4, 0
	s_mov_b32 s10, -1
	v_add3_u32 v4, v18, v4, 0x7fff
	v_cndmask_b32_sdwa v4, v5, v4, vcc_lo dst_sel:DWORD dst_unused:UNUSED_PAD src0_sel:DWORD src1_sel:WORD_1
	global_store_dword v[1:2], v4, off
.LBB96_756:
	s_and_b32 vcc_lo, exec_lo, s11
	s_cbranch_vccz .LBB96_761
; %bb.757:
	s_cmp_eq_u32 s8, 44
	s_mov_b32 s4, -1
	s_cbranch_scc0 .LBB96_761
; %bb.758:
	v_bfe_u32 v5, v18, 23, 8
	v_mov_b32_e32 v4, 0xff
	s_mov_b32 s10, exec_lo
	v_cmpx_ne_u32_e32 0xff, v5
	s_cbranch_execz .LBB96_760
; %bb.759:
	v_and_b32_e32 v4, 0x400000, v18
	v_and_or_b32 v5, 0x3fffff, v18, v5
	v_cmp_ne_u32_e32 vcc_lo, 0, v4
	v_cmp_ne_u32_e64 s4, 0, v5
	v_lshrrev_b32_e32 v4, 23, v18
	s_and_b32 s4, vcc_lo, s4
	v_cndmask_b32_e64 v5, 0, 1, s4
	v_add_nc_u32_e32 v4, v4, v5
.LBB96_760:
	s_or_b32 exec_lo, exec_lo, s10
	s_mov_b32 s4, 0
	s_mov_b32 s10, -1
	global_store_byte v[1:2], v4, off
.LBB96_761:
	s_mov_b32 s11, 0
.LBB96_762:
	s_and_b32 vcc_lo, exec_lo, s11
	s_cbranch_vccz .LBB96_765
; %bb.763:
	s_cmp_eq_u32 s8, 29
	s_mov_b32 s4, -1
	s_cbranch_scc0 .LBB96_765
; %bb.764:
	v_trunc_f32_e32 v4, v18
	s_mov_b32 s4, 0
	s_mov_b32 s10, -1
	v_mul_f32_e32 v5, 0x2f800000, v4
	v_floor_f32_e32 v5, v5
	v_fmamk_f32 v4, v5, 0xcf800000, v4
	v_cvt_u32_f32_e32 v5, v5
	v_cvt_u32_f32_e32 v4, v4
	global_store_dwordx2 v[1:2], v[4:5], off
.LBB96_765:
	s_mov_b32 s11, 0
.LBB96_766:
	s_and_b32 vcc_lo, exec_lo, s11
	s_cbranch_vccz .LBB96_782
; %bb.767:
	s_cmp_lt_i32 s8, 27
	s_mov_b32 s10, -1
	s_cbranch_scc1 .LBB96_773
; %bb.768:
	v_cvt_u32_f32_e32 v4, v18
	s_cmp_gt_i32 s8, 27
	s_cbranch_scc0 .LBB96_770
; %bb.769:
	s_mov_b32 s10, 0
	global_store_dword v[1:2], v4, off
.LBB96_770:
	s_andn2_b32 vcc_lo, exec_lo, s10
	s_cbranch_vccnz .LBB96_772
; %bb.771:
	global_store_short v[1:2], v4, off
.LBB96_772:
	s_mov_b32 s10, 0
.LBB96_773:
	s_andn2_b32 vcc_lo, exec_lo, s10
	s_cbranch_vccnz .LBB96_781
; %bb.774:
	v_and_b32_e32 v4, 0x7fffffff, v18
	v_mov_b32_e32 v5, 0x80
	s_mov_b32 s10, exec_lo
	v_cmpx_gt_u32_e32 0x43800000, v4
	s_cbranch_execz .LBB96_780
; %bb.775:
	v_cmp_lt_u32_e32 vcc_lo, 0x3bffffff, v4
	s_mov_b32 s11, 0
                                        ; implicit-def: $vgpr4
	s_and_saveexec_b32 s12, vcc_lo
	s_xor_b32 s12, exec_lo, s12
	s_cbranch_execz .LBB96_999
; %bb.776:
	v_bfe_u32 v4, v18, 20, 1
	s_mov_b32 s11, exec_lo
	v_add3_u32 v4, v18, v4, 0x487ffff
	v_lshrrev_b32_e32 v4, 20, v4
	s_andn2_saveexec_b32 s12, s12
	s_cbranch_execnz .LBB96_1000
.LBB96_777:
	s_or_b32 exec_lo, exec_lo, s12
	v_mov_b32_e32 v5, 0
	s_and_saveexec_b32 s12, s11
.LBB96_778:
	v_lshrrev_b32_e32 v5, 24, v18
	v_and_or_b32 v5, 0x80, v5, v4
.LBB96_779:
	s_or_b32 exec_lo, exec_lo, s12
.LBB96_780:
	s_or_b32 exec_lo, exec_lo, s10
	global_store_byte v[1:2], v5, off
.LBB96_781:
	s_mov_b32 s10, -1
.LBB96_782:
	s_mov_b32 s11, 0
.LBB96_783:
	s_and_b32 vcc_lo, exec_lo, s11
	s_cbranch_vccz .LBB96_823
; %bb.784:
	s_cmp_gt_i32 s8, 22
	s_mov_b32 s9, -1
	s_cbranch_scc0 .LBB96_816
; %bb.785:
	s_cmp_lt_i32 s8, 24
	s_cbranch_scc1 .LBB96_805
; %bb.786:
	s_cmp_gt_i32 s8, 24
	s_cbranch_scc0 .LBB96_794
; %bb.787:
	v_and_b32_e32 v4, 0x7fffffff, v18
	v_mov_b32_e32 v5, 0x80
	s_mov_b32 s9, exec_lo
	v_cmpx_gt_u32_e32 0x47800000, v4
	s_cbranch_execz .LBB96_793
; %bb.788:
	v_cmp_lt_u32_e32 vcc_lo, 0x37ffffff, v4
	s_mov_b32 s10, 0
                                        ; implicit-def: $vgpr4
	s_and_saveexec_b32 s11, vcc_lo
	s_xor_b32 s11, exec_lo, s11
	s_cbranch_execz .LBB96_1002
; %bb.789:
	v_bfe_u32 v4, v18, 21, 1
	s_mov_b32 s10, exec_lo
	v_add3_u32 v4, v18, v4, 0x88fffff
	v_lshrrev_b32_e32 v4, 21, v4
	s_andn2_saveexec_b32 s11, s11
	s_cbranch_execnz .LBB96_1003
.LBB96_790:
	s_or_b32 exec_lo, exec_lo, s11
	v_mov_b32_e32 v5, 0
	s_and_saveexec_b32 s11, s10
.LBB96_791:
	v_lshrrev_b32_e32 v5, 24, v18
	v_and_or_b32 v5, 0x80, v5, v4
.LBB96_792:
	s_or_b32 exec_lo, exec_lo, s11
.LBB96_793:
	s_or_b32 exec_lo, exec_lo, s9
	s_mov_b32 s9, 0
	global_store_byte v[1:2], v5, off
.LBB96_794:
	s_and_b32 vcc_lo, exec_lo, s9
	s_cbranch_vccz .LBB96_804
; %bb.795:
	v_and_b32_e32 v5, 0x7fffffff, v18
	s_mov_b32 s9, exec_lo
                                        ; implicit-def: $vgpr4
	v_cmpx_gt_u32_e32 0x43f00000, v5
	s_xor_b32 s9, exec_lo, s9
	s_cbranch_execz .LBB96_801
; %bb.796:
	s_mov_b32 s10, exec_lo
                                        ; implicit-def: $vgpr4
	v_cmpx_lt_u32_e32 0x3c7fffff, v5
	s_xor_b32 s10, exec_lo, s10
; %bb.797:
	v_bfe_u32 v4, v18, 20, 1
	v_add3_u32 v4, v18, v4, 0x407ffff
	v_and_b32_e32 v5, 0xff00000, v4
	v_lshrrev_b32_e32 v4, 20, v4
	v_cmp_ne_u32_e32 vcc_lo, 0x7f00000, v5
	v_cndmask_b32_e32 v4, 0x7e, v4, vcc_lo
; %bb.798:
	s_andn2_saveexec_b32 s10, s10
; %bb.799:
	v_add_f32_e64 v4, 0x46800000, |v18|
; %bb.800:
	s_or_b32 exec_lo, exec_lo, s10
                                        ; implicit-def: $vgpr5
.LBB96_801:
	s_andn2_saveexec_b32 s9, s9
; %bb.802:
	v_mov_b32_e32 v4, 0x7f
	v_cmp_lt_u32_e32 vcc_lo, 0x7f800000, v5
	v_cndmask_b32_e32 v4, 0x7e, v4, vcc_lo
; %bb.803:
	s_or_b32 exec_lo, exec_lo, s9
	v_lshrrev_b32_e32 v5, 24, v18
	v_and_or_b32 v4, 0x80, v5, v4
	global_store_byte v[1:2], v4, off
.LBB96_804:
	s_mov_b32 s9, 0
.LBB96_805:
	s_andn2_b32 vcc_lo, exec_lo, s9
	s_cbranch_vccnz .LBB96_815
; %bb.806:
	v_and_b32_e32 v5, 0x7fffffff, v18
	s_mov_b32 s9, exec_lo
                                        ; implicit-def: $vgpr4
	v_cmpx_gt_u32_e32 0x47800000, v5
	s_xor_b32 s9, exec_lo, s9
	s_cbranch_execz .LBB96_812
; %bb.807:
	s_mov_b32 s10, exec_lo
                                        ; implicit-def: $vgpr4
	v_cmpx_lt_u32_e32 0x387fffff, v5
	s_xor_b32 s10, exec_lo, s10
; %bb.808:
	v_bfe_u32 v4, v18, 21, 1
	v_add3_u32 v4, v18, v4, 0x80fffff
	v_lshrrev_b32_e32 v4, 21, v4
; %bb.809:
	s_andn2_saveexec_b32 s10, s10
; %bb.810:
	v_add_f32_e64 v4, 0x43000000, |v18|
; %bb.811:
	s_or_b32 exec_lo, exec_lo, s10
                                        ; implicit-def: $vgpr5
.LBB96_812:
	s_andn2_saveexec_b32 s9, s9
; %bb.813:
	v_mov_b32_e32 v4, 0x7f
	v_cmp_lt_u32_e32 vcc_lo, 0x7f800000, v5
	v_cndmask_b32_e32 v4, 0x7c, v4, vcc_lo
; %bb.814:
	s_or_b32 exec_lo, exec_lo, s9
	v_lshrrev_b32_e32 v5, 24, v18
	v_and_or_b32 v4, 0x80, v5, v4
	global_store_byte v[1:2], v4, off
.LBB96_815:
	s_mov_b32 s9, 0
	s_mov_b32 s10, -1
.LBB96_816:
	s_andn2_b32 vcc_lo, exec_lo, s9
	s_mov_b32 s9, 0
	s_cbranch_vccnz .LBB96_823
; %bb.817:
	s_cmp_gt_i32 s8, 14
	s_mov_b32 s9, -1
	s_cbranch_scc0 .LBB96_821
; %bb.818:
	s_cmp_eq_u32 s8, 15
	s_mov_b32 s4, -1
	s_cbranch_scc0 .LBB96_820
; %bb.819:
	v_bfe_u32 v4, v18, 16, 1
	v_cmp_o_f32_e32 vcc_lo, v18, v18
	v_mov_b32_e32 v5, 0x7fc0
	s_mov_b32 s4, 0
	s_mov_b32 s10, -1
	v_add3_u32 v4, v18, v4, 0x7fff
	v_cndmask_b32_sdwa v4, v5, v4, vcc_lo dst_sel:DWORD dst_unused:UNUSED_PAD src0_sel:DWORD src1_sel:WORD_1
	global_store_short v[1:2], v4, off
.LBB96_820:
	s_mov_b32 s9, 0
.LBB96_821:
	s_and_b32 vcc_lo, exec_lo, s9
	s_mov_b32 s9, 0
	s_cbranch_vccz .LBB96_823
; %bb.822:
	s_cmp_lg_u32 s8, 11
	s_mov_b32 s9, -1
	s_cselect_b32 s4, -1, 0
.LBB96_823:
	s_and_b32 vcc_lo, exec_lo, s4
	s_cbranch_vccnz .LBB96_1001
; %bb.824:
	s_andn2_b32 vcc_lo, exec_lo, s9
	s_cbranch_vccnz .LBB96_826
.LBB96_825:
	v_cmp_neq_f32_e32 vcc_lo, 0, v18
	s_mov_b32 s10, -1
	v_cndmask_b32_e64 v4, 0, 1, vcc_lo
	global_store_byte v[1:2], v4, off
.LBB96_826:
.LBB96_827:
	s_andn2_b32 vcc_lo, exec_lo, s10
	s_cbranch_vccnz .LBB96_943
.LBB96_828:
	v_add_nc_u32_e32 v1, s7, v3
	s_cmp_lt_i32 s5, 11
	v_ashrrev_i32_e32 v3, 31, v1
	v_add_co_u32 v2, vcc_lo, s20, v1
	v_add_co_ci_u32_e64 v3, null, s21, v3, vcc_lo
	s_cbranch_scc1 .LBB96_988
; %bb.829:
	s_and_b32 s7, 0xffff, s5
	s_mov_b32 s9, -1
	s_mov_b32 s8, 0
	s_cmp_gt_i32 s7, 25
	s_mov_b32 s4, 0
	s_cbranch_scc0 .LBB96_862
; %bb.830:
	s_cmp_gt_i32 s7, 28
	s_cbranch_scc0 .LBB96_846
; %bb.831:
	s_cmp_gt_i32 s7, 43
	s_cbranch_scc0 .LBB96_842
; %bb.832:
	s_cmp_gt_i32 s7, 45
	s_cbranch_scc0 .LBB96_836
; %bb.833:
	s_cmp_eq_u32 s7, 46
	s_mov_b32 s4, -1
	s_cbranch_scc0 .LBB96_835
; %bb.834:
	v_bfe_u32 v1, v0, 16, 1
	v_cmp_o_f32_e32 vcc_lo, v0, v0
	v_mov_b32_e32 v4, 0x7fc0
	s_mov_b32 s4, 0
	v_add3_u32 v1, v0, v1, 0x7fff
	v_cndmask_b32_sdwa v1, v4, v1, vcc_lo dst_sel:DWORD dst_unused:UNUSED_PAD src0_sel:DWORD src1_sel:WORD_1
	global_store_dword v[2:3], v1, off
.LBB96_835:
	s_mov_b32 s9, 0
.LBB96_836:
	s_and_b32 vcc_lo, exec_lo, s9
	s_cbranch_vccz .LBB96_841
; %bb.837:
	s_cmp_eq_u32 s7, 44
	s_mov_b32 s4, -1
	s_cbranch_scc0 .LBB96_841
; %bb.838:
	v_bfe_u32 v4, v0, 23, 8
	v_mov_b32_e32 v1, 0xff
	s_mov_b32 s9, exec_lo
	v_cmpx_ne_u32_e32 0xff, v4
	s_cbranch_execz .LBB96_840
; %bb.839:
	v_and_b32_e32 v1, 0x400000, v0
	v_and_or_b32 v4, 0x3fffff, v0, v4
	v_cmp_ne_u32_e32 vcc_lo, 0, v1
	v_cmp_ne_u32_e64 s4, 0, v4
	v_lshrrev_b32_e32 v1, 23, v0
	s_and_b32 s4, vcc_lo, s4
	v_cndmask_b32_e64 v4, 0, 1, s4
	v_add_nc_u32_e32 v1, v1, v4
.LBB96_840:
	s_or_b32 exec_lo, exec_lo, s9
	s_mov_b32 s4, 0
	global_store_byte v[2:3], v1, off
.LBB96_841:
	s_mov_b32 s9, 0
.LBB96_842:
	s_and_b32 vcc_lo, exec_lo, s9
	s_cbranch_vccz .LBB96_845
; %bb.843:
	s_cmp_eq_u32 s7, 29
	s_mov_b32 s4, -1
	s_cbranch_scc0 .LBB96_845
; %bb.844:
	v_trunc_f32_e32 v1, v0
	s_mov_b32 s4, 0
	v_mul_f32_e32 v4, 0x2f800000, v1
	v_floor_f32_e32 v4, v4
	v_fmamk_f32 v1, v4, 0xcf800000, v1
	v_cvt_u32_f32_e32 v5, v4
	v_cvt_u32_f32_e32 v4, v1
	global_store_dwordx2 v[2:3], v[4:5], off
.LBB96_845:
	s_mov_b32 s9, 0
.LBB96_846:
	s_and_b32 vcc_lo, exec_lo, s9
	s_cbranch_vccz .LBB96_861
; %bb.847:
	s_cmp_lt_i32 s7, 27
	s_mov_b32 s9, -1
	s_cbranch_scc1 .LBB96_853
; %bb.848:
	v_cvt_u32_f32_e32 v1, v0
	s_cmp_gt_i32 s7, 27
	s_cbranch_scc0 .LBB96_850
; %bb.849:
	s_mov_b32 s9, 0
	global_store_dword v[2:3], v1, off
.LBB96_850:
	s_andn2_b32 vcc_lo, exec_lo, s9
	s_cbranch_vccnz .LBB96_852
; %bb.851:
	global_store_short v[2:3], v1, off
.LBB96_852:
	s_mov_b32 s9, 0
.LBB96_853:
	s_andn2_b32 vcc_lo, exec_lo, s9
	s_cbranch_vccnz .LBB96_861
; %bb.854:
	v_and_b32_e32 v1, 0x7fffffff, v0
	v_mov_b32_e32 v4, 0x80
	s_mov_b32 s9, exec_lo
	v_cmpx_gt_u32_e32 0x43800000, v1
	s_cbranch_execz .LBB96_860
; %bb.855:
	v_cmp_lt_u32_e32 vcc_lo, 0x3bffffff, v1
	s_mov_b32 s10, 0
                                        ; implicit-def: $vgpr1
	s_and_saveexec_b32 s11, vcc_lo
	s_xor_b32 s11, exec_lo, s11
	s_cbranch_execz .LBB96_1004
; %bb.856:
	v_bfe_u32 v1, v0, 20, 1
	s_mov_b32 s10, exec_lo
	v_add3_u32 v1, v0, v1, 0x487ffff
	v_lshrrev_b32_e32 v1, 20, v1
	s_andn2_saveexec_b32 s11, s11
	s_cbranch_execnz .LBB96_1005
.LBB96_857:
	s_or_b32 exec_lo, exec_lo, s11
	v_mov_b32_e32 v4, 0
	s_and_saveexec_b32 s11, s10
.LBB96_858:
	v_lshrrev_b32_e32 v4, 24, v0
	v_and_or_b32 v4, 0x80, v4, v1
.LBB96_859:
	s_or_b32 exec_lo, exec_lo, s11
.LBB96_860:
	s_or_b32 exec_lo, exec_lo, s9
	global_store_byte v[2:3], v4, off
.LBB96_861:
	s_mov_b32 s9, 0
.LBB96_862:
	s_and_b32 vcc_lo, exec_lo, s9
	s_cbranch_vccz .LBB96_902
; %bb.863:
	s_cmp_gt_i32 s7, 22
	s_mov_b32 s8, -1
	s_cbranch_scc0 .LBB96_895
; %bb.864:
	s_cmp_lt_i32 s7, 24
	s_cbranch_scc1 .LBB96_884
; %bb.865:
	s_cmp_gt_i32 s7, 24
	s_cbranch_scc0 .LBB96_873
; %bb.866:
	v_and_b32_e32 v1, 0x7fffffff, v0
	v_mov_b32_e32 v4, 0x80
	s_mov_b32 s8, exec_lo
	v_cmpx_gt_u32_e32 0x47800000, v1
	s_cbranch_execz .LBB96_872
; %bb.867:
	v_cmp_lt_u32_e32 vcc_lo, 0x37ffffff, v1
	s_mov_b32 s9, 0
                                        ; implicit-def: $vgpr1
	s_and_saveexec_b32 s10, vcc_lo
	s_xor_b32 s10, exec_lo, s10
	s_cbranch_execz .LBB96_1009
; %bb.868:
	v_bfe_u32 v1, v0, 21, 1
	s_mov_b32 s9, exec_lo
	v_add3_u32 v1, v0, v1, 0x88fffff
	v_lshrrev_b32_e32 v1, 21, v1
	s_andn2_saveexec_b32 s10, s10
	s_cbranch_execnz .LBB96_1010
.LBB96_869:
	s_or_b32 exec_lo, exec_lo, s10
	v_mov_b32_e32 v4, 0
	s_and_saveexec_b32 s10, s9
.LBB96_870:
	v_lshrrev_b32_e32 v4, 24, v0
	v_and_or_b32 v4, 0x80, v4, v1
.LBB96_871:
	s_or_b32 exec_lo, exec_lo, s10
.LBB96_872:
	s_or_b32 exec_lo, exec_lo, s8
	s_mov_b32 s8, 0
	global_store_byte v[2:3], v4, off
.LBB96_873:
	s_and_b32 vcc_lo, exec_lo, s8
	s_cbranch_vccz .LBB96_883
; %bb.874:
	v_and_b32_e32 v4, 0x7fffffff, v0
	s_mov_b32 s8, exec_lo
                                        ; implicit-def: $vgpr1
	v_cmpx_gt_u32_e32 0x43f00000, v4
	s_xor_b32 s8, exec_lo, s8
	s_cbranch_execz .LBB96_880
; %bb.875:
	s_mov_b32 s9, exec_lo
                                        ; implicit-def: $vgpr1
	v_cmpx_lt_u32_e32 0x3c7fffff, v4
	s_xor_b32 s9, exec_lo, s9
; %bb.876:
	v_bfe_u32 v1, v0, 20, 1
	v_add3_u32 v1, v0, v1, 0x407ffff
	v_and_b32_e32 v4, 0xff00000, v1
	v_lshrrev_b32_e32 v1, 20, v1
	v_cmp_ne_u32_e32 vcc_lo, 0x7f00000, v4
	v_cndmask_b32_e32 v1, 0x7e, v1, vcc_lo
; %bb.877:
	s_andn2_saveexec_b32 s9, s9
; %bb.878:
	v_add_f32_e64 v1, 0x46800000, |v0|
; %bb.879:
	s_or_b32 exec_lo, exec_lo, s9
                                        ; implicit-def: $vgpr4
.LBB96_880:
	s_andn2_saveexec_b32 s8, s8
; %bb.881:
	v_mov_b32_e32 v1, 0x7f
	v_cmp_lt_u32_e32 vcc_lo, 0x7f800000, v4
	v_cndmask_b32_e32 v1, 0x7e, v1, vcc_lo
; %bb.882:
	s_or_b32 exec_lo, exec_lo, s8
	v_lshrrev_b32_e32 v4, 24, v0
	v_and_or_b32 v1, 0x80, v4, v1
	global_store_byte v[2:3], v1, off
.LBB96_883:
	s_mov_b32 s8, 0
.LBB96_884:
	s_andn2_b32 vcc_lo, exec_lo, s8
	s_cbranch_vccnz .LBB96_894
; %bb.885:
	v_and_b32_e32 v4, 0x7fffffff, v0
	s_mov_b32 s8, exec_lo
                                        ; implicit-def: $vgpr1
	v_cmpx_gt_u32_e32 0x47800000, v4
	s_xor_b32 s8, exec_lo, s8
	s_cbranch_execz .LBB96_891
; %bb.886:
	s_mov_b32 s9, exec_lo
                                        ; implicit-def: $vgpr1
	v_cmpx_lt_u32_e32 0x387fffff, v4
	s_xor_b32 s9, exec_lo, s9
; %bb.887:
	v_bfe_u32 v1, v0, 21, 1
	v_add3_u32 v1, v0, v1, 0x80fffff
	v_lshrrev_b32_e32 v1, 21, v1
; %bb.888:
	s_andn2_saveexec_b32 s9, s9
; %bb.889:
	v_add_f32_e64 v1, 0x43000000, |v0|
; %bb.890:
	s_or_b32 exec_lo, exec_lo, s9
                                        ; implicit-def: $vgpr4
.LBB96_891:
	s_andn2_saveexec_b32 s8, s8
; %bb.892:
	v_mov_b32_e32 v1, 0x7f
	v_cmp_lt_u32_e32 vcc_lo, 0x7f800000, v4
	v_cndmask_b32_e32 v1, 0x7c, v1, vcc_lo
; %bb.893:
	s_or_b32 exec_lo, exec_lo, s8
	v_lshrrev_b32_e32 v4, 24, v0
	v_and_or_b32 v1, 0x80, v4, v1
	global_store_byte v[2:3], v1, off
.LBB96_894:
	s_mov_b32 s8, 0
.LBB96_895:
	s_andn2_b32 vcc_lo, exec_lo, s8
	s_mov_b32 s8, 0
	s_cbranch_vccnz .LBB96_902
; %bb.896:
	s_cmp_gt_i32 s7, 14
	s_mov_b32 s8, -1
	s_cbranch_scc0 .LBB96_900
; %bb.897:
	s_cmp_eq_u32 s7, 15
	s_mov_b32 s4, -1
	s_cbranch_scc0 .LBB96_899
; %bb.898:
	v_bfe_u32 v1, v0, 16, 1
	v_cmp_o_f32_e32 vcc_lo, v0, v0
	v_mov_b32_e32 v4, 0x7fc0
	s_mov_b32 s4, 0
	v_add3_u32 v1, v0, v1, 0x7fff
	v_cndmask_b32_sdwa v1, v4, v1, vcc_lo dst_sel:DWORD dst_unused:UNUSED_PAD src0_sel:DWORD src1_sel:WORD_1
	global_store_short v[2:3], v1, off
.LBB96_899:
	s_mov_b32 s8, 0
.LBB96_900:
	s_and_b32 vcc_lo, exec_lo, s8
	s_mov_b32 s8, 0
	s_cbranch_vccz .LBB96_902
; %bb.901:
	s_cmp_lg_u32 s7, 11
	s_mov_b32 s8, -1
	s_cselect_b32 s4, -1, 0
.LBB96_902:
	s_and_b32 vcc_lo, exec_lo, s4
	s_cbranch_vccnz .LBB96_1006
.LBB96_903:
	s_mov_b32 s4, 0
	s_branch .LBB96_944
.LBB96_904:
	s_mov_b32 s10, 0
	s_cbranch_execz .LBB96_827
; %bb.905:
	s_and_b32 s4, 0xffff, s5
	s_mov_b32 s8, -1
	s_cmp_lt_i32 s4, 5
	s_cbranch_scc1 .LBB96_926
; %bb.906:
	s_cmp_lt_i32 s4, 8
	s_cbranch_scc1 .LBB96_916
; %bb.907:
	;; [unrolled: 3-line block ×3, first 2 shown]
	s_cmp_gt_i32 s4, 9
	s_cbranch_scc0 .LBB96_910
; %bb.909:
	v_cvt_f64_f32_e32 v[4:5], v18
	v_mov_b32_e32 v6, 0
	s_mov_b32 s8, 0
	v_mov_b32_e32 v7, v6
	global_store_dwordx4 v[1:2], v[4:7], off
.LBB96_910:
	s_andn2_b32 vcc_lo, exec_lo, s8
	s_cbranch_vccnz .LBB96_912
; %bb.911:
	v_mov_b32_e32 v19, 0
	global_store_dwordx2 v[1:2], v[18:19], off
.LBB96_912:
	s_mov_b32 s8, 0
.LBB96_913:
	s_andn2_b32 vcc_lo, exec_lo, s8
	s_cbranch_vccnz .LBB96_915
; %bb.914:
	v_cvt_f16_f32_e32 v4, v18
	v_and_b32_e32 v4, 0xffff, v4
	global_store_dword v[1:2], v4, off
.LBB96_915:
	s_mov_b32 s8, 0
.LBB96_916:
	s_andn2_b32 vcc_lo, exec_lo, s8
	s_cbranch_vccnz .LBB96_925
; %bb.917:
	s_cmp_lt_i32 s4, 6
	s_mov_b32 s8, -1
	s_cbranch_scc1 .LBB96_923
; %bb.918:
	s_cmp_gt_i32 s4, 6
	s_cbranch_scc0 .LBB96_920
; %bb.919:
	v_cvt_f64_f32_e32 v[4:5], v18
	s_mov_b32 s8, 0
	global_store_dwordx2 v[1:2], v[4:5], off
.LBB96_920:
	s_andn2_b32 vcc_lo, exec_lo, s8
	s_cbranch_vccnz .LBB96_922
; %bb.921:
	global_store_dword v[1:2], v18, off
.LBB96_922:
	s_mov_b32 s8, 0
.LBB96_923:
	s_andn2_b32 vcc_lo, exec_lo, s8
	s_cbranch_vccnz .LBB96_925
; %bb.924:
	v_cvt_f16_f32_e32 v4, v18
	global_store_short v[1:2], v4, off
.LBB96_925:
	s_mov_b32 s8, 0
.LBB96_926:
	s_andn2_b32 vcc_lo, exec_lo, s8
	s_cbranch_vccnz .LBB96_942
; %bb.927:
	s_cmp_lt_i32 s4, 2
	s_mov_b32 s8, -1
	s_cbranch_scc1 .LBB96_937
; %bb.928:
	s_cmp_lt_i32 s4, 3
	s_cbranch_scc1 .LBB96_934
; %bb.929:
	s_cmp_gt_i32 s4, 3
	s_cbranch_scc0 .LBB96_931
; %bb.930:
	v_trunc_f32_e32 v4, v18
	s_mov_b32 s8, 0
	v_mul_f32_e64 v5, 0x2f800000, |v4|
	v_ashrrev_i32_e32 v7, 31, v4
	v_floor_f32_e32 v5, v5
	v_fma_f32 v6, 0xcf800000, v5, |v4|
	v_cvt_u32_f32_e32 v5, v5
	v_cvt_u32_f32_e32 v4, v6
	v_xor_b32_e32 v5, v5, v7
	v_xor_b32_e32 v4, v4, v7
	v_sub_co_u32 v4, vcc_lo, v4, v7
	v_sub_co_ci_u32_e64 v5, null, v5, v7, vcc_lo
	global_store_dwordx2 v[1:2], v[4:5], off
.LBB96_931:
	s_andn2_b32 vcc_lo, exec_lo, s8
	s_cbranch_vccnz .LBB96_933
; %bb.932:
	v_cvt_i32_f32_e32 v4, v18
	global_store_dword v[1:2], v4, off
.LBB96_933:
	s_mov_b32 s8, 0
.LBB96_934:
	s_andn2_b32 vcc_lo, exec_lo, s8
	s_cbranch_vccnz .LBB96_936
; %bb.935:
	v_cvt_i32_f32_e32 v4, v18
	global_store_short v[1:2], v4, off
.LBB96_936:
	s_mov_b32 s8, 0
.LBB96_937:
	s_andn2_b32 vcc_lo, exec_lo, s8
	s_cbranch_vccnz .LBB96_942
; %bb.938:
	s_cmp_gt_i32 s4, 0
	s_mov_b32 s4, -1
	s_cbranch_scc0 .LBB96_940
; %bb.939:
	v_cvt_i32_f32_e32 v4, v18
	s_mov_b32 s4, 0
	global_store_byte v[1:2], v4, off
.LBB96_940:
	s_andn2_b32 vcc_lo, exec_lo, s4
	s_cbranch_vccnz .LBB96_942
; %bb.941:
	v_trunc_f32_e32 v4, v18
	v_mul_f32_e64 v5, 0x2f800000, |v4|
	v_floor_f32_e32 v5, v5
	v_fma_f32 v5, 0xcf800000, v5, |v4|
	v_ashrrev_i32_e32 v4, 31, v4
	v_cvt_u32_f32_e32 v5, v5
	v_xor_b32_e32 v5, v5, v4
	v_sub_nc_u32_e32 v4, v5, v4
	global_store_byte v[1:2], v4, off
.LBB96_942:
	s_branch .LBB96_828
.LBB96_943:
	s_mov_b32 s4, 0
	s_mov_b32 s8, 0
                                        ; implicit-def: $sgpr5
                                        ; implicit-def: $vgpr2_vgpr3
.LBB96_944:
	s_andn2_b32 s7, s33, exec_lo
	s_and_b32 s6, s6, exec_lo
	s_and_b32 s4, s4, exec_lo
	;; [unrolled: 1-line block ×3, first 2 shown]
	s_or_b32 s33, s7, s6
.LBB96_945:
	s_or_b32 exec_lo, exec_lo, s29
	s_and_saveexec_b32 s6, s33
	s_cbranch_execz .LBB96_948
; %bb.946:
	; divergent unreachable
	s_or_b32 exec_lo, exec_lo, s6
	s_and_saveexec_b32 s6, s28
	s_xor_b32 s6, exec_lo, s6
	s_cbranch_execnz .LBB96_949
.LBB96_947:
	s_or_b32 exec_lo, exec_lo, s6
	s_and_saveexec_b32 s6, s4
	s_cbranch_execnz .LBB96_950
	s_branch .LBB96_987
.LBB96_948:
	s_or_b32 exec_lo, exec_lo, s6
	s_and_saveexec_b32 s6, s28
	s_xor_b32 s6, exec_lo, s6
	s_cbranch_execz .LBB96_947
.LBB96_949:
	v_cmp_neq_f32_e32 vcc_lo, 0, v0
	v_cndmask_b32_e64 v1, 0, 1, vcc_lo
	global_store_byte v[2:3], v1, off
	s_or_b32 exec_lo, exec_lo, s6
	s_and_saveexec_b32 s6, s4
	s_cbranch_execz .LBB96_987
.LBB96_950:
	s_sext_i32_i16 s6, s5
	s_mov_b32 s4, -1
	s_cmp_lt_i32 s6, 5
	s_cbranch_scc1 .LBB96_971
; %bb.951:
	s_cmp_lt_i32 s6, 8
	s_cbranch_scc1 .LBB96_961
; %bb.952:
	;; [unrolled: 3-line block ×3, first 2 shown]
	s_cmp_gt_i32 s6, 9
	s_cbranch_scc0 .LBB96_955
; %bb.954:
	v_cvt_f64_f32_e32 v[4:5], v0
	v_mov_b32_e32 v6, 0
	s_mov_b32 s4, 0
	v_mov_b32_e32 v7, v6
	global_store_dwordx4 v[2:3], v[4:7], off
.LBB96_955:
	s_andn2_b32 vcc_lo, exec_lo, s4
	s_cbranch_vccnz .LBB96_957
; %bb.956:
	v_mov_b32_e32 v1, 0
	global_store_dwordx2 v[2:3], v[0:1], off
.LBB96_957:
	s_mov_b32 s4, 0
.LBB96_958:
	s_andn2_b32 vcc_lo, exec_lo, s4
	s_cbranch_vccnz .LBB96_960
; %bb.959:
	v_cvt_f16_f32_e32 v1, v0
	v_and_b32_e32 v1, 0xffff, v1
	global_store_dword v[2:3], v1, off
.LBB96_960:
	s_mov_b32 s4, 0
.LBB96_961:
	s_andn2_b32 vcc_lo, exec_lo, s4
	s_cbranch_vccnz .LBB96_970
; %bb.962:
	s_sext_i32_i16 s6, s5
	s_mov_b32 s4, -1
	s_cmp_lt_i32 s6, 6
	s_cbranch_scc1 .LBB96_968
; %bb.963:
	s_cmp_gt_i32 s6, 6
	s_cbranch_scc0 .LBB96_965
; %bb.964:
	v_cvt_f64_f32_e32 v[4:5], v0
	s_mov_b32 s4, 0
	global_store_dwordx2 v[2:3], v[4:5], off
.LBB96_965:
	s_andn2_b32 vcc_lo, exec_lo, s4
	s_cbranch_vccnz .LBB96_967
; %bb.966:
	global_store_dword v[2:3], v0, off
.LBB96_967:
	s_mov_b32 s4, 0
.LBB96_968:
	s_andn2_b32 vcc_lo, exec_lo, s4
	s_cbranch_vccnz .LBB96_970
; %bb.969:
	v_cvt_f16_f32_e32 v1, v0
	global_store_short v[2:3], v1, off
.LBB96_970:
	s_mov_b32 s4, 0
.LBB96_971:
	s_andn2_b32 vcc_lo, exec_lo, s4
	s_cbranch_vccnz .LBB96_987
; %bb.972:
	s_sext_i32_i16 s6, s5
	s_mov_b32 s4, -1
	s_cmp_lt_i32 s6, 2
	s_cbranch_scc1 .LBB96_982
; %bb.973:
	s_cmp_lt_i32 s6, 3
	s_cbranch_scc1 .LBB96_979
; %bb.974:
	s_cmp_gt_i32 s6, 3
	s_cbranch_scc0 .LBB96_976
; %bb.975:
	v_trunc_f32_e32 v1, v0
	s_mov_b32 s4, 0
	v_mul_f32_e64 v4, 0x2f800000, |v1|
	v_floor_f32_e32 v4, v4
	v_fma_f32 v5, 0xcf800000, v4, |v1|
	v_ashrrev_i32_e32 v1, 31, v1
	v_cvt_u32_f32_e32 v4, v4
	v_cvt_u32_f32_e32 v5, v5
	v_xor_b32_e32 v6, v4, v1
	v_xor_b32_e32 v5, v5, v1
	v_sub_co_u32 v4, vcc_lo, v5, v1
	v_sub_co_ci_u32_e64 v5, null, v6, v1, vcc_lo
	global_store_dwordx2 v[2:3], v[4:5], off
.LBB96_976:
	s_andn2_b32 vcc_lo, exec_lo, s4
	s_cbranch_vccnz .LBB96_978
; %bb.977:
	v_cvt_i32_f32_e32 v1, v0
	global_store_dword v[2:3], v1, off
.LBB96_978:
	s_mov_b32 s4, 0
.LBB96_979:
	s_andn2_b32 vcc_lo, exec_lo, s4
	s_cbranch_vccnz .LBB96_981
; %bb.980:
	v_cvt_i32_f32_e32 v1, v0
	global_store_short v[2:3], v1, off
.LBB96_981:
	s_mov_b32 s4, 0
.LBB96_982:
	s_andn2_b32 vcc_lo, exec_lo, s4
	s_cbranch_vccnz .LBB96_987
; %bb.983:
	s_sext_i32_i16 s4, s5
	s_cmp_gt_i32 s4, 0
	s_mov_b32 s4, -1
	s_cbranch_scc0 .LBB96_985
; %bb.984:
	v_cvt_i32_f32_e32 v1, v0
	s_mov_b32 s4, 0
	global_store_byte v[2:3], v1, off
.LBB96_985:
	s_andn2_b32 vcc_lo, exec_lo, s4
	s_cbranch_vccnz .LBB96_987
; %bb.986:
	v_trunc_f32_e32 v0, v0
	v_mul_f32_e64 v1, 0x2f800000, |v0|
	v_floor_f32_e32 v1, v1
	v_fma_f32 v1, 0xcf800000, v1, |v0|
	v_ashrrev_i32_e32 v0, 31, v0
	v_cvt_u32_f32_e32 v1, v1
	v_xor_b32_e32 v1, v1, v0
	v_sub_nc_u32_e32 v0, v1, v0
	global_store_byte v[2:3], v0, off
	s_endpgm
.LBB96_987:
	s_endpgm
.LBB96_988:
	s_mov_b32 s8, 0
	s_mov_b32 s4, -1
	s_branch .LBB96_944
.LBB96_989:
	s_andn2_saveexec_b32 s10, s10
	s_cbranch_execz .LBB96_541
.LBB96_990:
	v_add_f32_e64 v4, 0x46000000, |v20|
	s_andn2_b32 s9, s9, exec_lo
	v_and_b32_e32 v4, 0xff, v4
	v_cmp_ne_u32_e32 vcc_lo, 0, v4
	s_and_b32 s11, vcc_lo, exec_lo
	s_or_b32 s9, s9, s11
	s_or_b32 exec_lo, exec_lo, s10
	v_mov_b32_e32 v5, 0
	s_and_saveexec_b32 s10, s9
	s_cbranch_execnz .LBB96_542
	s_branch .LBB96_543
.LBB96_991:
	s_or_b32 s6, s33, exec_lo
	s_trap 2
	s_cbranch_execz .LBB96_589
	s_branch .LBB96_590
.LBB96_992:
	s_andn2_saveexec_b32 s9, s9
	s_cbranch_execz .LBB96_554
.LBB96_993:
	v_add_f32_e64 v4, 0x42800000, |v20|
	s_andn2_b32 s8, s8, exec_lo
	v_and_b32_e32 v4, 0xff, v4
	v_cmp_ne_u32_e32 vcc_lo, 0, v4
	s_and_b32 s10, vcc_lo, exec_lo
	s_or_b32 s8, s8, s10
	s_or_b32 exec_lo, exec_lo, s9
	v_mov_b32_e32 v5, 0
	s_and_saveexec_b32 s9, s8
	s_cbranch_execnz .LBB96_555
	s_branch .LBB96_556
.LBB96_994:
	s_andn2_saveexec_b32 s12, s12
	s_cbranch_execz .LBB96_659
.LBB96_995:
	v_add_f32_e64 v4, 0x46000000, |v19|
	s_andn2_b32 s11, s11, exec_lo
	v_and_b32_e32 v4, 0xff, v4
	v_cmp_ne_u32_e32 vcc_lo, 0, v4
	s_and_b32 s13, vcc_lo, exec_lo
	s_or_b32 s11, s11, s13
	s_or_b32 exec_lo, exec_lo, s12
	v_mov_b32_e32 v5, 0
	s_and_saveexec_b32 s12, s11
	s_cbranch_execnz .LBB96_660
	s_branch .LBB96_661
.LBB96_996:
	s_or_b32 s6, s6, exec_lo
	s_trap 2
	s_cbranch_execz .LBB96_707
	s_branch .LBB96_708
.LBB96_997:
	s_andn2_saveexec_b32 s11, s11
	s_cbranch_execz .LBB96_672
.LBB96_998:
	v_add_f32_e64 v4, 0x42800000, |v19|
	s_andn2_b32 s10, s10, exec_lo
	v_and_b32_e32 v4, 0xff, v4
	v_cmp_ne_u32_e32 vcc_lo, 0, v4
	s_and_b32 s12, vcc_lo, exec_lo
	s_or_b32 s10, s10, s12
	s_or_b32 exec_lo, exec_lo, s11
	v_mov_b32_e32 v5, 0
	s_and_saveexec_b32 s11, s10
	s_cbranch_execnz .LBB96_673
	s_branch .LBB96_674
.LBB96_999:
	s_andn2_saveexec_b32 s12, s12
	s_cbranch_execz .LBB96_777
.LBB96_1000:
	v_add_f32_e64 v4, 0x46000000, |v18|
	s_andn2_b32 s11, s11, exec_lo
	v_and_b32_e32 v4, 0xff, v4
	v_cmp_ne_u32_e32 vcc_lo, 0, v4
	s_and_b32 s13, vcc_lo, exec_lo
	s_or_b32 s11, s11, s13
	s_or_b32 exec_lo, exec_lo, s12
	v_mov_b32_e32 v5, 0
	s_and_saveexec_b32 s12, s11
	s_cbranch_execnz .LBB96_778
	s_branch .LBB96_779
.LBB96_1001:
	s_or_b32 s6, s6, exec_lo
	s_trap 2
	s_cbranch_execz .LBB96_825
	s_branch .LBB96_826
.LBB96_1002:
	s_andn2_saveexec_b32 s11, s11
	s_cbranch_execz .LBB96_790
.LBB96_1003:
	v_add_f32_e64 v4, 0x42800000, |v18|
	s_andn2_b32 s10, s10, exec_lo
	v_and_b32_e32 v4, 0xff, v4
	v_cmp_ne_u32_e32 vcc_lo, 0, v4
	s_and_b32 s12, vcc_lo, exec_lo
	s_or_b32 s10, s10, s12
	s_or_b32 exec_lo, exec_lo, s11
	v_mov_b32_e32 v5, 0
	s_and_saveexec_b32 s11, s10
	s_cbranch_execnz .LBB96_791
	s_branch .LBB96_792
.LBB96_1004:
	s_andn2_saveexec_b32 s11, s11
	s_cbranch_execz .LBB96_857
.LBB96_1005:
	v_add_f32_e64 v1, 0x46000000, |v0|
	s_andn2_b32 s10, s10, exec_lo
	v_and_b32_e32 v1, 0xff, v1
	v_cmp_ne_u32_e32 vcc_lo, 0, v1
	s_and_b32 s12, vcc_lo, exec_lo
	s_or_b32 s10, s10, s12
	s_or_b32 exec_lo, exec_lo, s11
	v_mov_b32_e32 v4, 0
	s_and_saveexec_b32 s11, s10
	s_cbranch_execnz .LBB96_858
	s_branch .LBB96_859
.LBB96_1006:
	s_mov_b32 s8, 0
	s_or_b32 s6, s6, exec_lo
	s_trap 2
	s_branch .LBB96_903
.LBB96_1007:
	s_andn2_saveexec_b32 s9, s9
	s_cbranch_execz .LBB96_422
.LBB96_1008:
	v_add_f32_e64 v1, 0x46000000, |v0|
	s_andn2_b32 s8, s8, exec_lo
	v_and_b32_e32 v1, 0xff, v1
	v_cmp_ne_u32_e32 vcc_lo, 0, v1
	s_and_b32 s10, vcc_lo, exec_lo
	s_or_b32 s8, s8, s10
	s_or_b32 exec_lo, exec_lo, s9
	v_mov_b32_e32 v4, 0
	s_and_saveexec_b32 s9, s8
	s_cbranch_execnz .LBB96_423
	s_branch .LBB96_424
.LBB96_1009:
	s_andn2_saveexec_b32 s10, s10
	s_cbranch_execz .LBB96_869
.LBB96_1010:
	v_add_f32_e64 v1, 0x42800000, |v0|
	s_andn2_b32 s9, s9, exec_lo
	v_and_b32_e32 v1, 0xff, v1
	v_cmp_ne_u32_e32 vcc_lo, 0, v1
	s_and_b32 s11, vcc_lo, exec_lo
	s_or_b32 s9, s9, s11
	s_or_b32 exec_lo, exec_lo, s10
	v_mov_b32_e32 v4, 0
	s_and_saveexec_b32 s10, s9
	s_cbranch_execnz .LBB96_870
	s_branch .LBB96_871
.LBB96_1011:
	s_andn2_saveexec_b32 s10, s10
	s_cbranch_execz .LBB96_434
.LBB96_1012:
	v_add_f32_e64 v1, 0x42800000, |v0|
	s_andn2_b32 s9, s9, exec_lo
	v_and_b32_e32 v1, 0xff, v1
	v_cmp_ne_u32_e32 vcc_lo, 0, v1
	s_and_b32 s11, vcc_lo, exec_lo
	s_or_b32 s9, s9, s11
	s_or_b32 exec_lo, exec_lo, s10
	v_mov_b32_e32 v4, 0
	s_and_saveexec_b32 s10, s9
	s_cbranch_execnz .LBB96_435
	s_branch .LBB96_436
	.section	.rodata,"a",@progbits
	.p2align	6, 0x0
	.amdhsa_kernel _ZN2at6native32elementwise_kernel_manual_unrollILi128ELi4EZNS0_15gpu_kernel_implIZZZNS0_21polygamma_kernel_cudaERNS_18TensorIteratorBaseElENKUlvE_clEvENKUlvE0_clEvEUlfE_EEvS4_RKT_EUlibE_EEviT1_
		.amdhsa_group_segment_fixed_size 0
		.amdhsa_private_segment_fixed_size 0
		.amdhsa_kernarg_size 48
		.amdhsa_user_sgpr_count 6
		.amdhsa_user_sgpr_private_segment_buffer 1
		.amdhsa_user_sgpr_dispatch_ptr 0
		.amdhsa_user_sgpr_queue_ptr 0
		.amdhsa_user_sgpr_kernarg_segment_ptr 1
		.amdhsa_user_sgpr_dispatch_id 0
		.amdhsa_user_sgpr_flat_scratch_init 0
		.amdhsa_user_sgpr_private_segment_size 0
		.amdhsa_wavefront_size32 1
		.amdhsa_uses_dynamic_stack 0
		.amdhsa_system_sgpr_private_segment_wavefront_offset 0
		.amdhsa_system_sgpr_workgroup_id_x 1
		.amdhsa_system_sgpr_workgroup_id_y 0
		.amdhsa_system_sgpr_workgroup_id_z 0
		.amdhsa_system_sgpr_workgroup_info 0
		.amdhsa_system_vgpr_workitem_id 0
		.amdhsa_next_free_vgpr 24
		.amdhsa_next_free_sgpr 40
		.amdhsa_reserve_vcc 1
		.amdhsa_reserve_flat_scratch 0
		.amdhsa_float_round_mode_32 0
		.amdhsa_float_round_mode_16_64 0
		.amdhsa_float_denorm_mode_32 3
		.amdhsa_float_denorm_mode_16_64 3
		.amdhsa_dx10_clamp 1
		.amdhsa_ieee_mode 1
		.amdhsa_fp16_overflow 0
		.amdhsa_workgroup_processor_mode 1
		.amdhsa_memory_ordered 1
		.amdhsa_forward_progress 1
		.amdhsa_shared_vgpr_count 0
		.amdhsa_exception_fp_ieee_invalid_op 0
		.amdhsa_exception_fp_denorm_src 0
		.amdhsa_exception_fp_ieee_div_zero 0
		.amdhsa_exception_fp_ieee_overflow 0
		.amdhsa_exception_fp_ieee_underflow 0
		.amdhsa_exception_fp_ieee_inexact 0
		.amdhsa_exception_int_div_zero 0
	.end_amdhsa_kernel
	.section	.text._ZN2at6native32elementwise_kernel_manual_unrollILi128ELi4EZNS0_15gpu_kernel_implIZZZNS0_21polygamma_kernel_cudaERNS_18TensorIteratorBaseElENKUlvE_clEvENKUlvE0_clEvEUlfE_EEvS4_RKT_EUlibE_EEviT1_,"axG",@progbits,_ZN2at6native32elementwise_kernel_manual_unrollILi128ELi4EZNS0_15gpu_kernel_implIZZZNS0_21polygamma_kernel_cudaERNS_18TensorIteratorBaseElENKUlvE_clEvENKUlvE0_clEvEUlfE_EEvS4_RKT_EUlibE_EEviT1_,comdat
.Lfunc_end96:
	.size	_ZN2at6native32elementwise_kernel_manual_unrollILi128ELi4EZNS0_15gpu_kernel_implIZZZNS0_21polygamma_kernel_cudaERNS_18TensorIteratorBaseElENKUlvE_clEvENKUlvE0_clEvEUlfE_EEvS4_RKT_EUlibE_EEviT1_, .Lfunc_end96-_ZN2at6native32elementwise_kernel_manual_unrollILi128ELi4EZNS0_15gpu_kernel_implIZZZNS0_21polygamma_kernel_cudaERNS_18TensorIteratorBaseElENKUlvE_clEvENKUlvE0_clEvEUlfE_EEvS4_RKT_EUlibE_EEviT1_
                                        ; -- End function
	.set _ZN2at6native32elementwise_kernel_manual_unrollILi128ELi4EZNS0_15gpu_kernel_implIZZZNS0_21polygamma_kernel_cudaERNS_18TensorIteratorBaseElENKUlvE_clEvENKUlvE0_clEvEUlfE_EEvS4_RKT_EUlibE_EEviT1_.num_vgpr, max(24, .L_ZN2at6native6invokeIZZZNS0_21polygamma_kernel_cudaERNS_18TensorIteratorBaseElENKUlvE_clEvENKUlvE0_clEvEUlfE_i15function_traitsIS6_EEENT1_11result_typeERKT_PrKPcPKT0_PKN3c1010ScalarTypeEi.num_vgpr)
	.set _ZN2at6native32elementwise_kernel_manual_unrollILi128ELi4EZNS0_15gpu_kernel_implIZZZNS0_21polygamma_kernel_cudaERNS_18TensorIteratorBaseElENKUlvE_clEvENKUlvE0_clEvEUlfE_EEvS4_RKT_EUlibE_EEviT1_.num_agpr, max(0, .L_ZN2at6native6invokeIZZZNS0_21polygamma_kernel_cudaERNS_18TensorIteratorBaseElENKUlvE_clEvENKUlvE0_clEvEUlfE_i15function_traitsIS6_EEENT1_11result_typeERKT_PrKPcPKT0_PKN3c1010ScalarTypeEi.num_agpr)
	.set _ZN2at6native32elementwise_kernel_manual_unrollILi128ELi4EZNS0_15gpu_kernel_implIZZZNS0_21polygamma_kernel_cudaERNS_18TensorIteratorBaseElENKUlvE_clEvENKUlvE0_clEvEUlfE_EEvS4_RKT_EUlibE_EEviT1_.numbered_sgpr, max(40, .L_ZN2at6native6invokeIZZZNS0_21polygamma_kernel_cudaERNS_18TensorIteratorBaseElENKUlvE_clEvENKUlvE0_clEvEUlfE_i15function_traitsIS6_EEENT1_11result_typeERKT_PrKPcPKT0_PKN3c1010ScalarTypeEi.numbered_sgpr)
	.set _ZN2at6native32elementwise_kernel_manual_unrollILi128ELi4EZNS0_15gpu_kernel_implIZZZNS0_21polygamma_kernel_cudaERNS_18TensorIteratorBaseElENKUlvE_clEvENKUlvE0_clEvEUlfE_EEvS4_RKT_EUlibE_EEviT1_.num_named_barrier, max(0, .L_ZN2at6native6invokeIZZZNS0_21polygamma_kernel_cudaERNS_18TensorIteratorBaseElENKUlvE_clEvENKUlvE0_clEvEUlfE_i15function_traitsIS6_EEENT1_11result_typeERKT_PrKPcPKT0_PKN3c1010ScalarTypeEi.num_named_barrier)
	.set _ZN2at6native32elementwise_kernel_manual_unrollILi128ELi4EZNS0_15gpu_kernel_implIZZZNS0_21polygamma_kernel_cudaERNS_18TensorIteratorBaseElENKUlvE_clEvENKUlvE0_clEvEUlfE_EEvS4_RKT_EUlibE_EEviT1_.private_seg_size, 0+max(.L_ZN2at6native6invokeIZZZNS0_21polygamma_kernel_cudaERNS_18TensorIteratorBaseElENKUlvE_clEvENKUlvE0_clEvEUlfE_i15function_traitsIS6_EEENT1_11result_typeERKT_PrKPcPKT0_PKN3c1010ScalarTypeEi.private_seg_size)
	.set _ZN2at6native32elementwise_kernel_manual_unrollILi128ELi4EZNS0_15gpu_kernel_implIZZZNS0_21polygamma_kernel_cudaERNS_18TensorIteratorBaseElENKUlvE_clEvENKUlvE0_clEvEUlfE_EEvS4_RKT_EUlibE_EEviT1_.uses_vcc, or(1, .L_ZN2at6native6invokeIZZZNS0_21polygamma_kernel_cudaERNS_18TensorIteratorBaseElENKUlvE_clEvENKUlvE0_clEvEUlfE_i15function_traitsIS6_EEENT1_11result_typeERKT_PrKPcPKT0_PKN3c1010ScalarTypeEi.uses_vcc)
	.set _ZN2at6native32elementwise_kernel_manual_unrollILi128ELi4EZNS0_15gpu_kernel_implIZZZNS0_21polygamma_kernel_cudaERNS_18TensorIteratorBaseElENKUlvE_clEvENKUlvE0_clEvEUlfE_EEvS4_RKT_EUlibE_EEviT1_.uses_flat_scratch, or(0, .L_ZN2at6native6invokeIZZZNS0_21polygamma_kernel_cudaERNS_18TensorIteratorBaseElENKUlvE_clEvENKUlvE0_clEvEUlfE_i15function_traitsIS6_EEENT1_11result_typeERKT_PrKPcPKT0_PKN3c1010ScalarTypeEi.uses_flat_scratch)
	.set _ZN2at6native32elementwise_kernel_manual_unrollILi128ELi4EZNS0_15gpu_kernel_implIZZZNS0_21polygamma_kernel_cudaERNS_18TensorIteratorBaseElENKUlvE_clEvENKUlvE0_clEvEUlfE_EEvS4_RKT_EUlibE_EEviT1_.has_dyn_sized_stack, or(0, .L_ZN2at6native6invokeIZZZNS0_21polygamma_kernel_cudaERNS_18TensorIteratorBaseElENKUlvE_clEvENKUlvE0_clEvEUlfE_i15function_traitsIS6_EEENT1_11result_typeERKT_PrKPcPKT0_PKN3c1010ScalarTypeEi.has_dyn_sized_stack)
	.set _ZN2at6native32elementwise_kernel_manual_unrollILi128ELi4EZNS0_15gpu_kernel_implIZZZNS0_21polygamma_kernel_cudaERNS_18TensorIteratorBaseElENKUlvE_clEvENKUlvE0_clEvEUlfE_EEvS4_RKT_EUlibE_EEviT1_.has_recursion, or(0, .L_ZN2at6native6invokeIZZZNS0_21polygamma_kernel_cudaERNS_18TensorIteratorBaseElENKUlvE_clEvENKUlvE0_clEvEUlfE_i15function_traitsIS6_EEENT1_11result_typeERKT_PrKPcPKT0_PKN3c1010ScalarTypeEi.has_recursion)
	.set _ZN2at6native32elementwise_kernel_manual_unrollILi128ELi4EZNS0_15gpu_kernel_implIZZZNS0_21polygamma_kernel_cudaERNS_18TensorIteratorBaseElENKUlvE_clEvENKUlvE0_clEvEUlfE_EEvS4_RKT_EUlibE_EEviT1_.has_indirect_call, or(0, .L_ZN2at6native6invokeIZZZNS0_21polygamma_kernel_cudaERNS_18TensorIteratorBaseElENKUlvE_clEvENKUlvE0_clEvEUlfE_i15function_traitsIS6_EEENT1_11result_typeERKT_PrKPcPKT0_PKN3c1010ScalarTypeEi.has_indirect_call)
	.section	.AMDGPU.csdata,"",@progbits
; Kernel info:
; codeLenInByte = 16336
; TotalNumSgprs: 42
; NumVgprs: 24
; ScratchSize: 0
; MemoryBound: 0
; FloatMode: 240
; IeeeMode: 1
; LDSByteSize: 0 bytes/workgroup (compile time only)
; SGPRBlocks: 0
; VGPRBlocks: 2
; NumSGPRsForWavesPerEU: 42
; NumVGPRsForWavesPerEU: 24
; Occupancy: 16
; WaveLimiterHint : 0
; COMPUTE_PGM_RSRC2:SCRATCH_EN: 0
; COMPUTE_PGM_RSRC2:USER_SGPR: 6
; COMPUTE_PGM_RSRC2:TRAP_HANDLER: 0
; COMPUTE_PGM_RSRC2:TGID_X_EN: 1
; COMPUTE_PGM_RSRC2:TGID_Y_EN: 0
; COMPUTE_PGM_RSRC2:TGID_Z_EN: 0
; COMPUTE_PGM_RSRC2:TIDIG_COMP_CNT: 0
	.text
	.p2align	2                               ; -- Begin function _ZN2at6native6invokeIZZZNS0_21polygamma_kernel_cudaERNS_18TensorIteratorBaseElENKUlvE_clEvENKUlvE0_clEvEUlfE_j15function_traitsIS6_EEENT1_11result_typeERKT_PrKPcPKT0_PKN3c1010ScalarTypeEi
	.type	_ZN2at6native6invokeIZZZNS0_21polygamma_kernel_cudaERNS_18TensorIteratorBaseElENKUlvE_clEvENKUlvE0_clEvEUlfE_j15function_traitsIS6_EEENT1_11result_typeERKT_PrKPcPKT0_PKN3c1010ScalarTypeEi,@function
_ZN2at6native6invokeIZZZNS0_21polygamma_kernel_cudaERNS_18TensorIteratorBaseElENKUlvE_clEvENKUlvE0_clEvEUlfE_j15function_traitsIS6_EEENT1_11result_typeERKT_PrKPcPKT0_PKN3c1010ScalarTypeEi: ; @_ZN2at6native6invokeIZZZNS0_21polygamma_kernel_cudaERNS_18TensorIteratorBaseElENKUlvE_clEvENKUlvE0_clEvEUlfE_j15function_traitsIS6_EEENT1_11result_typeERKT_PrKPcPKT0_PKN3c1010ScalarTypeEi
; %bb.0:
	s_waitcnt vmcnt(0) expcnt(0) lgkmcnt(0)
	v_mov_b32_e32 v6, 10
	v_add_co_u32 v1, vcc_lo, v2, v4
	v_add_co_ci_u32_e64 v2, null, 0, v3, vcc_lo
	v_cmp_gt_i16_sdwa s4, v5, v6 src0_sel:BYTE_0 src1_sel:DWORD
	s_mov_b32 s5, 0
                                        ; implicit-def: $vgpr3
	s_and_saveexec_b32 s6, s4
	s_xor_b32 s4, exec_lo, s6
	s_cbranch_execnz .LBB97_4
; %bb.1:
	s_andn2_saveexec_b32 s4, s4
	s_cbranch_execnz .LBB97_10
.LBB97_2:
	s_or_b32 exec_lo, exec_lo, s4
                                        ; implicit-def: $vgpr1
	s_and_saveexec_b32 s8, s5
	s_cbranch_execnz .LBB97_51
.LBB97_3:
	s_or_b32 exec_lo, exec_lo, s8
	v_mov_b32_e32 v0, v1
	s_waitcnt vmcnt(0) lgkmcnt(0)
	s_setpc_b64 s[30:31]
.LBB97_4:
	v_mov_b32_e32 v3, 25
	s_mov_b32 s8, 0
	s_mov_b32 s7, 0
	v_cmp_gt_i16_sdwa s6, v5, v3 src0_sel:BYTE_0 src1_sel:DWORD
                                        ; implicit-def: $vgpr3
	s_and_saveexec_b32 s9, s6
	s_xor_b32 s6, exec_lo, s9
	s_cbranch_execnz .LBB97_96
; %bb.5:
	s_andn2_saveexec_b32 s6, s6
	s_cbranch_execnz .LBB97_127
.LBB97_6:
	s_or_b32 exec_lo, exec_lo, s6
	s_and_saveexec_b32 s6, s8
	s_cbranch_execnz .LBB97_150
.LBB97_7:
	s_or_b32 exec_lo, exec_lo, s6
	s_and_saveexec_b32 s6, s5
	s_xor_b32 s5, exec_lo, s6
	s_cbranch_execz .LBB97_9
.LBB97_8:
	flat_load_ubyte v1, v[1:2]
	s_or_b32 s7, s7, exec_lo
	s_waitcnt vmcnt(0) lgkmcnt(0)
	v_cmp_ne_u16_e32 vcc_lo, 0, v1
	v_cndmask_b32_e64 v3, 0, 1.0, vcc_lo
.LBB97_9:
	s_or_b32 exec_lo, exec_lo, s5
	s_and_b32 s5, s7, exec_lo
                                        ; implicit-def: $vgpr5
                                        ; implicit-def: $vgpr1_vgpr2
	s_andn2_saveexec_b32 s4, s4
	s_cbranch_execz .LBB97_2
.LBB97_10:
	v_mov_b32_e32 v3, 4
	v_cmp_gt_i16_sdwa s6, v5, v3 src0_sel:BYTE_0 src1_sel:DWORD
                                        ; implicit-def: $vgpr3
	s_and_saveexec_b32 s7, s6
	s_xor_b32 s6, exec_lo, s7
	s_cbranch_execz .LBB97_32
; %bb.11:
	v_mov_b32_e32 v3, 7
	v_cmp_gt_i16_sdwa s7, v5, v3 src0_sel:BYTE_0 src1_sel:DWORD
                                        ; implicit-def: $vgpr3
	s_and_saveexec_b32 s8, s7
	s_xor_b32 s7, exec_lo, s8
	s_cbranch_execz .LBB97_21
; %bb.12:
	;; [unrolled: 7-line block ×4, first 2 shown]
	flat_load_dwordx2 v[1:2], v[1:2]
	s_waitcnt vmcnt(0) lgkmcnt(0)
	v_cvt_f32_f64_e32 v3, v[1:2]
                                        ; implicit-def: $vgpr1_vgpr2
.LBB97_15:
	s_andn2_saveexec_b32 s9, s9
	s_cbranch_execz .LBB97_17
; %bb.16:
	flat_load_dword v3, v[1:2]
.LBB97_17:
	s_or_b32 exec_lo, exec_lo, s9
                                        ; implicit-def: $vgpr1_vgpr2
.LBB97_18:
	s_andn2_saveexec_b32 s8, s8
	s_cbranch_execz .LBB97_20
; %bb.19:
	flat_load_dword v1, v[1:2]
	s_waitcnt vmcnt(0) lgkmcnt(0)
	v_cvt_f32_f16_e32 v3, v1
.LBB97_20:
	s_or_b32 exec_lo, exec_lo, s8
                                        ; implicit-def: $vgpr1_vgpr2
                                        ; implicit-def: $vgpr5
.LBB97_21:
	s_andn2_saveexec_b32 s7, s7
	s_cbranch_execz .LBB97_31
; %bb.22:
	s_waitcnt vmcnt(0) lgkmcnt(0)
	v_mov_b32_e32 v3, 5
	v_cmp_gt_i16_sdwa s8, v5, v3 src0_sel:BYTE_0 src1_sel:DWORD
                                        ; implicit-def: $vgpr3
	s_and_saveexec_b32 s9, s8
	s_xor_b32 s8, exec_lo, s9
	s_cbranch_execz .LBB97_28
; %bb.23:
	v_mov_b32_e32 v3, 6
	v_cmp_gt_i16_sdwa s9, v5, v3 src0_sel:BYTE_0 src1_sel:DWORD
                                        ; implicit-def: $vgpr3
	s_and_saveexec_b32 s10, s9
	s_xor_b32 s9, exec_lo, s10
	s_cbranch_execz .LBB97_25
; %bb.24:
	flat_load_dwordx2 v[1:2], v[1:2]
	s_waitcnt vmcnt(0) lgkmcnt(0)
	v_cvt_f32_f64_e32 v3, v[1:2]
                                        ; implicit-def: $vgpr1_vgpr2
.LBB97_25:
	s_andn2_saveexec_b32 s9, s9
	s_cbranch_execz .LBB97_27
; %bb.26:
	flat_load_dword v3, v[1:2]
.LBB97_27:
	s_or_b32 exec_lo, exec_lo, s9
                                        ; implicit-def: $vgpr1_vgpr2
.LBB97_28:
	s_andn2_saveexec_b32 s8, s8
	s_cbranch_execz .LBB97_30
; %bb.29:
	flat_load_ushort v1, v[1:2]
	s_waitcnt vmcnt(0) lgkmcnt(0)
	v_cvt_f32_f16_e32 v3, v1
.LBB97_30:
	s_or_b32 exec_lo, exec_lo, s8
.LBB97_31:
	s_or_b32 exec_lo, exec_lo, s7
                                        ; implicit-def: $vgpr5
                                        ; implicit-def: $vgpr1_vgpr2
.LBB97_32:
	s_andn2_saveexec_b32 s6, s6
	s_cbranch_execz .LBB97_50
; %bb.33:
	s_waitcnt vmcnt(0) lgkmcnt(0)
	v_mov_b32_e32 v3, 1
	v_cmp_gt_i16_sdwa s7, v5, v3 src0_sel:BYTE_0 src1_sel:DWORD
                                        ; implicit-def: $vgpr3
	s_and_saveexec_b32 s8, s7
	s_xor_b32 s7, exec_lo, s8
	s_cbranch_execz .LBB97_43
; %bb.34:
	v_mov_b32_e32 v3, 2
	v_cmp_gt_i16_sdwa s8, v5, v3 src0_sel:BYTE_0 src1_sel:DWORD
                                        ; implicit-def: $vgpr3
	s_and_saveexec_b32 s9, s8
	s_xor_b32 s8, exec_lo, s9
	s_cbranch_execz .LBB97_40
; %bb.35:
	;; [unrolled: 7-line block ×3, first 2 shown]
	flat_load_dwordx2 v[1:2], v[1:2]
	s_waitcnt vmcnt(0) lgkmcnt(0)
	v_xor_b32_e32 v3, v1, v2
	v_ffbh_i32_e32 v4, v2
	v_ashrrev_i32_e32 v3, 31, v3
	v_add_nc_u32_e32 v4, -1, v4
	v_add_nc_u32_e32 v3, 32, v3
	v_min_u32_e32 v3, v4, v3
	v_lshlrev_b64 v[1:2], v3, v[1:2]
	v_min_u32_e32 v1, 1, v1
	v_or_b32_e32 v1, v2, v1
	v_sub_nc_u32_e32 v2, 32, v3
	v_cvt_f32_i32_e32 v1, v1
	v_ldexp_f32 v3, v1, v2
                                        ; implicit-def: $vgpr1_vgpr2
.LBB97_37:
	s_andn2_saveexec_b32 s9, s9
	s_cbranch_execz .LBB97_39
; %bb.38:
	flat_load_dword v1, v[1:2]
	s_waitcnt vmcnt(0) lgkmcnt(0)
	v_cvt_f32_i32_e32 v3, v1
.LBB97_39:
	s_or_b32 exec_lo, exec_lo, s9
                                        ; implicit-def: $vgpr1_vgpr2
.LBB97_40:
	s_andn2_saveexec_b32 s8, s8
	s_cbranch_execz .LBB97_42
; %bb.41:
	flat_load_sshort v1, v[1:2]
	s_waitcnt vmcnt(0) lgkmcnt(0)
	v_cvt_f32_i32_e32 v3, v1
.LBB97_42:
	s_or_b32 exec_lo, exec_lo, s8
                                        ; implicit-def: $vgpr1_vgpr2
                                        ; implicit-def: $vgpr5
.LBB97_43:
	s_andn2_saveexec_b32 s7, s7
	s_cbranch_execz .LBB97_49
; %bb.44:
	v_mov_b32_e32 v3, 0
	v_cmp_gt_i16_sdwa s8, v5, v3 src0_sel:BYTE_0 src1_sel:DWORD
                                        ; implicit-def: $vgpr3
	s_and_saveexec_b32 s9, s8
	s_xor_b32 s8, exec_lo, s9
	s_cbranch_execz .LBB97_46
; %bb.45:
	flat_load_sbyte v1, v[1:2]
	s_waitcnt vmcnt(0) lgkmcnt(0)
	v_cvt_f32_i32_e32 v3, v1
                                        ; implicit-def: $vgpr1_vgpr2
.LBB97_46:
	s_andn2_saveexec_b32 s8, s8
	s_cbranch_execz .LBB97_48
; %bb.47:
	flat_load_ubyte v1, v[1:2]
	s_waitcnt vmcnt(0) lgkmcnt(0)
	v_cvt_f32_ubyte0_e32 v3, v1
.LBB97_48:
	s_or_b32 exec_lo, exec_lo, s8
.LBB97_49:
	s_or_b32 exec_lo, exec_lo, s7
.LBB97_50:
	s_or_b32 exec_lo, exec_lo, s6
	s_or_b32 s5, s5, exec_lo
	s_or_b32 exec_lo, exec_lo, s4
                                        ; implicit-def: $vgpr1
	s_and_saveexec_b32 s8, s5
	s_cbranch_execz .LBB97_3
.LBB97_51:
	v_cvt_f32_i32_e32 v1, v0
	s_mov_b32 s5, exec_lo
                                        ; implicit-def: $vgpr2
	v_add_f32_e32 v1, 1.0, v1
	v_and_b32_e32 v4, 0x7fffffff, v1
	v_cmpx_ngt_f32_e64 0x3c800000, |v1|
	s_xor_b32 s5, exec_lo, s5
	s_cbranch_execz .LBB97_81
; %bb.52:
	s_mov_b32 s6, exec_lo
                                        ; implicit-def: $vgpr2
	v_cmpx_nlt_f32_e64 |v1|, 2.0
	s_xor_b32 s6, exec_lo, s6
	s_cbranch_execz .LBB97_62
; %bb.53:
	v_cmp_ngt_f32_e64 s4, 0x41000000, |v1|
                                        ; implicit-def: $vgpr2
	s_and_saveexec_b32 s7, s4
	s_xor_b32 s4, exec_lo, s7
	s_cbranch_execz .LBB97_59
; %bb.54:
	v_cmp_ngt_f32_e64 s7, 0x5c800000, |v1|
                                        ; implicit-def: $vgpr2
	s_and_saveexec_b32 s9, s7
	s_xor_b32 s7, exec_lo, s9
	s_cbranch_execz .LBB97_56
; %bb.55:
	v_cmp_gt_f32_e64 s9, 0x800000, |v1|
	v_cndmask_b32_e64 v2, 0, 32, s9
	v_ldexp_f32 v2, |v1|, v2
	v_log_f32_e32 v2, v2
	v_mul_f32_e32 v5, 0x3f317217, v2
	v_cmp_gt_f32_e64 vcc_lo, 0x7f800000, |v2|
	v_fma_f32 v6, 0x3f317217, v2, -v5
	v_fmamk_f32 v6, v2, 0x3377d1cf, v6
	v_add_f32_e32 v5, v5, v6
	v_cndmask_b32_e32 v2, v2, v5, vcc_lo
	v_cndmask_b32_e64 v5, 0, 0x41b17218, s9
	v_sub_f32_e32 v2, v2, v5
	v_fma_f32 v2, |v1|, v2, -|v1|
.LBB97_56:
	s_andn2_saveexec_b32 s7, s7
	s_cbranch_execz .LBB97_58
; %bb.57:
	v_cmp_gt_f32_e64 s9, 0x800000, |v1|
	v_rcp_f32_e64 v5, |v1|
	s_mov_b32 s10, 0xbad5c4e8
	v_cndmask_b32_e64 v2, 0, 32, s9
	v_ldexp_f32 v2, |v1|, v2
	v_mul_f32_e32 v6, v5, v5
	v_log_f32_e32 v2, v2
	v_fmaak_f32 v8, s10, v6, 0x3a5b3dd2
	v_fmaak_f32 v8, v6, v8, 0xba1c065c
	v_mul_f32_e32 v7, 0x3f317217, v2
	v_fmaak_f32 v8, v6, v8, 0x3a500cfd
	v_cmp_gt_f32_e64 vcc_lo, 0x7f800000, |v2|
	v_fma_f32 v9, 0x3f317217, v2, -v7
	v_fmaak_f32 v8, v6, v8, 0xbb360b61
	v_fmamk_f32 v9, v2, 0x3377d1cf, v9
	v_fmaak_f32 v6, v6, v8, 0x3daaaaab
	v_add_f32_e32 v7, v7, v9
	v_cndmask_b32_e32 v2, v2, v7, vcc_lo
	v_cndmask_b32_e64 v7, 0, 0x41b17218, s9
	v_sub_f32_e32 v7, v2, v7
	v_fmaak_f32 v2, v5, v6, 0x3ed67f1d
	v_add_f32_e64 v5, |v1|, -0.5
	v_add_f32_e32 v6, -1.0, v7
	v_fmac_f32_e32 v2, v5, v6
.LBB97_58:
	s_or_b32 exec_lo, exec_lo, s7
.LBB97_59:
	s_andn2_saveexec_b32 s7, s4
	s_cbranch_execz .LBB97_61
; %bb.60:
	v_cvt_i32_f32_e32 v2, v4
	s_mov_b32 s4, 0x36f5d7bd
	s_mov_b32 s9, 0x3805ff67
	v_cvt_f32_i32_e32 v5, v2
	v_cmp_lt_i32_e32 vcc_lo, 2, v2
	v_sub_f32_e64 v5, |v1|, v5
	v_add_f32_e32 v6, 2.0, v5
	v_add_f32_e32 v7, 0x40400000, v5
	v_add_f32_e32 v8, 4.0, v5
	v_add_f32_e32 v9, 0x40a00000, v5
	v_cndmask_b32_e32 v6, 1.0, v6, vcc_lo
	v_cmp_lt_i32_e32 vcc_lo, 3, v2
	v_cndmask_b32_e32 v7, 1.0, v7, vcc_lo
	v_cmp_lt_i32_e32 vcc_lo, 4, v2
	v_mul_f32_e32 v6, v6, v7
	v_cndmask_b32_e32 v8, 1.0, v8, vcc_lo
	v_cmp_lt_i32_e32 vcc_lo, 5, v2
	v_add_f32_e32 v7, 0x40c00000, v5
	v_mul_f32_e32 v6, v8, v6
	v_cndmask_b32_e32 v9, 1.0, v9, vcc_lo
	v_cmp_lt_i32_e32 vcc_lo, 6, v2
	v_fmaak_f32 v8, s9, v5, 0x3af135b4
	v_mul_f32_e32 v6, v9, v6
	v_cndmask_b32_e32 v2, 1.0, v7, vcc_lo
	v_mul_f32_e32 v2, v2, v6
	v_fmaak_f32 v6, s4, v5, 0x3a4beed6
	v_cmp_gt_f32_e32 vcc_lo, 0x800000, v2
	v_fmaak_f32 v6, v5, v6, 0x3c98bf54
	v_cndmask_b32_e64 v7, 0, 32, vcc_lo
	v_fmaak_f32 v6, v5, v6, 0x3e300f6e
	v_ldexp_f32 v2, v2, v7
	v_fmaak_f32 v7, v5, v8, 0x3cda40e4
	v_fmaak_f32 v6, v5, v6, 0x3f38d0c5
	v_log_f32_e32 v2, v2
	v_fmaak_f32 v7, v5, v7, 0x3e15dce6
	v_fmaak_f32 v6, v5, v6, 0x3fb22d3b
	;; [unrolled: 1-line block ×3, first 2 shown]
	v_fma_f32 v6, v5, v6, 1.0
	v_mul_f32_e32 v8, 0x3f317217, v2
	v_fmaak_f32 v7, v5, v7, 0x3e5c245a
	v_rcp_f32_e32 v6, v6
	v_cmp_gt_f32_e64 s4, 0x7f800000, |v2|
	v_fma_f32 v9, 0x3f317217, v2, -v8
	v_fmaak_f32 v7, v5, v7, 0xbd9e233f
	v_fmamk_f32 v9, v2, 0x3377d1cf, v9
	v_mul_f32_e32 v7, v5, v7
	v_add_f32_e32 v8, v8, v9
	v_mul_f32_e32 v6, v7, v6
	v_cndmask_b32_e64 v7, 0, 0x41b17218, vcc_lo
	v_cndmask_b32_e64 v2, v2, v8, s4
	v_fmac_f32_e32 v6, 0.5, v5
	v_sub_f32_e32 v2, v2, v7
	v_add_f32_e32 v2, v2, v6
.LBB97_61:
	s_or_b32 exec_lo, exec_lo, s7
.LBB97_62:
	s_andn2_saveexec_b32 s6, s6
	s_cbranch_execz .LBB97_80
; %bb.63:
	s_mov_b32 s7, exec_lo
                                        ; implicit-def: $vgpr2
                                        ; implicit-def: $vgpr6
                                        ; implicit-def: $vgpr5
	v_cmpx_ge_f32_e64 0x3f666666, |v1|
	s_xor_b32 s7, exec_lo, s7
	s_cbranch_execz .LBB97_65
; %bb.64:
	v_cmp_gt_f32_e64 s4, 0x800000, |v1|
	v_sub_f32_e64 v7, 1.0, |v1|
	v_cmp_gt_f32_e64 vcc_lo, 0x3f3b4a23, |v1|
	v_cndmask_b32_e64 v2, 0, 32, s4
	v_cndmask_b32_e64 v8, 0, 0x41b17218, s4
	v_ldexp_f32 v2, |v1|, v2
	v_log_f32_e32 v2, v2
	v_mul_f32_e32 v5, 0x3f317217, v2
	v_cmp_gt_f32_e64 s4, 0x7f800000, |v2|
	v_fma_f32 v6, 0x3f317217, v2, -v5
	v_fmamk_f32 v6, v2, 0x3377d1cf, v6
	v_add_f32_e32 v5, v5, v6
	v_add_f32_e64 v6, 0xbeec5b0c, |v1|
	v_cndmask_b32_e64 v2, v2, v5, s4
	v_cndmask_b32_e32 v5, v7, v6, vcc_lo
	v_cndmask_b32_e64 v6, 0, 1, vcc_lo
	v_cmp_gt_f32_e64 s4, 0x3e6d3309, |v1|
	v_sub_f32_e32 v2, v2, v8
	v_cndmask_b32_e64 v5, v5, |v1|, s4
	v_cndmask_b32_e64 v6, v6, 2, s4
	v_xor_b32_e32 v2, 0x80000000, v2
.LBB97_65:
	s_andn2_saveexec_b32 s4, s7
	s_cbranch_execz .LBB97_67
; %bb.66:
	v_sub_f32_e64 v2, 2.0, |v1|
	v_add_f32_e64 v5, 0xbfbb16c3, |v1|
	v_cmp_gt_f32_e64 vcc_lo, 0x3fdda512, |v1|
	v_add_f32_e64 v6, |v1|, -1.0
	v_cndmask_b32_e32 v5, v2, v5, vcc_lo
	v_cndmask_b32_e64 v2, v2, 1.0, vcc_lo
	v_cmp_gt_f32_e64 vcc_lo, 0x3f9d70a4, |v1|
	v_cvt_i32_f32_e32 v2, v2
	v_cndmask_b32_e32 v5, v5, v6, vcc_lo
	v_cndmask_b32_e64 v6, v2, 2, vcc_lo
	v_mov_b32_e32 v2, 0
.LBB97_67:
	s_or_b32 exec_lo, exec_lo, s4
	s_mov_b32 s4, exec_lo
	v_cmpx_lt_i32_e32 0, v6
	s_xor_b32 s4, exec_lo, s4
	s_cbranch_execz .LBB97_75
; %bb.68:
	s_mov_b32 s7, exec_lo
	v_cmpx_lt_i32_e32 1, v6
	s_xor_b32 s7, exec_lo, s7
	s_cbranch_execz .LBB97_72
; %bb.69:
	s_mov_b32 s9, exec_lo
	v_cmpx_eq_u32_e32 2, v6
	s_cbranch_execz .LBB97_71
; %bb.70:
	s_mov_b32 s10, 0x3b52d5db
	v_fmaak_f32 v6, s10, v5, 0x3dd572af
	s_mov_b32 s10, 0x3c5b3c5e
	v_fmaak_f32 v7, s10, v5, 0x3e6a7578
	v_fmaak_f32 v6, v5, v6, 0x3f44efdf
	;; [unrolled: 1-line block ×7, first 2 shown]
	v_fma_f32 v6, v5, v6, 1.0
	v_fmaak_f32 v7, v5, v7, 0xbd9e233f
	v_rcp_f32_e32 v6, v6
	v_mul_f32_e32 v7, v5, v7
	v_mul_f32_e32 v6, v7, v6
	v_fmac_f32_e32 v6, -0.5, v5
	v_add_f32_e32 v2, v2, v6
.LBB97_71:
	s_or_b32 exec_lo, exec_lo, s9
                                        ; implicit-def: $vgpr5
.LBB97_72:
	s_andn2_saveexec_b32 s7, s7
	s_cbranch_execz .LBB97_74
; %bb.73:
	v_mul_f32_e32 v6, v5, v5
	s_mov_b32 s9, 0xb9a3f927
	s_mov_b32 s10, 0x39afe9f7
	v_mul_f32_e32 v7, v5, v6
	v_fmaak_f32 v8, s9, v7, 0x3a66f867
	v_fmaak_f32 v9, s10, v7, 0xba0d3085
	s_mov_b32 s9, 0x39a57b6b
	v_fmaak_f32 v10, s9, v7, 0xbab7f476
	v_fmaak_f32 v8, v7, v8, 0xbb7177fe
	v_fmaak_f32 v9, v7, v9, 0x3b141699
	v_fmaak_f32 v10, v7, v10, 0x3bc7e707
	v_fmaak_f32 v8, v7, v8, 0x3c93373d
	v_fmaak_f32 v9, v7, v9, 0xbc28fcfe
	v_fmaak_f32 v10, v7, v10, 0xbd064d47
	v_fmaak_f32 v8, v7, v8, 0xbe17213c
	v_fmaak_f32 v9, v7, v9, 0x3d845a15
	v_fmac_f32_e32 v8, v5, v9
	v_fmaak_f32 v5, v7, v10, 0x3ef7b95e
	v_fma_f32 v7, v7, -v8, 0xa2863e55
	v_fma_f32 v5, v6, v5, -v7
	v_add_f32_e32 v5, 0xbdf8cdce, v5
	v_add_f32_e32 v2, v2, v5
.LBB97_74:
	s_or_b32 exec_lo, exec_lo, s7
                                        ; implicit-def: $vgpr6
                                        ; implicit-def: $vgpr5
.LBB97_75:
	s_andn2_saveexec_b32 s4, s4
	s_cbranch_execz .LBB97_79
; %bb.76:
	s_mov_b32 s7, exec_lo
	v_cmpx_eq_u32_e32 0, v6
	s_cbranch_execz .LBB97_78
; %bb.77:
	v_mul_f32_e32 v6, v5, v5
	s_mov_b32 s9, 0x383c2c75
	v_fmaak_f32 v7, s9, v6, 0x38e28445
	s_mov_b32 s9, 0x37d383a2
	v_fmaak_f32 v8, s9, v6, 0x39679767
	v_fmaak_f32 v7, v6, v7, 0x3a05b634
	;; [unrolled: 1-line block ×9, first 2 shown]
	v_mul_f32_e32 v6, v6, v7
	v_fmac_f32_e32 v6, v5, v8
	v_fmac_f32_e32 v6, -0.5, v5
	v_add_f32_e32 v2, v2, v6
.LBB97_78:
	s_or_b32 exec_lo, exec_lo, s7
.LBB97_79:
	s_or_b32 exec_lo, exec_lo, s4
.LBB97_80:
	s_or_b32 exec_lo, exec_lo, s6
.LBB97_81:
	s_andn2_saveexec_b32 s4, s5
	s_cbranch_execz .LBB97_83
; %bb.82:
	v_cmp_gt_f32_e64 s5, 0x800000, |v1|
	s_mov_b32 s6, 0x3e8a8991
	v_fma_f32 v7, |v1|, s6, 0xbecd26ab
	v_cndmask_b32_e64 v2, 0, 32, s5
	v_ldexp_f32 v2, |v1|, v2
	v_log_f32_e32 v2, v2
	v_mul_f32_e32 v5, 0x3f317217, v2
	v_cmp_gt_f32_e64 vcc_lo, 0x7f800000, |v2|
	v_fma_f32 v6, 0x3f317217, v2, -v5
	v_fmamk_f32 v6, v2, 0x3377d1cf, v6
	v_add_f32_e32 v5, v5, v6
	v_fma_f32 v6, |v1|, v7, 0x3f528d33
	v_cndmask_b32_e32 v2, v2, v5, vcc_lo
	v_cndmask_b32_e64 v5, 0, 0x41b17218, s5
	v_fma_f32 v6, |v1|, v6, 0xbf13c468
	v_sub_f32_e32 v2, v2, v5
	v_fma_f32 v2, |v1|, v6, -v2
.LBB97_83:
	s_or_b32 exec_lo, exec_lo, s4
	v_cmp_le_f32_e64 s4, 0, v1
	s_mov_b32 s5, exec_lo
	v_cmpx_nle_f32_e32 0, v1
	s_xor_b32 s6, exec_lo, s5
	s_cbranch_execz .LBB97_87
; %bb.84:
	v_cmp_gt_f32_e64 s5, 0x4b000000, |v1|
	v_cmp_lt_f32_e64 s7, 0x35000000, |v1|
	s_and_b32 s5, s5, s7
	s_and_saveexec_b32 s7, s5
	s_cbranch_execz .LBB97_86
; %bb.85:
	v_mul_f32_e64 v5, |v1|, 0.5
	v_cmp_gt_f32_e64 s5, |v1|, 1.0
	s_mov_b32 s9, 0x3d4be544
	v_xor_b32_e32 v4, v4, v1
	v_fract_f32_e32 v6, v5
	v_cmp_neq_f32_e32 vcc_lo, 0x7f800000, v5
	v_add_f32_e32 v6, v6, v6
	v_cndmask_b32_e32 v5, 0, v6, vcc_lo
	v_cndmask_b32_e64 v5, |v1|, v5, s5
	s_mov_b32 s5, 0x3e75aa41
	v_add_f32_e32 v6, v5, v5
	v_rndne_f32_e32 v6, v6
	v_fmac_f32_e32 v5, -0.5, v6
	v_cvt_i32_f32_e32 v6, v6
	v_mul_f32_e32 v7, v5, v5
	v_fmaak_f32 v8, s5, v7, 0xbf1f24be
	v_fmaak_f32 v9, s9, v7, 0x3e642e9d
	v_mul_f32_e32 v10, v5, v7
	v_fmaak_f32 v8, v7, v8, 0x40234736
	v_fmaak_f32 v9, v7, v9, 0xbfaad1da
	;; [unrolled: 1-line block ×4, first 2 shown]
	v_mul_f32_e32 v8, v10, v8
	v_fmaak_f32 v9, v7, v9, 0xc09de9e6
	v_and_b32_e32 v10, 1, v6
	v_lshlrev_b32_e32 v6, 30, v6
	v_fmamk_f32 v5, v5, 0x40490fdb, v8
	v_fma_f32 v7, v7, v9, 1.0
	v_cmp_eq_u32_e32 vcc_lo, 0, v10
	v_and_b32_e32 v6, 0x80000000, v6
	v_cndmask_b32_e32 v5, v7, v5, vcc_lo
	v_xor3_b32 v4, v4, v6, v5
	v_mul_f32_e32 v4, v1, v4
	v_frexp_mant_f32_e64 v5, |v4|
	v_frexp_exp_i32_f32_e32 v4, v4
	v_rcp_f32_e32 v5, v5
	v_sub_nc_u32_e32 v4, 2, v4
	v_mul_f32_e32 v5, 0x3f490fdb, v5
	v_ldexp_f32 v4, v5, v4
	v_cmp_gt_f32_e32 vcc_lo, 0x800000, v4
	v_cndmask_b32_e64 v5, 0, 32, vcc_lo
	v_ldexp_f32 v4, v4, v5
	v_log_f32_e32 v4, v4
	v_mul_f32_e32 v5, 0x3f317217, v4
	v_cmp_gt_f32_e64 s5, 0x7f800000, |v4|
	v_fma_f32 v6, 0x3f317217, v4, -v5
	v_fmamk_f32 v6, v4, 0x3377d1cf, v6
	v_add_f32_e32 v5, v5, v6
	v_cndmask_b32_e64 v4, v4, v5, s5
	v_cndmask_b32_e64 v5, 0, 0x41b17218, vcc_lo
	v_sub_f32_e32 v4, v4, v5
	v_fract_f32_e32 v5, v1
	v_sub_f32_e32 v2, v4, v2
	v_cmp_neq_f32_e32 vcc_lo, 0, v5
	v_cndmask_b32_e32 v2, 0x7f800000, v2, vcc_lo
.LBB97_86:
	s_or_b32 exec_lo, exec_lo, s7
.LBB97_87:
	s_andn2_saveexec_b32 s6, s6
; %bb.88:
	v_cmp_eq_f32_e32 vcc_lo, 1.0, v1
	v_cmp_eq_f32_e64 s5, 2.0, v1
	s_or_b32 s5, vcc_lo, s5
	v_cndmask_b32_e64 v2, v2, 0, s5
; %bb.89:
	s_or_b32 exec_lo, exec_lo, s6
	v_mov_b32_e32 v5, 0x7f800000
	s_mov_b32 s9, exec_lo
	v_cmpx_ne_u32_e32 0, v0
	s_cbranch_execz .LBB97_166
; %bb.90:
	v_mov_b32_e32 v5, 0x7fc00000
	s_mov_b32 s10, exec_lo
	v_cmpx_lt_i32_e32 -1, v0
	s_cbranch_execz .LBB97_165
; %bb.91:
	s_waitcnt vmcnt(0) lgkmcnt(0)
	v_floor_f32_e32 v4, v3
	v_cmp_nge_f32_e32 vcc_lo, 0, v3
	v_mov_b32_e32 v5, 0x7f800000
	s_mov_b32 s12, 0
	v_cmp_neq_f32_e64 s5, v3, v4
	s_or_b32 s5, vcc_lo, s5
	s_and_saveexec_b32 s11, s5
	s_cbranch_execz .LBB97_164
; %bb.92:
	v_frexp_mant_f32_e64 v4, |v3|
	s_mov_b32 s13, 0x3e76c4e1
	s_mov_b32 s17, 0
                                        ; implicit-def: $sgpr14
                                        ; implicit-def: $sgpr16
                                        ; implicit-def: $sgpr15
	v_cmp_gt_f32_e32 vcc_lo, 0x3f2aaaab, v4
	v_cndmask_b32_e64 v5, 1.0, 2.0, vcc_lo
	v_mul_f32_e32 v4, v4, v5
	v_add_f32_e32 v5, 1.0, v4
	v_add_f32_e32 v7, -1.0, v4
	v_rcp_f32_e32 v6, v5
	v_add_f32_e32 v9, -1.0, v5
	v_sub_f32_e32 v4, v4, v9
	v_mul_f32_e32 v8, v7, v6
	v_mul_f32_e32 v10, v5, v8
	v_fma_f32 v5, v8, v5, -v10
	v_fmac_f32_e32 v5, v8, v4
	v_add_f32_e32 v4, v10, v5
	v_sub_f32_e32 v9, v7, v4
	v_sub_f32_e32 v10, v4, v10
	;; [unrolled: 1-line block ×5, first 2 shown]
	v_add_f32_e32 v4, v5, v4
	v_add_f32_e32 v4, v9, v4
	v_mul_f32_e32 v4, v6, v4
	v_add_f32_e32 v6, v8, v4
	v_sub_f32_e32 v5, v6, v8
	v_mul_f32_e32 v7, v6, v6
	v_sub_f32_e32 v8, v4, v5
	v_fma_f32 v4, v6, v6, -v7
	v_add_f32_e32 v5, v8, v8
	v_fmac_f32_e32 v4, v6, v5
	v_add_f32_e32 v9, v7, v4
	v_fmaak_f32 v5, s13, v9, 0x3e91f4c4
	v_sub_f32_e32 v7, v9, v7
	v_mul_f32_e32 v14, v6, v9
	v_fmaak_f32 v5, v9, v5, 0x3ecccdef
	v_sub_f32_e32 v7, v4, v7
	v_fma_f32 v15, v9, v6, -v14
	v_mul_f32_e32 v10, v9, v5
	v_fmac_f32_e32 v15, v9, v8
	v_ldexp_f32 v8, v8, 1
	v_fma_f32 v11, v9, v5, -v10
	v_fmac_f32_e32 v15, v7, v6
	v_fmac_f32_e32 v11, v7, v5
	v_cvt_f64_f32_e64 v[4:5], |v3|
	v_add_f32_e32 v12, v10, v11
	v_sub_f32_e32 v10, v12, v10
	v_add_f32_e32 v13, 0x3f2aaaaa, v12
	v_sub_f32_e32 v10, v11, v10
	v_add_f32_e32 v11, 0xbf2aaaaa, v13
	v_add_f32_e32 v10, 0x31739010, v10
	v_sub_f32_e32 v11, v12, v11
	v_frexp_exp_i32_f64_e32 v4, v[4:5]
	v_add_f32_e32 v9, v10, v11
	v_add_f32_e32 v10, v14, v15
	;; [unrolled: 1-line block ×3, first 2 shown]
	v_sub_f32_e32 v12, v10, v14
	v_sub_f32_e32 v5, v13, v7
	v_mul_f32_e32 v11, v10, v7
	v_sub_f32_e32 v12, v15, v12
	v_add_f32_e32 v5, v9, v5
	v_fma_f32 v9, v10, v7, -v11
	v_subrev_co_ci_u32_e64 v4, null, 0, v4, vcc_lo
	v_fmac_f32_e32 v9, v10, v5
	v_ldexp_f32 v5, v6, 1
	v_cmp_neq_f32_e32 vcc_lo, 1.0, v3
	v_cvt_f32_i32_e32 v4, v4
	v_fmac_f32_e32 v9, v12, v7
	v_add_f32_e32 v6, v11, v9
	v_add_f32_e32 v7, v5, v6
	v_sub_f32_e32 v10, v6, v11
	v_mul_f32_e32 v11, 0x3f317218, v4
	v_sub_f32_e32 v5, v7, v5
	v_sub_f32_e32 v9, v9, v10
	v_fma_f32 v10, 0x3f317218, v4, -v11
	v_sub_f32_e32 v5, v6, v5
	v_add_f32_e32 v6, v8, v9
	v_fmac_f32_e32 v10, 0xb102e308, v4
	v_add_f32_e32 v4, v6, v5
	v_add_f32_e32 v5, v11, v10
	;; [unrolled: 1-line block ×3, first 2 shown]
	v_sub_f32_e32 v11, v5, v11
	v_add_f32_e32 v8, v5, v6
	v_sub_f32_e32 v7, v6, v7
	v_sub_f32_e32 v10, v10, v11
	;; [unrolled: 1-line block ×6, first 2 shown]
	v_add_f32_e32 v7, v10, v4
	v_sub_f32_e32 v5, v5, v12
	v_add_f32_e32 v5, v6, v5
	v_sub_f32_e32 v6, v7, v10
	;; [unrolled: 2-line block ×3, first 2 shown]
	v_sub_f32_e32 v4, v4, v6
	v_add_f32_e32 v9, v8, v5
	v_sub_f32_e32 v6, v10, v7
	v_sub_f32_e32 v7, v9, v8
	v_add_f32_e32 v4, v4, v6
	v_add_nc_u32_e32 v6, 1, v0
	v_sub_f32_e32 v5, v5, v7
	v_add_f32_e32 v5, v4, v5
	v_cvt_f32_i32_e32 v4, v6
	v_add_f32_e32 v6, v9, v5
	v_cndmask_b32_e64 v7, 1.0, -v4, vcc_lo
	v_sub_f32_e32 v8, v6, v9
	v_mul_f32_e32 v9, v7, v6
	v_cmp_gt_f32_e64 s7, 0, v7
	v_sub_f32_e32 v5, v5, v8
	v_fma_f32 v6, v7, v6, -v9
	v_cmp_class_f32_e64 vcc_lo, v9, 0x204
	v_fmac_f32_e32 v6, v7, v5
	v_add_f32_e32 v5, v9, v6
	v_cndmask_b32_e32 v8, v5, v9, vcc_lo
	v_sub_f32_e32 v5, v5, v9
	v_cmp_eq_f32_e32 vcc_lo, 0x42b17218, v8
	v_sub_f32_e32 v5, v6, v5
	v_cndmask_b32_e64 v10, 0, 0x37000000, vcc_lo
	v_cmp_neq_f32_e64 vcc_lo, 0x7f800000, |v8|
	v_sub_f32_e32 v11, v8, v10
	v_cndmask_b32_e32 v5, 0, v5, vcc_lo
	v_trunc_f32_e32 v8, v7
	v_mul_f32_e32 v12, 0x3fb8aa3b, v11
	v_cmp_ngt_f32_e32 vcc_lo, 0xc2ce8ed0, v11
	v_add_f32_e32 v5, v10, v5
	v_fma_f32 v13, 0x3fb8aa3b, v11, -v12
	v_rndne_f32_e32 v14, v12
	v_fmac_f32_e32 v13, 0x32a5705f, v11
	v_sub_f32_e32 v12, v12, v14
	v_cvt_i32_f32_e32 v9, v14
	v_add_f32_e32 v12, v12, v13
	v_exp_f32_e32 v12, v12
	v_ldexp_f32 v6, v12, v9
	v_mul_f32_e32 v9, 0.5, v7
	v_cndmask_b32_e32 v6, 0, v6, vcc_lo
	v_cmp_nlt_f32_e32 vcc_lo, 0x42b17218, v11
	v_trunc_f32_e32 v12, v9
	v_cndmask_b32_e32 v6, 0x7f800000, v6, vcc_lo
	v_cmp_eq_f32_e32 vcc_lo, v8, v7
	v_cmp_neq_f32_e64 s5, v12, v9
	v_fma_f32 v5, v6, v5, v6
	v_cmp_class_f32_e64 s6, v6, 0x204
	s_and_b32 s5, vcc_lo, s5
	v_cndmask_b32_e64 v8, 1.0, v3, s5
	v_cndmask_b32_e64 v5, v5, v6, s6
	v_cmp_eq_f32_e64 s6, 0, v3
	v_bfi_b32 v5, 0x7fffffff, v5, v8
	s_xor_b32 s7, s6, s7
	v_cndmask_b32_e64 v8, 0, v3, s5
	v_cndmask_b32_e64 v6, 0x7f800000, 0, s7
	v_cmp_class_f32_e64 s5, v3, 0x204
	v_cndmask_b32_e32 v7, 0x7fc00000, v5, vcc_lo
	v_cmp_gt_f32_e32 vcc_lo, 0, v3
	v_bfi_b32 v6, 0x7fffffff, v6, v8
	v_cndmask_b32_e32 v5, v5, v7, vcc_lo
	s_or_b32 vcc_lo, s6, s5
	v_cndmask_b32_e32 v5, v5, v6, vcc_lo
	v_cmp_o_f32_e32 vcc_lo, v3, v3
	v_cndmask_b32_e32 v5, 0x7fc00000, v5, vcc_lo
	s_branch .LBB97_94
.LBB97_93:                              ;   in Loop: Header=BB97_94 Depth=1
	s_or_b32 exec_lo, exec_lo, s5
	s_and_b32 s5, exec_lo, s16
	s_or_b32 s12, s5, s12
	s_andn2_b32 s5, s14, exec_lo
	s_and_b32 s6, s15, exec_lo
	s_or_b32 s14, s5, s6
	s_andn2_b32 exec_lo, exec_lo, s12
	s_cbranch_execz .LBB97_151
.LBB97_94:                              ; =>This Inner Loop Header: Depth=1
	v_add_f32_e32 v3, 1.0, v3
	s_or_b32 s15, s15, exec_lo
	s_or_b32 s16, s16, exec_lo
	v_frexp_mant_f32_e64 v6, |v3|
	v_cmp_eq_f32_e64 s6, 0, v3
	v_cmp_gt_f32_e32 vcc_lo, 0x3f2aaaab, v6
	v_cndmask_b32_e64 v7, 1.0, 2.0, vcc_lo
	v_mul_f32_e32 v6, v6, v7
	v_add_f32_e32 v7, 1.0, v6
	v_add_f32_e32 v9, -1.0, v6
	v_rcp_f32_e32 v8, v7
	v_add_f32_e32 v11, -1.0, v7
	v_sub_f32_e32 v6, v6, v11
	v_mul_f32_e32 v10, v9, v8
	v_mul_f32_e32 v12, v7, v10
	v_fma_f32 v7, v10, v7, -v12
	v_fmac_f32_e32 v7, v10, v6
	v_add_f32_e32 v6, v12, v7
	v_sub_f32_e32 v11, v9, v6
	v_sub_f32_e32 v12, v6, v12
	;; [unrolled: 1-line block ×5, first 2 shown]
	v_add_f32_e32 v6, v7, v6
	v_add_f32_e32 v6, v11, v6
	v_mul_f32_e32 v6, v8, v6
	v_add_f32_e32 v8, v10, v6
	v_sub_f32_e32 v7, v8, v10
	v_mul_f32_e32 v9, v8, v8
	v_sub_f32_e32 v10, v6, v7
	v_fma_f32 v6, v8, v8, -v9
	v_add_f32_e32 v7, v10, v10
	v_fmac_f32_e32 v6, v8, v7
	v_add_f32_e32 v11, v9, v6
	v_fmaak_f32 v7, s13, v11, 0x3e91f4c4
	v_sub_f32_e32 v9, v11, v9
	v_mul_f32_e32 v16, v8, v11
	v_fmaak_f32 v7, v11, v7, 0x3ecccdef
	v_sub_f32_e32 v9, v6, v9
	v_fma_f32 v17, v11, v8, -v16
	v_mul_f32_e32 v12, v11, v7
	v_fmac_f32_e32 v17, v11, v10
	v_ldexp_f32 v10, v10, 1
	v_fma_f32 v13, v11, v7, -v12
	v_fmac_f32_e32 v17, v9, v8
	v_fmac_f32_e32 v13, v9, v7
	v_cvt_f64_f32_e64 v[6:7], |v3|
	v_add_f32_e32 v14, v12, v13
	v_sub_f32_e32 v12, v14, v12
	v_add_f32_e32 v15, 0x3f2aaaaa, v14
	v_sub_f32_e32 v12, v13, v12
	v_add_f32_e32 v13, 0xbf2aaaaa, v15
	v_add_f32_e32 v12, 0x31739010, v12
	v_sub_f32_e32 v13, v14, v13
	v_frexp_exp_i32_f64_e32 v6, v[6:7]
	v_add_f32_e32 v11, v12, v13
	v_add_f32_e32 v12, v16, v17
	;; [unrolled: 1-line block ×3, first 2 shown]
	v_sub_f32_e32 v14, v12, v16
	v_sub_f32_e32 v7, v15, v9
	v_mul_f32_e32 v13, v12, v9
	v_sub_f32_e32 v14, v17, v14
	v_add_f32_e32 v7, v11, v7
	v_fma_f32 v11, v12, v9, -v13
	v_subrev_co_ci_u32_e64 v6, null, 0, v6, vcc_lo
	v_fmac_f32_e32 v11, v12, v7
	v_ldexp_f32 v7, v8, 1
	v_cmp_neq_f32_e32 vcc_lo, 1.0, v3
	v_cvt_f32_i32_e32 v6, v6
	v_fmac_f32_e32 v11, v14, v9
	v_add_f32_e32 v8, v13, v11
	v_add_f32_e32 v9, v7, v8
	v_sub_f32_e32 v12, v8, v13
	v_mul_f32_e32 v13, 0x3f317218, v6
	v_sub_f32_e32 v7, v9, v7
	v_sub_f32_e32 v11, v11, v12
	v_fma_f32 v12, 0x3f317218, v6, -v13
	v_sub_f32_e32 v7, v8, v7
	v_add_f32_e32 v8, v10, v11
	v_fmac_f32_e32 v12, 0xb102e308, v6
	v_add_f32_e32 v6, v8, v7
	v_add_f32_e32 v7, v13, v12
	;; [unrolled: 1-line block ×3, first 2 shown]
	v_sub_f32_e32 v13, v7, v13
	v_add_f32_e32 v10, v7, v8
	v_sub_f32_e32 v9, v8, v9
	v_sub_f32_e32 v12, v12, v13
	;; [unrolled: 1-line block ×6, first 2 shown]
	v_add_f32_e32 v9, v12, v6
	v_sub_f32_e32 v7, v7, v14
	v_add_f32_e32 v7, v8, v7
	v_sub_f32_e32 v8, v9, v12
	;; [unrolled: 2-line block ×3, first 2 shown]
	v_sub_f32_e32 v6, v6, v8
	v_add_f32_e32 v11, v10, v7
	v_sub_f32_e32 v8, v12, v9
	v_sub_f32_e32 v9, v11, v10
	v_add_f32_e32 v6, v6, v8
	v_cndmask_b32_e64 v8, 1.0, -v4, vcc_lo
	v_sub_f32_e32 v7, v7, v9
	v_add_f32_e32 v6, v6, v7
	v_add_f32_e32 v7, v11, v6
	v_sub_f32_e32 v9, v7, v11
	v_mul_f32_e32 v10, v8, v7
	v_sub_f32_e32 v6, v6, v9
	v_fma_f32 v7, v8, v7, -v10
	v_cmp_class_f32_e64 vcc_lo, v10, 0x204
	v_fmac_f32_e32 v7, v8, v6
	v_add_f32_e32 v6, v10, v7
	v_cndmask_b32_e32 v9, v6, v10, vcc_lo
	v_sub_f32_e32 v6, v6, v10
	v_cmp_eq_f32_e32 vcc_lo, 0x42b17218, v9
	v_sub_f32_e32 v6, v7, v6
	v_cndmask_b32_e64 v11, 0, 0x37000000, vcc_lo
	v_cmp_neq_f32_e64 vcc_lo, 0x7f800000, |v9|
	v_sub_f32_e32 v12, v9, v11
	v_cndmask_b32_e32 v6, 0, v6, vcc_lo
	v_trunc_f32_e32 v9, v8
	v_mul_f32_e32 v13, 0x3fb8aa3b, v12
	v_cmp_ngt_f32_e32 vcc_lo, 0xc2ce8ed0, v12
	v_add_f32_e32 v6, v11, v6
	v_fma_f32 v14, 0x3fb8aa3b, v12, -v13
	v_rndne_f32_e32 v15, v13
	v_fmac_f32_e32 v14, 0x32a5705f, v12
	v_sub_f32_e32 v13, v13, v15
	v_cvt_i32_f32_e32 v10, v15
	v_add_f32_e32 v13, v13, v14
	v_exp_f32_e32 v13, v13
	v_ldexp_f32 v7, v13, v10
	v_mul_f32_e32 v10, 0.5, v8
	v_cndmask_b32_e32 v7, 0, v7, vcc_lo
	v_cmp_nlt_f32_e32 vcc_lo, 0x42b17218, v12
	v_trunc_f32_e32 v13, v10
	v_cndmask_b32_e32 v7, 0x7f800000, v7, vcc_lo
	v_cmp_eq_f32_e32 vcc_lo, v9, v8
	v_cmp_neq_f32_e64 s5, v13, v10
	v_fma_f32 v6, v7, v6, v7
	v_cmp_class_f32_e64 s7, v7, 0x204
	s_and_b32 s5, vcc_lo, s5
	v_cndmask_b32_e64 v9, 1.0, v3, s5
	v_cndmask_b32_e64 v6, v6, v7, s7
	v_cmp_gt_f32_e64 s7, 0, v8
	v_cndmask_b32_e64 v8, 0, v3, s5
	v_cmp_class_f32_e64 s5, v3, 0x204
	v_bfi_b32 v6, 0x7fffffff, v6, v9
	s_xor_b32 s7, s6, s7
	v_cndmask_b32_e64 v7, 0x7f800000, 0, s7
	v_cndmask_b32_e32 v9, 0x7fc00000, v6, vcc_lo
	v_cmp_gt_f32_e32 vcc_lo, 0, v3
	v_bfi_b32 v7, 0x7fffffff, v7, v8
	v_cndmask_b32_e32 v6, v6, v9, vcc_lo
	s_or_b32 vcc_lo, s6, s5
	v_cndmask_b32_e32 v6, v6, v7, vcc_lo
	v_cmp_o_f32_e32 vcc_lo, v3, v3
	v_cndmask_b32_e32 v6, 0x7fc00000, v6, vcc_lo
	v_add_f32_e32 v5, v5, v6
	v_mul_f32_e32 v7, 0xa5000000, v5
	v_mul_f32_e32 v8, 0x25000000, v5
	v_cmp_nlt_f32_e32 vcc_lo, v7, v6
	v_cmp_nlt_f32_e64 s5, v6, v8
	s_or_b32 s6, vcc_lo, s5
	s_and_saveexec_b32 s5, s6
	s_cbranch_execz .LBB97_93
; %bb.95:                               ;   in Loop: Header=BB97_94 Depth=1
	s_add_i32 s6, s17, 1
	v_cmp_nge_f32_e32 vcc_lo, 0x41100000, v3
	s_cmp_gt_u32 s17, 7
	s_mov_b32 s17, s6
	s_cselect_b32 s7, -1, 0
	s_andn2_b32 s16, s16, exec_lo
	s_and_b32 s7, s7, vcc_lo
	s_andn2_b32 s15, s15, exec_lo
	s_and_b32 s7, s7, exec_lo
	s_or_b32 s16, s16, s7
	s_branch .LBB97_93
.LBB97_96:
	v_mov_b32_e32 v3, 28
	s_mov_b32 s9, 0
	v_cmp_gt_i16_sdwa s7, v5, v3 src0_sel:BYTE_0 src1_sel:DWORD
                                        ; implicit-def: $vgpr3
	s_and_saveexec_b32 s10, s7
	s_xor_b32 s7, exec_lo, s10
	s_cbranch_execz .LBB97_112
; %bb.97:
	v_mov_b32_e32 v3, 43
	s_mov_b32 s10, 0
	s_mov_b32 s11, 0
	v_cmp_gt_i16_sdwa s8, v5, v3 src0_sel:BYTE_0 src1_sel:DWORD
                                        ; implicit-def: $vgpr3
	s_and_saveexec_b32 s9, s8
	s_xor_b32 s8, exec_lo, s9
	s_cbranch_execz .LBB97_107
; %bb.98:
	v_mov_b32_e32 v3, 45
	s_mov_b32 s9, 0
	v_cmp_gt_i16_sdwa s11, v5, v3 src0_sel:BYTE_0 src1_sel:DWORD
                                        ; implicit-def: $vgpr3
	s_and_saveexec_b32 s12, s11
	s_xor_b32 s11, exec_lo, s12
	s_cbranch_execz .LBB97_102
; %bb.99:
	v_mov_b32_e32 v3, 46
	s_mov_b32 s12, -1
	v_cmp_eq_u16_sdwa s13, v5, v3 src0_sel:BYTE_0 src1_sel:DWORD
                                        ; implicit-def: $vgpr3
	s_and_saveexec_b32 s10, s13
	s_cbranch_execz .LBB97_101
; %bb.100:
	flat_load_dword v3, v[1:2]
	s_mov_b32 s9, exec_lo
	s_xor_b32 s12, exec_lo, -1
	s_waitcnt vmcnt(0) lgkmcnt(0)
	v_lshlrev_b32_e32 v3, 16, v3
.LBB97_101:
	s_or_b32 exec_lo, exec_lo, s10
	s_and_b32 s10, s9, exec_lo
	s_and_b32 s9, s12, exec_lo
                                        ; implicit-def: $vgpr5
.LBB97_102:
	s_andn2_saveexec_b32 s11, s11
	s_cbranch_execz .LBB97_106
; %bb.103:
	v_mov_b32_e32 v3, 44
	s_mov_b32 s12, -1
	s_mov_b32 s14, s10
	v_cmp_eq_u16_sdwa s15, v5, v3 src0_sel:BYTE_0 src1_sel:DWORD
                                        ; implicit-def: $vgpr3
	s_and_saveexec_b32 s13, s15
	s_cbranch_execz .LBB97_105
; %bb.104:
	flat_load_ubyte v3, v[1:2]
	s_or_b32 s14, s10, exec_lo
	s_xor_b32 s12, exec_lo, -1
	s_waitcnt vmcnt(0) lgkmcnt(0)
	v_lshlrev_b32_e32 v4, 23, v3
	v_cmp_ne_u32_e32 vcc_lo, 0xff, v3
	v_cndmask_b32_e32 v4, 0x7f800001, v4, vcc_lo
	v_cmp_ne_u32_e32 vcc_lo, 0, v3
	v_cndmask_b32_e32 v3, 0x400000, v4, vcc_lo
.LBB97_105:
	s_or_b32 exec_lo, exec_lo, s13
	s_andn2_b32 s10, s10, exec_lo
	s_and_b32 s13, s14, exec_lo
	s_andn2_b32 s9, s9, exec_lo
	s_and_b32 s12, s12, exec_lo
	s_or_b32 s10, s10, s13
	s_or_b32 s9, s9, s12
.LBB97_106:
	s_or_b32 exec_lo, exec_lo, s11
	s_and_b32 s11, s10, exec_lo
	s_and_b32 s10, s9, exec_lo
                                        ; implicit-def: $vgpr5
.LBB97_107:
	s_andn2_saveexec_b32 s8, s8
	s_cbranch_execz .LBB97_111
; %bb.108:
	v_mov_b32_e32 v3, 29
	s_mov_b32 s9, -1
	s_mov_b32 s13, s11
	v_cmp_eq_u16_sdwa s14, v5, v3 src0_sel:BYTE_0 src1_sel:DWORD
                                        ; implicit-def: $vgpr3
	s_and_saveexec_b32 s12, s14
	s_cbranch_execz .LBB97_110
; %bb.109:
	flat_load_dwordx2 v[3:4], v[1:2]
	s_or_b32 s13, s11, exec_lo
	s_xor_b32 s9, exec_lo, -1
	s_waitcnt vmcnt(0) lgkmcnt(0)
	v_ffbh_u32_e32 v5, v4
	v_min_u32_e32 v5, 32, v5
	v_lshlrev_b64 v[3:4], v5, v[3:4]
	v_min_u32_e32 v3, 1, v3
	v_or_b32_e32 v3, v4, v3
	v_sub_nc_u32_e32 v4, 32, v5
	v_cvt_f32_u32_e32 v3, v3
	v_ldexp_f32 v3, v3, v4
.LBB97_110:
	s_or_b32 exec_lo, exec_lo, s12
	s_andn2_b32 s11, s11, exec_lo
	s_and_b32 s12, s13, exec_lo
	s_andn2_b32 s10, s10, exec_lo
	s_and_b32 s9, s9, exec_lo
	s_or_b32 s11, s11, s12
	s_or_b32 s10, s10, s9
.LBB97_111:
	s_or_b32 exec_lo, exec_lo, s8
	s_and_b32 s9, s11, exec_lo
	s_and_b32 s8, s10, exec_lo
                                        ; implicit-def: $vgpr5
.LBB97_112:
	s_andn2_saveexec_b32 s7, s7
	s_cbranch_execz .LBB97_126
; %bb.113:
	v_mov_b32_e32 v3, 26
	v_cmp_gt_i16_sdwa s10, v5, v3 src0_sel:BYTE_0 src1_sel:DWORD
                                        ; implicit-def: $vgpr3
	s_and_saveexec_b32 s11, s10
	s_xor_b32 s10, exec_lo, s11
	s_cbranch_execz .LBB97_119
; %bb.114:
	v_mov_b32_e32 v3, 27
	v_cmp_gt_i16_sdwa s11, v5, v3 src0_sel:BYTE_0 src1_sel:DWORD
                                        ; implicit-def: $vgpr3
	s_and_saveexec_b32 s12, s11
	s_xor_b32 s11, exec_lo, s12
	s_cbranch_execz .LBB97_116
; %bb.115:
	flat_load_dword v3, v[1:2]
	s_waitcnt vmcnt(0) lgkmcnt(0)
	v_cvt_f32_u32_e32 v3, v3
.LBB97_116:
	s_andn2_saveexec_b32 s11, s11
	s_cbranch_execz .LBB97_118
; %bb.117:
	flat_load_ushort v3, v[1:2]
	s_waitcnt vmcnt(0) lgkmcnt(0)
	v_cvt_f32_u32_e32 v3, v3
.LBB97_118:
	s_or_b32 exec_lo, exec_lo, s11
.LBB97_119:
	s_andn2_saveexec_b32 s10, s10
	s_cbranch_execz .LBB97_125
; %bb.120:
	flat_load_ubyte v4, v[1:2]
	s_mov_b32 s11, 0
	s_mov_b32 s12, exec_lo
	s_waitcnt vmcnt(0) lgkmcnt(0)
	v_cmpx_lt_i16_e32 0x7f, v4
	s_xor_b32 s12, exec_lo, s12
	s_cbranch_execnz .LBB97_158
; %bb.121:
	s_or_saveexec_b32 s12, s12
	v_mov_b32_e32 v3, 0x7f800001
	s_xor_b32 exec_lo, exec_lo, s12
	s_cbranch_execnz .LBB97_161
.LBB97_122:
	s_or_b32 exec_lo, exec_lo, s12
	s_and_saveexec_b32 s12, s11
	s_cbranch_execz .LBB97_124
.LBB97_123:
	v_and_b32_e32 v3, 0xffff, v4
	v_lshlrev_b32_e32 v4, 24, v4
	v_and_b32_e32 v5, 7, v3
	v_bfe_u32 v8, v3, 3, 4
	v_and_b32_e32 v4, 0x80000000, v4
	v_ffbh_u32_e32 v6, v5
	v_cmp_eq_u32_e32 vcc_lo, 0, v8
	v_min_u32_e32 v6, 32, v6
	v_subrev_nc_u32_e32 v7, 28, v6
	v_sub_nc_u32_e32 v6, 29, v6
	v_lshlrev_b32_e32 v3, v7, v3
	v_cndmask_b32_e32 v6, v8, v6, vcc_lo
	v_and_b32_e32 v3, 7, v3
	v_cndmask_b32_e32 v3, v5, v3, vcc_lo
	v_lshl_add_u32 v5, v6, 23, 0x3b800000
	v_lshlrev_b32_e32 v3, 20, v3
	v_or3_b32 v3, v4, v5, v3
.LBB97_124:
	s_or_b32 exec_lo, exec_lo, s12
.LBB97_125:
	s_or_b32 exec_lo, exec_lo, s10
	s_or_b32 s9, s9, exec_lo
.LBB97_126:
	s_or_b32 exec_lo, exec_lo, s7
	s_and_b32 s7, s9, exec_lo
	s_and_b32 s8, s8, exec_lo
                                        ; implicit-def: $vgpr5
	s_andn2_saveexec_b32 s6, s6
	s_cbranch_execz .LBB97_6
.LBB97_127:
	v_mov_b32_e32 v3, 22
	s_mov_b32 s9, s7
	v_cmp_gt_i16_sdwa s5, v5, v3 src0_sel:BYTE_0 src1_sel:DWORD
                                        ; implicit-def: $vgpr3
	s_and_saveexec_b32 s10, s5
	s_xor_b32 s5, exec_lo, s10
	s_cbranch_execz .LBB97_141
; %bb.128:
	v_mov_b32_e32 v3, 23
	v_cmp_gt_i16_sdwa s9, v5, v3 src0_sel:BYTE_0 src1_sel:DWORD
                                        ; implicit-def: $vgpr3
	s_and_saveexec_b32 s10, s9
	s_xor_b32 s9, exec_lo, s10
	s_cbranch_execz .LBB97_138
; %bb.129:
	v_mov_b32_e32 v3, 24
	v_cmp_gt_i16_sdwa s10, v5, v3 src0_sel:BYTE_0 src1_sel:DWORD
                                        ; implicit-def: $vgpr3
	s_and_saveexec_b32 s11, s10
	s_xor_b32 s10, exec_lo, s11
	s_cbranch_execz .LBB97_135
; %bb.130:
	flat_load_ubyte v4, v[1:2]
	s_mov_b32 s11, 0
	s_mov_b32 s12, exec_lo
	s_waitcnt vmcnt(0) lgkmcnt(0)
	v_cmpx_lt_i16_e32 0x7f, v4
	s_xor_b32 s12, exec_lo, s12
	s_cbranch_execnz .LBB97_167
; %bb.131:
	s_or_saveexec_b32 s12, s12
	v_mov_b32_e32 v3, 0x7f800001
	s_xor_b32 exec_lo, exec_lo, s12
	s_cbranch_execnz .LBB97_170
.LBB97_132:
	s_or_b32 exec_lo, exec_lo, s12
	s_and_saveexec_b32 s12, s11
	s_cbranch_execz .LBB97_134
.LBB97_133:
	v_and_b32_e32 v3, 0xffff, v4
	v_lshlrev_b32_e32 v4, 24, v4
	v_and_b32_e32 v5, 3, v3
	v_bfe_u32 v8, v3, 2, 5
	v_and_b32_e32 v4, 0x80000000, v4
	v_ffbh_u32_e32 v6, v5
	v_cmp_eq_u32_e32 vcc_lo, 0, v8
	v_min_u32_e32 v6, 32, v6
	v_subrev_nc_u32_e32 v7, 29, v6
	v_sub_nc_u32_e32 v6, 30, v6
	v_lshlrev_b32_e32 v3, v7, v3
	v_cndmask_b32_e32 v6, v8, v6, vcc_lo
	v_and_b32_e32 v3, 3, v3
	v_cndmask_b32_e32 v3, v5, v3, vcc_lo
	v_lshl_add_u32 v5, v6, 23, 0x37800000
	v_lshlrev_b32_e32 v3, 21, v3
	v_or3_b32 v3, v4, v5, v3
.LBB97_134:
	s_or_b32 exec_lo, exec_lo, s12
.LBB97_135:
	s_andn2_saveexec_b32 s10, s10
	s_cbranch_execz .LBB97_137
; %bb.136:
	flat_load_ubyte v3, v[1:2]
	s_waitcnt vmcnt(0) lgkmcnt(0)
	v_lshlrev_b32_e32 v3, 24, v3
	v_and_b32_e32 v4, 0x7f000000, v3
	v_ffbh_u32_e32 v5, v4
	v_add_nc_u32_e32 v7, 0x1000000, v4
	v_cmp_ne_u32_e32 vcc_lo, 0, v4
	v_min_u32_e32 v5, 32, v5
	v_sub_nc_u32_e64 v5, v5, 4 clamp
	v_lshlrev_b32_e32 v6, v5, v4
	v_lshlrev_b32_e32 v5, 23, v5
	v_lshrrev_b32_e32 v6, 4, v6
	v_sub_nc_u32_e32 v5, v6, v5
	v_ashrrev_i32_e32 v6, 8, v7
	v_add_nc_u32_e32 v5, 0x3c000000, v5
	v_and_or_b32 v5, 0x7f800000, v6, v5
	v_cndmask_b32_e32 v4, 0, v5, vcc_lo
	v_and_or_b32 v3, 0x80000000, v3, v4
.LBB97_137:
	s_or_b32 exec_lo, exec_lo, s10
.LBB97_138:
	s_andn2_saveexec_b32 s9, s9
	s_cbranch_execz .LBB97_140
; %bb.139:
	flat_load_ubyte v3, v[1:2]
	s_waitcnt vmcnt(0) lgkmcnt(0)
	v_lshlrev_b32_e32 v4, 25, v3
	v_lshlrev_b16 v3, 8, v3
	v_lshrrev_b32_e32 v5, 4, v4
	v_and_or_b32 v6, 0x7f00, v3, 0.5
	v_cmp_gt_u32_e32 vcc_lo, 0x8000000, v4
	v_bfe_i32 v3, v3, 0, 16
	v_or_b32_e32 v5, 0x70000000, v5
	v_add_f32_e32 v6, -0.5, v6
	v_mul_f32_e32 v5, 0x7800000, v5
	v_cndmask_b32_e32 v4, v5, v6, vcc_lo
	v_and_or_b32 v3, 0x80000000, v3, v4
.LBB97_140:
	s_or_b32 exec_lo, exec_lo, s9
	s_or_b32 s9, s7, exec_lo
                                        ; implicit-def: $vgpr5
.LBB97_141:
	s_or_saveexec_b32 s5, s5
	s_mov_b32 s10, 0
	s_mov_b32 s11, s8
	s_xor_b32 exec_lo, exec_lo, s5
	s_cbranch_execz .LBB97_149
; %bb.142:
	v_mov_b32_e32 v3, 14
	s_mov_b32 s10, s8
	s_mov_b32 s11, s9
	v_cmp_gt_i16_sdwa s12, v5, v3 src0_sel:BYTE_0 src1_sel:DWORD
                                        ; implicit-def: $vgpr3
	s_and_saveexec_b32 s13, s12
	s_xor_b32 s12, exec_lo, s13
	s_cbranch_execz .LBB97_146
; %bb.143:
	v_mov_b32_e32 v3, 15
	s_mov_b32 s10, -1
	s_mov_b32 s11, s9
	v_cmp_eq_u16_sdwa s14, v5, v3 src0_sel:BYTE_0 src1_sel:DWORD
                                        ; implicit-def: $vgpr3
	s_and_saveexec_b32 s13, s14
	s_cbranch_execz .LBB97_145
; %bb.144:
	flat_load_ushort v3, v[1:2]
	s_or_b32 s11, s9, exec_lo
	s_xor_b32 s10, exec_lo, -1
	s_waitcnt vmcnt(0) lgkmcnt(0)
	v_lshlrev_b32_e32 v3, 16, v3
.LBB97_145:
	s_or_b32 exec_lo, exec_lo, s13
	s_andn2_b32 s13, s9, exec_lo
	s_and_b32 s11, s11, exec_lo
	s_andn2_b32 s14, s8, exec_lo
	s_and_b32 s10, s10, exec_lo
	s_or_b32 s11, s13, s11
	s_or_b32 s10, s14, s10
                                        ; implicit-def: $vgpr5
.LBB97_146:
	s_or_saveexec_b32 s12, s12
	s_mov_b32 s13, 0
	s_xor_b32 exec_lo, exec_lo, s12
; %bb.147:
	v_mov_b32_e32 v4, 11
	s_andn2_b32 s10, s10, exec_lo
	s_mov_b32 s13, exec_lo
	v_cmp_ne_u16_sdwa s14, v5, v4 src0_sel:BYTE_0 src1_sel:DWORD
	s_and_b32 s14, s14, exec_lo
	s_or_b32 s10, s10, s14
; %bb.148:
	s_or_b32 exec_lo, exec_lo, s12
	s_andn2_b32 s9, s9, exec_lo
	s_and_b32 s11, s11, exec_lo
	s_and_b32 s12, s10, exec_lo
	s_or_b32 s9, s9, s11
	s_andn2_b32 s11, s8, exec_lo
	s_and_b32 s10, s13, exec_lo
	s_or_b32 s11, s11, s12
.LBB97_149:
	s_or_b32 exec_lo, exec_lo, s5
	s_andn2_b32 s5, s7, exec_lo
	s_and_b32 s7, s9, exec_lo
	s_andn2_b32 s8, s8, exec_lo
	s_and_b32 s9, s11, exec_lo
	s_or_b32 s7, s5, s7
	s_and_b32 s5, s10, exec_lo
	s_or_b32 s8, s8, s9
	s_or_b32 exec_lo, exec_lo, s6
	s_and_saveexec_b32 s6, s8
	s_cbranch_execz .LBB97_7
.LBB97_150:
	s_trap 2
	; divergent unreachable
	s_andn2_b32 s5, s5, exec_lo
	s_or_b32 exec_lo, exec_lo, s6
	s_and_saveexec_b32 s6, s5
	s_xor_b32 s5, exec_lo, s6
	s_cbranch_execnz .LBB97_8
	s_branch .LBB97_9
.LBB97_151:
	s_or_b32 exec_lo, exec_lo, s12
	s_xor_b32 s5, s14, -1
	s_and_saveexec_b32 s6, s5
	s_xor_b32 s5, exec_lo, s6
	s_cbranch_execz .LBB97_163
; %bb.152:
	v_mul_f32_e32 v7, v3, v6
	v_add_f32_e32 v8, -1.0, v4
	s_mov_b64 s[6:7], 0
	s_mov_b32 s12, 0
                                        ; implicit-def: $sgpr13
	v_div_scale_f32 v9, null, v8, v8, v7
	v_div_scale_f32 v12, vcc_lo, v7, v8, v7
	v_rcp_f32_e32 v10, v9
	v_fma_f32 v11, -v9, v10, 1.0
	v_fmac_f32_e32 v10, v11, v10
	v_mul_f32_e32 v11, v12, v10
	v_fma_f32 v13, -v9, v11, v12
	v_fmac_f32_e32 v11, v13, v10
	v_fma_f32 v9, -v9, v11, v12
	v_div_fmas_f32 v9, v9, v10, v11
	v_div_fixup_f32 v7, v9, v8, v7
	v_mov_b32_e32 v8, 1.0
	v_add_f32_e32 v5, v5, v7
	v_mov_b32_e32 v7, 0
	v_fmac_f32_e32 v5, -0.5, v6
	s_branch .LBB97_155
.LBB97_153:                             ;   in Loop: Header=BB97_155 Depth=1
	s_or_b32 exec_lo, exec_lo, s15
	s_andn2_b32 s13, s13, exec_lo
	s_and_b32 s15, s16, exec_lo
	s_or_b32 s13, s13, s15
.LBB97_154:                             ;   in Loop: Header=BB97_155 Depth=1
	s_or_b32 exec_lo, exec_lo, s14
	s_and_b32 s14, exec_lo, s13
	s_or_b32 s12, s14, s12
	s_andn2_b32 exec_lo, exec_lo, s12
	s_cbranch_execz .LBB97_162
.LBB97_155:                             ; =>This Inner Loop Header: Depth=1
	v_div_scale_f32 v9, null, v3, v3, v6
	v_div_scale_f32 v12, vcc_lo, v6, v3, v6
	s_getpc_b64 s[14:15]
	s_add_u32 s14, s14, _ZZ4zetaIfLb1EET_S0_S0_E1A@rel32@lo+4
	s_addc_u32 s15, s15, _ZZ4zetaIfLb1EET_S0_S0_E1A@rel32@hi+12
	v_rcp_f32_e32 v10, v9
	s_add_u32 s14, s14, s6
	s_addc_u32 s15, s15, s7
	s_or_b32 s13, s13, exec_lo
	s_load_dword s14, s[14:15], 0x0
	v_fma_f32 v11, -v9, v10, 1.0
	v_fmac_f32_e32 v10, v11, v10
	v_mul_f32_e32 v11, v12, v10
	v_fma_f32 v13, -v9, v11, v12
	v_fmac_f32_e32 v11, v13, v10
	v_fma_f32 v9, -v9, v11, v12
	v_add_f32_e32 v12, v7, v4
	v_div_fmas_f32 v10, v9, v10, v11
	v_mul_f32_e32 v9, v8, v12
	v_div_fixup_f32 v10, v10, v3, v6
	v_mul_f32_e32 v6, v10, v9
	s_waitcnt lgkmcnt(0)
	v_div_scale_f32 v8, null, s14, s14, v6
	v_div_scale_f32 v13, vcc_lo, v6, s14, v6
	v_rcp_f32_e32 v11, v8
	v_fma_f32 v12, -v8, v11, 1.0
	v_fmac_f32_e32 v11, v12, v11
	v_mul_f32_e32 v12, v13, v11
	v_fma_f32 v14, -v8, v12, v13
	v_fmac_f32_e32 v12, v14, v11
	v_fma_f32 v8, -v8, v12, v13
	v_div_fmas_f32 v8, v8, v11, v12
	v_div_fixup_f32 v6, v8, s14, v6
	v_add_f32_e32 v5, v5, v6
	v_div_scale_f32 v8, null, v5, v5, v6
	v_rcp_f32_e32 v11, v8
	v_fma_f32 v12, -v8, v11, 1.0
	v_fmac_f32_e32 v11, v12, v11
	v_div_scale_f32 v12, vcc_lo, v6, v5, v6
	v_mul_f32_e32 v13, v12, v11
	v_fma_f32 v14, -v8, v13, v12
	v_fmac_f32_e32 v13, v14, v11
	v_fma_f32 v8, -v8, v13, v12
	v_div_fmas_f32 v8, v8, v11, v13
	v_div_fixup_f32 v6, v8, v5, v6
                                        ; implicit-def: $vgpr8
	v_cmp_ngt_f32_e64 s15, 0x25000000, |v6|
                                        ; implicit-def: $vgpr6
	s_and_saveexec_b32 s14, s15
	s_cbranch_execz .LBB97_154
; %bb.156:                              ;   in Loop: Header=BB97_155 Depth=1
	v_div_scale_f32 v6, null, v3, v3, v10
	v_div_scale_f32 v12, vcc_lo, v10, v3, v10
	v_add_f32_e32 v7, 1.0, v7
	v_rcp_f32_e32 v8, v6
	s_getpc_b64 s[16:17]
	s_add_u32 s16, s16, _ZZ4zetaIfLb1EET_S0_S0_E1A@rel32@lo+8
	s_addc_u32 s17, s17, _ZZ4zetaIfLb1EET_S0_S0_E1A@rel32@hi+16
	s_add_u32 s16, s16, s6
	s_addc_u32 s17, s17, s7
	v_add_f32_e32 v15, v7, v4
	s_load_dword s15, s[16:17], 0x0
	s_mov_b32 s16, -1
	v_fma_f32 v11, -v6, v8, 1.0
	v_fmac_f32_e32 v8, v11, v8
	v_mul_f32_e32 v11, v12, v8
	v_fma_f32 v13, -v6, v11, v12
	v_fmac_f32_e32 v11, v13, v8
	v_fma_f32 v6, -v6, v11, v12
	v_div_fmas_f32 v6, v6, v8, v11
	v_div_fixup_f32 v6, v6, v3, v10
	v_div_scale_f32 v8, null, v3, v3, v6
	v_div_scale_f32 v12, vcc_lo, v6, v3, v6
	v_rcp_f32_e32 v10, v8
	v_fma_f32 v11, -v8, v10, 1.0
	v_fmac_f32_e32 v10, v11, v10
	v_add_f32_e32 v11, 1.0, v7
	v_mul_f32_e32 v13, v12, v10
	v_fma_f32 v14, -v8, v13, v12
	v_fmac_f32_e32 v13, v14, v10
	v_fma_f32 v7, -v8, v13, v12
	v_mul_f32_e32 v8, v15, v9
	v_add_f32_e32 v9, v11, v4
	v_div_fmas_f32 v7, v7, v10, v13
	v_mul_f32_e32 v9, v8, v9
	v_div_fixup_f32 v10, v7, v3, v6
	v_mul_f32_e32 v6, v10, v9
	s_waitcnt lgkmcnt(0)
	v_div_scale_f32 v7, null, s15, s15, v6
	v_div_scale_f32 v13, vcc_lo, v6, s15, v6
	v_rcp_f32_e32 v8, v7
	v_fma_f32 v12, -v7, v8, 1.0
	v_fmac_f32_e32 v8, v12, v8
	v_mul_f32_e32 v12, v13, v8
	v_fma_f32 v14, -v7, v12, v13
	v_fmac_f32_e32 v12, v14, v8
	v_fma_f32 v7, -v7, v12, v13
	v_div_fmas_f32 v7, v7, v8, v12
	v_div_fixup_f32 v6, v7, s15, v6
	v_add_f32_e32 v5, v5, v6
	v_div_scale_f32 v7, null, v5, v5, v6
	v_rcp_f32_e32 v8, v7
	v_fma_f32 v12, -v7, v8, 1.0
	v_fmac_f32_e32 v8, v12, v8
	v_div_scale_f32 v12, vcc_lo, v6, v5, v6
	v_mul_f32_e32 v13, v12, v8
	v_fma_f32 v14, -v7, v13, v12
	v_fmac_f32_e32 v13, v14, v8
	v_fma_f32 v7, -v7, v13, v12
	v_div_fmas_f32 v7, v7, v8, v13
                                        ; implicit-def: $vgpr8
	v_div_fixup_f32 v6, v7, v5, v6
                                        ; implicit-def: $vgpr7
	v_cmp_ngt_f32_e64 s17, 0x25000000, |v6|
                                        ; implicit-def: $vgpr6
	s_and_saveexec_b32 s15, s17
	s_cbranch_execz .LBB97_153
; %bb.157:                              ;   in Loop: Header=BB97_155 Depth=1
	v_div_scale_f32 v6, null, v3, v3, v10
	v_div_scale_f32 v12, vcc_lo, v10, v3, v10
	v_add_f32_e32 v11, 1.0, v11
	v_rcp_f32_e32 v7, v6
	s_add_u32 s6, s6, 8
	s_addc_u32 s7, s7, 0
	s_cmp_eq_u32 s6, 48
	s_cselect_b32 s16, -1, 0
	s_orn2_b32 s16, s16, exec_lo
	v_fma_f32 v8, -v6, v7, 1.0
	v_fmac_f32_e32 v7, v8, v7
	v_mul_f32_e32 v8, v12, v7
	v_fma_f32 v13, -v6, v8, v12
	v_fmac_f32_e32 v8, v13, v7
	v_fma_f32 v6, -v6, v8, v12
	v_add_f32_e32 v12, v11, v4
	v_div_fmas_f32 v6, v6, v7, v8
	v_mul_f32_e32 v8, v12, v9
	v_add_f32_e32 v7, 1.0, v11
	v_div_fixup_f32 v6, v6, v3, v10
	s_branch .LBB97_153
.LBB97_158:
	s_mov_b32 s11, -1
	s_mov_b32 s13, exec_lo
	v_cmpx_eq_u16_e32 0x80, v4
; %bb.159:
	s_xor_b32 s11, exec_lo, -1
; %bb.160:
	s_or_b32 exec_lo, exec_lo, s13
	s_and_b32 s11, s11, exec_lo
	s_or_saveexec_b32 s12, s12
	v_mov_b32_e32 v3, 0x7f800001
	s_xor_b32 exec_lo, exec_lo, s12
	s_cbranch_execz .LBB97_122
.LBB97_161:
	v_cmp_ne_u16_e32 vcc_lo, 0, v4
	v_mov_b32_e32 v3, 0
	s_andn2_b32 s11, s11, exec_lo
	s_and_b32 s13, vcc_lo, exec_lo
	s_or_b32 s11, s11, s13
	s_or_b32 exec_lo, exec_lo, s12
	s_and_saveexec_b32 s12, s11
	s_cbranch_execnz .LBB97_123
	s_branch .LBB97_124
.LBB97_162:
	s_or_b32 exec_lo, exec_lo, s12
.LBB97_163:
	s_or_b32 exec_lo, exec_lo, s5
.LBB97_164:
	s_or_b32 exec_lo, exec_lo, s11
.LBB97_165:
	s_or_b32 exec_lo, exec_lo, s10
.LBB97_166:
	s_or_b32 exec_lo, exec_lo, s9
	v_cmp_gt_f32_e64 s5, 0x4b000000, |v1|
	v_and_b32_e32 v0, 1, v0
	s_or_b32 vcc_lo, s4, s5
	v_cmp_class_f32_e64 s4, v1, 0x244
	v_cndmask_b32_e32 v2, 0x7f800000, v2, vcc_lo
	v_cndmask_b32_e64 v1, v2, 0x7f800000, s4
	v_mul_f32_e32 v2, 0x3fb8aa3b, v1
	v_cmp_ngt_f32_e32 vcc_lo, 0xc2ce8ed0, v1
	s_waitcnt vmcnt(0) lgkmcnt(0)
	v_fma_f32 v3, 0x3fb8aa3b, v1, -v2
	v_rndne_f32_e32 v4, v2
	v_fmamk_f32 v3, v1, 0x32a5705f, v3
	v_sub_f32_e32 v2, v2, v4
	v_add_f32_e32 v2, v2, v3
	v_cvt_i32_f32_e32 v3, v4
	v_exp_f32_e32 v2, v2
	v_ldexp_f32 v2, v2, v3
	v_cndmask_b32_e32 v2, 0, v2, vcc_lo
	v_cmp_nlt_f32_e32 vcc_lo, 0x42b17218, v1
	v_cndmask_b32_e32 v1, 0x7f800000, v2, vcc_lo
	v_cmp_eq_u32_e32 vcc_lo, 0, v0
	v_cndmask_b32_e64 v0, v1, -v1, vcc_lo
	v_mul_f32_e32 v1, v0, v5
	s_or_b32 exec_lo, exec_lo, s8
	v_mov_b32_e32 v0, v1
	s_setpc_b64 s[30:31]
.LBB97_167:
	s_mov_b32 s11, -1
	s_mov_b32 s13, exec_lo
	v_cmpx_eq_u16_e32 0x80, v4
; %bb.168:
	s_xor_b32 s11, exec_lo, -1
; %bb.169:
	s_or_b32 exec_lo, exec_lo, s13
	s_and_b32 s11, s11, exec_lo
	s_or_saveexec_b32 s12, s12
	v_mov_b32_e32 v3, 0x7f800001
	s_xor_b32 exec_lo, exec_lo, s12
	s_cbranch_execz .LBB97_132
.LBB97_170:
	v_cmp_ne_u16_e32 vcc_lo, 0, v4
	v_mov_b32_e32 v3, 0
	s_andn2_b32 s11, s11, exec_lo
	s_and_b32 s13, vcc_lo, exec_lo
	s_or_b32 s11, s11, s13
	s_or_b32 exec_lo, exec_lo, s12
	s_and_saveexec_b32 s12, s11
	s_cbranch_execnz .LBB97_133
	s_branch .LBB97_134
.Lfunc_end97:
	.size	_ZN2at6native6invokeIZZZNS0_21polygamma_kernel_cudaERNS_18TensorIteratorBaseElENKUlvE_clEvENKUlvE0_clEvEUlfE_j15function_traitsIS6_EEENT1_11result_typeERKT_PrKPcPKT0_PKN3c1010ScalarTypeEi, .Lfunc_end97-_ZN2at6native6invokeIZZZNS0_21polygamma_kernel_cudaERNS_18TensorIteratorBaseElENKUlvE_clEvENKUlvE0_clEvEUlfE_j15function_traitsIS6_EEENT1_11result_typeERKT_PrKPcPKT0_PKN3c1010ScalarTypeEi
                                        ; -- End function
	.set .L_ZN2at6native6invokeIZZZNS0_21polygamma_kernel_cudaERNS_18TensorIteratorBaseElENKUlvE_clEvENKUlvE0_clEvEUlfE_j15function_traitsIS6_EEENT1_11result_typeERKT_PrKPcPKT0_PKN3c1010ScalarTypeEi.num_vgpr, 18
	.set .L_ZN2at6native6invokeIZZZNS0_21polygamma_kernel_cudaERNS_18TensorIteratorBaseElENKUlvE_clEvENKUlvE0_clEvEUlfE_j15function_traitsIS6_EEENT1_11result_typeERKT_PrKPcPKT0_PKN3c1010ScalarTypeEi.num_agpr, 0
	.set .L_ZN2at6native6invokeIZZZNS0_21polygamma_kernel_cudaERNS_18TensorIteratorBaseElENKUlvE_clEvENKUlvE0_clEvEUlfE_j15function_traitsIS6_EEENT1_11result_typeERKT_PrKPcPKT0_PKN3c1010ScalarTypeEi.numbered_sgpr, 32
	.set .L_ZN2at6native6invokeIZZZNS0_21polygamma_kernel_cudaERNS_18TensorIteratorBaseElENKUlvE_clEvENKUlvE0_clEvEUlfE_j15function_traitsIS6_EEENT1_11result_typeERKT_PrKPcPKT0_PKN3c1010ScalarTypeEi.num_named_barrier, 0
	.set .L_ZN2at6native6invokeIZZZNS0_21polygamma_kernel_cudaERNS_18TensorIteratorBaseElENKUlvE_clEvENKUlvE0_clEvEUlfE_j15function_traitsIS6_EEENT1_11result_typeERKT_PrKPcPKT0_PKN3c1010ScalarTypeEi.private_seg_size, 0
	.set .L_ZN2at6native6invokeIZZZNS0_21polygamma_kernel_cudaERNS_18TensorIteratorBaseElENKUlvE_clEvENKUlvE0_clEvEUlfE_j15function_traitsIS6_EEENT1_11result_typeERKT_PrKPcPKT0_PKN3c1010ScalarTypeEi.uses_vcc, 1
	.set .L_ZN2at6native6invokeIZZZNS0_21polygamma_kernel_cudaERNS_18TensorIteratorBaseElENKUlvE_clEvENKUlvE0_clEvEUlfE_j15function_traitsIS6_EEENT1_11result_typeERKT_PrKPcPKT0_PKN3c1010ScalarTypeEi.uses_flat_scratch, 0
	.set .L_ZN2at6native6invokeIZZZNS0_21polygamma_kernel_cudaERNS_18TensorIteratorBaseElENKUlvE_clEvENKUlvE0_clEvEUlfE_j15function_traitsIS6_EEENT1_11result_typeERKT_PrKPcPKT0_PKN3c1010ScalarTypeEi.has_dyn_sized_stack, 0
	.set .L_ZN2at6native6invokeIZZZNS0_21polygamma_kernel_cudaERNS_18TensorIteratorBaseElENKUlvE_clEvENKUlvE0_clEvEUlfE_j15function_traitsIS6_EEENT1_11result_typeERKT_PrKPcPKT0_PKN3c1010ScalarTypeEi.has_recursion, 0
	.set .L_ZN2at6native6invokeIZZZNS0_21polygamma_kernel_cudaERNS_18TensorIteratorBaseElENKUlvE_clEvENKUlvE0_clEvEUlfE_j15function_traitsIS6_EEENT1_11result_typeERKT_PrKPcPKT0_PKN3c1010ScalarTypeEi.has_indirect_call, 0
	.section	.AMDGPU.csdata,"",@progbits
; Function info:
; codeLenInByte = 7660
; TotalNumSgprs: 34
; NumVgprs: 18
; ScratchSize: 0
; MemoryBound: 1
	.section	.text._ZN2at6native32elementwise_kernel_manual_unrollILi128ELi4EZNS0_15gpu_kernel_implIZZZNS0_21polygamma_kernel_cudaERNS_18TensorIteratorBaseElENKUlvE_clEvENKUlvE0_clEvEUlfE_EEvS4_RKT_EUlibE0_EEviT1_,"axG",@progbits,_ZN2at6native32elementwise_kernel_manual_unrollILi128ELi4EZNS0_15gpu_kernel_implIZZZNS0_21polygamma_kernel_cudaERNS_18TensorIteratorBaseElENKUlvE_clEvENKUlvE0_clEvEUlfE_EEvS4_RKT_EUlibE0_EEviT1_,comdat
	.globl	_ZN2at6native32elementwise_kernel_manual_unrollILi128ELi4EZNS0_15gpu_kernel_implIZZZNS0_21polygamma_kernel_cudaERNS_18TensorIteratorBaseElENKUlvE_clEvENKUlvE0_clEvEUlfE_EEvS4_RKT_EUlibE0_EEviT1_ ; -- Begin function _ZN2at6native32elementwise_kernel_manual_unrollILi128ELi4EZNS0_15gpu_kernel_implIZZZNS0_21polygamma_kernel_cudaERNS_18TensorIteratorBaseElENKUlvE_clEvENKUlvE0_clEvEUlfE_EEvS4_RKT_EUlibE0_EEviT1_
	.p2align	8
	.type	_ZN2at6native32elementwise_kernel_manual_unrollILi128ELi4EZNS0_15gpu_kernel_implIZZZNS0_21polygamma_kernel_cudaERNS_18TensorIteratorBaseElENKUlvE_clEvENKUlvE0_clEvEUlfE_EEvS4_RKT_EUlibE0_EEviT1_,@function
_ZN2at6native32elementwise_kernel_manual_unrollILi128ELi4EZNS0_15gpu_kernel_implIZZZNS0_21polygamma_kernel_cudaERNS_18TensorIteratorBaseElENKUlvE_clEvENKUlvE0_clEvEUlfE_EEvS4_RKT_EUlibE0_EEviT1_: ; @_ZN2at6native32elementwise_kernel_manual_unrollILi128ELi4EZNS0_15gpu_kernel_implIZZZNS0_21polygamma_kernel_cudaERNS_18TensorIteratorBaseElENKUlvE_clEvENKUlvE0_clEvEUlfE_EEvS4_RKT_EUlibE0_EEviT1_
; %bb.0:
	s_clause 0x1
	s_load_dword s33, s[4:5], 0x8
	s_load_dword s51, s[4:5], 0x0
	v_lshl_or_b32 v20, s6, 9, v0
	s_add_u32 s0, s0, s7
	s_mov_b64 s[18:19], s[4:5]
	s_addc_u32 s1, s1, 0
	s_add_u32 s28, s18, 8
	s_addc_u32 s29, s19, 0
	v_or_b32_e32 v1, 0x180, v20
	s_mov_b32 s4, -1
	s_mov_b32 s45, 0
	s_mov_b32 s24, 0
	;; [unrolled: 1-line block ×3, first 2 shown]
	s_mov_b32 s5, exec_lo
	s_waitcnt lgkmcnt(0)
	s_add_i32 s44, s33, -1
	s_cmp_gt_u32 s44, 1
	s_cselect_b32 s46, -1, 0
	v_cmpx_le_i32_e64 s51, v1
	s_xor_b32 s47, exec_lo, s5
	s_cbranch_execz .LBB98_570
; %bb.1:
	s_clause 0x5
	s_load_dwordx2 s[34:35], s[28:29], 0x158
	s_load_dword s48, s[28:29], 0x160
	s_load_dwordx4 s[36:39], s[28:29], 0x4
	s_load_dwordx2 s[40:41], s[28:29], 0x14
	s_load_dwordx4 s[24:27], s[28:29], 0xc4
	s_load_dwordx4 s[20:23], s[28:29], 0x148
	s_cmp_lg_u32 s33, 0
	s_mov_b32 s56, 0
	s_cselect_b32 s53, -1, 0
	s_add_u32 s42, s28, 0xc4
	s_addc_u32 s43, s29, 0
	s_min_u32 s52, s44, 15
	s_cmp_gt_u32 s33, 1
	s_mov_b32 s54, 0
	s_cselect_b32 s50, -1, 0
	s_mov_b32 s55, exec_lo
	s_waitcnt lgkmcnt(0)
	s_bfe_u32 s49, s48, 0x80008
	v_cmpx_gt_i32_e64 s51, v20
	s_cbranch_execz .LBB98_138
; %bb.2:
	s_andn2_b32 vcc_lo, exec_lo, s46
	s_cbranch_vccnz .LBB98_7
; %bb.3:
	s_andn2_b32 vcc_lo, exec_lo, s53
	s_cbranch_vccnz .LBB98_8
; %bb.4:
	s_add_i32 s9, s52, 1
	s_cmp_eq_u32 s44, 2
	s_cbranch_scc1 .LBB98_9
; %bb.5:
	v_mov_b32_e32 v4, 0
	v_mov_b32_e32 v18, 0
	;; [unrolled: 1-line block ×3, first 2 shown]
	s_and_b32 s8, s9, 28
	s_mov_b32 s10, 0
	s_mov_b64 s[4:5], s[28:29]
	s_mov_b64 s[6:7], s[42:43]
.LBB98_6:                               ; =>This Inner Loop Header: Depth=1
	s_clause 0x1
	s_load_dwordx8 s[60:67], s[4:5], 0x4
	s_load_dwordx4 s[12:15], s[4:5], 0x24
	s_load_dwordx8 s[68:75], s[6:7], 0x0
	s_add_u32 s4, s4, 48
	s_addc_u32 s5, s5, 0
	s_add_i32 s10, s10, 4
	s_add_u32 s6, s6, 32
	s_addc_u32 s7, s7, 0
	s_cmp_lg_u32 s8, s10
	s_waitcnt lgkmcnt(0)
	v_mul_hi_u32 v1, s61, v0
	v_add_nc_u32_e32 v1, v0, v1
	v_lshrrev_b32_e32 v1, s62, v1
	v_mul_hi_u32 v2, s64, v1
	v_mul_lo_u32 v5, v1, s60
	v_add_nc_u32_e32 v2, v1, v2
	v_sub_nc_u32_e32 v0, v0, v5
	v_lshrrev_b32_e32 v2, s65, v2
	v_mul_lo_u32 v5, v0, s68
	v_mul_lo_u32 v7, v0, s69
	v_mul_hi_u32 v3, s67, v2
	v_add_nc_u32_e32 v3, v2, v3
	v_lshrrev_b32_e32 v3, s12, v3
	v_mul_hi_u32 v6, s14, v3
	v_mul_lo_u32 v8, v3, s66
	v_add_nc_u32_e32 v0, v3, v6
	v_mul_lo_u32 v6, v2, s63
	v_sub_nc_u32_e32 v2, v2, v8
	v_lshrrev_b32_e32 v0, s15, v0
	v_mul_lo_u32 v8, v2, s72
	v_mul_lo_u32 v2, v2, s73
	v_sub_nc_u32_e32 v1, v1, v6
	v_mul_lo_u32 v9, v0, s13
	v_mul_lo_u32 v6, v1, s70
	;; [unrolled: 1-line block ×3, first 2 shown]
	v_sub_nc_u32_e32 v3, v3, v9
	v_add3_u32 v5, v5, v18, v6
	v_mul_lo_u32 v9, v3, s74
	v_mul_lo_u32 v3, v3, s75
	v_add3_u32 v1, v7, v4, v1
	v_add3_u32 v18, v8, v5, v9
	v_add3_u32 v4, v2, v1, v3
	s_cbranch_scc1 .LBB98_6
	s_branch .LBB98_10
.LBB98_7:
                                        ; implicit-def: $vgpr18
                                        ; implicit-def: $vgpr4
	s_andn2_b32 vcc_lo, exec_lo, s4
	s_cbranch_vccz .LBB98_14
	s_branch .LBB98_16
.LBB98_8:
	v_mov_b32_e32 v18, 0
	v_mov_b32_e32 v4, 0
	s_branch .LBB98_13
.LBB98_9:
	v_mov_b32_e32 v18, 0
	v_mov_b32_e32 v4, 0
	;; [unrolled: 1-line block ×3, first 2 shown]
	s_mov_b32 s8, 0
.LBB98_10:
	s_and_b32 s9, s9, 3
	s_cmp_eq_u32 s9, 0
	s_cbranch_scc1 .LBB98_13
; %bb.11:
	s_lshl_b32 s4, s8, 3
	s_mul_i32 s6, s8, 12
	s_add_u32 s4, s28, s4
	s_addc_u32 s5, s29, 0
	s_add_u32 s4, s4, 0xc4
	s_addc_u32 s5, s5, 0
	;; [unrolled: 2-line block ×3, first 2 shown]
	.p2align	6
.LBB98_12:                              ; =>This Inner Loop Header: Depth=1
	s_clause 0x1
	s_load_dwordx2 s[10:11], s[6:7], 0x4
	s_load_dword s8, s[6:7], 0xc
	s_load_dwordx2 s[12:13], s[4:5], 0x0
	s_add_u32 s6, s6, 12
	s_addc_u32 s7, s7, 0
	s_add_u32 s4, s4, 8
	s_addc_u32 s5, s5, 0
	s_add_i32 s9, s9, -1
	s_cmp_lg_u32 s9, 0
	s_waitcnt lgkmcnt(0)
	v_mul_hi_u32 v1, s11, v0
	v_add_nc_u32_e32 v1, v0, v1
	v_lshrrev_b32_e32 v1, s8, v1
	v_mul_lo_u32 v2, v1, s10
	v_sub_nc_u32_e32 v0, v0, v2
	v_mad_u64_u32 v[18:19], null, v0, s12, v[18:19]
	v_mad_u64_u32 v[4:5], null, v0, s13, v[4:5]
	v_mov_b32_e32 v0, v1
	s_cbranch_scc1 .LBB98_12
.LBB98_13:
	s_cbranch_execnz .LBB98_16
.LBB98_14:
	v_mul_hi_u32 v0, s37, v20
	s_andn2_b32 vcc_lo, exec_lo, s50
	v_add_nc_u32_e32 v0, v20, v0
	v_lshrrev_b32_e32 v0, s38, v0
	v_mul_lo_u32 v1, v0, s36
	v_sub_nc_u32_e32 v1, v20, v1
	v_mul_lo_u32 v18, v1, s24
	v_mul_lo_u32 v4, v1, s25
	s_cbranch_vccnz .LBB98_16
; %bb.15:
	v_mul_hi_u32 v1, s40, v0
	v_add_nc_u32_e32 v1, v0, v1
	v_lshrrev_b32_e32 v1, s41, v1
	v_mul_lo_u32 v1, v1, s39
	v_sub_nc_u32_e32 v0, v0, v1
	v_mad_u64_u32 v[18:19], null, v0, s26, v[18:19]
	v_mad_u64_u32 v[4:5], null, v0, s27, v[4:5]
.LBB98_16:
	v_mov_b32_e32 v0, s34
	v_mov_b32_e32 v1, s35
	;; [unrolled: 1-line block ×5, first 2 shown]
	s_getpc_b64 s[4:5]
	s_add_u32 s4, s4, _ZN2at6native6invokeIZZZNS0_21polygamma_kernel_cudaERNS_18TensorIteratorBaseElENKUlvE_clEvENKUlvE0_clEvEUlfE_j15function_traitsIS6_EEENT1_11result_typeERKT_PrKPcPKT0_PKN3c1010ScalarTypeEi@rel32@lo+4
	s_addc_u32 s5, s5, _ZN2at6native6invokeIZZZNS0_21polygamma_kernel_cudaERNS_18TensorIteratorBaseElENKUlvE_clEvENKUlvE0_clEvEUlfE_j15function_traitsIS6_EEENT1_11result_typeERKT_PrKPcPKT0_PKN3c1010ScalarTypeEi@rel32@hi+12
	s_swappc_b64 s[30:31], s[4:5]
	v_add_co_u32 v2, s4, s20, v18
	v_add_co_ci_u32_e64 v3, null, s21, 0, s4
	s_and_b32 s5, s48, 0xff
	s_cmp_lt_i32 s5, 11
	s_cbranch_scc1 .LBB98_23
; %bb.17:
	s_and_b32 s6, 0xffff, s5
	s_cmp_gt_i32 s6, 25
	s_cbranch_scc0 .LBB98_26
; %bb.18:
	s_cmp_gt_i32 s6, 28
	s_cbranch_scc0 .LBB98_27
; %bb.19:
	;; [unrolled: 3-line block ×4, first 2 shown]
	s_mov_b32 s8, 0
	s_mov_b32 s4, -1
	s_cmp_eq_u32 s6, 46
	s_mov_b32 s7, 0
	s_cbranch_scc0 .LBB98_30
; %bb.22:
	v_bfe_u32 v1, v0, 16, 1
	v_cmp_o_f32_e32 vcc_lo, v0, v0
	v_mov_b32_e32 v4, 0x7fc0
	s_mov_b32 s7, -1
	s_mov_b32 s4, 0
	v_add3_u32 v1, v0, v1, 0x7fff
	v_cndmask_b32_sdwa v1, v4, v1, vcc_lo dst_sel:DWORD dst_unused:UNUSED_PAD src0_sel:DWORD src1_sel:WORD_1
	global_store_dword v[2:3], v1, off
	s_branch .LBB98_30
.LBB98_23:
	s_mov_b32 s4, 0
	s_mov_b32 s7, 0
	s_cbranch_execnz .LBB98_98
.LBB98_24:
	s_andn2_b32 vcc_lo, exec_lo, s7
	s_cbranch_vccnz .LBB98_136
.LBB98_25:
	v_add_nc_u32_e32 v20, 0x80, v20
	s_mov_b32 s5, -1
	s_branch .LBB98_137
.LBB98_26:
	s_mov_b32 s4, 0
	s_mov_b32 s7, 0
	s_cbranch_execnz .LBB98_57
	s_branch .LBB98_97
.LBB98_27:
	s_mov_b32 s8, -1
	s_mov_b32 s4, 0
	s_mov_b32 s7, 0
	s_branch .LBB98_40
.LBB98_28:
	s_mov_b32 s8, -1
	s_mov_b32 s4, 0
	s_mov_b32 s7, 0
	s_branch .LBB98_36
.LBB98_29:
	s_mov_b32 s8, -1
	s_mov_b32 s4, 0
	s_mov_b32 s7, 0
.LBB98_30:
	s_and_b32 vcc_lo, exec_lo, s8
	s_cbranch_vccz .LBB98_35
; %bb.31:
	s_cmp_eq_u32 s6, 44
	s_mov_b32 s4, -1
	s_cbranch_scc0 .LBB98_35
; %bb.32:
	v_bfe_u32 v4, v0, 23, 8
	v_mov_b32_e32 v1, 0xff
	s_mov_b32 s7, exec_lo
	v_cmpx_ne_u32_e32 0xff, v4
	s_cbranch_execz .LBB98_34
; %bb.33:
	v_and_b32_e32 v1, 0x400000, v0
	v_and_or_b32 v4, 0x3fffff, v0, v4
	v_cmp_ne_u32_e32 vcc_lo, 0, v1
	v_cmp_ne_u32_e64 s4, 0, v4
	v_lshrrev_b32_e32 v1, 23, v0
	s_and_b32 s4, vcc_lo, s4
	v_cndmask_b32_e64 v4, 0, 1, s4
	v_add_nc_u32_e32 v1, v1, v4
.LBB98_34:
	s_or_b32 exec_lo, exec_lo, s7
	s_mov_b32 s7, -1
	s_mov_b32 s4, 0
	global_store_byte v[2:3], v1, off
.LBB98_35:
	s_mov_b32 s8, 0
.LBB98_36:
	s_and_b32 vcc_lo, exec_lo, s8
	s_cbranch_vccz .LBB98_39
; %bb.37:
	s_cmp_eq_u32 s6, 29
	s_mov_b32 s4, -1
	s_cbranch_scc0 .LBB98_39
; %bb.38:
	v_trunc_f32_e32 v1, v0
	s_mov_b32 s7, -1
	s_mov_b32 s4, 0
	s_mov_b32 s8, 0
	v_mul_f32_e32 v4, 0x2f800000, v1
	v_floor_f32_e32 v4, v4
	v_fmamk_f32 v1, v4, 0xcf800000, v1
	v_cvt_u32_f32_e32 v5, v4
	v_cvt_u32_f32_e32 v4, v1
	global_store_dwordx2 v[2:3], v[4:5], off
	s_branch .LBB98_40
.LBB98_39:
	s_mov_b32 s8, 0
.LBB98_40:
	s_and_b32 vcc_lo, exec_lo, s8
	s_cbranch_vccz .LBB98_56
; %bb.41:
	s_cmp_lt_i32 s6, 27
	s_mov_b32 s7, -1
	s_cbranch_scc1 .LBB98_47
; %bb.42:
	s_cmp_gt_i32 s6, 27
	s_cbranch_scc0 .LBB98_44
; %bb.43:
	v_cvt_u32_f32_e32 v1, v0
	s_mov_b32 s7, 0
	global_store_dword v[2:3], v1, off
.LBB98_44:
	s_andn2_b32 vcc_lo, exec_lo, s7
	s_cbranch_vccnz .LBB98_46
; %bb.45:
	v_cvt_u32_f32_e32 v1, v0
	global_store_short v[2:3], v1, off
.LBB98_46:
	s_mov_b32 s7, 0
.LBB98_47:
	s_andn2_b32 vcc_lo, exec_lo, s7
	s_cbranch_vccnz .LBB98_55
; %bb.48:
	v_and_b32_e32 v1, 0x7fffffff, v0
	v_mov_b32_e32 v4, 0x80
	s_mov_b32 s7, exec_lo
	v_cmpx_gt_u32_e32 0x43800000, v1
	s_cbranch_execz .LBB98_54
; %bb.49:
	v_cmp_lt_u32_e32 vcc_lo, 0x3bffffff, v1
	s_mov_b32 s8, 0
                                        ; implicit-def: $vgpr1
	s_and_saveexec_b32 s9, vcc_lo
	s_xor_b32 s9, exec_lo, s9
	s_cbranch_execz .LBB98_169
; %bb.50:
	v_bfe_u32 v1, v0, 20, 1
	s_mov_b32 s8, exec_lo
	v_add3_u32 v1, v0, v1, 0x487ffff
	v_lshrrev_b32_e32 v1, 20, v1
	s_andn2_saveexec_b32 s9, s9
	s_cbranch_execnz .LBB98_170
.LBB98_51:
	s_or_b32 exec_lo, exec_lo, s9
	v_mov_b32_e32 v4, 0
	s_and_saveexec_b32 s9, s8
.LBB98_52:
	v_lshrrev_b32_e32 v4, 24, v0
	v_and_or_b32 v4, 0x80, v4, v1
.LBB98_53:
	s_or_b32 exec_lo, exec_lo, s9
.LBB98_54:
	s_or_b32 exec_lo, exec_lo, s7
	global_store_byte v[2:3], v4, off
.LBB98_55:
	s_mov_b32 s7, -1
.LBB98_56:
	s_branch .LBB98_97
.LBB98_57:
	s_cmp_gt_i32 s6, 22
	s_mov_b32 s8, -1
	s_cbranch_scc0 .LBB98_89
; %bb.58:
	s_cmp_lt_i32 s6, 24
	s_mov_b32 s7, -1
	s_cbranch_scc1 .LBB98_78
; %bb.59:
	s_cmp_gt_i32 s6, 24
	s_cbranch_scc0 .LBB98_67
; %bb.60:
	v_and_b32_e32 v1, 0x7fffffff, v0
	v_mov_b32_e32 v4, 0x80
	s_mov_b32 s7, exec_lo
	v_cmpx_gt_u32_e32 0x47800000, v1
	s_cbranch_execz .LBB98_66
; %bb.61:
	v_cmp_lt_u32_e32 vcc_lo, 0x37ffffff, v1
	s_mov_b32 s8, 0
                                        ; implicit-def: $vgpr1
	s_and_saveexec_b32 s9, vcc_lo
	s_xor_b32 s9, exec_lo, s9
	s_cbranch_execz .LBB98_172
; %bb.62:
	v_bfe_u32 v1, v0, 21, 1
	s_mov_b32 s8, exec_lo
	v_add3_u32 v1, v0, v1, 0x88fffff
	v_lshrrev_b32_e32 v1, 21, v1
	s_andn2_saveexec_b32 s9, s9
	s_cbranch_execnz .LBB98_173
.LBB98_63:
	s_or_b32 exec_lo, exec_lo, s9
	v_mov_b32_e32 v4, 0
	s_and_saveexec_b32 s9, s8
.LBB98_64:
	v_lshrrev_b32_e32 v4, 24, v0
	v_and_or_b32 v4, 0x80, v4, v1
.LBB98_65:
	s_or_b32 exec_lo, exec_lo, s9
.LBB98_66:
	s_or_b32 exec_lo, exec_lo, s7
	s_mov_b32 s7, 0
	global_store_byte v[2:3], v4, off
.LBB98_67:
	s_and_b32 vcc_lo, exec_lo, s7
	s_cbranch_vccz .LBB98_77
; %bb.68:
	v_and_b32_e32 v4, 0x7fffffff, v0
	s_mov_b32 s7, exec_lo
                                        ; implicit-def: $vgpr1
	v_cmpx_gt_u32_e32 0x43f00000, v4
	s_xor_b32 s7, exec_lo, s7
	s_cbranch_execz .LBB98_74
; %bb.69:
	s_mov_b32 s8, exec_lo
                                        ; implicit-def: $vgpr1
	v_cmpx_lt_u32_e32 0x3c7fffff, v4
	s_xor_b32 s8, exec_lo, s8
; %bb.70:
	v_bfe_u32 v1, v0, 20, 1
	v_add3_u32 v1, v0, v1, 0x407ffff
	v_and_b32_e32 v4, 0xff00000, v1
	v_lshrrev_b32_e32 v1, 20, v1
	v_cmp_ne_u32_e32 vcc_lo, 0x7f00000, v4
	v_cndmask_b32_e32 v1, 0x7e, v1, vcc_lo
; %bb.71:
	s_andn2_saveexec_b32 s8, s8
; %bb.72:
	v_add_f32_e64 v1, 0x46800000, |v0|
; %bb.73:
	s_or_b32 exec_lo, exec_lo, s8
                                        ; implicit-def: $vgpr4
.LBB98_74:
	s_andn2_saveexec_b32 s7, s7
; %bb.75:
	v_mov_b32_e32 v1, 0x7f
	v_cmp_lt_u32_e32 vcc_lo, 0x7f800000, v4
	v_cndmask_b32_e32 v1, 0x7e, v1, vcc_lo
; %bb.76:
	s_or_b32 exec_lo, exec_lo, s7
	v_lshrrev_b32_e32 v4, 24, v0
	v_and_or_b32 v1, 0x80, v4, v1
	global_store_byte v[2:3], v1, off
.LBB98_77:
	s_mov_b32 s7, 0
.LBB98_78:
	s_andn2_b32 vcc_lo, exec_lo, s7
	s_cbranch_vccnz .LBB98_88
; %bb.79:
	v_and_b32_e32 v4, 0x7fffffff, v0
	s_mov_b32 s7, exec_lo
                                        ; implicit-def: $vgpr1
	v_cmpx_gt_u32_e32 0x47800000, v4
	s_xor_b32 s7, exec_lo, s7
	s_cbranch_execz .LBB98_85
; %bb.80:
	s_mov_b32 s8, exec_lo
                                        ; implicit-def: $vgpr1
	v_cmpx_lt_u32_e32 0x387fffff, v4
	s_xor_b32 s8, exec_lo, s8
; %bb.81:
	v_bfe_u32 v1, v0, 21, 1
	v_add3_u32 v1, v0, v1, 0x80fffff
	v_lshrrev_b32_e32 v1, 21, v1
; %bb.82:
	s_andn2_saveexec_b32 s8, s8
; %bb.83:
	v_add_f32_e64 v1, 0x43000000, |v0|
; %bb.84:
	s_or_b32 exec_lo, exec_lo, s8
                                        ; implicit-def: $vgpr4
.LBB98_85:
	s_andn2_saveexec_b32 s7, s7
; %bb.86:
	v_mov_b32_e32 v1, 0x7f
	v_cmp_lt_u32_e32 vcc_lo, 0x7f800000, v4
	v_cndmask_b32_e32 v1, 0x7c, v1, vcc_lo
; %bb.87:
	s_or_b32 exec_lo, exec_lo, s7
	v_lshrrev_b32_e32 v4, 24, v0
	v_and_or_b32 v1, 0x80, v4, v1
	global_store_byte v[2:3], v1, off
.LBB98_88:
	s_mov_b32 s8, 0
	s_mov_b32 s7, -1
.LBB98_89:
	s_andn2_b32 vcc_lo, exec_lo, s8
	s_cbranch_vccnz .LBB98_97
; %bb.90:
	s_cmp_gt_i32 s6, 14
	s_mov_b32 s8, -1
	s_cbranch_scc0 .LBB98_94
; %bb.91:
	s_cmp_eq_u32 s6, 15
	s_mov_b32 s4, -1
	s_cbranch_scc0 .LBB98_93
; %bb.92:
	v_bfe_u32 v1, v0, 16, 1
	v_cmp_o_f32_e32 vcc_lo, v0, v0
	v_mov_b32_e32 v4, 0x7fc0
	s_mov_b32 s7, -1
	s_mov_b32 s4, 0
	v_add3_u32 v1, v0, v1, 0x7fff
	v_cndmask_b32_sdwa v1, v4, v1, vcc_lo dst_sel:DWORD dst_unused:UNUSED_PAD src0_sel:DWORD src1_sel:WORD_1
	global_store_short v[2:3], v1, off
.LBB98_93:
	s_mov_b32 s8, 0
.LBB98_94:
	s_and_b32 vcc_lo, exec_lo, s8
	s_cbranch_vccz .LBB98_97
; %bb.95:
	s_cmp_eq_u32 s6, 11
	s_mov_b32 s4, -1
	s_cbranch_scc0 .LBB98_97
; %bb.96:
	v_cmp_neq_f32_e32 vcc_lo, 0, v0
	s_mov_b32 s4, 0
	s_mov_b32 s7, -1
	v_cndmask_b32_e64 v1, 0, 1, vcc_lo
	global_store_byte v[2:3], v1, off
.LBB98_97:
	s_branch .LBB98_24
.LBB98_98:
	s_and_b32 s5, 0xffff, s5
	s_mov_b32 s6, -1
	s_cmp_lt_i32 s5, 5
	s_cbranch_scc1 .LBB98_119
; %bb.99:
	s_cmp_lt_i32 s5, 8
	s_cbranch_scc1 .LBB98_109
; %bb.100:
	;; [unrolled: 3-line block ×3, first 2 shown]
	s_cmp_gt_i32 s5, 9
	s_cbranch_scc0 .LBB98_103
; %bb.102:
	v_cvt_f64_f32_e32 v[4:5], v0
	v_mov_b32_e32 v6, 0
	s_mov_b32 s6, 0
	v_mov_b32_e32 v7, v6
	global_store_dwordx4 v[2:3], v[4:7], off
.LBB98_103:
	s_andn2_b32 vcc_lo, exec_lo, s6
	s_cbranch_vccnz .LBB98_105
; %bb.104:
	v_mov_b32_e32 v1, 0
	global_store_dwordx2 v[2:3], v[0:1], off
.LBB98_105:
	s_mov_b32 s6, 0
.LBB98_106:
	s_andn2_b32 vcc_lo, exec_lo, s6
	s_cbranch_vccnz .LBB98_108
; %bb.107:
	v_cvt_f16_f32_e32 v1, v0
	v_and_b32_e32 v1, 0xffff, v1
	global_store_dword v[2:3], v1, off
.LBB98_108:
	s_mov_b32 s6, 0
.LBB98_109:
	s_andn2_b32 vcc_lo, exec_lo, s6
	s_cbranch_vccnz .LBB98_118
; %bb.110:
	s_cmp_lt_i32 s5, 6
	s_mov_b32 s6, -1
	s_cbranch_scc1 .LBB98_116
; %bb.111:
	s_cmp_gt_i32 s5, 6
	s_cbranch_scc0 .LBB98_113
; %bb.112:
	v_cvt_f64_f32_e32 v[4:5], v0
	s_mov_b32 s6, 0
	global_store_dwordx2 v[2:3], v[4:5], off
.LBB98_113:
	s_andn2_b32 vcc_lo, exec_lo, s6
	s_cbranch_vccnz .LBB98_115
; %bb.114:
	global_store_dword v[2:3], v0, off
.LBB98_115:
	s_mov_b32 s6, 0
.LBB98_116:
	s_andn2_b32 vcc_lo, exec_lo, s6
	s_cbranch_vccnz .LBB98_118
; %bb.117:
	v_cvt_f16_f32_e32 v1, v0
	global_store_short v[2:3], v1, off
.LBB98_118:
	s_mov_b32 s6, 0
.LBB98_119:
	s_andn2_b32 vcc_lo, exec_lo, s6
	s_cbranch_vccnz .LBB98_135
; %bb.120:
	s_cmp_lt_i32 s5, 2
	s_mov_b32 s6, -1
	s_cbranch_scc1 .LBB98_130
; %bb.121:
	s_cmp_lt_i32 s5, 3
	s_cbranch_scc1 .LBB98_127
; %bb.122:
	s_cmp_gt_i32 s5, 3
	s_cbranch_scc0 .LBB98_124
; %bb.123:
	v_trunc_f32_e32 v1, v0
	s_mov_b32 s6, 0
	v_mul_f32_e64 v4, 0x2f800000, |v1|
	v_floor_f32_e32 v4, v4
	v_fma_f32 v5, 0xcf800000, v4, |v1|
	v_ashrrev_i32_e32 v1, 31, v1
	v_cvt_u32_f32_e32 v4, v4
	v_cvt_u32_f32_e32 v5, v5
	v_xor_b32_e32 v6, v4, v1
	v_xor_b32_e32 v5, v5, v1
	v_sub_co_u32 v4, vcc_lo, v5, v1
	v_sub_co_ci_u32_e64 v5, null, v6, v1, vcc_lo
	global_store_dwordx2 v[2:3], v[4:5], off
.LBB98_124:
	s_andn2_b32 vcc_lo, exec_lo, s6
	s_cbranch_vccnz .LBB98_126
; %bb.125:
	v_cvt_i32_f32_e32 v1, v0
	global_store_dword v[2:3], v1, off
.LBB98_126:
	s_mov_b32 s6, 0
.LBB98_127:
	s_andn2_b32 vcc_lo, exec_lo, s6
	s_cbranch_vccnz .LBB98_129
; %bb.128:
	v_cvt_i32_f32_e32 v1, v0
	global_store_short v[2:3], v1, off
.LBB98_129:
	s_mov_b32 s6, 0
.LBB98_130:
	s_andn2_b32 vcc_lo, exec_lo, s6
	s_cbranch_vccnz .LBB98_135
; %bb.131:
	s_cmp_gt_i32 s5, 0
	s_mov_b32 s5, -1
	s_cbranch_scc0 .LBB98_133
; %bb.132:
	v_cvt_i32_f32_e32 v1, v0
	s_mov_b32 s5, 0
	global_store_byte v[2:3], v1, off
.LBB98_133:
	s_andn2_b32 vcc_lo, exec_lo, s5
	s_cbranch_vccnz .LBB98_135
; %bb.134:
	v_trunc_f32_e32 v0, v0
	v_mul_f32_e64 v1, 0x2f800000, |v0|
	v_floor_f32_e32 v1, v1
	v_fma_f32 v1, 0xcf800000, v1, |v0|
	v_ashrrev_i32_e32 v0, 31, v0
	v_cvt_u32_f32_e32 v1, v1
	v_xor_b32_e32 v1, v1, v0
	v_sub_nc_u32_e32 v0, v1, v0
	global_store_byte v[2:3], v0, off
.LBB98_135:
	s_branch .LBB98_25
.LBB98_136:
	s_mov_b32 s5, 0
                                        ; implicit-def: $vgpr20
.LBB98_137:
	s_and_b32 s54, s4, exec_lo
	s_orn2_b32 s4, s5, exec_lo
.LBB98_138:
	s_or_b32 exec_lo, exec_lo, s55
	s_mov_b32 s6, 0
                                        ; implicit-def: $sgpr5
                                        ; implicit-def: $vgpr2_vgpr3
                                        ; implicit-def: $vgpr0
	s_and_saveexec_b32 s55, s4
	s_cbranch_execz .LBB98_145
; %bb.139:
	s_mov_b32 s7, -1
	s_mov_b32 s56, s54
	s_mov_b32 s57, exec_lo
	v_cmpx_gt_i32_e64 s51, v20
	s_cbranch_execz .LBB98_284
; %bb.140:
	s_andn2_b32 vcc_lo, exec_lo, s46
	s_cbranch_vccnz .LBB98_148
; %bb.141:
	s_andn2_b32 vcc_lo, exec_lo, s53
	s_cbranch_vccnz .LBB98_149
; %bb.142:
	s_add_i32 s9, s52, 1
	s_cmp_eq_u32 s44, 2
	s_cbranch_scc1 .LBB98_150
; %bb.143:
	v_mov_b32_e32 v4, 0
	v_mov_b32_e32 v18, 0
	;; [unrolled: 1-line block ×3, first 2 shown]
	s_and_b32 s8, s9, 28
	s_mov_b32 s10, 0
	s_mov_b64 s[4:5], s[28:29]
	s_mov_b64 s[6:7], s[42:43]
.LBB98_144:                             ; =>This Inner Loop Header: Depth=1
	s_clause 0x1
	s_load_dwordx8 s[60:67], s[4:5], 0x4
	s_load_dwordx4 s[12:15], s[4:5], 0x24
	s_load_dwordx8 s[68:75], s[6:7], 0x0
	s_add_u32 s4, s4, 48
	s_addc_u32 s5, s5, 0
	s_add_i32 s10, s10, 4
	s_add_u32 s6, s6, 32
	s_addc_u32 s7, s7, 0
	s_cmp_eq_u32 s8, s10
	s_waitcnt lgkmcnt(0)
	v_mul_hi_u32 v1, s61, v0
	v_add_nc_u32_e32 v1, v0, v1
	v_lshrrev_b32_e32 v1, s62, v1
	v_mul_hi_u32 v2, s64, v1
	v_mul_lo_u32 v5, v1, s60
	v_add_nc_u32_e32 v2, v1, v2
	v_sub_nc_u32_e32 v0, v0, v5
	v_lshrrev_b32_e32 v2, s65, v2
	v_mul_lo_u32 v5, v0, s68
	v_mul_lo_u32 v7, v0, s69
	v_mul_hi_u32 v3, s67, v2
	v_add_nc_u32_e32 v3, v2, v3
	v_lshrrev_b32_e32 v3, s12, v3
	v_mul_hi_u32 v6, s14, v3
	v_mul_lo_u32 v8, v3, s66
	v_add_nc_u32_e32 v0, v3, v6
	v_mul_lo_u32 v6, v2, s63
	v_sub_nc_u32_e32 v2, v2, v8
	v_lshrrev_b32_e32 v0, s15, v0
	v_mul_lo_u32 v8, v2, s72
	v_mul_lo_u32 v2, v2, s73
	v_sub_nc_u32_e32 v1, v1, v6
	v_mul_lo_u32 v9, v0, s13
	v_mul_lo_u32 v6, v1, s70
	;; [unrolled: 1-line block ×3, first 2 shown]
	v_sub_nc_u32_e32 v3, v3, v9
	v_add3_u32 v5, v5, v18, v6
	v_mul_lo_u32 v9, v3, s74
	v_mul_lo_u32 v3, v3, s75
	v_add3_u32 v1, v7, v4, v1
	v_add3_u32 v18, v8, v5, v9
	v_add3_u32 v4, v2, v1, v3
	s_cbranch_scc0 .LBB98_144
	s_branch .LBB98_151
.LBB98_145:
	s_or_b32 exec_lo, exec_lo, s55
	s_mov_b32 s4, 0
	s_and_saveexec_b32 s7, s54
	s_cbranch_execnz .LBB98_530
.LBB98_146:
	s_or_b32 exec_lo, exec_lo, s7
	s_and_saveexec_b32 s7, s56
	s_xor_b32 s7, exec_lo, s7
	s_cbranch_execz .LBB98_531
.LBB98_147:
	v_cmp_neq_f32_e32 vcc_lo, 0, v0
	v_cndmask_b32_e64 v1, 0, 1, vcc_lo
	global_store_byte v[2:3], v1, off
	s_or_b32 exec_lo, exec_lo, s7
	s_and_saveexec_b32 s7, s6
	s_xor_b32 s6, exec_lo, s7
	s_cbranch_execz .LBB98_569
	s_branch .LBB98_532
.LBB98_148:
                                        ; implicit-def: $vgpr18
                                        ; implicit-def: $vgpr4
	s_branch .LBB98_155
.LBB98_149:
	v_mov_b32_e32 v18, 0
	v_mov_b32_e32 v4, 0
	s_branch .LBB98_154
.LBB98_150:
	v_mov_b32_e32 v18, 0
	v_mov_b32_e32 v4, 0
	;; [unrolled: 1-line block ×3, first 2 shown]
	s_mov_b32 s8, 0
.LBB98_151:
	s_and_b32 s9, s9, 3
	s_cmp_eq_u32 s9, 0
	s_cbranch_scc1 .LBB98_154
; %bb.152:
	s_lshl_b32 s4, s8, 3
	s_mul_i32 s6, s8, 12
	s_add_u32 s4, s28, s4
	s_addc_u32 s5, s29, 0
	s_add_u32 s4, s4, 0xc4
	s_addc_u32 s5, s5, 0
	;; [unrolled: 2-line block ×3, first 2 shown]
	.p2align	6
.LBB98_153:                             ; =>This Inner Loop Header: Depth=1
	s_clause 0x1
	s_load_dwordx2 s[10:11], s[6:7], 0x4
	s_load_dword s8, s[6:7], 0xc
	s_load_dwordx2 s[12:13], s[4:5], 0x0
	s_add_u32 s6, s6, 12
	s_addc_u32 s7, s7, 0
	s_add_u32 s4, s4, 8
	s_addc_u32 s5, s5, 0
	s_add_i32 s9, s9, -1
	s_cmp_lg_u32 s9, 0
	s_waitcnt lgkmcnt(0)
	v_mul_hi_u32 v1, s11, v0
	v_add_nc_u32_e32 v1, v0, v1
	v_lshrrev_b32_e32 v1, s8, v1
	v_mul_lo_u32 v2, v1, s10
	v_sub_nc_u32_e32 v0, v0, v2
	v_mad_u64_u32 v[18:19], null, v0, s12, v[18:19]
	v_mad_u64_u32 v[4:5], null, v0, s13, v[4:5]
	v_mov_b32_e32 v0, v1
	s_cbranch_scc1 .LBB98_153
.LBB98_154:
	s_cbranch_execnz .LBB98_157
.LBB98_155:
	v_mul_hi_u32 v0, s37, v20
	s_andn2_b32 vcc_lo, exec_lo, s50
	v_add_nc_u32_e32 v0, v20, v0
	v_lshrrev_b32_e32 v0, s38, v0
	v_mul_lo_u32 v1, v0, s36
	v_sub_nc_u32_e32 v1, v20, v1
	v_mul_lo_u32 v18, v1, s24
	v_mul_lo_u32 v4, v1, s25
	s_cbranch_vccnz .LBB98_157
; %bb.156:
	v_mul_hi_u32 v1, s40, v0
	v_add_nc_u32_e32 v1, v0, v1
	v_lshrrev_b32_e32 v1, s41, v1
	v_mul_lo_u32 v1, v1, s39
	v_sub_nc_u32_e32 v0, v0, v1
	v_mad_u64_u32 v[18:19], null, v0, s26, v[18:19]
	v_mad_u64_u32 v[4:5], null, v0, s27, v[4:5]
.LBB98_157:
	v_mov_b32_e32 v0, s34
	v_mov_b32_e32 v1, s35
	;; [unrolled: 1-line block ×5, first 2 shown]
	s_getpc_b64 s[4:5]
	s_add_u32 s4, s4, _ZN2at6native6invokeIZZZNS0_21polygamma_kernel_cudaERNS_18TensorIteratorBaseElENKUlvE_clEvENKUlvE0_clEvEUlfE_j15function_traitsIS6_EEENT1_11result_typeERKT_PrKPcPKT0_PKN3c1010ScalarTypeEi@rel32@lo+4
	s_addc_u32 s5, s5, _ZN2at6native6invokeIZZZNS0_21polygamma_kernel_cudaERNS_18TensorIteratorBaseElENKUlvE_clEvENKUlvE0_clEvEUlfE_j15function_traitsIS6_EEENT1_11result_typeERKT_PrKPcPKT0_PKN3c1010ScalarTypeEi@rel32@hi+12
	s_swappc_b64 s[30:31], s[4:5]
	v_add_co_u32 v2, s4, s20, v18
	v_add_co_ci_u32_e64 v3, null, s21, 0, s4
	s_and_b32 s5, s48, 0xff
	s_cmp_lt_i32 s5, 11
	s_cbranch_scc1 .LBB98_164
; %bb.158:
	s_and_b32 s6, 0xffff, s5
	s_cmp_gt_i32 s6, 25
	s_cbranch_scc0 .LBB98_167
; %bb.159:
	s_cmp_gt_i32 s6, 28
	s_cbranch_scc0 .LBB98_168
; %bb.160:
	;; [unrolled: 3-line block ×4, first 2 shown]
	s_mov_b32 s8, 0
	s_mov_b32 s4, -1
	s_cmp_eq_u32 s6, 46
	s_mov_b32 s7, 0
	s_cbranch_scc0 .LBB98_175
; %bb.163:
	v_bfe_u32 v1, v0, 16, 1
	v_cmp_o_f32_e32 vcc_lo, v0, v0
	v_mov_b32_e32 v4, 0x7fc0
	s_mov_b32 s7, -1
	s_mov_b32 s4, 0
	v_add3_u32 v1, v0, v1, 0x7fff
	v_cndmask_b32_sdwa v1, v4, v1, vcc_lo dst_sel:DWORD dst_unused:UNUSED_PAD src0_sel:DWORD src1_sel:WORD_1
	global_store_dword v[2:3], v1, off
	s_branch .LBB98_175
.LBB98_164:
	s_mov_b32 s7, 0
	s_mov_b32 s4, s54
	s_cbranch_execnz .LBB98_244
.LBB98_165:
	s_andn2_b32 vcc_lo, exec_lo, s7
	s_cbranch_vccnz .LBB98_282
.LBB98_166:
	v_add_nc_u32_e32 v20, 0x80, v20
	s_mov_b32 s5, -1
	s_branch .LBB98_283
.LBB98_167:
	s_mov_b32 s8, -1
	s_mov_b32 s7, 0
	s_mov_b32 s4, s54
	s_branch .LBB98_202
.LBB98_168:
	s_mov_b32 s8, -1
	s_mov_b32 s7, 0
	s_mov_b32 s4, s54
	s_branch .LBB98_185
.LBB98_169:
	s_andn2_saveexec_b32 s9, s9
	s_cbranch_execz .LBB98_51
.LBB98_170:
	v_add_f32_e64 v1, 0x46000000, |v0|
	s_andn2_b32 s8, s8, exec_lo
	v_and_b32_e32 v1, 0xff, v1
	v_cmp_ne_u32_e32 vcc_lo, 0, v1
	s_and_b32 s10, vcc_lo, exec_lo
	s_or_b32 s8, s8, s10
	s_or_b32 exec_lo, exec_lo, s9
	v_mov_b32_e32 v4, 0
	s_and_saveexec_b32 s9, s8
	s_cbranch_execnz .LBB98_52
	s_branch .LBB98_53
.LBB98_171:
	s_mov_b32 s8, -1
	s_mov_b32 s7, 0
	s_mov_b32 s4, s54
	s_branch .LBB98_181
.LBB98_172:
	s_andn2_saveexec_b32 s9, s9
	s_cbranch_execz .LBB98_63
.LBB98_173:
	v_add_f32_e64 v1, 0x42800000, |v0|
	s_andn2_b32 s8, s8, exec_lo
	v_and_b32_e32 v1, 0xff, v1
	v_cmp_ne_u32_e32 vcc_lo, 0, v1
	s_and_b32 s10, vcc_lo, exec_lo
	s_or_b32 s8, s8, s10
	s_or_b32 exec_lo, exec_lo, s9
	v_mov_b32_e32 v4, 0
	s_and_saveexec_b32 s9, s8
	s_cbranch_execnz .LBB98_64
	s_branch .LBB98_65
.LBB98_174:
	s_mov_b32 s8, -1
	s_mov_b32 s7, 0
	s_mov_b32 s4, s54
.LBB98_175:
	s_and_b32 vcc_lo, exec_lo, s8
	s_cbranch_vccz .LBB98_180
; %bb.176:
	s_cmp_eq_u32 s6, 44
	s_mov_b32 s4, -1
	s_cbranch_scc0 .LBB98_180
; %bb.177:
	v_bfe_u32 v4, v0, 23, 8
	v_mov_b32_e32 v1, 0xff
	s_mov_b32 s7, exec_lo
	v_cmpx_ne_u32_e32 0xff, v4
	s_cbranch_execz .LBB98_179
; %bb.178:
	v_and_b32_e32 v1, 0x400000, v0
	v_and_or_b32 v4, 0x3fffff, v0, v4
	v_cmp_ne_u32_e32 vcc_lo, 0, v1
	v_cmp_ne_u32_e64 s4, 0, v4
	v_lshrrev_b32_e32 v1, 23, v0
	s_and_b32 s4, vcc_lo, s4
	v_cndmask_b32_e64 v4, 0, 1, s4
	v_add_nc_u32_e32 v1, v1, v4
.LBB98_179:
	s_or_b32 exec_lo, exec_lo, s7
	s_mov_b32 s7, -1
	s_mov_b32 s4, 0
	global_store_byte v[2:3], v1, off
.LBB98_180:
	s_mov_b32 s8, 0
.LBB98_181:
	s_and_b32 vcc_lo, exec_lo, s8
	s_cbranch_vccz .LBB98_184
; %bb.182:
	s_cmp_eq_u32 s6, 29
	s_mov_b32 s4, -1
	s_cbranch_scc0 .LBB98_184
; %bb.183:
	v_trunc_f32_e32 v1, v0
	s_mov_b32 s7, -1
	s_mov_b32 s4, 0
	s_mov_b32 s8, 0
	v_mul_f32_e32 v4, 0x2f800000, v1
	v_floor_f32_e32 v4, v4
	v_fmamk_f32 v1, v4, 0xcf800000, v1
	v_cvt_u32_f32_e32 v5, v4
	v_cvt_u32_f32_e32 v4, v1
	global_store_dwordx2 v[2:3], v[4:5], off
	s_branch .LBB98_185
.LBB98_184:
	s_mov_b32 s8, 0
.LBB98_185:
	s_and_b32 vcc_lo, exec_lo, s8
	s_cbranch_vccz .LBB98_201
; %bb.186:
	s_cmp_lt_i32 s6, 27
	s_mov_b32 s7, -1
	s_cbranch_scc1 .LBB98_192
; %bb.187:
	v_cvt_u32_f32_e32 v1, v0
	s_cmp_gt_i32 s6, 27
	s_cbranch_scc0 .LBB98_189
; %bb.188:
	s_mov_b32 s7, 0
	global_store_dword v[2:3], v1, off
.LBB98_189:
	s_andn2_b32 vcc_lo, exec_lo, s7
	s_cbranch_vccnz .LBB98_191
; %bb.190:
	global_store_short v[2:3], v1, off
.LBB98_191:
	s_mov_b32 s7, 0
.LBB98_192:
	s_andn2_b32 vcc_lo, exec_lo, s7
	s_cbranch_vccnz .LBB98_200
; %bb.193:
	v_and_b32_e32 v1, 0x7fffffff, v0
	v_mov_b32_e32 v4, 0x80
	s_mov_b32 s7, exec_lo
	v_cmpx_gt_u32_e32 0x43800000, v1
	s_cbranch_execz .LBB98_199
; %bb.194:
	v_cmp_lt_u32_e32 vcc_lo, 0x3bffffff, v1
	s_mov_b32 s8, 0
                                        ; implicit-def: $vgpr1
	s_and_saveexec_b32 s9, vcc_lo
	s_xor_b32 s9, exec_lo, s9
	s_cbranch_execz .LBB98_311
; %bb.195:
	v_bfe_u32 v1, v0, 20, 1
	s_mov_b32 s8, exec_lo
	v_add3_u32 v1, v0, v1, 0x487ffff
	v_lshrrev_b32_e32 v1, 20, v1
	s_andn2_saveexec_b32 s9, s9
	s_cbranch_execnz .LBB98_312
.LBB98_196:
	s_or_b32 exec_lo, exec_lo, s9
	v_mov_b32_e32 v4, 0
	s_and_saveexec_b32 s9, s8
.LBB98_197:
	v_lshrrev_b32_e32 v4, 24, v0
	v_and_or_b32 v4, 0x80, v4, v1
.LBB98_198:
	s_or_b32 exec_lo, exec_lo, s9
.LBB98_199:
	s_or_b32 exec_lo, exec_lo, s7
	global_store_byte v[2:3], v4, off
.LBB98_200:
	s_mov_b32 s7, -1
.LBB98_201:
	s_mov_b32 s8, 0
.LBB98_202:
	s_and_b32 vcc_lo, exec_lo, s8
	s_cbranch_vccz .LBB98_243
; %bb.203:
	s_cmp_gt_i32 s6, 22
	s_mov_b32 s8, -1
	s_cbranch_scc0 .LBB98_235
; %bb.204:
	s_cmp_lt_i32 s6, 24
	s_mov_b32 s7, -1
	s_cbranch_scc1 .LBB98_224
; %bb.205:
	s_cmp_gt_i32 s6, 24
	s_cbranch_scc0 .LBB98_213
; %bb.206:
	v_and_b32_e32 v1, 0x7fffffff, v0
	v_mov_b32_e32 v4, 0x80
	s_mov_b32 s7, exec_lo
	v_cmpx_gt_u32_e32 0x47800000, v1
	s_cbranch_execz .LBB98_212
; %bb.207:
	v_cmp_lt_u32_e32 vcc_lo, 0x37ffffff, v1
	s_mov_b32 s8, 0
                                        ; implicit-def: $vgpr1
	s_and_saveexec_b32 s9, vcc_lo
	s_xor_b32 s9, exec_lo, s9
	s_cbranch_execz .LBB98_314
; %bb.208:
	v_bfe_u32 v1, v0, 21, 1
	s_mov_b32 s8, exec_lo
	v_add3_u32 v1, v0, v1, 0x88fffff
	v_lshrrev_b32_e32 v1, 21, v1
	s_andn2_saveexec_b32 s9, s9
	s_cbranch_execnz .LBB98_315
.LBB98_209:
	s_or_b32 exec_lo, exec_lo, s9
	v_mov_b32_e32 v4, 0
	s_and_saveexec_b32 s9, s8
.LBB98_210:
	v_lshrrev_b32_e32 v4, 24, v0
	v_and_or_b32 v4, 0x80, v4, v1
.LBB98_211:
	s_or_b32 exec_lo, exec_lo, s9
.LBB98_212:
	s_or_b32 exec_lo, exec_lo, s7
	s_mov_b32 s7, 0
	global_store_byte v[2:3], v4, off
.LBB98_213:
	s_and_b32 vcc_lo, exec_lo, s7
	s_cbranch_vccz .LBB98_223
; %bb.214:
	v_and_b32_e32 v4, 0x7fffffff, v0
	s_mov_b32 s7, exec_lo
                                        ; implicit-def: $vgpr1
	v_cmpx_gt_u32_e32 0x43f00000, v4
	s_xor_b32 s7, exec_lo, s7
	s_cbranch_execz .LBB98_220
; %bb.215:
	s_mov_b32 s8, exec_lo
                                        ; implicit-def: $vgpr1
	v_cmpx_lt_u32_e32 0x3c7fffff, v4
	s_xor_b32 s8, exec_lo, s8
; %bb.216:
	v_bfe_u32 v1, v0, 20, 1
	v_add3_u32 v1, v0, v1, 0x407ffff
	v_and_b32_e32 v4, 0xff00000, v1
	v_lshrrev_b32_e32 v1, 20, v1
	v_cmp_ne_u32_e32 vcc_lo, 0x7f00000, v4
	v_cndmask_b32_e32 v1, 0x7e, v1, vcc_lo
; %bb.217:
	s_andn2_saveexec_b32 s8, s8
; %bb.218:
	v_add_f32_e64 v1, 0x46800000, |v0|
; %bb.219:
	s_or_b32 exec_lo, exec_lo, s8
                                        ; implicit-def: $vgpr4
.LBB98_220:
	s_andn2_saveexec_b32 s7, s7
; %bb.221:
	v_mov_b32_e32 v1, 0x7f
	v_cmp_lt_u32_e32 vcc_lo, 0x7f800000, v4
	v_cndmask_b32_e32 v1, 0x7e, v1, vcc_lo
; %bb.222:
	s_or_b32 exec_lo, exec_lo, s7
	v_lshrrev_b32_e32 v4, 24, v0
	v_and_or_b32 v1, 0x80, v4, v1
	global_store_byte v[2:3], v1, off
.LBB98_223:
	s_mov_b32 s7, 0
.LBB98_224:
	s_andn2_b32 vcc_lo, exec_lo, s7
	s_cbranch_vccnz .LBB98_234
; %bb.225:
	v_and_b32_e32 v4, 0x7fffffff, v0
	s_mov_b32 s7, exec_lo
                                        ; implicit-def: $vgpr1
	v_cmpx_gt_u32_e32 0x47800000, v4
	s_xor_b32 s7, exec_lo, s7
	s_cbranch_execz .LBB98_231
; %bb.226:
	s_mov_b32 s8, exec_lo
                                        ; implicit-def: $vgpr1
	v_cmpx_lt_u32_e32 0x387fffff, v4
	s_xor_b32 s8, exec_lo, s8
; %bb.227:
	v_bfe_u32 v1, v0, 21, 1
	v_add3_u32 v1, v0, v1, 0x80fffff
	v_lshrrev_b32_e32 v1, 21, v1
; %bb.228:
	s_andn2_saveexec_b32 s8, s8
; %bb.229:
	v_add_f32_e64 v1, 0x43000000, |v0|
; %bb.230:
	s_or_b32 exec_lo, exec_lo, s8
                                        ; implicit-def: $vgpr4
.LBB98_231:
	s_andn2_saveexec_b32 s7, s7
; %bb.232:
	v_mov_b32_e32 v1, 0x7f
	v_cmp_lt_u32_e32 vcc_lo, 0x7f800000, v4
	v_cndmask_b32_e32 v1, 0x7c, v1, vcc_lo
; %bb.233:
	s_or_b32 exec_lo, exec_lo, s7
	v_lshrrev_b32_e32 v4, 24, v0
	v_and_or_b32 v1, 0x80, v4, v1
	global_store_byte v[2:3], v1, off
.LBB98_234:
	s_mov_b32 s8, 0
	s_mov_b32 s7, -1
.LBB98_235:
	s_andn2_b32 vcc_lo, exec_lo, s8
	s_cbranch_vccnz .LBB98_243
; %bb.236:
	s_cmp_gt_i32 s6, 14
	s_mov_b32 s8, -1
	s_cbranch_scc0 .LBB98_240
; %bb.237:
	s_cmp_eq_u32 s6, 15
	s_mov_b32 s4, -1
	s_cbranch_scc0 .LBB98_239
; %bb.238:
	v_bfe_u32 v1, v0, 16, 1
	v_cmp_o_f32_e32 vcc_lo, v0, v0
	v_mov_b32_e32 v4, 0x7fc0
	s_mov_b32 s7, -1
	s_mov_b32 s4, 0
	v_add3_u32 v1, v0, v1, 0x7fff
	v_cndmask_b32_sdwa v1, v4, v1, vcc_lo dst_sel:DWORD dst_unused:UNUSED_PAD src0_sel:DWORD src1_sel:WORD_1
	global_store_short v[2:3], v1, off
.LBB98_239:
	s_mov_b32 s8, 0
.LBB98_240:
	s_and_b32 vcc_lo, exec_lo, s8
	s_cbranch_vccz .LBB98_243
; %bb.241:
	s_cmp_eq_u32 s6, 11
	s_mov_b32 s4, -1
	s_cbranch_scc0 .LBB98_243
; %bb.242:
	v_cmp_neq_f32_e32 vcc_lo, 0, v0
	s_mov_b32 s4, 0
	s_mov_b32 s7, -1
	v_cndmask_b32_e64 v1, 0, 1, vcc_lo
	global_store_byte v[2:3], v1, off
.LBB98_243:
	s_branch .LBB98_165
.LBB98_244:
	s_and_b32 s5, 0xffff, s5
	s_mov_b32 s6, -1
	s_cmp_lt_i32 s5, 5
	s_cbranch_scc1 .LBB98_265
; %bb.245:
	s_cmp_lt_i32 s5, 8
	s_cbranch_scc1 .LBB98_255
; %bb.246:
	;; [unrolled: 3-line block ×3, first 2 shown]
	s_cmp_gt_i32 s5, 9
	s_cbranch_scc0 .LBB98_249
; %bb.248:
	v_cvt_f64_f32_e32 v[4:5], v0
	v_mov_b32_e32 v6, 0
	s_mov_b32 s6, 0
	v_mov_b32_e32 v7, v6
	global_store_dwordx4 v[2:3], v[4:7], off
.LBB98_249:
	s_andn2_b32 vcc_lo, exec_lo, s6
	s_cbranch_vccnz .LBB98_251
; %bb.250:
	v_mov_b32_e32 v1, 0
	global_store_dwordx2 v[2:3], v[0:1], off
.LBB98_251:
	s_mov_b32 s6, 0
.LBB98_252:
	s_andn2_b32 vcc_lo, exec_lo, s6
	s_cbranch_vccnz .LBB98_254
; %bb.253:
	v_cvt_f16_f32_e32 v1, v0
	v_and_b32_e32 v1, 0xffff, v1
	global_store_dword v[2:3], v1, off
.LBB98_254:
	s_mov_b32 s6, 0
.LBB98_255:
	s_andn2_b32 vcc_lo, exec_lo, s6
	s_cbranch_vccnz .LBB98_264
; %bb.256:
	s_cmp_lt_i32 s5, 6
	s_mov_b32 s6, -1
	s_cbranch_scc1 .LBB98_262
; %bb.257:
	s_cmp_gt_i32 s5, 6
	s_cbranch_scc0 .LBB98_259
; %bb.258:
	v_cvt_f64_f32_e32 v[4:5], v0
	s_mov_b32 s6, 0
	global_store_dwordx2 v[2:3], v[4:5], off
.LBB98_259:
	s_andn2_b32 vcc_lo, exec_lo, s6
	s_cbranch_vccnz .LBB98_261
; %bb.260:
	global_store_dword v[2:3], v0, off
.LBB98_261:
	s_mov_b32 s6, 0
.LBB98_262:
	s_andn2_b32 vcc_lo, exec_lo, s6
	s_cbranch_vccnz .LBB98_264
; %bb.263:
	v_cvt_f16_f32_e32 v1, v0
	global_store_short v[2:3], v1, off
.LBB98_264:
	s_mov_b32 s6, 0
.LBB98_265:
	s_andn2_b32 vcc_lo, exec_lo, s6
	s_cbranch_vccnz .LBB98_281
; %bb.266:
	s_cmp_lt_i32 s5, 2
	s_mov_b32 s6, -1
	s_cbranch_scc1 .LBB98_276
; %bb.267:
	s_cmp_lt_i32 s5, 3
	s_cbranch_scc1 .LBB98_273
; %bb.268:
	s_cmp_gt_i32 s5, 3
	s_cbranch_scc0 .LBB98_270
; %bb.269:
	v_trunc_f32_e32 v1, v0
	s_mov_b32 s6, 0
	v_mul_f32_e64 v4, 0x2f800000, |v1|
	v_floor_f32_e32 v4, v4
	v_fma_f32 v5, 0xcf800000, v4, |v1|
	v_ashrrev_i32_e32 v1, 31, v1
	v_cvt_u32_f32_e32 v4, v4
	v_cvt_u32_f32_e32 v5, v5
	v_xor_b32_e32 v6, v4, v1
	v_xor_b32_e32 v5, v5, v1
	v_sub_co_u32 v4, vcc_lo, v5, v1
	v_sub_co_ci_u32_e64 v5, null, v6, v1, vcc_lo
	global_store_dwordx2 v[2:3], v[4:5], off
.LBB98_270:
	s_andn2_b32 vcc_lo, exec_lo, s6
	s_cbranch_vccnz .LBB98_272
; %bb.271:
	v_cvt_i32_f32_e32 v1, v0
	global_store_dword v[2:3], v1, off
.LBB98_272:
	s_mov_b32 s6, 0
.LBB98_273:
	s_andn2_b32 vcc_lo, exec_lo, s6
	s_cbranch_vccnz .LBB98_275
; %bb.274:
	v_cvt_i32_f32_e32 v1, v0
	global_store_short v[2:3], v1, off
.LBB98_275:
	s_mov_b32 s6, 0
.LBB98_276:
	s_andn2_b32 vcc_lo, exec_lo, s6
	s_cbranch_vccnz .LBB98_281
; %bb.277:
	s_cmp_gt_i32 s5, 0
	s_mov_b32 s5, -1
	s_cbranch_scc0 .LBB98_279
; %bb.278:
	v_cvt_i32_f32_e32 v1, v0
	s_mov_b32 s5, 0
	global_store_byte v[2:3], v1, off
.LBB98_279:
	s_andn2_b32 vcc_lo, exec_lo, s5
	s_cbranch_vccnz .LBB98_281
; %bb.280:
	v_trunc_f32_e32 v0, v0
	v_mul_f32_e64 v1, 0x2f800000, |v0|
	v_floor_f32_e32 v1, v1
	v_fma_f32 v1, 0xcf800000, v1, |v0|
	v_ashrrev_i32_e32 v0, 31, v0
	v_cvt_u32_f32_e32 v1, v1
	v_xor_b32_e32 v1, v1, v0
	v_sub_nc_u32_e32 v0, v1, v0
	global_store_byte v[2:3], v0, off
.LBB98_281:
	s_branch .LBB98_166
.LBB98_282:
	s_mov_b32 s5, 0
                                        ; implicit-def: $vgpr20
.LBB98_283:
	s_andn2_b32 s6, s54, exec_lo
	s_and_b32 s4, s4, exec_lo
	s_orn2_b32 s7, s5, exec_lo
	s_or_b32 s56, s6, s4
.LBB98_284:
	s_or_b32 exec_lo, exec_lo, s57
	s_mov_b32 s4, 0
	s_mov_b32 s6, 0
                                        ; implicit-def: $sgpr5
                                        ; implicit-def: $vgpr2_vgpr3
                                        ; implicit-def: $vgpr0
	s_and_saveexec_b32 s57, s7
	s_cbranch_execz .LBB98_529
; %bb.285:
	s_mov_b32 s7, -1
	s_mov_b32 s59, s56
	s_mov_b32 s58, exec_lo
	v_cmpx_gt_i32_e64 s51, v20
	s_cbranch_execz .LBB98_429
; %bb.286:
	s_andn2_b32 vcc_lo, exec_lo, s46
	s_cbranch_vccnz .LBB98_291
; %bb.287:
	s_andn2_b32 vcc_lo, exec_lo, s53
	s_cbranch_vccnz .LBB98_292
; %bb.288:
	s_add_i32 s9, s52, 1
	s_cmp_eq_u32 s44, 2
	s_cbranch_scc1 .LBB98_293
; %bb.289:
	v_mov_b32_e32 v4, 0
	v_mov_b32_e32 v18, 0
	;; [unrolled: 1-line block ×3, first 2 shown]
	s_and_b32 s8, s9, 28
	s_mov_b32 s10, 0
	s_mov_b64 s[4:5], s[28:29]
	s_mov_b64 s[6:7], s[42:43]
.LBB98_290:                             ; =>This Inner Loop Header: Depth=1
	s_clause 0x1
	s_load_dwordx8 s[60:67], s[4:5], 0x4
	s_load_dwordx4 s[12:15], s[4:5], 0x24
	s_load_dwordx8 s[68:75], s[6:7], 0x0
	s_add_u32 s4, s4, 48
	s_addc_u32 s5, s5, 0
	s_add_i32 s10, s10, 4
	s_add_u32 s6, s6, 32
	s_addc_u32 s7, s7, 0
	s_cmp_eq_u32 s8, s10
	s_waitcnt lgkmcnt(0)
	v_mul_hi_u32 v1, s61, v0
	v_add_nc_u32_e32 v1, v0, v1
	v_lshrrev_b32_e32 v1, s62, v1
	v_mul_hi_u32 v2, s64, v1
	v_mul_lo_u32 v5, v1, s60
	v_add_nc_u32_e32 v2, v1, v2
	v_sub_nc_u32_e32 v0, v0, v5
	v_lshrrev_b32_e32 v2, s65, v2
	v_mul_lo_u32 v5, v0, s68
	v_mul_lo_u32 v7, v0, s69
	v_mul_hi_u32 v3, s67, v2
	v_add_nc_u32_e32 v3, v2, v3
	v_lshrrev_b32_e32 v3, s12, v3
	v_mul_hi_u32 v6, s14, v3
	v_mul_lo_u32 v8, v3, s66
	v_add_nc_u32_e32 v0, v3, v6
	v_mul_lo_u32 v6, v2, s63
	v_sub_nc_u32_e32 v2, v2, v8
	v_lshrrev_b32_e32 v0, s15, v0
	v_mul_lo_u32 v8, v2, s72
	v_mul_lo_u32 v2, v2, s73
	v_sub_nc_u32_e32 v1, v1, v6
	v_mul_lo_u32 v9, v0, s13
	v_mul_lo_u32 v6, v1, s70
	;; [unrolled: 1-line block ×3, first 2 shown]
	v_sub_nc_u32_e32 v3, v3, v9
	v_add3_u32 v5, v5, v18, v6
	v_mul_lo_u32 v9, v3, s74
	v_mul_lo_u32 v3, v3, s75
	v_add3_u32 v1, v7, v4, v1
	v_add3_u32 v18, v8, v5, v9
	;; [unrolled: 1-line block ×3, first 2 shown]
	s_cbranch_scc0 .LBB98_290
	s_branch .LBB98_294
.LBB98_291:
	s_mov_b32 s4, -1
                                        ; implicit-def: $vgpr18
                                        ; implicit-def: $vgpr4
	s_branch .LBB98_298
.LBB98_292:
	v_mov_b32_e32 v18, 0
	v_mov_b32_e32 v4, 0
	s_branch .LBB98_297
.LBB98_293:
	v_mov_b32_e32 v18, 0
	v_mov_b32_e32 v4, 0
	;; [unrolled: 1-line block ×3, first 2 shown]
	s_mov_b32 s8, 0
.LBB98_294:
	s_and_b32 s9, s9, 3
	s_cmp_eq_u32 s9, 0
	s_cbranch_scc1 .LBB98_297
; %bb.295:
	s_lshl_b32 s4, s8, 3
	s_mul_i32 s6, s8, 12
	s_add_u32 s4, s28, s4
	s_addc_u32 s5, s29, 0
	s_add_u32 s4, s4, 0xc4
	s_addc_u32 s5, s5, 0
	;; [unrolled: 2-line block ×3, first 2 shown]
	.p2align	6
.LBB98_296:                             ; =>This Inner Loop Header: Depth=1
	s_clause 0x1
	s_load_dwordx2 s[10:11], s[6:7], 0x4
	s_load_dword s8, s[6:7], 0xc
	s_load_dwordx2 s[12:13], s[4:5], 0x0
	s_add_u32 s6, s6, 12
	s_addc_u32 s7, s7, 0
	s_add_u32 s4, s4, 8
	s_addc_u32 s5, s5, 0
	s_add_i32 s9, s9, -1
	s_cmp_lg_u32 s9, 0
	s_waitcnt lgkmcnt(0)
	v_mul_hi_u32 v1, s11, v0
	v_add_nc_u32_e32 v1, v0, v1
	v_lshrrev_b32_e32 v1, s8, v1
	v_mul_lo_u32 v2, v1, s10
	v_sub_nc_u32_e32 v0, v0, v2
	v_mad_u64_u32 v[18:19], null, v0, s12, v[18:19]
	v_mad_u64_u32 v[4:5], null, v0, s13, v[4:5]
	v_mov_b32_e32 v0, v1
	s_cbranch_scc1 .LBB98_296
.LBB98_297:
	s_mov_b32 s4, 0
.LBB98_298:
	s_andn2_b32 vcc_lo, exec_lo, s4
	s_cbranch_vccnz .LBB98_301
; %bb.299:
	v_mul_hi_u32 v0, s37, v20
	s_andn2_b32 vcc_lo, exec_lo, s50
	v_add_nc_u32_e32 v0, v20, v0
	v_lshrrev_b32_e32 v0, s38, v0
	v_mul_lo_u32 v1, v0, s36
	v_sub_nc_u32_e32 v1, v20, v1
	v_mul_lo_u32 v18, v1, s24
	v_mul_lo_u32 v4, v1, s25
	s_cbranch_vccnz .LBB98_301
; %bb.300:
	v_mul_hi_u32 v1, s40, v0
	v_add_nc_u32_e32 v1, v0, v1
	v_lshrrev_b32_e32 v1, s41, v1
	v_mul_lo_u32 v1, v1, s39
	v_sub_nc_u32_e32 v0, v0, v1
	v_mad_u64_u32 v[18:19], null, v0, s26, v[18:19]
	v_mad_u64_u32 v[4:5], null, v0, s27, v[4:5]
.LBB98_301:
	v_mov_b32_e32 v0, s34
	v_mov_b32_e32 v1, s35
	;; [unrolled: 1-line block ×5, first 2 shown]
	s_getpc_b64 s[4:5]
	s_add_u32 s4, s4, _ZN2at6native6invokeIZZZNS0_21polygamma_kernel_cudaERNS_18TensorIteratorBaseElENKUlvE_clEvENKUlvE0_clEvEUlfE_j15function_traitsIS6_EEENT1_11result_typeERKT_PrKPcPKT0_PKN3c1010ScalarTypeEi@rel32@lo+4
	s_addc_u32 s5, s5, _ZN2at6native6invokeIZZZNS0_21polygamma_kernel_cudaERNS_18TensorIteratorBaseElENKUlvE_clEvENKUlvE0_clEvEUlfE_j15function_traitsIS6_EEENT1_11result_typeERKT_PrKPcPKT0_PKN3c1010ScalarTypeEi@rel32@hi+12
	s_swappc_b64 s[30:31], s[4:5]
	v_add_co_u32 v2, s4, s20, v18
	v_add_co_ci_u32_e64 v3, null, s21, 0, s4
	s_and_b32 s5, s48, 0xff
	s_cmp_lt_i32 s5, 11
	s_cbranch_scc1 .LBB98_308
; %bb.302:
	s_and_b32 s6, 0xffff, s5
	s_cmp_gt_i32 s6, 25
	s_cbranch_scc0 .LBB98_309
; %bb.303:
	s_cmp_gt_i32 s6, 28
	s_cbranch_scc0 .LBB98_310
; %bb.304:
	;; [unrolled: 3-line block ×4, first 2 shown]
	s_mov_b32 s8, 0
	s_mov_b32 s4, -1
	s_cmp_eq_u32 s6, 46
	s_mov_b32 s7, 0
	s_cbranch_scc0 .LBB98_317
; %bb.307:
	v_bfe_u32 v1, v0, 16, 1
	v_cmp_o_f32_e32 vcc_lo, v0, v0
	v_mov_b32_e32 v4, 0x7fc0
	s_mov_b32 s7, -1
	s_mov_b32 s4, 0
	v_add3_u32 v1, v0, v1, 0x7fff
	v_cndmask_b32_sdwa v1, v4, v1, vcc_lo dst_sel:DWORD dst_unused:UNUSED_PAD src0_sel:DWORD src1_sel:WORD_1
	global_store_dword v[2:3], v1, off
	s_branch .LBB98_317
.LBB98_308:
	s_mov_b32 s6, -1
	s_mov_b32 s7, 0
	s_mov_b32 s4, s56
	s_branch .LBB98_386
.LBB98_309:
	s_mov_b32 s8, -1
	s_mov_b32 s7, 0
	s_mov_b32 s4, s56
	s_branch .LBB98_344
.LBB98_310:
	s_mov_b32 s8, -1
	s_mov_b32 s7, 0
	s_mov_b32 s4, s56
	s_branch .LBB98_327
.LBB98_311:
	s_andn2_saveexec_b32 s9, s9
	s_cbranch_execz .LBB98_196
.LBB98_312:
	v_add_f32_e64 v1, 0x46000000, |v0|
	s_andn2_b32 s8, s8, exec_lo
	v_and_b32_e32 v1, 0xff, v1
	v_cmp_ne_u32_e32 vcc_lo, 0, v1
	s_and_b32 s10, vcc_lo, exec_lo
	s_or_b32 s8, s8, s10
	s_or_b32 exec_lo, exec_lo, s9
	v_mov_b32_e32 v4, 0
	s_and_saveexec_b32 s9, s8
	s_cbranch_execnz .LBB98_197
	s_branch .LBB98_198
.LBB98_313:
	s_mov_b32 s8, -1
	s_mov_b32 s7, 0
	s_mov_b32 s4, s56
	s_branch .LBB98_323
.LBB98_314:
	s_andn2_saveexec_b32 s9, s9
	s_cbranch_execz .LBB98_209
.LBB98_315:
	v_add_f32_e64 v1, 0x42800000, |v0|
	s_andn2_b32 s8, s8, exec_lo
	v_and_b32_e32 v1, 0xff, v1
	v_cmp_ne_u32_e32 vcc_lo, 0, v1
	s_and_b32 s10, vcc_lo, exec_lo
	s_or_b32 s8, s8, s10
	s_or_b32 exec_lo, exec_lo, s9
	v_mov_b32_e32 v4, 0
	s_and_saveexec_b32 s9, s8
	s_cbranch_execnz .LBB98_210
	s_branch .LBB98_211
.LBB98_316:
	s_mov_b32 s8, -1
	s_mov_b32 s7, 0
	s_mov_b32 s4, s56
.LBB98_317:
	s_and_b32 vcc_lo, exec_lo, s8
	s_cbranch_vccz .LBB98_322
; %bb.318:
	s_cmp_eq_u32 s6, 44
	s_mov_b32 s4, -1
	s_cbranch_scc0 .LBB98_322
; %bb.319:
	v_bfe_u32 v4, v0, 23, 8
	v_mov_b32_e32 v1, 0xff
	s_mov_b32 s7, exec_lo
	v_cmpx_ne_u32_e32 0xff, v4
	s_cbranch_execz .LBB98_321
; %bb.320:
	v_and_b32_e32 v1, 0x400000, v0
	v_and_or_b32 v4, 0x3fffff, v0, v4
	v_cmp_ne_u32_e32 vcc_lo, 0, v1
	v_cmp_ne_u32_e64 s4, 0, v4
	v_lshrrev_b32_e32 v1, 23, v0
	s_and_b32 s4, vcc_lo, s4
	v_cndmask_b32_e64 v4, 0, 1, s4
	v_add_nc_u32_e32 v1, v1, v4
.LBB98_321:
	s_or_b32 exec_lo, exec_lo, s7
	s_mov_b32 s7, -1
	s_mov_b32 s4, 0
	global_store_byte v[2:3], v1, off
.LBB98_322:
	s_mov_b32 s8, 0
.LBB98_323:
	s_and_b32 vcc_lo, exec_lo, s8
	s_cbranch_vccz .LBB98_326
; %bb.324:
	s_cmp_eq_u32 s6, 29
	s_mov_b32 s4, -1
	s_cbranch_scc0 .LBB98_326
; %bb.325:
	v_trunc_f32_e32 v1, v0
	s_mov_b32 s7, -1
	s_mov_b32 s4, 0
	s_mov_b32 s8, 0
	v_mul_f32_e32 v4, 0x2f800000, v1
	v_floor_f32_e32 v4, v4
	v_fmamk_f32 v1, v4, 0xcf800000, v1
	v_cvt_u32_f32_e32 v5, v4
	v_cvt_u32_f32_e32 v4, v1
	global_store_dwordx2 v[2:3], v[4:5], off
	s_branch .LBB98_327
.LBB98_326:
	s_mov_b32 s8, 0
.LBB98_327:
	s_and_b32 vcc_lo, exec_lo, s8
	s_cbranch_vccz .LBB98_343
; %bb.328:
	s_cmp_lt_i32 s6, 27
	s_mov_b32 s7, -1
	s_cbranch_scc1 .LBB98_334
; %bb.329:
	v_cvt_u32_f32_e32 v1, v0
	s_cmp_gt_i32 s6, 27
	s_cbranch_scc0 .LBB98_331
; %bb.330:
	s_mov_b32 s7, 0
	global_store_dword v[2:3], v1, off
.LBB98_331:
	s_andn2_b32 vcc_lo, exec_lo, s7
	s_cbranch_vccnz .LBB98_333
; %bb.332:
	global_store_short v[2:3], v1, off
.LBB98_333:
	s_mov_b32 s7, 0
.LBB98_334:
	s_andn2_b32 vcc_lo, exec_lo, s7
	s_cbranch_vccnz .LBB98_342
; %bb.335:
	v_and_b32_e32 v1, 0x7fffffff, v0
	v_mov_b32_e32 v4, 0x80
	s_mov_b32 s7, exec_lo
	v_cmpx_gt_u32_e32 0x43800000, v1
	s_cbranch_execz .LBB98_341
; %bb.336:
	v_cmp_lt_u32_e32 vcc_lo, 0x3bffffff, v1
	s_mov_b32 s8, 0
                                        ; implicit-def: $vgpr1
	s_and_saveexec_b32 s9, vcc_lo
	s_xor_b32 s9, exec_lo, s9
	s_cbranch_execz .LBB98_454
; %bb.337:
	v_bfe_u32 v1, v0, 20, 1
	s_mov_b32 s8, exec_lo
	v_add3_u32 v1, v0, v1, 0x487ffff
	v_lshrrev_b32_e32 v1, 20, v1
	s_andn2_saveexec_b32 s9, s9
	s_cbranch_execnz .LBB98_455
.LBB98_338:
	s_or_b32 exec_lo, exec_lo, s9
	v_mov_b32_e32 v4, 0
	s_and_saveexec_b32 s9, s8
.LBB98_339:
	v_lshrrev_b32_e32 v4, 24, v0
	v_and_or_b32 v4, 0x80, v4, v1
.LBB98_340:
	s_or_b32 exec_lo, exec_lo, s9
.LBB98_341:
	s_or_b32 exec_lo, exec_lo, s7
	global_store_byte v[2:3], v4, off
.LBB98_342:
	s_mov_b32 s7, -1
.LBB98_343:
	s_mov_b32 s8, 0
.LBB98_344:
	s_and_b32 vcc_lo, exec_lo, s8
	s_cbranch_vccz .LBB98_385
; %bb.345:
	s_cmp_gt_i32 s6, 22
	s_mov_b32 s8, -1
	s_cbranch_scc0 .LBB98_377
; %bb.346:
	s_cmp_lt_i32 s6, 24
	s_mov_b32 s7, -1
	s_cbranch_scc1 .LBB98_366
; %bb.347:
	s_cmp_gt_i32 s6, 24
	s_cbranch_scc0 .LBB98_355
; %bb.348:
	v_and_b32_e32 v1, 0x7fffffff, v0
	v_mov_b32_e32 v4, 0x80
	s_mov_b32 s7, exec_lo
	v_cmpx_gt_u32_e32 0x47800000, v1
	s_cbranch_execz .LBB98_354
; %bb.349:
	v_cmp_lt_u32_e32 vcc_lo, 0x37ffffff, v1
	s_mov_b32 s8, 0
                                        ; implicit-def: $vgpr1
	s_and_saveexec_b32 s9, vcc_lo
	s_xor_b32 s9, exec_lo, s9
	s_cbranch_execz .LBB98_456
; %bb.350:
	v_bfe_u32 v1, v0, 21, 1
	s_mov_b32 s8, exec_lo
	v_add3_u32 v1, v0, v1, 0x88fffff
	v_lshrrev_b32_e32 v1, 21, v1
	s_andn2_saveexec_b32 s9, s9
	s_cbranch_execnz .LBB98_457
.LBB98_351:
	s_or_b32 exec_lo, exec_lo, s9
	v_mov_b32_e32 v4, 0
	s_and_saveexec_b32 s9, s8
.LBB98_352:
	v_lshrrev_b32_e32 v4, 24, v0
	v_and_or_b32 v4, 0x80, v4, v1
.LBB98_353:
	s_or_b32 exec_lo, exec_lo, s9
.LBB98_354:
	s_or_b32 exec_lo, exec_lo, s7
	s_mov_b32 s7, 0
	global_store_byte v[2:3], v4, off
.LBB98_355:
	s_and_b32 vcc_lo, exec_lo, s7
	s_cbranch_vccz .LBB98_365
; %bb.356:
	v_and_b32_e32 v4, 0x7fffffff, v0
	s_mov_b32 s7, exec_lo
                                        ; implicit-def: $vgpr1
	v_cmpx_gt_u32_e32 0x43f00000, v4
	s_xor_b32 s7, exec_lo, s7
	s_cbranch_execz .LBB98_362
; %bb.357:
	s_mov_b32 s8, exec_lo
                                        ; implicit-def: $vgpr1
	v_cmpx_lt_u32_e32 0x3c7fffff, v4
	s_xor_b32 s8, exec_lo, s8
; %bb.358:
	v_bfe_u32 v1, v0, 20, 1
	v_add3_u32 v1, v0, v1, 0x407ffff
	v_and_b32_e32 v4, 0xff00000, v1
	v_lshrrev_b32_e32 v1, 20, v1
	v_cmp_ne_u32_e32 vcc_lo, 0x7f00000, v4
	v_cndmask_b32_e32 v1, 0x7e, v1, vcc_lo
; %bb.359:
	s_andn2_saveexec_b32 s8, s8
; %bb.360:
	v_add_f32_e64 v1, 0x46800000, |v0|
; %bb.361:
	s_or_b32 exec_lo, exec_lo, s8
                                        ; implicit-def: $vgpr4
.LBB98_362:
	s_andn2_saveexec_b32 s7, s7
; %bb.363:
	v_mov_b32_e32 v1, 0x7f
	v_cmp_lt_u32_e32 vcc_lo, 0x7f800000, v4
	v_cndmask_b32_e32 v1, 0x7e, v1, vcc_lo
; %bb.364:
	s_or_b32 exec_lo, exec_lo, s7
	v_lshrrev_b32_e32 v4, 24, v0
	v_and_or_b32 v1, 0x80, v4, v1
	global_store_byte v[2:3], v1, off
.LBB98_365:
	s_mov_b32 s7, 0
.LBB98_366:
	s_andn2_b32 vcc_lo, exec_lo, s7
	s_cbranch_vccnz .LBB98_376
; %bb.367:
	v_and_b32_e32 v4, 0x7fffffff, v0
	s_mov_b32 s7, exec_lo
                                        ; implicit-def: $vgpr1
	v_cmpx_gt_u32_e32 0x47800000, v4
	s_xor_b32 s7, exec_lo, s7
	s_cbranch_execz .LBB98_373
; %bb.368:
	s_mov_b32 s8, exec_lo
                                        ; implicit-def: $vgpr1
	v_cmpx_lt_u32_e32 0x387fffff, v4
	s_xor_b32 s8, exec_lo, s8
; %bb.369:
	v_bfe_u32 v1, v0, 21, 1
	v_add3_u32 v1, v0, v1, 0x80fffff
	v_lshrrev_b32_e32 v1, 21, v1
; %bb.370:
	s_andn2_saveexec_b32 s8, s8
; %bb.371:
	v_add_f32_e64 v1, 0x43000000, |v0|
; %bb.372:
	s_or_b32 exec_lo, exec_lo, s8
                                        ; implicit-def: $vgpr4
.LBB98_373:
	s_andn2_saveexec_b32 s7, s7
; %bb.374:
	v_mov_b32_e32 v1, 0x7f
	v_cmp_lt_u32_e32 vcc_lo, 0x7f800000, v4
	v_cndmask_b32_e32 v1, 0x7c, v1, vcc_lo
; %bb.375:
	s_or_b32 exec_lo, exec_lo, s7
	v_lshrrev_b32_e32 v4, 24, v0
	v_and_or_b32 v1, 0x80, v4, v1
	global_store_byte v[2:3], v1, off
.LBB98_376:
	s_mov_b32 s8, 0
	s_mov_b32 s7, -1
.LBB98_377:
	s_andn2_b32 vcc_lo, exec_lo, s8
	s_cbranch_vccnz .LBB98_385
; %bb.378:
	s_cmp_gt_i32 s6, 14
	s_mov_b32 s8, -1
	s_cbranch_scc0 .LBB98_382
; %bb.379:
	s_cmp_eq_u32 s6, 15
	s_mov_b32 s4, -1
	s_cbranch_scc0 .LBB98_381
; %bb.380:
	v_bfe_u32 v1, v0, 16, 1
	v_cmp_o_f32_e32 vcc_lo, v0, v0
	v_mov_b32_e32 v4, 0x7fc0
	s_mov_b32 s7, -1
	s_mov_b32 s4, 0
	v_add3_u32 v1, v0, v1, 0x7fff
	v_cndmask_b32_sdwa v1, v4, v1, vcc_lo dst_sel:DWORD dst_unused:UNUSED_PAD src0_sel:DWORD src1_sel:WORD_1
	global_store_short v[2:3], v1, off
.LBB98_381:
	s_mov_b32 s8, 0
.LBB98_382:
	s_and_b32 vcc_lo, exec_lo, s8
	s_cbranch_vccz .LBB98_385
; %bb.383:
	s_cmp_eq_u32 s6, 11
	s_mov_b32 s4, -1
	s_cbranch_scc0 .LBB98_385
; %bb.384:
	v_cmp_neq_f32_e32 vcc_lo, 0, v0
	s_mov_b32 s4, 0
	s_mov_b32 s7, -1
	v_cndmask_b32_e64 v1, 0, 1, vcc_lo
	global_store_byte v[2:3], v1, off
.LBB98_385:
	s_mov_b32 s6, 0
.LBB98_386:
	s_and_b32 vcc_lo, exec_lo, s6
	s_cbranch_vccz .LBB98_425
; %bb.387:
	s_and_b32 s5, 0xffff, s5
	s_mov_b32 s6, -1
	s_cmp_lt_i32 s5, 5
	s_cbranch_scc1 .LBB98_408
; %bb.388:
	s_cmp_lt_i32 s5, 8
	s_cbranch_scc1 .LBB98_398
; %bb.389:
	;; [unrolled: 3-line block ×3, first 2 shown]
	s_cmp_gt_i32 s5, 9
	s_cbranch_scc0 .LBB98_392
; %bb.391:
	v_cvt_f64_f32_e32 v[4:5], v0
	v_mov_b32_e32 v6, 0
	s_mov_b32 s6, 0
	v_mov_b32_e32 v7, v6
	global_store_dwordx4 v[2:3], v[4:7], off
.LBB98_392:
	s_andn2_b32 vcc_lo, exec_lo, s6
	s_cbranch_vccnz .LBB98_394
; %bb.393:
	v_mov_b32_e32 v1, 0
	global_store_dwordx2 v[2:3], v[0:1], off
.LBB98_394:
	s_mov_b32 s6, 0
.LBB98_395:
	s_andn2_b32 vcc_lo, exec_lo, s6
	s_cbranch_vccnz .LBB98_397
; %bb.396:
	v_cvt_f16_f32_e32 v1, v0
	v_and_b32_e32 v1, 0xffff, v1
	global_store_dword v[2:3], v1, off
.LBB98_397:
	s_mov_b32 s6, 0
.LBB98_398:
	s_andn2_b32 vcc_lo, exec_lo, s6
	s_cbranch_vccnz .LBB98_407
; %bb.399:
	s_cmp_lt_i32 s5, 6
	s_mov_b32 s6, -1
	s_cbranch_scc1 .LBB98_405
; %bb.400:
	s_cmp_gt_i32 s5, 6
	s_cbranch_scc0 .LBB98_402
; %bb.401:
	v_cvt_f64_f32_e32 v[4:5], v0
	s_mov_b32 s6, 0
	global_store_dwordx2 v[2:3], v[4:5], off
.LBB98_402:
	s_andn2_b32 vcc_lo, exec_lo, s6
	s_cbranch_vccnz .LBB98_404
; %bb.403:
	global_store_dword v[2:3], v0, off
.LBB98_404:
	s_mov_b32 s6, 0
.LBB98_405:
	s_andn2_b32 vcc_lo, exec_lo, s6
	s_cbranch_vccnz .LBB98_407
; %bb.406:
	v_cvt_f16_f32_e32 v1, v0
	global_store_short v[2:3], v1, off
.LBB98_407:
	s_mov_b32 s6, 0
.LBB98_408:
	s_andn2_b32 vcc_lo, exec_lo, s6
	s_cbranch_vccnz .LBB98_424
; %bb.409:
	s_cmp_lt_i32 s5, 2
	s_mov_b32 s6, -1
	s_cbranch_scc1 .LBB98_419
; %bb.410:
	s_cmp_lt_i32 s5, 3
	s_cbranch_scc1 .LBB98_416
; %bb.411:
	s_cmp_gt_i32 s5, 3
	s_cbranch_scc0 .LBB98_413
; %bb.412:
	v_trunc_f32_e32 v1, v0
	s_mov_b32 s6, 0
	v_mul_f32_e64 v4, 0x2f800000, |v1|
	v_floor_f32_e32 v4, v4
	v_fma_f32 v5, 0xcf800000, v4, |v1|
	v_ashrrev_i32_e32 v1, 31, v1
	v_cvt_u32_f32_e32 v4, v4
	v_cvt_u32_f32_e32 v5, v5
	v_xor_b32_e32 v6, v4, v1
	v_xor_b32_e32 v5, v5, v1
	v_sub_co_u32 v4, vcc_lo, v5, v1
	v_sub_co_ci_u32_e64 v5, null, v6, v1, vcc_lo
	global_store_dwordx2 v[2:3], v[4:5], off
.LBB98_413:
	s_andn2_b32 vcc_lo, exec_lo, s6
	s_cbranch_vccnz .LBB98_415
; %bb.414:
	v_cvt_i32_f32_e32 v1, v0
	global_store_dword v[2:3], v1, off
.LBB98_415:
	s_mov_b32 s6, 0
.LBB98_416:
	s_andn2_b32 vcc_lo, exec_lo, s6
	s_cbranch_vccnz .LBB98_418
; %bb.417:
	v_cvt_i32_f32_e32 v1, v0
	global_store_short v[2:3], v1, off
.LBB98_418:
	s_mov_b32 s6, 0
.LBB98_419:
	s_andn2_b32 vcc_lo, exec_lo, s6
	s_cbranch_vccnz .LBB98_424
; %bb.420:
	s_cmp_gt_i32 s5, 0
	s_mov_b32 s5, -1
	s_cbranch_scc0 .LBB98_422
; %bb.421:
	v_cvt_i32_f32_e32 v1, v0
	s_mov_b32 s5, 0
	global_store_byte v[2:3], v1, off
.LBB98_422:
	s_andn2_b32 vcc_lo, exec_lo, s5
	s_cbranch_vccnz .LBB98_424
; %bb.423:
	v_trunc_f32_e32 v0, v0
	v_mul_f32_e64 v1, 0x2f800000, |v0|
	v_floor_f32_e32 v1, v1
	v_fma_f32 v1, 0xcf800000, v1, |v0|
	v_ashrrev_i32_e32 v0, 31, v0
	v_cvt_u32_f32_e32 v1, v1
	v_xor_b32_e32 v1, v1, v0
	v_sub_nc_u32_e32 v0, v1, v0
	global_store_byte v[2:3], v0, off
.LBB98_424:
	s_mov_b32 s7, -1
.LBB98_425:
	s_andn2_b32 vcc_lo, exec_lo, s7
	s_cbranch_vccnz .LBB98_427
; %bb.426:
	v_add_nc_u32_e32 v20, 0x80, v20
	s_mov_b32 s5, -1
	s_branch .LBB98_428
.LBB98_427:
	s_mov_b32 s5, 0
                                        ; implicit-def: $vgpr20
.LBB98_428:
	s_andn2_b32 s6, s56, exec_lo
	s_and_b32 s4, s4, exec_lo
	s_orn2_b32 s7, s5, exec_lo
	s_or_b32 s59, s6, s4
.LBB98_429:
	s_or_b32 exec_lo, exec_lo, s58
	s_mov_b32 s4, 0
	s_mov_b32 s6, 0
                                        ; implicit-def: $sgpr5
                                        ; implicit-def: $vgpr2_vgpr3
                                        ; implicit-def: $vgpr0
	s_and_saveexec_b32 s58, s7
	s_cbranch_execz .LBB98_528
; %bb.430:
	v_cmp_gt_i32_e32 vcc_lo, s51, v20
	s_mov_b32 s7, s59
                                        ; implicit-def: $sgpr5
                                        ; implicit-def: $vgpr2_vgpr3
                                        ; implicit-def: $vgpr0
	s_and_saveexec_b32 s51, vcc_lo
	s_cbranch_execz .LBB98_527
; %bb.431:
	s_andn2_b32 vcc_lo, exec_lo, s46
	s_cbranch_vccnz .LBB98_436
; %bb.432:
	s_andn2_b32 vcc_lo, exec_lo, s53
	s_cbranch_vccnz .LBB98_437
; %bb.433:
	s_add_i32 s52, s52, 1
	s_cmp_eq_u32 s44, 2
	s_cbranch_scc1 .LBB98_438
; %bb.434:
	v_mov_b32_e32 v4, 0
	v_mov_b32_e32 v18, 0
	;; [unrolled: 1-line block ×3, first 2 shown]
	s_and_b32 s6, s52, 28
	s_mov_b32 s7, 0
	s_mov_b64 s[4:5], s[28:29]
.LBB98_435:                             ; =>This Inner Loop Header: Depth=1
	s_clause 0x1
	s_load_dwordx8 s[8:15], s[4:5], 0x4
	s_load_dwordx4 s[68:71], s[4:5], 0x24
	s_load_dwordx8 s[60:67], s[42:43], 0x0
	s_add_u32 s4, s4, 48
	s_addc_u32 s5, s5, 0
	s_add_i32 s7, s7, 4
	s_add_u32 s42, s42, 32
	s_addc_u32 s43, s43, 0
	s_cmp_eq_u32 s6, s7
	s_waitcnt lgkmcnt(0)
	v_mul_hi_u32 v1, s9, v0
	v_add_nc_u32_e32 v1, v0, v1
	v_lshrrev_b32_e32 v1, s10, v1
	v_mul_hi_u32 v2, s12, v1
	v_mul_lo_u32 v5, v1, s8
	v_add_nc_u32_e32 v2, v1, v2
	v_sub_nc_u32_e32 v0, v0, v5
	v_lshrrev_b32_e32 v2, s13, v2
	v_mul_lo_u32 v5, v0, s60
	v_mul_lo_u32 v7, v0, s61
	v_mul_hi_u32 v3, s15, v2
	v_add_nc_u32_e32 v3, v2, v3
	v_lshrrev_b32_e32 v3, s68, v3
	v_mul_hi_u32 v6, s70, v3
	v_mul_lo_u32 v8, v3, s14
	v_add_nc_u32_e32 v0, v3, v6
	v_mul_lo_u32 v6, v2, s11
	v_sub_nc_u32_e32 v2, v2, v8
	v_lshrrev_b32_e32 v0, s71, v0
	v_mul_lo_u32 v8, v2, s64
	v_mul_lo_u32 v2, v2, s65
	v_sub_nc_u32_e32 v1, v1, v6
	v_mul_lo_u32 v9, v0, s69
	v_mul_lo_u32 v6, v1, s62
	;; [unrolled: 1-line block ×3, first 2 shown]
	v_sub_nc_u32_e32 v3, v3, v9
	v_add3_u32 v5, v5, v18, v6
	v_mul_lo_u32 v9, v3, s66
	v_mul_lo_u32 v3, v3, s67
	v_add3_u32 v1, v7, v4, v1
	v_add3_u32 v18, v8, v5, v9
	;; [unrolled: 1-line block ×3, first 2 shown]
	s_cbranch_scc0 .LBB98_435
	s_branch .LBB98_439
.LBB98_436:
	s_mov_b32 s4, -1
                                        ; implicit-def: $vgpr18
                                        ; implicit-def: $vgpr4
	s_branch .LBB98_443
.LBB98_437:
	v_mov_b32_e32 v18, 0
	v_mov_b32_e32 v4, 0
	s_branch .LBB98_442
.LBB98_438:
	v_mov_b32_e32 v18, 0
	v_mov_b32_e32 v4, 0
	;; [unrolled: 1-line block ×3, first 2 shown]
.LBB98_439:
	s_and_b32 s8, s52, 3
	s_cmp_eq_u32 s8, 0
	s_cbranch_scc1 .LBB98_442
; %bb.440:
	s_lshl_b32 s4, s6, 3
	s_mul_i32 s6, s6, 12
	s_add_u32 s4, s28, s4
	s_addc_u32 s5, s29, 0
	s_add_u32 s4, s4, 0xc4
	s_addc_u32 s5, s5, 0
	;; [unrolled: 2-line block ×3, first 2 shown]
.LBB98_441:                             ; =>This Inner Loop Header: Depth=1
	s_clause 0x1
	s_load_dwordx2 s[10:11], s[6:7], 0x4
	s_load_dword s9, s[6:7], 0xc
	s_load_dwordx2 s[12:13], s[4:5], 0x0
	s_add_u32 s6, s6, 12
	s_addc_u32 s7, s7, 0
	s_add_u32 s4, s4, 8
	s_addc_u32 s5, s5, 0
	s_add_i32 s8, s8, -1
	s_cmp_lg_u32 s8, 0
	s_waitcnt lgkmcnt(0)
	v_mul_hi_u32 v1, s11, v0
	v_add_nc_u32_e32 v1, v0, v1
	v_lshrrev_b32_e32 v1, s9, v1
	v_mul_lo_u32 v2, v1, s10
	v_sub_nc_u32_e32 v0, v0, v2
	v_mad_u64_u32 v[18:19], null, v0, s12, v[18:19]
	v_mad_u64_u32 v[4:5], null, v0, s13, v[4:5]
	v_mov_b32_e32 v0, v1
	s_cbranch_scc1 .LBB98_441
.LBB98_442:
	s_mov_b32 s4, 0
.LBB98_443:
	s_andn2_b32 vcc_lo, exec_lo, s4
	s_cbranch_vccnz .LBB98_446
; %bb.444:
	v_mul_hi_u32 v0, s37, v20
	s_andn2_b32 vcc_lo, exec_lo, s50
	v_add_nc_u32_e32 v0, v20, v0
	v_lshrrev_b32_e32 v0, s38, v0
	v_mul_lo_u32 v1, v0, s36
	v_sub_nc_u32_e32 v1, v20, v1
	v_mul_lo_u32 v18, v1, s24
	v_mul_lo_u32 v4, v1, s25
	s_cbranch_vccnz .LBB98_446
; %bb.445:
	v_mul_hi_u32 v1, s40, v0
	v_add_nc_u32_e32 v1, v0, v1
	v_lshrrev_b32_e32 v1, s41, v1
	v_mul_lo_u32 v1, v1, s39
	v_sub_nc_u32_e32 v0, v0, v1
	v_mad_u64_u32 v[18:19], null, v0, s26, v[18:19]
	v_mad_u64_u32 v[4:5], null, v0, s27, v[4:5]
.LBB98_446:
	v_mov_b32_e32 v0, s34
	v_mov_b32_e32 v1, s35
	;; [unrolled: 1-line block ×5, first 2 shown]
	s_getpc_b64 s[4:5]
	s_add_u32 s4, s4, _ZN2at6native6invokeIZZZNS0_21polygamma_kernel_cudaERNS_18TensorIteratorBaseElENKUlvE_clEvENKUlvE0_clEvEUlfE_j15function_traitsIS6_EEENT1_11result_typeERKT_PrKPcPKT0_PKN3c1010ScalarTypeEi@rel32@lo+4
	s_addc_u32 s5, s5, _ZN2at6native6invokeIZZZNS0_21polygamma_kernel_cudaERNS_18TensorIteratorBaseElENKUlvE_clEvENKUlvE0_clEvEUlfE_j15function_traitsIS6_EEENT1_11result_typeERKT_PrKPcPKT0_PKN3c1010ScalarTypeEi@rel32@hi+12
	s_swappc_b64 s[30:31], s[4:5]
	v_add_co_u32 v2, s4, s20, v18
	v_add_co_ci_u32_e64 v3, null, s21, 0, s4
	s_and_b32 s5, s48, 0xff
	s_cmp_lt_i32 s5, 11
	s_cbranch_scc1 .LBB98_453
; %bb.447:
	s_and_b32 s6, 0xffff, s5
	s_mov_b32 s7, -1
	s_cmp_gt_i32 s6, 25
	s_mov_b32 s4, s59
	s_cbranch_scc0 .LBB98_485
; %bb.448:
	s_cmp_gt_i32 s6, 28
	s_mov_b32 s4, s59
	s_cbranch_scc0 .LBB98_469
; %bb.449:
	;; [unrolled: 4-line block ×4, first 2 shown]
	s_cmp_eq_u32 s6, 46
	s_mov_b32 s4, -1
	s_cbranch_scc0 .LBB98_458
; %bb.452:
	v_bfe_u32 v1, v0, 16, 1
	v_cmp_o_f32_e32 vcc_lo, v0, v0
	v_mov_b32_e32 v4, 0x7fc0
	s_mov_b32 s4, 0
	s_mov_b32 s7, 0
	v_add3_u32 v1, v0, v1, 0x7fff
	v_cndmask_b32_sdwa v1, v4, v1, vcc_lo dst_sel:DWORD dst_unused:UNUSED_PAD src0_sel:DWORD src1_sel:WORD_1
	global_store_dword v[2:3], v1, off
	s_branch .LBB98_459
.LBB98_453:
	s_mov_b32 s8, 0
	s_mov_b32 s7, -1
	s_mov_b32 s4, s59
	s_branch .LBB98_526
.LBB98_454:
	s_andn2_saveexec_b32 s9, s9
	s_cbranch_execz .LBB98_338
.LBB98_455:
	v_add_f32_e64 v1, 0x46000000, |v0|
	s_andn2_b32 s8, s8, exec_lo
	v_and_b32_e32 v1, 0xff, v1
	v_cmp_ne_u32_e32 vcc_lo, 0, v1
	s_and_b32 s10, vcc_lo, exec_lo
	s_or_b32 s8, s8, s10
	s_or_b32 exec_lo, exec_lo, s9
	v_mov_b32_e32 v4, 0
	s_and_saveexec_b32 s9, s8
	s_cbranch_execnz .LBB98_339
	s_branch .LBB98_340
.LBB98_456:
	s_andn2_saveexec_b32 s9, s9
	s_cbranch_execz .LBB98_351
.LBB98_457:
	v_add_f32_e64 v1, 0x42800000, |v0|
	s_andn2_b32 s8, s8, exec_lo
	v_and_b32_e32 v1, 0xff, v1
	v_cmp_ne_u32_e32 vcc_lo, 0, v1
	s_and_b32 s10, vcc_lo, exec_lo
	s_or_b32 s8, s8, s10
	s_or_b32 exec_lo, exec_lo, s9
	v_mov_b32_e32 v4, 0
	s_and_saveexec_b32 s9, s8
	s_cbranch_execnz .LBB98_352
	s_branch .LBB98_353
.LBB98_458:
	s_mov_b32 s7, 0
.LBB98_459:
	s_and_b32 vcc_lo, exec_lo, s7
	s_cbranch_vccz .LBB98_464
; %bb.460:
	s_cmp_eq_u32 s6, 44
	s_mov_b32 s4, -1
	s_cbranch_scc0 .LBB98_464
; %bb.461:
	v_bfe_u32 v4, v0, 23, 8
	v_mov_b32_e32 v1, 0xff
	s_mov_b32 s7, exec_lo
	v_cmpx_ne_u32_e32 0xff, v4
	s_cbranch_execz .LBB98_463
; %bb.462:
	v_and_b32_e32 v1, 0x400000, v0
	v_and_or_b32 v4, 0x3fffff, v0, v4
	v_cmp_ne_u32_e32 vcc_lo, 0, v1
	v_cmp_ne_u32_e64 s4, 0, v4
	v_lshrrev_b32_e32 v1, 23, v0
	s_and_b32 s4, vcc_lo, s4
	v_cndmask_b32_e64 v4, 0, 1, s4
	v_add_nc_u32_e32 v1, v1, v4
.LBB98_463:
	s_or_b32 exec_lo, exec_lo, s7
	s_mov_b32 s4, 0
	global_store_byte v[2:3], v1, off
.LBB98_464:
	s_mov_b32 s7, 0
.LBB98_465:
	s_and_b32 vcc_lo, exec_lo, s7
	s_cbranch_vccz .LBB98_468
; %bb.466:
	s_cmp_eq_u32 s6, 29
	s_mov_b32 s4, -1
	s_cbranch_scc0 .LBB98_468
; %bb.467:
	v_trunc_f32_e32 v1, v0
	s_mov_b32 s4, 0
	s_mov_b32 s7, 0
	v_mul_f32_e32 v4, 0x2f800000, v1
	v_floor_f32_e32 v4, v4
	v_fmamk_f32 v1, v4, 0xcf800000, v1
	v_cvt_u32_f32_e32 v5, v4
	v_cvt_u32_f32_e32 v4, v1
	global_store_dwordx2 v[2:3], v[4:5], off
	s_branch .LBB98_469
.LBB98_468:
	s_mov_b32 s7, 0
.LBB98_469:
	s_and_b32 vcc_lo, exec_lo, s7
	s_cbranch_vccz .LBB98_484
; %bb.470:
	s_cmp_lt_i32 s6, 27
	s_mov_b32 s7, -1
	s_cbranch_scc1 .LBB98_476
; %bb.471:
	v_cvt_u32_f32_e32 v1, v0
	s_cmp_gt_i32 s6, 27
	s_cbranch_scc0 .LBB98_473
; %bb.472:
	s_mov_b32 s7, 0
	global_store_dword v[2:3], v1, off
.LBB98_473:
	s_andn2_b32 vcc_lo, exec_lo, s7
	s_cbranch_vccnz .LBB98_475
; %bb.474:
	global_store_short v[2:3], v1, off
.LBB98_475:
	s_mov_b32 s7, 0
.LBB98_476:
	s_andn2_b32 vcc_lo, exec_lo, s7
	s_cbranch_vccnz .LBB98_484
; %bb.477:
	v_and_b32_e32 v1, 0x7fffffff, v0
	v_mov_b32_e32 v4, 0x80
	s_mov_b32 s7, exec_lo
	v_cmpx_gt_u32_e32 0x43800000, v1
	s_cbranch_execz .LBB98_483
; %bb.478:
	v_cmp_lt_u32_e32 vcc_lo, 0x3bffffff, v1
	s_mov_b32 s8, 0
                                        ; implicit-def: $vgpr1
	s_and_saveexec_b32 s9, vcc_lo
	s_xor_b32 s9, exec_lo, s9
	s_cbranch_execz .LBB98_1121
; %bb.479:
	v_bfe_u32 v1, v0, 20, 1
	s_mov_b32 s8, exec_lo
	v_add3_u32 v1, v0, v1, 0x487ffff
	v_lshrrev_b32_e32 v1, 20, v1
	s_andn2_saveexec_b32 s9, s9
	s_cbranch_execnz .LBB98_1122
.LBB98_480:
	s_or_b32 exec_lo, exec_lo, s9
	v_mov_b32_e32 v4, 0
	s_and_saveexec_b32 s9, s8
.LBB98_481:
	v_lshrrev_b32_e32 v4, 24, v0
	v_and_or_b32 v4, 0x80, v4, v1
.LBB98_482:
	s_or_b32 exec_lo, exec_lo, s9
.LBB98_483:
	s_or_b32 exec_lo, exec_lo, s7
	global_store_byte v[2:3], v4, off
.LBB98_484:
	s_mov_b32 s7, 0
.LBB98_485:
	s_and_b32 vcc_lo, exec_lo, s7
	s_mov_b32 s7, 0
	s_cbranch_vccz .LBB98_525
; %bb.486:
	s_cmp_gt_i32 s6, 22
	s_mov_b32 s8, -1
	s_cbranch_scc0 .LBB98_518
; %bb.487:
	s_cmp_lt_i32 s6, 24
	s_cbranch_scc1 .LBB98_507
; %bb.488:
	s_cmp_gt_i32 s6, 24
	s_cbranch_scc0 .LBB98_496
; %bb.489:
	v_and_b32_e32 v1, 0x7fffffff, v0
	v_mov_b32_e32 v4, 0x80
	s_mov_b32 s8, exec_lo
	v_cmpx_gt_u32_e32 0x47800000, v1
	s_cbranch_execz .LBB98_495
; %bb.490:
	v_cmp_lt_u32_e32 vcc_lo, 0x37ffffff, v1
	s_mov_b32 s9, 0
                                        ; implicit-def: $vgpr1
	s_and_saveexec_b32 s10, vcc_lo
	s_xor_b32 s10, exec_lo, s10
	s_cbranch_execz .LBB98_1125
; %bb.491:
	v_bfe_u32 v1, v0, 21, 1
	s_mov_b32 s9, exec_lo
	v_add3_u32 v1, v0, v1, 0x88fffff
	v_lshrrev_b32_e32 v1, 21, v1
	s_andn2_saveexec_b32 s10, s10
	s_cbranch_execnz .LBB98_1126
.LBB98_492:
	s_or_b32 exec_lo, exec_lo, s10
	v_mov_b32_e32 v4, 0
	s_and_saveexec_b32 s10, s9
.LBB98_493:
	v_lshrrev_b32_e32 v4, 24, v0
	v_and_or_b32 v4, 0x80, v4, v1
.LBB98_494:
	s_or_b32 exec_lo, exec_lo, s10
.LBB98_495:
	s_or_b32 exec_lo, exec_lo, s8
	s_mov_b32 s8, 0
	global_store_byte v[2:3], v4, off
.LBB98_496:
	s_and_b32 vcc_lo, exec_lo, s8
	s_cbranch_vccz .LBB98_506
; %bb.497:
	v_and_b32_e32 v4, 0x7fffffff, v0
	s_mov_b32 s8, exec_lo
                                        ; implicit-def: $vgpr1
	v_cmpx_gt_u32_e32 0x43f00000, v4
	s_xor_b32 s8, exec_lo, s8
	s_cbranch_execz .LBB98_503
; %bb.498:
	s_mov_b32 s9, exec_lo
                                        ; implicit-def: $vgpr1
	v_cmpx_lt_u32_e32 0x3c7fffff, v4
	s_xor_b32 s9, exec_lo, s9
; %bb.499:
	v_bfe_u32 v1, v0, 20, 1
	v_add3_u32 v1, v0, v1, 0x407ffff
	v_and_b32_e32 v4, 0xff00000, v1
	v_lshrrev_b32_e32 v1, 20, v1
	v_cmp_ne_u32_e32 vcc_lo, 0x7f00000, v4
	v_cndmask_b32_e32 v1, 0x7e, v1, vcc_lo
; %bb.500:
	s_andn2_saveexec_b32 s9, s9
; %bb.501:
	v_add_f32_e64 v1, 0x46800000, |v0|
; %bb.502:
	s_or_b32 exec_lo, exec_lo, s9
                                        ; implicit-def: $vgpr4
.LBB98_503:
	s_andn2_saveexec_b32 s8, s8
; %bb.504:
	v_mov_b32_e32 v1, 0x7f
	v_cmp_lt_u32_e32 vcc_lo, 0x7f800000, v4
	v_cndmask_b32_e32 v1, 0x7e, v1, vcc_lo
; %bb.505:
	s_or_b32 exec_lo, exec_lo, s8
	v_lshrrev_b32_e32 v4, 24, v0
	v_and_or_b32 v1, 0x80, v4, v1
	global_store_byte v[2:3], v1, off
.LBB98_506:
	s_mov_b32 s8, 0
.LBB98_507:
	s_andn2_b32 vcc_lo, exec_lo, s8
	s_cbranch_vccnz .LBB98_517
; %bb.508:
	v_and_b32_e32 v4, 0x7fffffff, v0
	s_mov_b32 s8, exec_lo
                                        ; implicit-def: $vgpr1
	v_cmpx_gt_u32_e32 0x47800000, v4
	s_xor_b32 s8, exec_lo, s8
	s_cbranch_execz .LBB98_514
; %bb.509:
	s_mov_b32 s9, exec_lo
                                        ; implicit-def: $vgpr1
	v_cmpx_lt_u32_e32 0x387fffff, v4
	s_xor_b32 s9, exec_lo, s9
; %bb.510:
	v_bfe_u32 v1, v0, 21, 1
	v_add3_u32 v1, v0, v1, 0x80fffff
	v_lshrrev_b32_e32 v1, 21, v1
; %bb.511:
	s_andn2_saveexec_b32 s9, s9
; %bb.512:
	v_add_f32_e64 v1, 0x43000000, |v0|
; %bb.513:
	s_or_b32 exec_lo, exec_lo, s9
                                        ; implicit-def: $vgpr4
.LBB98_514:
	s_andn2_saveexec_b32 s8, s8
; %bb.515:
	v_mov_b32_e32 v1, 0x7f
	v_cmp_lt_u32_e32 vcc_lo, 0x7f800000, v4
	v_cndmask_b32_e32 v1, 0x7c, v1, vcc_lo
; %bb.516:
	s_or_b32 exec_lo, exec_lo, s8
	v_lshrrev_b32_e32 v4, 24, v0
	v_and_or_b32 v1, 0x80, v4, v1
	global_store_byte v[2:3], v1, off
.LBB98_517:
	s_mov_b32 s8, 0
.LBB98_518:
	s_andn2_b32 vcc_lo, exec_lo, s8
	s_mov_b32 s8, 0
	s_cbranch_vccnz .LBB98_526
; %bb.519:
	s_cmp_gt_i32 s6, 14
	s_mov_b32 s8, -1
	s_cbranch_scc0 .LBB98_523
; %bb.520:
	s_cmp_eq_u32 s6, 15
	s_mov_b32 s4, -1
	s_cbranch_scc0 .LBB98_522
; %bb.521:
	v_bfe_u32 v1, v0, 16, 1
	v_cmp_o_f32_e32 vcc_lo, v0, v0
	v_mov_b32_e32 v4, 0x7fc0
	s_mov_b32 s4, 0
	v_add3_u32 v1, v0, v1, 0x7fff
	v_cndmask_b32_sdwa v1, v4, v1, vcc_lo dst_sel:DWORD dst_unused:UNUSED_PAD src0_sel:DWORD src1_sel:WORD_1
	global_store_short v[2:3], v1, off
.LBB98_522:
	s_mov_b32 s8, 0
.LBB98_523:
	s_and_b32 vcc_lo, exec_lo, s8
	s_mov_b32 s8, 0
	s_cbranch_vccz .LBB98_526
; %bb.524:
	s_cmp_lg_u32 s6, 11
	s_mov_b32 s8, -1
	s_cselect_b32 s6, -1, 0
	s_andn2_b32 s4, s4, exec_lo
	s_and_b32 s6, s6, exec_lo
	s_or_b32 s4, s4, s6
	s_branch .LBB98_526
.LBB98_525:
	s_mov_b32 s8, 0
.LBB98_526:
	s_and_b32 s6, s7, exec_lo
	s_andn2_b32 s7, s59, exec_lo
	s_and_b32 s9, s4, exec_lo
	s_and_b32 s4, s8, exec_lo
	s_or_b32 s7, s7, s9
.LBB98_527:
	s_or_b32 exec_lo, exec_lo, s51
	s_andn2_b32 s8, s59, exec_lo
	s_and_b32 s7, s7, exec_lo
	s_and_b32 s6, s6, exec_lo
	;; [unrolled: 1-line block ×3, first 2 shown]
	s_or_b32 s59, s8, s7
.LBB98_528:
	s_or_b32 exec_lo, exec_lo, s58
	s_andn2_b32 s7, s56, exec_lo
	s_and_b32 s8, s59, exec_lo
	s_and_b32 s6, s6, exec_lo
	;; [unrolled: 1-line block ×3, first 2 shown]
	s_or_b32 s56, s7, s8
.LBB98_529:
	s_or_b32 exec_lo, exec_lo, s57
	s_andn2_b32 s7, s54, exec_lo
	s_and_b32 s8, s56, exec_lo
	s_and_b32 s6, s6, exec_lo
	;; [unrolled: 1-line block ×3, first 2 shown]
	s_or_b32 s54, s7, s8
	s_or_b32 exec_lo, exec_lo, s55
	s_mov_b32 s4, 0
	s_and_saveexec_b32 s7, s54
	s_cbranch_execz .LBB98_146
.LBB98_530:
	s_mov_b32 s4, exec_lo
	s_andn2_b32 s56, s56, exec_lo
	s_trap 2
	s_or_b32 exec_lo, exec_lo, s7
	s_and_saveexec_b32 s7, s56
	s_xor_b32 s7, exec_lo, s7
	s_cbranch_execnz .LBB98_147
.LBB98_531:
	s_or_b32 exec_lo, exec_lo, s7
	s_and_saveexec_b32 s7, s6
	s_xor_b32 s6, exec_lo, s7
	s_cbranch_execz .LBB98_569
.LBB98_532:
	s_sext_i32_i16 s8, s5
	s_mov_b32 s7, -1
	s_cmp_lt_i32 s8, 5
	s_cbranch_scc1 .LBB98_553
; %bb.533:
	s_cmp_lt_i32 s8, 8
	s_cbranch_scc1 .LBB98_543
; %bb.534:
	;; [unrolled: 3-line block ×3, first 2 shown]
	s_cmp_gt_i32 s8, 9
	s_cbranch_scc0 .LBB98_537
; %bb.536:
	v_cvt_f64_f32_e32 v[4:5], v0
	v_mov_b32_e32 v6, 0
	s_mov_b32 s7, 0
	v_mov_b32_e32 v7, v6
	global_store_dwordx4 v[2:3], v[4:7], off
.LBB98_537:
	s_andn2_b32 vcc_lo, exec_lo, s7
	s_cbranch_vccnz .LBB98_539
; %bb.538:
	v_mov_b32_e32 v1, 0
	global_store_dwordx2 v[2:3], v[0:1], off
.LBB98_539:
	s_mov_b32 s7, 0
.LBB98_540:
	s_andn2_b32 vcc_lo, exec_lo, s7
	s_cbranch_vccnz .LBB98_542
; %bb.541:
	v_cvt_f16_f32_e32 v1, v0
	v_and_b32_e32 v1, 0xffff, v1
	global_store_dword v[2:3], v1, off
.LBB98_542:
	s_mov_b32 s7, 0
.LBB98_543:
	s_andn2_b32 vcc_lo, exec_lo, s7
	s_cbranch_vccnz .LBB98_552
; %bb.544:
	s_sext_i32_i16 s8, s5
	s_mov_b32 s7, -1
	s_cmp_lt_i32 s8, 6
	s_cbranch_scc1 .LBB98_550
; %bb.545:
	s_cmp_gt_i32 s8, 6
	s_cbranch_scc0 .LBB98_547
; %bb.546:
	v_cvt_f64_f32_e32 v[4:5], v0
	s_mov_b32 s7, 0
	global_store_dwordx2 v[2:3], v[4:5], off
.LBB98_547:
	s_andn2_b32 vcc_lo, exec_lo, s7
	s_cbranch_vccnz .LBB98_549
; %bb.548:
	global_store_dword v[2:3], v0, off
.LBB98_549:
	s_mov_b32 s7, 0
.LBB98_550:
	s_andn2_b32 vcc_lo, exec_lo, s7
	s_cbranch_vccnz .LBB98_552
; %bb.551:
	v_cvt_f16_f32_e32 v1, v0
	global_store_short v[2:3], v1, off
.LBB98_552:
	s_mov_b32 s7, 0
.LBB98_553:
	s_andn2_b32 vcc_lo, exec_lo, s7
	s_cbranch_vccnz .LBB98_569
; %bb.554:
	s_sext_i32_i16 s8, s5
	s_mov_b32 s7, -1
	s_cmp_lt_i32 s8, 2
	s_cbranch_scc1 .LBB98_564
; %bb.555:
	s_cmp_lt_i32 s8, 3
	s_cbranch_scc1 .LBB98_561
; %bb.556:
	s_cmp_gt_i32 s8, 3
	s_cbranch_scc0 .LBB98_558
; %bb.557:
	v_trunc_f32_e32 v1, v0
	s_mov_b32 s7, 0
	v_mul_f32_e64 v4, 0x2f800000, |v1|
	v_floor_f32_e32 v4, v4
	v_fma_f32 v5, 0xcf800000, v4, |v1|
	v_ashrrev_i32_e32 v1, 31, v1
	v_cvt_u32_f32_e32 v4, v4
	v_cvt_u32_f32_e32 v5, v5
	v_xor_b32_e32 v6, v4, v1
	v_xor_b32_e32 v5, v5, v1
	v_sub_co_u32 v4, vcc_lo, v5, v1
	v_sub_co_ci_u32_e64 v5, null, v6, v1, vcc_lo
	global_store_dwordx2 v[2:3], v[4:5], off
.LBB98_558:
	s_andn2_b32 vcc_lo, exec_lo, s7
	s_cbranch_vccnz .LBB98_560
; %bb.559:
	v_cvt_i32_f32_e32 v1, v0
	global_store_dword v[2:3], v1, off
.LBB98_560:
	s_mov_b32 s7, 0
.LBB98_561:
	s_andn2_b32 vcc_lo, exec_lo, s7
	s_cbranch_vccnz .LBB98_563
; %bb.562:
	v_cvt_i32_f32_e32 v1, v0
	global_store_short v[2:3], v1, off
.LBB98_563:
	s_mov_b32 s7, 0
.LBB98_564:
	s_andn2_b32 vcc_lo, exec_lo, s7
	s_cbranch_vccnz .LBB98_569
; %bb.565:
	s_sext_i32_i16 s5, s5
	s_cmp_gt_i32 s5, 0
	s_mov_b32 s5, -1
	s_cbranch_scc0 .LBB98_567
; %bb.566:
	v_cvt_i32_f32_e32 v1, v0
	s_mov_b32 s5, 0
	global_store_byte v[2:3], v1, off
.LBB98_567:
	s_andn2_b32 vcc_lo, exec_lo, s5
	s_cbranch_vccnz .LBB98_569
; %bb.568:
	v_trunc_f32_e32 v0, v0
	v_mul_f32_e64 v1, 0x2f800000, |v0|
	v_floor_f32_e32 v1, v1
	v_fma_f32 v1, 0xcf800000, v1, |v0|
	v_ashrrev_i32_e32 v0, 31, v0
	v_cvt_u32_f32_e32 v1, v1
	v_xor_b32_e32 v1, v1, v0
	v_sub_nc_u32_e32 v0, v1, v0
	global_store_byte v[2:3], v0, off
.LBB98_569:
	s_or_b32 exec_lo, exec_lo, s6
	s_and_b32 s24, s4, exec_lo
                                        ; implicit-def: $vgpr1
                                        ; implicit-def: $vgpr20
.LBB98_570:
	s_or_saveexec_b32 s25, s47
	s_mov_b32 s4, 0
                                        ; implicit-def: $sgpr5
                                        ; implicit-def: $vgpr2_vgpr3
                                        ; implicit-def: $vgpr0
	s_xor_b32 exec_lo, exec_lo, s25
	s_cbranch_execz .LBB98_1059
; %bb.571:
	v_cndmask_b32_e64 v0, 0, 1, s46
	s_andn2_b32 vcc_lo, exec_lo, s46
	s_cbranch_vccnz .LBB98_577
; %bb.572:
	s_cmp_lg_u32 s33, 0
	s_mov_b32 s8, 0
	s_cbranch_scc0 .LBB98_578
; %bb.573:
	s_min_u32 s10, s44, 15
	s_add_i32 s10, s10, 1
	s_cmp_eq_u32 s44, 2
	s_cbranch_scc1 .LBB98_579
; %bb.574:
	v_mov_b32_e32 v4, 0
	v_mov_b32_e32 v30, 0
	;; [unrolled: 1-line block ×3, first 2 shown]
	s_and_b32 s9, s10, 28
	s_add_u32 s4, s28, 0xc4
	s_addc_u32 s5, s29, 0
	s_mov_b32 s11, 0
	s_mov_b64 s[6:7], s[28:29]
.LBB98_575:                             ; =>This Inner Loop Header: Depth=1
	s_clause 0x1
	s_load_dwordx8 s[36:43], s[6:7], 0x4
	s_load_dwordx4 s[12:15], s[6:7], 0x24
	s_load_dwordx8 s[48:55], s[4:5], 0x0
	s_add_u32 s6, s6, 48
	s_addc_u32 s7, s7, 0
	s_add_i32 s11, s11, 4
	s_add_u32 s4, s4, 32
	s_addc_u32 s5, s5, 0
	s_cmp_lg_u32 s9, s11
	s_waitcnt lgkmcnt(0)
	v_mul_hi_u32 v3, s37, v2
	v_add_nc_u32_e32 v3, v2, v3
	v_lshrrev_b32_e32 v3, s38, v3
	v_mul_hi_u32 v5, s40, v3
	v_mul_lo_u32 v7, v3, s36
	v_add_nc_u32_e32 v5, v3, v5
	v_sub_nc_u32_e32 v2, v2, v7
	v_lshrrev_b32_e32 v5, s41, v5
	v_mul_lo_u32 v7, v2, s48
	v_mul_lo_u32 v9, v2, s49
	v_mul_hi_u32 v6, s43, v5
	v_add_nc_u32_e32 v6, v5, v6
	v_lshrrev_b32_e32 v6, s12, v6
	v_mul_hi_u32 v8, s14, v6
	v_mul_lo_u32 v10, v6, s42
	v_add_nc_u32_e32 v2, v6, v8
	v_mul_lo_u32 v8, v5, s39
	v_sub_nc_u32_e32 v5, v5, v10
	v_lshrrev_b32_e32 v2, s15, v2
	v_mul_lo_u32 v10, v5, s52
	v_mul_lo_u32 v5, v5, s53
	v_sub_nc_u32_e32 v3, v3, v8
	v_mul_lo_u32 v11, v2, s13
	v_mul_lo_u32 v8, v3, s50
	;; [unrolled: 1-line block ×3, first 2 shown]
	v_sub_nc_u32_e32 v6, v6, v11
	v_add3_u32 v7, v7, v30, v8
	v_mul_lo_u32 v11, v6, s54
	v_mul_lo_u32 v6, v6, s55
	v_add3_u32 v3, v9, v4, v3
	v_add3_u32 v30, v10, v7, v11
	;; [unrolled: 1-line block ×3, first 2 shown]
	s_cbranch_scc1 .LBB98_575
; %bb.576:
	s_and_b32 s10, s10, 3
	s_cmp_eq_u32 s10, 0
	s_cbranch_scc0 .LBB98_580
	s_branch .LBB98_582
.LBB98_577:
	s_mov_b32 s8, -1
                                        ; implicit-def: $vgpr30
                                        ; implicit-def: $vgpr4
	s_branch .LBB98_582
.LBB98_578:
	v_mov_b32_e32 v30, 0
	v_mov_b32_e32 v4, 0
	s_branch .LBB98_582
.LBB98_579:
	v_mov_b32_e32 v30, 0
	v_mov_b32_e32 v4, 0
	;; [unrolled: 1-line block ×3, first 2 shown]
	s_mov_b32 s9, 0
	s_and_b32 s10, s10, 3
	s_cmp_eq_u32 s10, 0
	s_cbranch_scc1 .LBB98_582
.LBB98_580:
	s_lshl_b32 s4, s9, 3
	s_mul_i32 s6, s9, 12
	s_add_u32 s4, s28, s4
	s_addc_u32 s5, s29, 0
	s_add_u32 s4, s4, 0xc4
	s_addc_u32 s5, s5, 0
	;; [unrolled: 2-line block ×3, first 2 shown]
	.p2align	6
.LBB98_581:                             ; =>This Inner Loop Header: Depth=1
	s_clause 0x1
	s_load_dwordx2 s[12:13], s[6:7], 0x4
	s_load_dword s9, s[6:7], 0xc
	s_load_dwordx2 s[14:15], s[4:5], 0x0
	s_add_u32 s6, s6, 12
	s_addc_u32 s7, s7, 0
	s_add_u32 s4, s4, 8
	s_addc_u32 s5, s5, 0
	s_add_i32 s10, s10, -1
	s_cmp_lg_u32 s10, 0
	s_waitcnt lgkmcnt(0)
	v_mul_hi_u32 v3, s13, v2
	v_add_nc_u32_e32 v3, v2, v3
	v_lshrrev_b32_e32 v3, s9, v3
	v_mul_lo_u32 v5, v3, s12
	v_sub_nc_u32_e32 v2, v2, v5
	v_mad_u64_u32 v[30:31], null, v2, s14, v[30:31]
	v_mad_u64_u32 v[4:5], null, v2, s15, v[4:5]
	v_mov_b32_e32 v2, v3
	s_cbranch_scc1 .LBB98_581
.LBB98_582:
	s_andn2_b32 vcc_lo, exec_lo, s8
	s_cbranch_vccnz .LBB98_585
; %bb.583:
	s_clause 0x1
	s_load_dwordx4 s[4:7], s[28:29], 0x4
	s_load_dwordx2 s[8:9], s[28:29], 0xc4
	s_cmp_lt_u32 s33, 2
	s_waitcnt lgkmcnt(0)
	v_mul_hi_u32 v2, s5, v20
	v_add_nc_u32_e32 v2, v20, v2
	v_lshrrev_b32_e32 v2, s6, v2
	v_mul_lo_u32 v3, v2, s4
	v_sub_nc_u32_e32 v3, v20, v3
	v_mul_lo_u32 v30, v3, s8
	v_mul_lo_u32 v4, v3, s9
	s_cbranch_scc1 .LBB98_585
; %bb.584:
	s_clause 0x1
	s_load_dwordx4 s[4:7], s[28:29], 0x10
	s_load_dwordx2 s[8:9], s[28:29], 0xcc
	s_waitcnt lgkmcnt(0)
	v_mul_hi_u32 v3, s5, v2
	v_add_nc_u32_e32 v3, v2, v3
	v_lshrrev_b32_e32 v3, s6, v3
	v_mul_lo_u32 v3, v3, s4
	v_sub_nc_u32_e32 v2, v2, v3
	v_mad_u64_u32 v[30:31], null, v2, s8, v[30:31]
	v_mad_u64_u32 v[4:5], null, v2, s9, v[4:5]
.LBB98_585:
	v_cmp_ne_u32_e32 vcc_lo, 1, v0
	v_add_nc_u32_e32 v2, 0x80, v20
	s_cbranch_vccnz .LBB98_591
; %bb.586:
	s_cmp_lg_u32 s33, 0
	s_mov_b32 s8, 0
	s_cbranch_scc0 .LBB98_592
; %bb.587:
	s_min_u32 s10, s44, 15
	s_add_i32 s10, s10, 1
	s_cmp_eq_u32 s44, 2
	s_cbranch_scc1 .LBB98_593
; %bb.588:
	v_mov_b32_e32 v18, 0
	v_mov_b32_e32 v28, 0
	;; [unrolled: 1-line block ×3, first 2 shown]
	s_and_b32 s9, s10, 28
	s_add_u32 s4, s28, 0xc4
	s_addc_u32 s5, s29, 0
	s_mov_b32 s11, 0
	s_mov_b64 s[6:7], s[28:29]
.LBB98_589:                             ; =>This Inner Loop Header: Depth=1
	s_clause 0x1
	s_load_dwordx8 s[36:43], s[6:7], 0x4
	s_load_dwordx4 s[12:15], s[6:7], 0x24
	s_load_dwordx8 s[48:55], s[4:5], 0x0
	s_add_u32 s6, s6, 48
	s_addc_u32 s7, s7, 0
	s_add_i32 s11, s11, 4
	s_add_u32 s4, s4, 32
	s_addc_u32 s5, s5, 0
	s_cmp_lg_u32 s9, s11
	s_waitcnt lgkmcnt(0)
	v_mul_hi_u32 v5, s37, v3
	v_add_nc_u32_e32 v5, v3, v5
	v_lshrrev_b32_e32 v5, s38, v5
	v_mul_hi_u32 v6, s40, v5
	v_mul_lo_u32 v8, v5, s36
	v_add_nc_u32_e32 v6, v5, v6
	v_sub_nc_u32_e32 v3, v3, v8
	v_lshrrev_b32_e32 v6, s41, v6
	v_mul_lo_u32 v8, v3, s48
	v_mul_lo_u32 v10, v3, s49
	v_mul_hi_u32 v7, s43, v6
	v_add_nc_u32_e32 v7, v6, v7
	v_lshrrev_b32_e32 v7, s12, v7
	v_mul_hi_u32 v9, s14, v7
	v_mul_lo_u32 v11, v7, s42
	v_add_nc_u32_e32 v3, v7, v9
	v_mul_lo_u32 v9, v6, s39
	v_sub_nc_u32_e32 v6, v6, v11
	v_lshrrev_b32_e32 v3, s15, v3
	v_mul_lo_u32 v11, v6, s52
	v_mul_lo_u32 v6, v6, s53
	v_sub_nc_u32_e32 v5, v5, v9
	v_mul_lo_u32 v12, v3, s13
	v_mul_lo_u32 v9, v5, s50
	v_mul_lo_u32 v5, v5, s51
	v_sub_nc_u32_e32 v7, v7, v12
	v_add3_u32 v8, v8, v28, v9
	v_mul_lo_u32 v12, v7, s54
	v_mul_lo_u32 v7, v7, s55
	v_add3_u32 v5, v10, v18, v5
	v_add3_u32 v28, v11, v8, v12
	;; [unrolled: 1-line block ×3, first 2 shown]
	s_cbranch_scc1 .LBB98_589
; %bb.590:
	s_and_b32 s10, s10, 3
	s_cmp_eq_u32 s10, 0
	s_cbranch_scc0 .LBB98_594
	s_branch .LBB98_596
.LBB98_591:
	s_mov_b32 s8, -1
                                        ; implicit-def: $vgpr28
                                        ; implicit-def: $vgpr18
	s_branch .LBB98_596
.LBB98_592:
	v_mov_b32_e32 v28, 0
	v_mov_b32_e32 v18, 0
	s_branch .LBB98_596
.LBB98_593:
	v_mov_b32_e32 v28, 0
	v_mov_b32_e32 v18, 0
	;; [unrolled: 1-line block ×3, first 2 shown]
	s_mov_b32 s9, 0
	s_and_b32 s10, s10, 3
	s_cmp_eq_u32 s10, 0
	s_cbranch_scc1 .LBB98_596
.LBB98_594:
	s_lshl_b32 s4, s9, 3
	s_mul_i32 s6, s9, 12
	s_add_u32 s4, s28, s4
	s_addc_u32 s5, s29, 0
	s_add_u32 s4, s4, 0xc4
	s_addc_u32 s5, s5, 0
	s_add_u32 s6, s28, s6
	s_addc_u32 s7, s29, 0
	.p2align	6
.LBB98_595:                             ; =>This Inner Loop Header: Depth=1
	s_clause 0x1
	s_load_dwordx2 s[12:13], s[6:7], 0x4
	s_load_dword s9, s[6:7], 0xc
	s_load_dwordx2 s[14:15], s[4:5], 0x0
	s_add_u32 s6, s6, 12
	s_addc_u32 s7, s7, 0
	s_add_u32 s4, s4, 8
	s_addc_u32 s5, s5, 0
	s_add_i32 s10, s10, -1
	s_cmp_lg_u32 s10, 0
	s_waitcnt lgkmcnt(0)
	v_mul_hi_u32 v5, s13, v3
	v_add_nc_u32_e32 v5, v3, v5
	v_lshrrev_b32_e32 v5, s9, v5
	v_mul_lo_u32 v6, v5, s12
	v_sub_nc_u32_e32 v3, v3, v6
	v_mad_u64_u32 v[28:29], null, v3, s14, v[28:29]
	v_mad_u64_u32 v[18:19], null, v3, s15, v[18:19]
	v_mov_b32_e32 v3, v5
	s_cbranch_scc1 .LBB98_595
.LBB98_596:
	s_andn2_b32 vcc_lo, exec_lo, s8
	s_cbranch_vccnz .LBB98_599
; %bb.597:
	s_clause 0x1
	s_load_dwordx4 s[4:7], s[28:29], 0x4
	s_load_dwordx2 s[8:9], s[28:29], 0xc4
	s_cmp_lt_u32 s33, 2
	s_waitcnt lgkmcnt(0)
	v_mul_hi_u32 v3, s5, v2
	v_add_nc_u32_e32 v3, v2, v3
	v_lshrrev_b32_e32 v3, s6, v3
	v_mul_lo_u32 v5, v3, s4
	v_sub_nc_u32_e32 v2, v2, v5
	v_mul_lo_u32 v28, v2, s8
	v_mul_lo_u32 v18, v2, s9
	s_cbranch_scc1 .LBB98_599
; %bb.598:
	s_clause 0x1
	s_load_dwordx4 s[4:7], s[28:29], 0x10
	s_load_dwordx2 s[8:9], s[28:29], 0xcc
	s_waitcnt lgkmcnt(0)
	v_mul_hi_u32 v2, s5, v3
	v_add_nc_u32_e32 v2, v3, v2
	v_lshrrev_b32_e32 v2, s6, v2
	v_mul_lo_u32 v2, v2, s4
	v_sub_nc_u32_e32 v2, v3, v2
	v_mad_u64_u32 v[28:29], null, v2, s8, v[28:29]
	v_mad_u64_u32 v[18:19], null, v2, s9, v[18:19]
.LBB98_599:
	v_cmp_ne_u32_e32 vcc_lo, 1, v0
	v_add_nc_u32_e32 v2, 0x100, v20
	s_cbranch_vccnz .LBB98_605
; %bb.600:
	s_cmp_lg_u32 s33, 0
	s_mov_b32 s8, 0
	s_cbranch_scc0 .LBB98_606
; %bb.601:
	s_min_u32 s10, s44, 15
	s_add_i32 s10, s10, 1
	s_cmp_eq_u32 s44, 2
	s_cbranch_scc1 .LBB98_607
; %bb.602:
	v_mov_b32_e32 v21, 0
	v_mov_b32_e32 v26, 0
	v_mov_b32_e32 v3, v2
	s_and_b32 s9, s10, 28
	s_add_u32 s4, s28, 0xc4
	s_addc_u32 s5, s29, 0
	s_mov_b32 s11, 0
	s_mov_b64 s[6:7], s[28:29]
.LBB98_603:                             ; =>This Inner Loop Header: Depth=1
	s_clause 0x1
	s_load_dwordx8 s[36:43], s[6:7], 0x4
	s_load_dwordx4 s[12:15], s[6:7], 0x24
	s_load_dwordx8 s[48:55], s[4:5], 0x0
	s_add_u32 s6, s6, 48
	s_addc_u32 s7, s7, 0
	s_add_i32 s11, s11, 4
	s_add_u32 s4, s4, 32
	s_addc_u32 s5, s5, 0
	s_cmp_lg_u32 s9, s11
	s_waitcnt lgkmcnt(0)
	v_mul_hi_u32 v5, s37, v3
	v_add_nc_u32_e32 v5, v3, v5
	v_lshrrev_b32_e32 v5, s38, v5
	v_mul_hi_u32 v6, s40, v5
	v_mul_lo_u32 v8, v5, s36
	v_add_nc_u32_e32 v6, v5, v6
	v_sub_nc_u32_e32 v3, v3, v8
	v_lshrrev_b32_e32 v6, s41, v6
	v_mul_lo_u32 v8, v3, s48
	v_mul_lo_u32 v10, v3, s49
	v_mul_hi_u32 v7, s43, v6
	v_add_nc_u32_e32 v7, v6, v7
	v_lshrrev_b32_e32 v7, s12, v7
	v_mul_hi_u32 v9, s14, v7
	v_mul_lo_u32 v11, v7, s42
	v_add_nc_u32_e32 v3, v7, v9
	v_mul_lo_u32 v9, v6, s39
	v_sub_nc_u32_e32 v6, v6, v11
	v_lshrrev_b32_e32 v3, s15, v3
	v_mul_lo_u32 v11, v6, s52
	v_mul_lo_u32 v6, v6, s53
	v_sub_nc_u32_e32 v5, v5, v9
	v_mul_lo_u32 v12, v3, s13
	v_mul_lo_u32 v9, v5, s50
	;; [unrolled: 1-line block ×3, first 2 shown]
	v_sub_nc_u32_e32 v7, v7, v12
	v_add3_u32 v8, v8, v26, v9
	v_mul_lo_u32 v12, v7, s54
	v_mul_lo_u32 v7, v7, s55
	v_add3_u32 v5, v10, v21, v5
	v_add3_u32 v26, v11, v8, v12
	v_add3_u32 v21, v6, v5, v7
	s_cbranch_scc1 .LBB98_603
; %bb.604:
	s_and_b32 s10, s10, 3
	s_cmp_eq_u32 s10, 0
	s_cbranch_scc0 .LBB98_608
	s_branch .LBB98_610
.LBB98_605:
	s_mov_b32 s8, -1
                                        ; implicit-def: $vgpr26
                                        ; implicit-def: $vgpr21
	s_branch .LBB98_610
.LBB98_606:
	v_mov_b32_e32 v26, 0
	v_mov_b32_e32 v21, 0
	s_branch .LBB98_610
.LBB98_607:
	v_mov_b32_e32 v26, 0
	v_mov_b32_e32 v21, 0
	;; [unrolled: 1-line block ×3, first 2 shown]
	s_mov_b32 s9, 0
	s_and_b32 s10, s10, 3
	s_cmp_eq_u32 s10, 0
	s_cbranch_scc1 .LBB98_610
.LBB98_608:
	s_lshl_b32 s4, s9, 3
	s_mul_i32 s6, s9, 12
	s_add_u32 s4, s28, s4
	s_addc_u32 s5, s29, 0
	s_add_u32 s4, s4, 0xc4
	s_addc_u32 s5, s5, 0
	;; [unrolled: 2-line block ×3, first 2 shown]
	.p2align	6
.LBB98_609:                             ; =>This Inner Loop Header: Depth=1
	s_clause 0x1
	s_load_dwordx2 s[12:13], s[6:7], 0x4
	s_load_dword s9, s[6:7], 0xc
	s_load_dwordx2 s[14:15], s[4:5], 0x0
	s_add_u32 s6, s6, 12
	s_addc_u32 s7, s7, 0
	s_add_u32 s4, s4, 8
	s_addc_u32 s5, s5, 0
	s_add_i32 s10, s10, -1
	s_cmp_lg_u32 s10, 0
	s_waitcnt lgkmcnt(0)
	v_mul_hi_u32 v5, s13, v3
	v_add_nc_u32_e32 v5, v3, v5
	v_lshrrev_b32_e32 v5, s9, v5
	v_mul_lo_u32 v6, v5, s12
	v_sub_nc_u32_e32 v3, v3, v6
	v_mad_u64_u32 v[26:27], null, v3, s14, v[26:27]
	v_mad_u64_u32 v[21:22], null, v3, s15, v[21:22]
	v_mov_b32_e32 v3, v5
	s_cbranch_scc1 .LBB98_609
.LBB98_610:
	s_andn2_b32 vcc_lo, exec_lo, s8
	s_cbranch_vccnz .LBB98_613
; %bb.611:
	s_clause 0x1
	s_load_dwordx4 s[4:7], s[28:29], 0x4
	s_load_dwordx2 s[8:9], s[28:29], 0xc4
	s_cmp_lt_u32 s33, 2
	s_waitcnt lgkmcnt(0)
	v_mul_hi_u32 v3, s5, v2
	v_add_nc_u32_e32 v3, v2, v3
	v_lshrrev_b32_e32 v3, s6, v3
	v_mul_lo_u32 v5, v3, s4
	v_sub_nc_u32_e32 v2, v2, v5
	v_mul_lo_u32 v26, v2, s8
	v_mul_lo_u32 v21, v2, s9
	s_cbranch_scc1 .LBB98_613
; %bb.612:
	s_clause 0x1
	s_load_dwordx4 s[4:7], s[28:29], 0x10
	s_load_dwordx2 s[8:9], s[28:29], 0xcc
	s_waitcnt lgkmcnt(0)
	v_mul_hi_u32 v2, s5, v3
	v_add_nc_u32_e32 v2, v3, v2
	v_lshrrev_b32_e32 v2, s6, v2
	v_mul_lo_u32 v2, v2, s4
	v_sub_nc_u32_e32 v2, v3, v2
	v_mad_u64_u32 v[26:27], null, v2, s8, v[26:27]
	v_mad_u64_u32 v[21:22], null, v2, s9, v[21:22]
.LBB98_613:
	v_cmp_ne_u32_e32 vcc_lo, 1, v0
	s_cbranch_vccnz .LBB98_619
; %bb.614:
	s_cmp_lg_u32 s33, 0
	s_mov_b32 s8, 0
	s_cbranch_scc0 .LBB98_620
; %bb.615:
	s_min_u32 s10, s44, 15
	s_add_i32 s10, s10, 1
	s_cmp_eq_u32 s44, 2
	s_cbranch_scc1 .LBB98_621
; %bb.616:
	v_mov_b32_e32 v22, 0
	v_mov_b32_e32 v24, 0
	;; [unrolled: 1-line block ×3, first 2 shown]
	s_and_b32 s9, s10, 28
	s_add_u32 s4, s28, 0xc4
	s_addc_u32 s5, s29, 0
	s_mov_b32 s11, 0
	s_mov_b64 s[6:7], s[28:29]
.LBB98_617:                             ; =>This Inner Loop Header: Depth=1
	s_clause 0x1
	s_load_dwordx8 s[36:43], s[6:7], 0x4
	s_load_dwordx4 s[12:15], s[6:7], 0x24
	s_load_dwordx8 s[44:51], s[4:5], 0x0
	s_add_u32 s6, s6, 48
	s_addc_u32 s7, s7, 0
	s_add_i32 s11, s11, 4
	s_add_u32 s4, s4, 32
	s_addc_u32 s5, s5, 0
	s_cmp_lg_u32 s9, s11
	s_waitcnt lgkmcnt(0)
	v_mul_hi_u32 v2, s37, v0
	v_add_nc_u32_e32 v2, v0, v2
	v_lshrrev_b32_e32 v2, s38, v2
	v_mul_hi_u32 v3, s40, v2
	v_mul_lo_u32 v6, v2, s36
	v_add_nc_u32_e32 v3, v2, v3
	v_sub_nc_u32_e32 v0, v0, v6
	v_lshrrev_b32_e32 v3, s41, v3
	v_mul_lo_u32 v6, v0, s44
	v_mul_lo_u32 v8, v0, s45
	v_mul_hi_u32 v5, s43, v3
	v_add_nc_u32_e32 v5, v3, v5
	v_lshrrev_b32_e32 v5, s12, v5
	v_mul_hi_u32 v7, s14, v5
	v_mul_lo_u32 v9, v5, s42
	v_add_nc_u32_e32 v0, v5, v7
	v_mul_lo_u32 v7, v3, s39
	v_sub_nc_u32_e32 v3, v3, v9
	v_lshrrev_b32_e32 v0, s15, v0
	v_mul_lo_u32 v9, v3, s48
	v_mul_lo_u32 v3, v3, s49
	v_sub_nc_u32_e32 v2, v2, v7
	v_mul_lo_u32 v10, v0, s13
	v_mul_lo_u32 v7, v2, s46
	;; [unrolled: 1-line block ×3, first 2 shown]
	v_sub_nc_u32_e32 v5, v5, v10
	v_add3_u32 v6, v6, v24, v7
	v_mul_lo_u32 v10, v5, s50
	v_mul_lo_u32 v5, v5, s51
	v_add3_u32 v2, v8, v22, v2
	v_add3_u32 v24, v9, v6, v10
	;; [unrolled: 1-line block ×3, first 2 shown]
	s_cbranch_scc1 .LBB98_617
; %bb.618:
	s_and_b32 s10, s10, 3
	s_cmp_eq_u32 s10, 0
	s_cbranch_scc0 .LBB98_622
	s_branch .LBB98_624
.LBB98_619:
	s_mov_b32 s8, -1
                                        ; implicit-def: $vgpr24
                                        ; implicit-def: $vgpr22
	s_branch .LBB98_624
.LBB98_620:
	v_mov_b32_e32 v24, 0
	v_mov_b32_e32 v22, 0
	s_branch .LBB98_624
.LBB98_621:
	v_mov_b32_e32 v24, 0
	v_mov_b32_e32 v22, 0
	;; [unrolled: 1-line block ×3, first 2 shown]
	s_mov_b32 s9, 0
	s_and_b32 s10, s10, 3
	s_cmp_eq_u32 s10, 0
	s_cbranch_scc1 .LBB98_624
.LBB98_622:
	s_lshl_b32 s4, s9, 3
	s_mul_i32 s6, s9, 12
	s_add_u32 s4, s28, s4
	s_addc_u32 s5, s29, 0
	s_add_u32 s4, s4, 0xc4
	s_addc_u32 s5, s5, 0
	s_add_u32 s6, s28, s6
	s_addc_u32 s7, s29, 0
	.p2align	6
.LBB98_623:                             ; =>This Inner Loop Header: Depth=1
	s_clause 0x1
	s_load_dwordx2 s[12:13], s[6:7], 0x4
	s_load_dword s9, s[6:7], 0xc
	s_load_dwordx2 s[14:15], s[4:5], 0x0
	s_add_u32 s6, s6, 12
	s_addc_u32 s7, s7, 0
	s_add_u32 s4, s4, 8
	s_addc_u32 s5, s5, 0
	s_add_i32 s10, s10, -1
	s_cmp_lg_u32 s10, 0
	s_waitcnt lgkmcnt(0)
	v_mul_hi_u32 v2, s13, v0
	v_add_nc_u32_e32 v2, v0, v2
	v_lshrrev_b32_e32 v2, s9, v2
	v_mul_lo_u32 v3, v2, s12
	v_sub_nc_u32_e32 v0, v0, v3
	v_mad_u64_u32 v[24:25], null, v0, s14, v[24:25]
	v_mad_u64_u32 v[22:23], null, v0, s15, v[22:23]
	v_mov_b32_e32 v0, v2
	s_cbranch_scc1 .LBB98_623
.LBB98_624:
	s_andn2_b32 vcc_lo, exec_lo, s8
	s_cbranch_vccnz .LBB98_627
; %bb.625:
	s_clause 0x1
	s_load_dwordx4 s[4:7], s[28:29], 0x4
	s_load_dwordx2 s[8:9], s[28:29], 0xc4
	s_cmp_lt_u32 s33, 2
	s_waitcnt lgkmcnt(0)
	v_mul_hi_u32 v0, s5, v1
	v_add_nc_u32_e32 v0, v1, v0
	v_lshrrev_b32_e32 v0, s6, v0
	v_mul_lo_u32 v2, v0, s4
	v_sub_nc_u32_e32 v1, v1, v2
	v_mul_lo_u32 v24, v1, s8
	v_mul_lo_u32 v22, v1, s9
	s_cbranch_scc1 .LBB98_627
; %bb.626:
	s_clause 0x1
	s_load_dwordx4 s[4:7], s[28:29], 0x10
	s_load_dwordx2 s[8:9], s[28:29], 0xcc
	s_waitcnt lgkmcnt(0)
	v_mul_hi_u32 v1, s5, v0
	v_add_nc_u32_e32 v1, v0, v1
	v_lshrrev_b32_e32 v1, s6, v1
	v_mul_lo_u32 v1, v1, s4
	v_sub_nc_u32_e32 v0, v0, v1
	v_mad_u64_u32 v[24:25], null, v0, s8, v[24:25]
	v_mad_u64_u32 v[22:23], null, v0, s9, v[22:23]
.LBB98_627:
	s_clause 0x2
	s_load_dword s4, s[18:19], 0x168
	s_load_dwordx2 s[18:19], s[28:29], 0x158
	s_load_dwordx4 s[20:23], s[28:29], 0x148
	s_getpc_b64 s[26:27]
	s_add_u32 s26, s26, _ZN2at6native6invokeIZZZNS0_21polygamma_kernel_cudaERNS_18TensorIteratorBaseElENKUlvE_clEvENKUlvE0_clEvEUlfE_j15function_traitsIS6_EEENT1_11result_typeERKT_PrKPcPKT0_PKN3c1010ScalarTypeEi@rel32@lo+4
	s_addc_u32 s27, s27, _ZN2at6native6invokeIZZZNS0_21polygamma_kernel_cudaERNS_18TensorIteratorBaseElENKUlvE_clEvENKUlvE0_clEvEUlfE_j15function_traitsIS6_EEENT1_11result_typeERKT_PrKPcPKT0_PKN3c1010ScalarTypeEi@rel32@hi+12
	s_waitcnt lgkmcnt(0)
	s_lshr_b32 s33, s4, 8
	v_mov_b32_e32 v0, s18
	v_mov_b32_e32 v1, s19
	v_mov_b32_e32 v2, s22
	v_mov_b32_e32 v3, s23
	v_mov_b32_e32 v5, s33
	s_swappc_b64 s[30:31], s[26:27]
	v_mov_b32_e32 v20, v0
	v_mov_b32_e32 v0, s18
	v_mov_b32_e32 v1, s19
	v_mov_b32_e32 v2, s22
	v_mov_b32_e32 v3, s23
	v_mov_b32_e32 v4, v18
	v_mov_b32_e32 v5, s33
	s_swappc_b64 s[30:31], s[26:27]
	v_mov_b32_e32 v19, v0
	v_mov_b32_e32 v0, s18
	;; [unrolled: 8-line block ×3, first 2 shown]
	v_mov_b32_e32 v1, s19
	v_mov_b32_e32 v2, s22
	;; [unrolled: 1-line block ×5, first 2 shown]
	s_swappc_b64 s[30:31], s[26:27]
	s_load_dword s4, s[28:29], 0x160
	v_add_co_u32 v1, s5, s20, v30
	v_add_co_ci_u32_e64 v2, null, s21, 0, s5
	s_waitcnt lgkmcnt(0)
	s_and_b32 s5, s4, 0xff
	s_cmp_lt_i32 s5, 11
	s_cbranch_scc1 .LBB98_706
; %bb.628:
	s_and_b32 s6, 0xffff, s5
	s_mov_b32 s9, -1
	s_mov_b32 s7, 0
	s_cmp_gt_i32 s6, 25
	s_mov_b32 s8, 0
	s_mov_b32 s4, 0
	s_cbranch_scc0 .LBB98_661
; %bb.629:
	s_cmp_gt_i32 s6, 28
	s_cbranch_scc0 .LBB98_644
; %bb.630:
	s_cmp_gt_i32 s6, 43
	;; [unrolled: 3-line block ×3, first 2 shown]
	s_cbranch_scc0 .LBB98_634
; %bb.632:
	s_mov_b32 s4, -1
	s_mov_b32 s9, 0
	s_cmp_eq_u32 s6, 46
	s_cbranch_scc0 .LBB98_634
; %bb.633:
	v_bfe_u32 v3, v20, 16, 1
	v_cmp_o_f32_e32 vcc_lo, v20, v20
	v_mov_b32_e32 v4, 0x7fc0
	s_mov_b32 s4, 0
	s_mov_b32 s8, -1
	v_add3_u32 v3, v20, v3, 0x7fff
	v_cndmask_b32_sdwa v3, v4, v3, vcc_lo dst_sel:DWORD dst_unused:UNUSED_PAD src0_sel:DWORD src1_sel:WORD_1
	global_store_dword v[1:2], v3, off
.LBB98_634:
	s_and_b32 vcc_lo, exec_lo, s9
	s_cbranch_vccz .LBB98_639
; %bb.635:
	s_cmp_eq_u32 s6, 44
	s_mov_b32 s4, -1
	s_cbranch_scc0 .LBB98_639
; %bb.636:
	v_bfe_u32 v4, v20, 23, 8
	v_mov_b32_e32 v3, 0xff
	s_mov_b32 s8, exec_lo
	v_cmpx_ne_u32_e32 0xff, v4
	s_cbranch_execz .LBB98_638
; %bb.637:
	v_and_b32_e32 v3, 0x400000, v20
	v_and_or_b32 v4, 0x3fffff, v20, v4
	v_cmp_ne_u32_e32 vcc_lo, 0, v3
	v_cmp_ne_u32_e64 s4, 0, v4
	v_lshrrev_b32_e32 v3, 23, v20
	s_and_b32 s4, vcc_lo, s4
	v_cndmask_b32_e64 v4, 0, 1, s4
	v_add_nc_u32_e32 v3, v3, v4
.LBB98_638:
	s_or_b32 exec_lo, exec_lo, s8
	s_mov_b32 s4, 0
	s_mov_b32 s8, -1
	global_store_byte v[1:2], v3, off
.LBB98_639:
	s_mov_b32 s9, 0
.LBB98_640:
	s_and_b32 vcc_lo, exec_lo, s9
	s_cbranch_vccz .LBB98_643
; %bb.641:
	s_cmp_eq_u32 s6, 29
	s_mov_b32 s4, -1
	s_cbranch_scc0 .LBB98_643
; %bb.642:
	v_trunc_f32_e32 v3, v20
	s_mov_b32 s4, 0
	s_mov_b32 s8, -1
	v_mul_f32_e32 v4, 0x2f800000, v3
	v_floor_f32_e32 v4, v4
	v_fmamk_f32 v3, v4, 0xcf800000, v3
	v_cvt_u32_f32_e32 v4, v4
	v_cvt_u32_f32_e32 v3, v3
	global_store_dwordx2 v[1:2], v[3:4], off
.LBB98_643:
	s_mov_b32 s9, 0
.LBB98_644:
	s_and_b32 vcc_lo, exec_lo, s9
	s_cbranch_vccz .LBB98_660
; %bb.645:
	s_cmp_lt_i32 s6, 27
	s_mov_b32 s8, -1
	s_cbranch_scc1 .LBB98_651
; %bb.646:
	s_cmp_gt_i32 s6, 27
	s_cbranch_scc0 .LBB98_648
; %bb.647:
	v_cvt_u32_f32_e32 v3, v20
	s_mov_b32 s8, 0
	global_store_dword v[1:2], v3, off
.LBB98_648:
	s_andn2_b32 vcc_lo, exec_lo, s8
	s_cbranch_vccnz .LBB98_650
; %bb.649:
	v_cvt_u32_f32_e32 v3, v20
	global_store_short v[1:2], v3, off
.LBB98_650:
	s_mov_b32 s8, 0
.LBB98_651:
	s_andn2_b32 vcc_lo, exec_lo, s8
	s_cbranch_vccnz .LBB98_659
; %bb.652:
	v_and_b32_e32 v3, 0x7fffffff, v20
	v_mov_b32_e32 v4, 0x80
	s_mov_b32 s8, exec_lo
	v_cmpx_gt_u32_e32 0x43800000, v3
	s_cbranch_execz .LBB98_658
; %bb.653:
	v_cmp_lt_u32_e32 vcc_lo, 0x3bffffff, v3
	s_mov_b32 s9, 0
                                        ; implicit-def: $vgpr3
	s_and_saveexec_b32 s10, vcc_lo
	s_xor_b32 s10, exec_lo, s10
	s_cbranch_execz .LBB98_1103
; %bb.654:
	v_bfe_u32 v3, v20, 20, 1
	s_mov_b32 s9, exec_lo
	v_add3_u32 v3, v20, v3, 0x487ffff
	v_lshrrev_b32_e32 v3, 20, v3
	s_andn2_saveexec_b32 s10, s10
	s_cbranch_execnz .LBB98_1104
.LBB98_655:
	s_or_b32 exec_lo, exec_lo, s10
	v_mov_b32_e32 v4, 0
	s_and_saveexec_b32 s10, s9
.LBB98_656:
	v_lshrrev_b32_e32 v4, 24, v20
	v_and_or_b32 v4, 0x80, v4, v3
.LBB98_657:
	s_or_b32 exec_lo, exec_lo, s10
.LBB98_658:
	s_or_b32 exec_lo, exec_lo, s8
	global_store_byte v[1:2], v4, off
.LBB98_659:
	s_mov_b32 s8, -1
.LBB98_660:
	s_mov_b32 s9, 0
.LBB98_661:
	s_and_b32 vcc_lo, exec_lo, s9
	s_cbranch_vccz .LBB98_701
; %bb.662:
	s_cmp_gt_i32 s6, 22
	s_mov_b32 s7, -1
	s_cbranch_scc0 .LBB98_694
; %bb.663:
	s_cmp_lt_i32 s6, 24
	s_cbranch_scc1 .LBB98_683
; %bb.664:
	s_cmp_gt_i32 s6, 24
	s_cbranch_scc0 .LBB98_672
; %bb.665:
	v_and_b32_e32 v3, 0x7fffffff, v20
	v_mov_b32_e32 v4, 0x80
	s_mov_b32 s7, exec_lo
	v_cmpx_gt_u32_e32 0x47800000, v3
	s_cbranch_execz .LBB98_671
; %bb.666:
	v_cmp_lt_u32_e32 vcc_lo, 0x37ffffff, v3
	s_mov_b32 s8, 0
                                        ; implicit-def: $vgpr3
	s_and_saveexec_b32 s9, vcc_lo
	s_xor_b32 s9, exec_lo, s9
	s_cbranch_execz .LBB98_1106
; %bb.667:
	v_bfe_u32 v3, v20, 21, 1
	s_mov_b32 s8, exec_lo
	v_add3_u32 v3, v20, v3, 0x88fffff
	v_lshrrev_b32_e32 v3, 21, v3
	s_andn2_saveexec_b32 s9, s9
	s_cbranch_execnz .LBB98_1107
.LBB98_668:
	s_or_b32 exec_lo, exec_lo, s9
	v_mov_b32_e32 v4, 0
	s_and_saveexec_b32 s9, s8
.LBB98_669:
	v_lshrrev_b32_e32 v4, 24, v20
	v_and_or_b32 v4, 0x80, v4, v3
.LBB98_670:
	s_or_b32 exec_lo, exec_lo, s9
.LBB98_671:
	s_or_b32 exec_lo, exec_lo, s7
	s_mov_b32 s7, 0
	global_store_byte v[1:2], v4, off
.LBB98_672:
	s_and_b32 vcc_lo, exec_lo, s7
	s_cbranch_vccz .LBB98_682
; %bb.673:
	v_and_b32_e32 v4, 0x7fffffff, v20
	s_mov_b32 s7, exec_lo
                                        ; implicit-def: $vgpr3
	v_cmpx_gt_u32_e32 0x43f00000, v4
	s_xor_b32 s7, exec_lo, s7
	s_cbranch_execz .LBB98_679
; %bb.674:
	s_mov_b32 s8, exec_lo
                                        ; implicit-def: $vgpr3
	v_cmpx_lt_u32_e32 0x3c7fffff, v4
	s_xor_b32 s8, exec_lo, s8
; %bb.675:
	v_bfe_u32 v3, v20, 20, 1
	v_add3_u32 v3, v20, v3, 0x407ffff
	v_and_b32_e32 v4, 0xff00000, v3
	v_lshrrev_b32_e32 v3, 20, v3
	v_cmp_ne_u32_e32 vcc_lo, 0x7f00000, v4
	v_cndmask_b32_e32 v3, 0x7e, v3, vcc_lo
; %bb.676:
	s_andn2_saveexec_b32 s8, s8
; %bb.677:
	v_add_f32_e64 v3, 0x46800000, |v20|
; %bb.678:
	s_or_b32 exec_lo, exec_lo, s8
                                        ; implicit-def: $vgpr4
.LBB98_679:
	s_andn2_saveexec_b32 s7, s7
; %bb.680:
	v_mov_b32_e32 v3, 0x7f
	v_cmp_lt_u32_e32 vcc_lo, 0x7f800000, v4
	v_cndmask_b32_e32 v3, 0x7e, v3, vcc_lo
; %bb.681:
	s_or_b32 exec_lo, exec_lo, s7
	v_lshrrev_b32_e32 v4, 24, v20
	v_and_or_b32 v3, 0x80, v4, v3
	global_store_byte v[1:2], v3, off
.LBB98_682:
	s_mov_b32 s7, 0
.LBB98_683:
	s_andn2_b32 vcc_lo, exec_lo, s7
	s_cbranch_vccnz .LBB98_693
; %bb.684:
	v_and_b32_e32 v4, 0x7fffffff, v20
	s_mov_b32 s7, exec_lo
                                        ; implicit-def: $vgpr3
	v_cmpx_gt_u32_e32 0x47800000, v4
	s_xor_b32 s7, exec_lo, s7
	s_cbranch_execz .LBB98_690
; %bb.685:
	s_mov_b32 s8, exec_lo
                                        ; implicit-def: $vgpr3
	v_cmpx_lt_u32_e32 0x387fffff, v4
	s_xor_b32 s8, exec_lo, s8
; %bb.686:
	v_bfe_u32 v3, v20, 21, 1
	v_add3_u32 v3, v20, v3, 0x80fffff
	v_lshrrev_b32_e32 v3, 21, v3
; %bb.687:
	s_andn2_saveexec_b32 s8, s8
; %bb.688:
	v_add_f32_e64 v3, 0x43000000, |v20|
; %bb.689:
	s_or_b32 exec_lo, exec_lo, s8
                                        ; implicit-def: $vgpr4
.LBB98_690:
	s_andn2_saveexec_b32 s7, s7
; %bb.691:
	v_mov_b32_e32 v3, 0x7f
	v_cmp_lt_u32_e32 vcc_lo, 0x7f800000, v4
	v_cndmask_b32_e32 v3, 0x7c, v3, vcc_lo
; %bb.692:
	s_or_b32 exec_lo, exec_lo, s7
	v_lshrrev_b32_e32 v4, 24, v20
	v_and_or_b32 v3, 0x80, v4, v3
	global_store_byte v[1:2], v3, off
.LBB98_693:
	s_mov_b32 s7, 0
	s_mov_b32 s8, -1
.LBB98_694:
	s_andn2_b32 vcc_lo, exec_lo, s7
	s_mov_b32 s7, 0
	s_cbranch_vccnz .LBB98_701
; %bb.695:
	s_cmp_gt_i32 s6, 14
	s_mov_b32 s7, -1
	s_cbranch_scc0 .LBB98_699
; %bb.696:
	s_cmp_eq_u32 s6, 15
	s_mov_b32 s4, -1
	s_cbranch_scc0 .LBB98_698
; %bb.697:
	v_bfe_u32 v3, v20, 16, 1
	v_cmp_o_f32_e32 vcc_lo, v20, v20
	v_mov_b32_e32 v4, 0x7fc0
	s_mov_b32 s4, 0
	s_mov_b32 s8, -1
	v_add3_u32 v3, v20, v3, 0x7fff
	v_cndmask_b32_sdwa v3, v4, v3, vcc_lo dst_sel:DWORD dst_unused:UNUSED_PAD src0_sel:DWORD src1_sel:WORD_1
	global_store_short v[1:2], v3, off
.LBB98_698:
	s_mov_b32 s7, 0
.LBB98_699:
	s_and_b32 vcc_lo, exec_lo, s7
	s_mov_b32 s7, 0
	s_cbranch_vccz .LBB98_701
; %bb.700:
	s_cmp_lg_u32 s6, 11
	s_mov_b32 s7, -1
	s_cselect_b32 s4, -1, 0
.LBB98_701:
	s_and_b32 vcc_lo, exec_lo, s4
	s_mov_b32 s6, s24
	s_cbranch_vccnz .LBB98_1105
; %bb.702:
	s_andn2_b32 vcc_lo, exec_lo, s7
	s_cbranch_vccnz .LBB98_704
.LBB98_703:
	v_cmp_neq_f32_e32 vcc_lo, 0, v20
	s_mov_b32 s8, -1
	v_cndmask_b32_e64 v3, 0, 1, vcc_lo
	global_store_byte v[1:2], v3, off
.LBB98_704:
.LBB98_705:
	s_andn2_b32 vcc_lo, exec_lo, s8
	s_cbranch_vccz .LBB98_745
	s_branch .LBB98_1057
.LBB98_706:
	s_mov_b32 s8, 0
	s_mov_b32 s6, s24
	s_cbranch_execz .LBB98_705
; %bb.707:
	s_and_b32 s4, 0xffff, s5
	s_mov_b32 s7, -1
	s_cmp_lt_i32 s4, 5
	s_cbranch_scc1 .LBB98_728
; %bb.708:
	s_cmp_lt_i32 s4, 8
	s_cbranch_scc1 .LBB98_718
; %bb.709:
	;; [unrolled: 3-line block ×3, first 2 shown]
	s_cmp_gt_i32 s4, 9
	s_cbranch_scc0 .LBB98_712
; %bb.711:
	v_cvt_f64_f32_e32 v[3:4], v20
	v_mov_b32_e32 v5, 0
	s_mov_b32 s7, 0
	v_mov_b32_e32 v6, v5
	global_store_dwordx4 v[1:2], v[3:6], off
.LBB98_712:
	s_andn2_b32 vcc_lo, exec_lo, s7
	s_cbranch_vccnz .LBB98_714
; %bb.713:
	v_mov_b32_e32 v21, 0
	global_store_dwordx2 v[1:2], v[20:21], off
.LBB98_714:
	s_mov_b32 s7, 0
.LBB98_715:
	s_andn2_b32 vcc_lo, exec_lo, s7
	s_cbranch_vccnz .LBB98_717
; %bb.716:
	v_cvt_f16_f32_e32 v3, v20
	v_and_b32_e32 v3, 0xffff, v3
	global_store_dword v[1:2], v3, off
.LBB98_717:
	s_mov_b32 s7, 0
.LBB98_718:
	s_andn2_b32 vcc_lo, exec_lo, s7
	s_cbranch_vccnz .LBB98_727
; %bb.719:
	s_cmp_lt_i32 s4, 6
	s_mov_b32 s7, -1
	s_cbranch_scc1 .LBB98_725
; %bb.720:
	s_cmp_gt_i32 s4, 6
	s_cbranch_scc0 .LBB98_722
; %bb.721:
	v_cvt_f64_f32_e32 v[3:4], v20
	s_mov_b32 s7, 0
	global_store_dwordx2 v[1:2], v[3:4], off
.LBB98_722:
	s_andn2_b32 vcc_lo, exec_lo, s7
	s_cbranch_vccnz .LBB98_724
; %bb.723:
	global_store_dword v[1:2], v20, off
.LBB98_724:
	s_mov_b32 s7, 0
.LBB98_725:
	s_andn2_b32 vcc_lo, exec_lo, s7
	s_cbranch_vccnz .LBB98_727
; %bb.726:
	v_cvt_f16_f32_e32 v3, v20
	global_store_short v[1:2], v3, off
.LBB98_727:
	s_mov_b32 s7, 0
.LBB98_728:
	s_andn2_b32 vcc_lo, exec_lo, s7
	s_cbranch_vccnz .LBB98_744
; %bb.729:
	s_cmp_lt_i32 s4, 2
	s_mov_b32 s7, -1
	s_cbranch_scc1 .LBB98_739
; %bb.730:
	s_cmp_lt_i32 s4, 3
	s_cbranch_scc1 .LBB98_736
; %bb.731:
	s_cmp_gt_i32 s4, 3
	s_cbranch_scc0 .LBB98_733
; %bb.732:
	v_trunc_f32_e32 v3, v20
	s_mov_b32 s7, 0
	v_mul_f32_e64 v4, 0x2f800000, |v3|
	v_ashrrev_i32_e32 v6, 31, v3
	v_floor_f32_e32 v4, v4
	v_fma_f32 v5, 0xcf800000, v4, |v3|
	v_cvt_u32_f32_e32 v4, v4
	v_cvt_u32_f32_e32 v3, v5
	v_xor_b32_e32 v4, v4, v6
	v_xor_b32_e32 v3, v3, v6
	v_sub_co_u32 v3, vcc_lo, v3, v6
	v_sub_co_ci_u32_e64 v4, null, v4, v6, vcc_lo
	global_store_dwordx2 v[1:2], v[3:4], off
.LBB98_733:
	s_andn2_b32 vcc_lo, exec_lo, s7
	s_cbranch_vccnz .LBB98_735
; %bb.734:
	v_cvt_i32_f32_e32 v3, v20
	global_store_dword v[1:2], v3, off
.LBB98_735:
	s_mov_b32 s7, 0
.LBB98_736:
	s_andn2_b32 vcc_lo, exec_lo, s7
	s_cbranch_vccnz .LBB98_738
; %bb.737:
	v_cvt_i32_f32_e32 v3, v20
	global_store_short v[1:2], v3, off
.LBB98_738:
	s_mov_b32 s7, 0
.LBB98_739:
	s_andn2_b32 vcc_lo, exec_lo, s7
	s_cbranch_vccnz .LBB98_744
; %bb.740:
	s_cmp_gt_i32 s4, 0
	s_mov_b32 s4, -1
	s_cbranch_scc0 .LBB98_742
; %bb.741:
	v_cvt_i32_f32_e32 v3, v20
	s_mov_b32 s4, 0
	global_store_byte v[1:2], v3, off
.LBB98_742:
	s_andn2_b32 vcc_lo, exec_lo, s4
	s_cbranch_vccnz .LBB98_744
; %bb.743:
	v_trunc_f32_e32 v3, v20
	v_mul_f32_e64 v4, 0x2f800000, |v3|
	v_floor_f32_e32 v4, v4
	v_fma_f32 v4, 0xcf800000, v4, |v3|
	v_ashrrev_i32_e32 v3, 31, v3
	v_cvt_u32_f32_e32 v4, v4
	v_xor_b32_e32 v4, v4, v3
	v_sub_nc_u32_e32 v3, v4, v3
	global_store_byte v[1:2], v3, off
.LBB98_744:
.LBB98_745:
	v_add_co_u32 v1, s4, s20, v28
	v_add_co_ci_u32_e64 v2, null, s21, 0, s4
	s_and_b32 s7, 0xffff, s5
	s_cmp_lt_i32 s7, 11
	s_cbranch_scc1 .LBB98_824
; %bb.746:
	s_mov_b32 s10, -1
	s_mov_b32 s8, 0
	s_cmp_gt_i32 s7, 25
	s_mov_b32 s9, 0
	s_mov_b32 s4, 0
	s_cbranch_scc0 .LBB98_779
; %bb.747:
	s_cmp_gt_i32 s7, 28
	s_cbranch_scc0 .LBB98_762
; %bb.748:
	s_cmp_gt_i32 s7, 43
	;; [unrolled: 3-line block ×3, first 2 shown]
	s_cbranch_scc0 .LBB98_752
; %bb.750:
	s_mov_b32 s4, -1
	s_mov_b32 s10, 0
	s_cmp_eq_u32 s7, 46
	s_cbranch_scc0 .LBB98_752
; %bb.751:
	v_bfe_u32 v3, v19, 16, 1
	v_cmp_o_f32_e32 vcc_lo, v19, v19
	v_mov_b32_e32 v4, 0x7fc0
	s_mov_b32 s4, 0
	s_mov_b32 s9, -1
	v_add3_u32 v3, v19, v3, 0x7fff
	v_cndmask_b32_sdwa v3, v4, v3, vcc_lo dst_sel:DWORD dst_unused:UNUSED_PAD src0_sel:DWORD src1_sel:WORD_1
	global_store_dword v[1:2], v3, off
.LBB98_752:
	s_and_b32 vcc_lo, exec_lo, s10
	s_cbranch_vccz .LBB98_757
; %bb.753:
	s_cmp_eq_u32 s7, 44
	s_mov_b32 s4, -1
	s_cbranch_scc0 .LBB98_757
; %bb.754:
	v_bfe_u32 v4, v19, 23, 8
	v_mov_b32_e32 v3, 0xff
	s_mov_b32 s9, exec_lo
	v_cmpx_ne_u32_e32 0xff, v4
	s_cbranch_execz .LBB98_756
; %bb.755:
	v_and_b32_e32 v3, 0x400000, v19
	v_and_or_b32 v4, 0x3fffff, v19, v4
	v_cmp_ne_u32_e32 vcc_lo, 0, v3
	v_cmp_ne_u32_e64 s4, 0, v4
	v_lshrrev_b32_e32 v3, 23, v19
	s_and_b32 s4, vcc_lo, s4
	v_cndmask_b32_e64 v4, 0, 1, s4
	v_add_nc_u32_e32 v3, v3, v4
.LBB98_756:
	s_or_b32 exec_lo, exec_lo, s9
	s_mov_b32 s4, 0
	s_mov_b32 s9, -1
	global_store_byte v[1:2], v3, off
.LBB98_757:
	s_mov_b32 s10, 0
.LBB98_758:
	s_and_b32 vcc_lo, exec_lo, s10
	s_cbranch_vccz .LBB98_761
; %bb.759:
	s_cmp_eq_u32 s7, 29
	s_mov_b32 s4, -1
	s_cbranch_scc0 .LBB98_761
; %bb.760:
	v_trunc_f32_e32 v3, v19
	s_mov_b32 s4, 0
	s_mov_b32 s9, -1
	v_mul_f32_e32 v4, 0x2f800000, v3
	v_floor_f32_e32 v4, v4
	v_fmamk_f32 v3, v4, 0xcf800000, v3
	v_cvt_u32_f32_e32 v4, v4
	v_cvt_u32_f32_e32 v3, v3
	global_store_dwordx2 v[1:2], v[3:4], off
.LBB98_761:
	s_mov_b32 s10, 0
.LBB98_762:
	s_and_b32 vcc_lo, exec_lo, s10
	s_cbranch_vccz .LBB98_778
; %bb.763:
	s_cmp_lt_i32 s7, 27
	s_mov_b32 s9, -1
	s_cbranch_scc1 .LBB98_769
; %bb.764:
	s_cmp_gt_i32 s7, 27
	s_cbranch_scc0 .LBB98_766
; %bb.765:
	v_cvt_u32_f32_e32 v3, v19
	s_mov_b32 s9, 0
	global_store_dword v[1:2], v3, off
.LBB98_766:
	s_andn2_b32 vcc_lo, exec_lo, s9
	s_cbranch_vccnz .LBB98_768
; %bb.767:
	v_cvt_u32_f32_e32 v3, v19
	global_store_short v[1:2], v3, off
.LBB98_768:
	s_mov_b32 s9, 0
.LBB98_769:
	s_andn2_b32 vcc_lo, exec_lo, s9
	s_cbranch_vccnz .LBB98_777
; %bb.770:
	v_and_b32_e32 v3, 0x7fffffff, v19
	v_mov_b32_e32 v4, 0x80
	s_mov_b32 s9, exec_lo
	v_cmpx_gt_u32_e32 0x43800000, v3
	s_cbranch_execz .LBB98_776
; %bb.771:
	v_cmp_lt_u32_e32 vcc_lo, 0x3bffffff, v3
	s_mov_b32 s10, 0
                                        ; implicit-def: $vgpr3
	s_and_saveexec_b32 s11, vcc_lo
	s_xor_b32 s11, exec_lo, s11
	s_cbranch_execz .LBB98_1108
; %bb.772:
	v_bfe_u32 v3, v19, 20, 1
	s_mov_b32 s10, exec_lo
	v_add3_u32 v3, v19, v3, 0x487ffff
	v_lshrrev_b32_e32 v3, 20, v3
	s_andn2_saveexec_b32 s11, s11
	s_cbranch_execnz .LBB98_1109
.LBB98_773:
	s_or_b32 exec_lo, exec_lo, s11
	v_mov_b32_e32 v4, 0
	s_and_saveexec_b32 s11, s10
.LBB98_774:
	v_lshrrev_b32_e32 v4, 24, v19
	v_and_or_b32 v4, 0x80, v4, v3
.LBB98_775:
	s_or_b32 exec_lo, exec_lo, s11
.LBB98_776:
	s_or_b32 exec_lo, exec_lo, s9
	global_store_byte v[1:2], v4, off
.LBB98_777:
	s_mov_b32 s9, -1
.LBB98_778:
	s_mov_b32 s10, 0
.LBB98_779:
	s_and_b32 vcc_lo, exec_lo, s10
	s_cbranch_vccz .LBB98_819
; %bb.780:
	s_cmp_gt_i32 s7, 22
	s_mov_b32 s8, -1
	s_cbranch_scc0 .LBB98_812
; %bb.781:
	s_cmp_lt_i32 s7, 24
	s_cbranch_scc1 .LBB98_801
; %bb.782:
	s_cmp_gt_i32 s7, 24
	s_cbranch_scc0 .LBB98_790
; %bb.783:
	v_and_b32_e32 v3, 0x7fffffff, v19
	v_mov_b32_e32 v4, 0x80
	s_mov_b32 s8, exec_lo
	v_cmpx_gt_u32_e32 0x47800000, v3
	s_cbranch_execz .LBB98_789
; %bb.784:
	v_cmp_lt_u32_e32 vcc_lo, 0x37ffffff, v3
	s_mov_b32 s9, 0
                                        ; implicit-def: $vgpr3
	s_and_saveexec_b32 s10, vcc_lo
	s_xor_b32 s10, exec_lo, s10
	s_cbranch_execz .LBB98_1111
; %bb.785:
	v_bfe_u32 v3, v19, 21, 1
	s_mov_b32 s9, exec_lo
	v_add3_u32 v3, v19, v3, 0x88fffff
	v_lshrrev_b32_e32 v3, 21, v3
	s_andn2_saveexec_b32 s10, s10
	s_cbranch_execnz .LBB98_1112
.LBB98_786:
	s_or_b32 exec_lo, exec_lo, s10
	v_mov_b32_e32 v4, 0
	s_and_saveexec_b32 s10, s9
.LBB98_787:
	v_lshrrev_b32_e32 v4, 24, v19
	v_and_or_b32 v4, 0x80, v4, v3
.LBB98_788:
	s_or_b32 exec_lo, exec_lo, s10
.LBB98_789:
	s_or_b32 exec_lo, exec_lo, s8
	s_mov_b32 s8, 0
	global_store_byte v[1:2], v4, off
.LBB98_790:
	s_and_b32 vcc_lo, exec_lo, s8
	s_cbranch_vccz .LBB98_800
; %bb.791:
	v_and_b32_e32 v4, 0x7fffffff, v19
	s_mov_b32 s8, exec_lo
                                        ; implicit-def: $vgpr3
	v_cmpx_gt_u32_e32 0x43f00000, v4
	s_xor_b32 s8, exec_lo, s8
	s_cbranch_execz .LBB98_797
; %bb.792:
	s_mov_b32 s9, exec_lo
                                        ; implicit-def: $vgpr3
	v_cmpx_lt_u32_e32 0x3c7fffff, v4
	s_xor_b32 s9, exec_lo, s9
; %bb.793:
	v_bfe_u32 v3, v19, 20, 1
	v_add3_u32 v3, v19, v3, 0x407ffff
	v_and_b32_e32 v4, 0xff00000, v3
	v_lshrrev_b32_e32 v3, 20, v3
	v_cmp_ne_u32_e32 vcc_lo, 0x7f00000, v4
	v_cndmask_b32_e32 v3, 0x7e, v3, vcc_lo
; %bb.794:
	s_andn2_saveexec_b32 s9, s9
; %bb.795:
	v_add_f32_e64 v3, 0x46800000, |v19|
; %bb.796:
	s_or_b32 exec_lo, exec_lo, s9
                                        ; implicit-def: $vgpr4
.LBB98_797:
	s_andn2_saveexec_b32 s8, s8
; %bb.798:
	v_mov_b32_e32 v3, 0x7f
	v_cmp_lt_u32_e32 vcc_lo, 0x7f800000, v4
	v_cndmask_b32_e32 v3, 0x7e, v3, vcc_lo
; %bb.799:
	s_or_b32 exec_lo, exec_lo, s8
	v_lshrrev_b32_e32 v4, 24, v19
	v_and_or_b32 v3, 0x80, v4, v3
	global_store_byte v[1:2], v3, off
.LBB98_800:
	s_mov_b32 s8, 0
.LBB98_801:
	s_andn2_b32 vcc_lo, exec_lo, s8
	s_cbranch_vccnz .LBB98_811
; %bb.802:
	v_and_b32_e32 v4, 0x7fffffff, v19
	s_mov_b32 s8, exec_lo
                                        ; implicit-def: $vgpr3
	v_cmpx_gt_u32_e32 0x47800000, v4
	s_xor_b32 s8, exec_lo, s8
	s_cbranch_execz .LBB98_808
; %bb.803:
	s_mov_b32 s9, exec_lo
                                        ; implicit-def: $vgpr3
	v_cmpx_lt_u32_e32 0x387fffff, v4
	s_xor_b32 s9, exec_lo, s9
; %bb.804:
	v_bfe_u32 v3, v19, 21, 1
	v_add3_u32 v3, v19, v3, 0x80fffff
	v_lshrrev_b32_e32 v3, 21, v3
; %bb.805:
	s_andn2_saveexec_b32 s9, s9
; %bb.806:
	v_add_f32_e64 v3, 0x43000000, |v19|
; %bb.807:
	s_or_b32 exec_lo, exec_lo, s9
                                        ; implicit-def: $vgpr4
.LBB98_808:
	s_andn2_saveexec_b32 s8, s8
; %bb.809:
	v_mov_b32_e32 v3, 0x7f
	v_cmp_lt_u32_e32 vcc_lo, 0x7f800000, v4
	v_cndmask_b32_e32 v3, 0x7c, v3, vcc_lo
; %bb.810:
	s_or_b32 exec_lo, exec_lo, s8
	v_lshrrev_b32_e32 v4, 24, v19
	v_and_or_b32 v3, 0x80, v4, v3
	global_store_byte v[1:2], v3, off
.LBB98_811:
	s_mov_b32 s8, 0
	s_mov_b32 s9, -1
.LBB98_812:
	s_andn2_b32 vcc_lo, exec_lo, s8
	s_mov_b32 s8, 0
	s_cbranch_vccnz .LBB98_819
; %bb.813:
	s_cmp_gt_i32 s7, 14
	s_mov_b32 s8, -1
	s_cbranch_scc0 .LBB98_817
; %bb.814:
	s_cmp_eq_u32 s7, 15
	s_mov_b32 s4, -1
	s_cbranch_scc0 .LBB98_816
; %bb.815:
	v_bfe_u32 v3, v19, 16, 1
	v_cmp_o_f32_e32 vcc_lo, v19, v19
	v_mov_b32_e32 v4, 0x7fc0
	s_mov_b32 s4, 0
	s_mov_b32 s9, -1
	v_add3_u32 v3, v19, v3, 0x7fff
	v_cndmask_b32_sdwa v3, v4, v3, vcc_lo dst_sel:DWORD dst_unused:UNUSED_PAD src0_sel:DWORD src1_sel:WORD_1
	global_store_short v[1:2], v3, off
.LBB98_816:
	s_mov_b32 s8, 0
.LBB98_817:
	s_and_b32 vcc_lo, exec_lo, s8
	s_mov_b32 s8, 0
	s_cbranch_vccz .LBB98_819
; %bb.818:
	s_cmp_lg_u32 s7, 11
	s_mov_b32 s8, -1
	s_cselect_b32 s4, -1, 0
.LBB98_819:
	s_and_b32 vcc_lo, exec_lo, s4
	s_cbranch_vccnz .LBB98_1110
; %bb.820:
	s_andn2_b32 vcc_lo, exec_lo, s8
	s_cbranch_vccnz .LBB98_822
.LBB98_821:
	v_cmp_neq_f32_e32 vcc_lo, 0, v19
	s_mov_b32 s9, -1
	v_cndmask_b32_e64 v3, 0, 1, vcc_lo
	global_store_byte v[1:2], v3, off
.LBB98_822:
.LBB98_823:
	s_andn2_b32 vcc_lo, exec_lo, s9
	s_cbranch_vccz .LBB98_863
	s_branch .LBB98_1057
.LBB98_824:
	s_mov_b32 s9, 0
	s_cbranch_execz .LBB98_823
; %bb.825:
	s_cmp_lt_i32 s7, 5
	s_mov_b32 s4, -1
	s_cbranch_scc1 .LBB98_846
; %bb.826:
	s_cmp_lt_i32 s7, 8
	s_cbranch_scc1 .LBB98_836
; %bb.827:
	s_cmp_lt_i32 s7, 9
	s_cbranch_scc1 .LBB98_833
; %bb.828:
	s_cmp_gt_i32 s7, 9
	s_cbranch_scc0 .LBB98_830
; %bb.829:
	v_cvt_f64_f32_e32 v[3:4], v19
	v_mov_b32_e32 v5, 0
	s_mov_b32 s4, 0
	v_mov_b32_e32 v6, v5
	global_store_dwordx4 v[1:2], v[3:6], off
.LBB98_830:
	s_andn2_b32 vcc_lo, exec_lo, s4
	s_cbranch_vccnz .LBB98_832
; %bb.831:
	v_mov_b32_e32 v20, 0
	global_store_dwordx2 v[1:2], v[19:20], off
.LBB98_832:
	s_mov_b32 s4, 0
.LBB98_833:
	s_andn2_b32 vcc_lo, exec_lo, s4
	s_cbranch_vccnz .LBB98_835
; %bb.834:
	v_cvt_f16_f32_e32 v3, v19
	v_and_b32_e32 v3, 0xffff, v3
	global_store_dword v[1:2], v3, off
.LBB98_835:
	s_mov_b32 s4, 0
.LBB98_836:
	s_andn2_b32 vcc_lo, exec_lo, s4
	s_cbranch_vccnz .LBB98_845
; %bb.837:
	s_cmp_lt_i32 s7, 6
	s_mov_b32 s4, -1
	s_cbranch_scc1 .LBB98_843
; %bb.838:
	s_cmp_gt_i32 s7, 6
	s_cbranch_scc0 .LBB98_840
; %bb.839:
	v_cvt_f64_f32_e32 v[3:4], v19
	s_mov_b32 s4, 0
	global_store_dwordx2 v[1:2], v[3:4], off
.LBB98_840:
	s_andn2_b32 vcc_lo, exec_lo, s4
	s_cbranch_vccnz .LBB98_842
; %bb.841:
	global_store_dword v[1:2], v19, off
.LBB98_842:
	s_mov_b32 s4, 0
.LBB98_843:
	s_andn2_b32 vcc_lo, exec_lo, s4
	s_cbranch_vccnz .LBB98_845
; %bb.844:
	v_cvt_f16_f32_e32 v3, v19
	global_store_short v[1:2], v3, off
.LBB98_845:
	s_mov_b32 s4, 0
.LBB98_846:
	s_andn2_b32 vcc_lo, exec_lo, s4
	s_cbranch_vccnz .LBB98_862
; %bb.847:
	s_cmp_lt_i32 s7, 2
	s_mov_b32 s4, -1
	s_cbranch_scc1 .LBB98_857
; %bb.848:
	s_cmp_lt_i32 s7, 3
	s_cbranch_scc1 .LBB98_854
; %bb.849:
	s_cmp_gt_i32 s7, 3
	s_cbranch_scc0 .LBB98_851
; %bb.850:
	v_trunc_f32_e32 v3, v19
	s_mov_b32 s4, 0
	v_mul_f32_e64 v4, 0x2f800000, |v3|
	v_ashrrev_i32_e32 v6, 31, v3
	v_floor_f32_e32 v4, v4
	v_fma_f32 v5, 0xcf800000, v4, |v3|
	v_cvt_u32_f32_e32 v4, v4
	v_cvt_u32_f32_e32 v3, v5
	v_xor_b32_e32 v4, v4, v6
	v_xor_b32_e32 v3, v3, v6
	v_sub_co_u32 v3, vcc_lo, v3, v6
	v_sub_co_ci_u32_e64 v4, null, v4, v6, vcc_lo
	global_store_dwordx2 v[1:2], v[3:4], off
.LBB98_851:
	s_andn2_b32 vcc_lo, exec_lo, s4
	s_cbranch_vccnz .LBB98_853
; %bb.852:
	v_cvt_i32_f32_e32 v3, v19
	global_store_dword v[1:2], v3, off
.LBB98_853:
	s_mov_b32 s4, 0
.LBB98_854:
	s_andn2_b32 vcc_lo, exec_lo, s4
	s_cbranch_vccnz .LBB98_856
; %bb.855:
	v_cvt_i32_f32_e32 v3, v19
	global_store_short v[1:2], v3, off
.LBB98_856:
	s_mov_b32 s4, 0
.LBB98_857:
	s_andn2_b32 vcc_lo, exec_lo, s4
	s_cbranch_vccnz .LBB98_862
; %bb.858:
	s_cmp_gt_i32 s7, 0
	s_mov_b32 s4, -1
	s_cbranch_scc0 .LBB98_860
; %bb.859:
	v_cvt_i32_f32_e32 v3, v19
	s_mov_b32 s4, 0
	global_store_byte v[1:2], v3, off
.LBB98_860:
	s_andn2_b32 vcc_lo, exec_lo, s4
	s_cbranch_vccnz .LBB98_862
; %bb.861:
	v_trunc_f32_e32 v3, v19
	v_mul_f32_e64 v4, 0x2f800000, |v3|
	v_floor_f32_e32 v4, v4
	v_fma_f32 v4, 0xcf800000, v4, |v3|
	v_ashrrev_i32_e32 v3, 31, v3
	v_cvt_u32_f32_e32 v4, v4
	v_xor_b32_e32 v4, v4, v3
	v_sub_nc_u32_e32 v3, v4, v3
	global_store_byte v[1:2], v3, off
.LBB98_862:
.LBB98_863:
	v_add_co_u32 v1, s4, s20, v26
	v_add_co_ci_u32_e64 v2, null, s21, 0, s4
	s_cmp_lt_i32 s7, 11
	s_cbranch_scc1 .LBB98_1018
; %bb.864:
	s_mov_b32 s10, -1
	s_mov_b32 s8, 0
	s_cmp_gt_i32 s7, 25
	s_mov_b32 s9, 0
	s_mov_b32 s4, 0
	s_cbranch_scc0 .LBB98_897
; %bb.865:
	s_cmp_gt_i32 s7, 28
	s_cbranch_scc0 .LBB98_880
; %bb.866:
	s_cmp_gt_i32 s7, 43
	s_cbranch_scc0 .LBB98_876
; %bb.867:
	s_cmp_gt_i32 s7, 45
	s_cbranch_scc0 .LBB98_870
; %bb.868:
	s_mov_b32 s4, -1
	s_mov_b32 s10, 0
	s_cmp_eq_u32 s7, 46
	s_cbranch_scc0 .LBB98_870
; %bb.869:
	v_bfe_u32 v3, v18, 16, 1
	v_cmp_o_f32_e32 vcc_lo, v18, v18
	v_mov_b32_e32 v4, 0x7fc0
	s_mov_b32 s4, 0
	s_mov_b32 s9, -1
	v_add3_u32 v3, v18, v3, 0x7fff
	v_cndmask_b32_sdwa v3, v4, v3, vcc_lo dst_sel:DWORD dst_unused:UNUSED_PAD src0_sel:DWORD src1_sel:WORD_1
	global_store_dword v[1:2], v3, off
.LBB98_870:
	s_and_b32 vcc_lo, exec_lo, s10
	s_cbranch_vccz .LBB98_875
; %bb.871:
	s_cmp_eq_u32 s7, 44
	s_mov_b32 s4, -1
	s_cbranch_scc0 .LBB98_875
; %bb.872:
	v_bfe_u32 v4, v18, 23, 8
	v_mov_b32_e32 v3, 0xff
	s_mov_b32 s9, exec_lo
	v_cmpx_ne_u32_e32 0xff, v4
	s_cbranch_execz .LBB98_874
; %bb.873:
	v_and_b32_e32 v3, 0x400000, v18
	v_and_or_b32 v4, 0x3fffff, v18, v4
	v_cmp_ne_u32_e32 vcc_lo, 0, v3
	v_cmp_ne_u32_e64 s4, 0, v4
	v_lshrrev_b32_e32 v3, 23, v18
	s_and_b32 s4, vcc_lo, s4
	v_cndmask_b32_e64 v4, 0, 1, s4
	v_add_nc_u32_e32 v3, v3, v4
.LBB98_874:
	s_or_b32 exec_lo, exec_lo, s9
	s_mov_b32 s4, 0
	s_mov_b32 s9, -1
	global_store_byte v[1:2], v3, off
.LBB98_875:
	s_mov_b32 s10, 0
.LBB98_876:
	s_and_b32 vcc_lo, exec_lo, s10
	s_cbranch_vccz .LBB98_879
; %bb.877:
	s_cmp_eq_u32 s7, 29
	s_mov_b32 s4, -1
	s_cbranch_scc0 .LBB98_879
; %bb.878:
	v_trunc_f32_e32 v3, v18
	s_mov_b32 s4, 0
	s_mov_b32 s9, -1
	v_mul_f32_e32 v4, 0x2f800000, v3
	v_floor_f32_e32 v4, v4
	v_fmamk_f32 v3, v4, 0xcf800000, v3
	v_cvt_u32_f32_e32 v4, v4
	v_cvt_u32_f32_e32 v3, v3
	global_store_dwordx2 v[1:2], v[3:4], off
.LBB98_879:
	s_mov_b32 s10, 0
.LBB98_880:
	s_and_b32 vcc_lo, exec_lo, s10
	s_cbranch_vccz .LBB98_896
; %bb.881:
	s_cmp_lt_i32 s7, 27
	s_mov_b32 s9, -1
	s_cbranch_scc1 .LBB98_887
; %bb.882:
	v_cvt_u32_f32_e32 v3, v18
	s_cmp_gt_i32 s7, 27
	s_cbranch_scc0 .LBB98_884
; %bb.883:
	s_mov_b32 s9, 0
	global_store_dword v[1:2], v3, off
.LBB98_884:
	s_andn2_b32 vcc_lo, exec_lo, s9
	s_cbranch_vccnz .LBB98_886
; %bb.885:
	global_store_short v[1:2], v3, off
.LBB98_886:
	s_mov_b32 s9, 0
.LBB98_887:
	s_andn2_b32 vcc_lo, exec_lo, s9
	s_cbranch_vccnz .LBB98_895
; %bb.888:
	v_and_b32_e32 v3, 0x7fffffff, v18
	v_mov_b32_e32 v4, 0x80
	s_mov_b32 s9, exec_lo
	v_cmpx_gt_u32_e32 0x43800000, v3
	s_cbranch_execz .LBB98_894
; %bb.889:
	v_cmp_lt_u32_e32 vcc_lo, 0x3bffffff, v3
	s_mov_b32 s10, 0
                                        ; implicit-def: $vgpr3
	s_and_saveexec_b32 s11, vcc_lo
	s_xor_b32 s11, exec_lo, s11
	s_cbranch_execz .LBB98_1113
; %bb.890:
	v_bfe_u32 v3, v18, 20, 1
	s_mov_b32 s10, exec_lo
	v_add3_u32 v3, v18, v3, 0x487ffff
	v_lshrrev_b32_e32 v3, 20, v3
	s_andn2_saveexec_b32 s11, s11
	s_cbranch_execnz .LBB98_1114
.LBB98_891:
	s_or_b32 exec_lo, exec_lo, s11
	v_mov_b32_e32 v4, 0
	s_and_saveexec_b32 s11, s10
.LBB98_892:
	v_lshrrev_b32_e32 v4, 24, v18
	v_and_or_b32 v4, 0x80, v4, v3
.LBB98_893:
	s_or_b32 exec_lo, exec_lo, s11
.LBB98_894:
	s_or_b32 exec_lo, exec_lo, s9
	global_store_byte v[1:2], v4, off
.LBB98_895:
	s_mov_b32 s9, -1
.LBB98_896:
	s_mov_b32 s10, 0
.LBB98_897:
	s_and_b32 vcc_lo, exec_lo, s10
	s_cbranch_vccz .LBB98_937
; %bb.898:
	s_cmp_gt_i32 s7, 22
	s_mov_b32 s8, -1
	s_cbranch_scc0 .LBB98_930
; %bb.899:
	s_cmp_lt_i32 s7, 24
	s_cbranch_scc1 .LBB98_919
; %bb.900:
	s_cmp_gt_i32 s7, 24
	s_cbranch_scc0 .LBB98_908
; %bb.901:
	v_and_b32_e32 v3, 0x7fffffff, v18
	v_mov_b32_e32 v4, 0x80
	s_mov_b32 s8, exec_lo
	v_cmpx_gt_u32_e32 0x47800000, v3
	s_cbranch_execz .LBB98_907
; %bb.902:
	v_cmp_lt_u32_e32 vcc_lo, 0x37ffffff, v3
	s_mov_b32 s9, 0
                                        ; implicit-def: $vgpr3
	s_and_saveexec_b32 s10, vcc_lo
	s_xor_b32 s10, exec_lo, s10
	s_cbranch_execz .LBB98_1116
; %bb.903:
	v_bfe_u32 v3, v18, 21, 1
	s_mov_b32 s9, exec_lo
	v_add3_u32 v3, v18, v3, 0x88fffff
	v_lshrrev_b32_e32 v3, 21, v3
	s_andn2_saveexec_b32 s10, s10
	s_cbranch_execnz .LBB98_1117
.LBB98_904:
	s_or_b32 exec_lo, exec_lo, s10
	v_mov_b32_e32 v4, 0
	s_and_saveexec_b32 s10, s9
.LBB98_905:
	v_lshrrev_b32_e32 v4, 24, v18
	v_and_or_b32 v4, 0x80, v4, v3
.LBB98_906:
	s_or_b32 exec_lo, exec_lo, s10
.LBB98_907:
	s_or_b32 exec_lo, exec_lo, s8
	s_mov_b32 s8, 0
	global_store_byte v[1:2], v4, off
.LBB98_908:
	s_and_b32 vcc_lo, exec_lo, s8
	s_cbranch_vccz .LBB98_918
; %bb.909:
	v_and_b32_e32 v4, 0x7fffffff, v18
	s_mov_b32 s8, exec_lo
                                        ; implicit-def: $vgpr3
	v_cmpx_gt_u32_e32 0x43f00000, v4
	s_xor_b32 s8, exec_lo, s8
	s_cbranch_execz .LBB98_915
; %bb.910:
	s_mov_b32 s9, exec_lo
                                        ; implicit-def: $vgpr3
	v_cmpx_lt_u32_e32 0x3c7fffff, v4
	s_xor_b32 s9, exec_lo, s9
; %bb.911:
	v_bfe_u32 v3, v18, 20, 1
	v_add3_u32 v3, v18, v3, 0x407ffff
	v_and_b32_e32 v4, 0xff00000, v3
	v_lshrrev_b32_e32 v3, 20, v3
	v_cmp_ne_u32_e32 vcc_lo, 0x7f00000, v4
	v_cndmask_b32_e32 v3, 0x7e, v3, vcc_lo
; %bb.912:
	s_andn2_saveexec_b32 s9, s9
; %bb.913:
	v_add_f32_e64 v3, 0x46800000, |v18|
; %bb.914:
	s_or_b32 exec_lo, exec_lo, s9
                                        ; implicit-def: $vgpr4
.LBB98_915:
	s_andn2_saveexec_b32 s8, s8
; %bb.916:
	v_mov_b32_e32 v3, 0x7f
	v_cmp_lt_u32_e32 vcc_lo, 0x7f800000, v4
	v_cndmask_b32_e32 v3, 0x7e, v3, vcc_lo
; %bb.917:
	s_or_b32 exec_lo, exec_lo, s8
	v_lshrrev_b32_e32 v4, 24, v18
	v_and_or_b32 v3, 0x80, v4, v3
	global_store_byte v[1:2], v3, off
.LBB98_918:
	s_mov_b32 s8, 0
.LBB98_919:
	s_andn2_b32 vcc_lo, exec_lo, s8
	s_cbranch_vccnz .LBB98_929
; %bb.920:
	v_and_b32_e32 v4, 0x7fffffff, v18
	s_mov_b32 s8, exec_lo
                                        ; implicit-def: $vgpr3
	v_cmpx_gt_u32_e32 0x47800000, v4
	s_xor_b32 s8, exec_lo, s8
	s_cbranch_execz .LBB98_926
; %bb.921:
	s_mov_b32 s9, exec_lo
                                        ; implicit-def: $vgpr3
	v_cmpx_lt_u32_e32 0x387fffff, v4
	s_xor_b32 s9, exec_lo, s9
; %bb.922:
	v_bfe_u32 v3, v18, 21, 1
	v_add3_u32 v3, v18, v3, 0x80fffff
	v_lshrrev_b32_e32 v3, 21, v3
; %bb.923:
	s_andn2_saveexec_b32 s9, s9
; %bb.924:
	v_add_f32_e64 v3, 0x43000000, |v18|
; %bb.925:
	s_or_b32 exec_lo, exec_lo, s9
                                        ; implicit-def: $vgpr4
.LBB98_926:
	s_andn2_saveexec_b32 s8, s8
; %bb.927:
	v_mov_b32_e32 v3, 0x7f
	v_cmp_lt_u32_e32 vcc_lo, 0x7f800000, v4
	v_cndmask_b32_e32 v3, 0x7c, v3, vcc_lo
; %bb.928:
	s_or_b32 exec_lo, exec_lo, s8
	v_lshrrev_b32_e32 v4, 24, v18
	v_and_or_b32 v3, 0x80, v4, v3
	global_store_byte v[1:2], v3, off
.LBB98_929:
	s_mov_b32 s8, 0
	s_mov_b32 s9, -1
.LBB98_930:
	s_andn2_b32 vcc_lo, exec_lo, s8
	s_mov_b32 s8, 0
	s_cbranch_vccnz .LBB98_937
; %bb.931:
	s_cmp_gt_i32 s7, 14
	s_mov_b32 s8, -1
	s_cbranch_scc0 .LBB98_935
; %bb.932:
	s_cmp_eq_u32 s7, 15
	s_mov_b32 s4, -1
	s_cbranch_scc0 .LBB98_934
; %bb.933:
	v_bfe_u32 v3, v18, 16, 1
	v_cmp_o_f32_e32 vcc_lo, v18, v18
	v_mov_b32_e32 v4, 0x7fc0
	s_mov_b32 s4, 0
	s_mov_b32 s9, -1
	v_add3_u32 v3, v18, v3, 0x7fff
	v_cndmask_b32_sdwa v3, v4, v3, vcc_lo dst_sel:DWORD dst_unused:UNUSED_PAD src0_sel:DWORD src1_sel:WORD_1
	global_store_short v[1:2], v3, off
.LBB98_934:
	s_mov_b32 s8, 0
.LBB98_935:
	s_and_b32 vcc_lo, exec_lo, s8
	s_mov_b32 s8, 0
	s_cbranch_vccz .LBB98_937
; %bb.936:
	s_cmp_lg_u32 s7, 11
	s_mov_b32 s8, -1
	s_cselect_b32 s4, -1, 0
.LBB98_937:
	s_and_b32 vcc_lo, exec_lo, s4
	s_cbranch_vccnz .LBB98_1115
; %bb.938:
	s_andn2_b32 vcc_lo, exec_lo, s8
	s_cbranch_vccnz .LBB98_940
.LBB98_939:
	v_cmp_neq_f32_e32 vcc_lo, 0, v18
	s_mov_b32 s9, -1
	v_cndmask_b32_e64 v3, 0, 1, vcc_lo
	global_store_byte v[1:2], v3, off
.LBB98_940:
.LBB98_941:
	s_andn2_b32 vcc_lo, exec_lo, s9
	s_cbranch_vccnz .LBB98_1057
.LBB98_942:
	v_add_co_u32 v2, s4, s20, v24
	v_add_co_ci_u32_e64 v3, null, s21, 0, s4
	s_cmp_lt_i32 s7, 11
	s_cbranch_scc1 .LBB98_1102
; %bb.943:
	s_mov_b32 s9, -1
	s_mov_b32 s8, 0
	s_cmp_gt_i32 s7, 25
	s_mov_b32 s4, 0
	s_cbranch_scc0 .LBB98_976
; %bb.944:
	s_cmp_gt_i32 s7, 28
	s_cbranch_scc0 .LBB98_960
; %bb.945:
	s_cmp_gt_i32 s7, 43
	;; [unrolled: 3-line block ×3, first 2 shown]
	s_cbranch_scc0 .LBB98_950
; %bb.947:
	s_cmp_eq_u32 s7, 46
	s_mov_b32 s4, -1
	s_cbranch_scc0 .LBB98_949
; %bb.948:
	v_bfe_u32 v1, v0, 16, 1
	v_cmp_o_f32_e32 vcc_lo, v0, v0
	v_mov_b32_e32 v4, 0x7fc0
	s_mov_b32 s4, 0
	v_add3_u32 v1, v0, v1, 0x7fff
	v_cndmask_b32_sdwa v1, v4, v1, vcc_lo dst_sel:DWORD dst_unused:UNUSED_PAD src0_sel:DWORD src1_sel:WORD_1
	global_store_dword v[2:3], v1, off
.LBB98_949:
	s_mov_b32 s9, 0
.LBB98_950:
	s_and_b32 vcc_lo, exec_lo, s9
	s_cbranch_vccz .LBB98_955
; %bb.951:
	s_cmp_eq_u32 s7, 44
	s_mov_b32 s4, -1
	s_cbranch_scc0 .LBB98_955
; %bb.952:
	v_bfe_u32 v4, v0, 23, 8
	v_mov_b32_e32 v1, 0xff
	s_mov_b32 s9, exec_lo
	v_cmpx_ne_u32_e32 0xff, v4
	s_cbranch_execz .LBB98_954
; %bb.953:
	v_and_b32_e32 v1, 0x400000, v0
	v_and_or_b32 v4, 0x3fffff, v0, v4
	v_cmp_ne_u32_e32 vcc_lo, 0, v1
	v_cmp_ne_u32_e64 s4, 0, v4
	v_lshrrev_b32_e32 v1, 23, v0
	s_and_b32 s4, vcc_lo, s4
	v_cndmask_b32_e64 v4, 0, 1, s4
	v_add_nc_u32_e32 v1, v1, v4
.LBB98_954:
	s_or_b32 exec_lo, exec_lo, s9
	s_mov_b32 s4, 0
	global_store_byte v[2:3], v1, off
.LBB98_955:
	s_mov_b32 s9, 0
.LBB98_956:
	s_and_b32 vcc_lo, exec_lo, s9
	s_cbranch_vccz .LBB98_959
; %bb.957:
	s_cmp_eq_u32 s7, 29
	s_mov_b32 s4, -1
	s_cbranch_scc0 .LBB98_959
; %bb.958:
	v_trunc_f32_e32 v1, v0
	s_mov_b32 s4, 0
	v_mul_f32_e32 v4, 0x2f800000, v1
	v_floor_f32_e32 v4, v4
	v_fmamk_f32 v1, v4, 0xcf800000, v1
	v_cvt_u32_f32_e32 v5, v4
	v_cvt_u32_f32_e32 v4, v1
	global_store_dwordx2 v[2:3], v[4:5], off
.LBB98_959:
	s_mov_b32 s9, 0
.LBB98_960:
	s_and_b32 vcc_lo, exec_lo, s9
	s_cbranch_vccz .LBB98_975
; %bb.961:
	s_cmp_lt_i32 s7, 27
	s_mov_b32 s9, -1
	s_cbranch_scc1 .LBB98_967
; %bb.962:
	v_cvt_u32_f32_e32 v1, v0
	s_cmp_gt_i32 s7, 27
	s_cbranch_scc0 .LBB98_964
; %bb.963:
	s_mov_b32 s9, 0
	global_store_dword v[2:3], v1, off
.LBB98_964:
	s_andn2_b32 vcc_lo, exec_lo, s9
	s_cbranch_vccnz .LBB98_966
; %bb.965:
	global_store_short v[2:3], v1, off
.LBB98_966:
	s_mov_b32 s9, 0
.LBB98_967:
	s_andn2_b32 vcc_lo, exec_lo, s9
	s_cbranch_vccnz .LBB98_975
; %bb.968:
	v_and_b32_e32 v1, 0x7fffffff, v0
	v_mov_b32_e32 v4, 0x80
	s_mov_b32 s9, exec_lo
	v_cmpx_gt_u32_e32 0x43800000, v1
	s_cbranch_execz .LBB98_974
; %bb.969:
	v_cmp_lt_u32_e32 vcc_lo, 0x3bffffff, v1
	s_mov_b32 s10, 0
                                        ; implicit-def: $vgpr1
	s_and_saveexec_b32 s11, vcc_lo
	s_xor_b32 s11, exec_lo, s11
	s_cbranch_execz .LBB98_1118
; %bb.970:
	v_bfe_u32 v1, v0, 20, 1
	s_mov_b32 s10, exec_lo
	v_add3_u32 v1, v0, v1, 0x487ffff
	v_lshrrev_b32_e32 v1, 20, v1
	s_andn2_saveexec_b32 s11, s11
	s_cbranch_execnz .LBB98_1119
.LBB98_971:
	s_or_b32 exec_lo, exec_lo, s11
	v_mov_b32_e32 v4, 0
	s_and_saveexec_b32 s11, s10
.LBB98_972:
	v_lshrrev_b32_e32 v4, 24, v0
	v_and_or_b32 v4, 0x80, v4, v1
.LBB98_973:
	s_or_b32 exec_lo, exec_lo, s11
.LBB98_974:
	s_or_b32 exec_lo, exec_lo, s9
	global_store_byte v[2:3], v4, off
.LBB98_975:
	s_mov_b32 s9, 0
.LBB98_976:
	s_and_b32 vcc_lo, exec_lo, s9
	s_cbranch_vccz .LBB98_1016
; %bb.977:
	s_cmp_gt_i32 s7, 22
	s_mov_b32 s8, -1
	s_cbranch_scc0 .LBB98_1009
; %bb.978:
	s_cmp_lt_i32 s7, 24
	s_cbranch_scc1 .LBB98_998
; %bb.979:
	s_cmp_gt_i32 s7, 24
	s_cbranch_scc0 .LBB98_987
; %bb.980:
	v_and_b32_e32 v1, 0x7fffffff, v0
	v_mov_b32_e32 v4, 0x80
	s_mov_b32 s8, exec_lo
	v_cmpx_gt_u32_e32 0x47800000, v1
	s_cbranch_execz .LBB98_986
; %bb.981:
	v_cmp_lt_u32_e32 vcc_lo, 0x37ffffff, v1
	s_mov_b32 s9, 0
                                        ; implicit-def: $vgpr1
	s_and_saveexec_b32 s10, vcc_lo
	s_xor_b32 s10, exec_lo, s10
	s_cbranch_execz .LBB98_1123
; %bb.982:
	v_bfe_u32 v1, v0, 21, 1
	s_mov_b32 s9, exec_lo
	v_add3_u32 v1, v0, v1, 0x88fffff
	v_lshrrev_b32_e32 v1, 21, v1
	s_andn2_saveexec_b32 s10, s10
	s_cbranch_execnz .LBB98_1124
.LBB98_983:
	s_or_b32 exec_lo, exec_lo, s10
	v_mov_b32_e32 v4, 0
	s_and_saveexec_b32 s10, s9
.LBB98_984:
	v_lshrrev_b32_e32 v4, 24, v0
	v_and_or_b32 v4, 0x80, v4, v1
.LBB98_985:
	s_or_b32 exec_lo, exec_lo, s10
.LBB98_986:
	s_or_b32 exec_lo, exec_lo, s8
	s_mov_b32 s8, 0
	global_store_byte v[2:3], v4, off
.LBB98_987:
	s_and_b32 vcc_lo, exec_lo, s8
	s_cbranch_vccz .LBB98_997
; %bb.988:
	v_and_b32_e32 v4, 0x7fffffff, v0
	s_mov_b32 s8, exec_lo
                                        ; implicit-def: $vgpr1
	v_cmpx_gt_u32_e32 0x43f00000, v4
	s_xor_b32 s8, exec_lo, s8
	s_cbranch_execz .LBB98_994
; %bb.989:
	s_mov_b32 s9, exec_lo
                                        ; implicit-def: $vgpr1
	v_cmpx_lt_u32_e32 0x3c7fffff, v4
	s_xor_b32 s9, exec_lo, s9
; %bb.990:
	v_bfe_u32 v1, v0, 20, 1
	v_add3_u32 v1, v0, v1, 0x407ffff
	v_and_b32_e32 v4, 0xff00000, v1
	v_lshrrev_b32_e32 v1, 20, v1
	v_cmp_ne_u32_e32 vcc_lo, 0x7f00000, v4
	v_cndmask_b32_e32 v1, 0x7e, v1, vcc_lo
; %bb.991:
	s_andn2_saveexec_b32 s9, s9
; %bb.992:
	v_add_f32_e64 v1, 0x46800000, |v0|
; %bb.993:
	s_or_b32 exec_lo, exec_lo, s9
                                        ; implicit-def: $vgpr4
.LBB98_994:
	s_andn2_saveexec_b32 s8, s8
; %bb.995:
	v_mov_b32_e32 v1, 0x7f
	v_cmp_lt_u32_e32 vcc_lo, 0x7f800000, v4
	v_cndmask_b32_e32 v1, 0x7e, v1, vcc_lo
; %bb.996:
	s_or_b32 exec_lo, exec_lo, s8
	v_lshrrev_b32_e32 v4, 24, v0
	v_and_or_b32 v1, 0x80, v4, v1
	global_store_byte v[2:3], v1, off
.LBB98_997:
	s_mov_b32 s8, 0
.LBB98_998:
	s_andn2_b32 vcc_lo, exec_lo, s8
	s_cbranch_vccnz .LBB98_1008
; %bb.999:
	v_and_b32_e32 v4, 0x7fffffff, v0
	s_mov_b32 s8, exec_lo
                                        ; implicit-def: $vgpr1
	v_cmpx_gt_u32_e32 0x47800000, v4
	s_xor_b32 s8, exec_lo, s8
	s_cbranch_execz .LBB98_1005
; %bb.1000:
	s_mov_b32 s9, exec_lo
                                        ; implicit-def: $vgpr1
	v_cmpx_lt_u32_e32 0x387fffff, v4
	s_xor_b32 s9, exec_lo, s9
; %bb.1001:
	v_bfe_u32 v1, v0, 21, 1
	v_add3_u32 v1, v0, v1, 0x80fffff
	v_lshrrev_b32_e32 v1, 21, v1
; %bb.1002:
	s_andn2_saveexec_b32 s9, s9
; %bb.1003:
	v_add_f32_e64 v1, 0x43000000, |v0|
; %bb.1004:
	s_or_b32 exec_lo, exec_lo, s9
                                        ; implicit-def: $vgpr4
.LBB98_1005:
	s_andn2_saveexec_b32 s8, s8
; %bb.1006:
	v_mov_b32_e32 v1, 0x7f
	v_cmp_lt_u32_e32 vcc_lo, 0x7f800000, v4
	v_cndmask_b32_e32 v1, 0x7c, v1, vcc_lo
; %bb.1007:
	s_or_b32 exec_lo, exec_lo, s8
	v_lshrrev_b32_e32 v4, 24, v0
	v_and_or_b32 v1, 0x80, v4, v1
	global_store_byte v[2:3], v1, off
.LBB98_1008:
	s_mov_b32 s8, 0
.LBB98_1009:
	s_andn2_b32 vcc_lo, exec_lo, s8
	s_mov_b32 s8, 0
	s_cbranch_vccnz .LBB98_1016
; %bb.1010:
	s_cmp_gt_i32 s7, 14
	s_mov_b32 s8, -1
	s_cbranch_scc0 .LBB98_1014
; %bb.1011:
	s_cmp_eq_u32 s7, 15
	s_mov_b32 s4, -1
	s_cbranch_scc0 .LBB98_1013
; %bb.1012:
	v_bfe_u32 v1, v0, 16, 1
	v_cmp_o_f32_e32 vcc_lo, v0, v0
	v_mov_b32_e32 v4, 0x7fc0
	s_mov_b32 s4, 0
	v_add3_u32 v1, v0, v1, 0x7fff
	v_cndmask_b32_sdwa v1, v4, v1, vcc_lo dst_sel:DWORD dst_unused:UNUSED_PAD src0_sel:DWORD src1_sel:WORD_1
	global_store_short v[2:3], v1, off
.LBB98_1013:
	s_mov_b32 s8, 0
.LBB98_1014:
	s_and_b32 vcc_lo, exec_lo, s8
	s_mov_b32 s8, 0
	s_cbranch_vccz .LBB98_1016
; %bb.1015:
	s_cmp_lg_u32 s7, 11
	s_mov_b32 s8, -1
	s_cselect_b32 s4, -1, 0
.LBB98_1016:
	s_and_b32 vcc_lo, exec_lo, s4
	s_cbranch_vccnz .LBB98_1120
.LBB98_1017:
	s_mov_b32 s4, 0
	s_branch .LBB98_1058
.LBB98_1018:
	s_mov_b32 s9, 0
	s_cbranch_execz .LBB98_941
; %bb.1019:
	s_cmp_lt_i32 s7, 5
	s_mov_b32 s4, -1
	s_cbranch_scc1 .LBB98_1040
; %bb.1020:
	s_cmp_lt_i32 s7, 8
	s_cbranch_scc1 .LBB98_1030
; %bb.1021:
	s_cmp_lt_i32 s7, 9
	s_cbranch_scc1 .LBB98_1027
; %bb.1022:
	s_cmp_gt_i32 s7, 9
	s_cbranch_scc0 .LBB98_1024
; %bb.1023:
	v_cvt_f64_f32_e32 v[3:4], v18
	v_mov_b32_e32 v5, 0
	s_mov_b32 s4, 0
	v_mov_b32_e32 v6, v5
	global_store_dwordx4 v[1:2], v[3:6], off
.LBB98_1024:
	s_andn2_b32 vcc_lo, exec_lo, s4
	s_cbranch_vccnz .LBB98_1026
; %bb.1025:
	v_mov_b32_e32 v19, 0
	global_store_dwordx2 v[1:2], v[18:19], off
.LBB98_1026:
	s_mov_b32 s4, 0
.LBB98_1027:
	s_andn2_b32 vcc_lo, exec_lo, s4
	s_cbranch_vccnz .LBB98_1029
; %bb.1028:
	v_cvt_f16_f32_e32 v3, v18
	v_and_b32_e32 v3, 0xffff, v3
	global_store_dword v[1:2], v3, off
.LBB98_1029:
	s_mov_b32 s4, 0
.LBB98_1030:
	s_andn2_b32 vcc_lo, exec_lo, s4
	s_cbranch_vccnz .LBB98_1039
; %bb.1031:
	s_cmp_lt_i32 s7, 6
	s_mov_b32 s4, -1
	s_cbranch_scc1 .LBB98_1037
; %bb.1032:
	s_cmp_gt_i32 s7, 6
	s_cbranch_scc0 .LBB98_1034
; %bb.1033:
	v_cvt_f64_f32_e32 v[3:4], v18
	s_mov_b32 s4, 0
	global_store_dwordx2 v[1:2], v[3:4], off
.LBB98_1034:
	s_andn2_b32 vcc_lo, exec_lo, s4
	s_cbranch_vccnz .LBB98_1036
; %bb.1035:
	global_store_dword v[1:2], v18, off
.LBB98_1036:
	s_mov_b32 s4, 0
.LBB98_1037:
	s_andn2_b32 vcc_lo, exec_lo, s4
	s_cbranch_vccnz .LBB98_1039
; %bb.1038:
	v_cvt_f16_f32_e32 v3, v18
	global_store_short v[1:2], v3, off
.LBB98_1039:
	s_mov_b32 s4, 0
.LBB98_1040:
	s_andn2_b32 vcc_lo, exec_lo, s4
	s_cbranch_vccnz .LBB98_1056
; %bb.1041:
	s_cmp_lt_i32 s7, 2
	s_mov_b32 s4, -1
	s_cbranch_scc1 .LBB98_1051
; %bb.1042:
	s_cmp_lt_i32 s7, 3
	s_cbranch_scc1 .LBB98_1048
; %bb.1043:
	s_cmp_gt_i32 s7, 3
	s_cbranch_scc0 .LBB98_1045
; %bb.1044:
	v_trunc_f32_e32 v3, v18
	s_mov_b32 s4, 0
	v_mul_f32_e64 v4, 0x2f800000, |v3|
	v_ashrrev_i32_e32 v6, 31, v3
	v_floor_f32_e32 v4, v4
	v_fma_f32 v5, 0xcf800000, v4, |v3|
	v_cvt_u32_f32_e32 v4, v4
	v_cvt_u32_f32_e32 v3, v5
	v_xor_b32_e32 v4, v4, v6
	v_xor_b32_e32 v3, v3, v6
	v_sub_co_u32 v3, vcc_lo, v3, v6
	v_sub_co_ci_u32_e64 v4, null, v4, v6, vcc_lo
	global_store_dwordx2 v[1:2], v[3:4], off
.LBB98_1045:
	s_andn2_b32 vcc_lo, exec_lo, s4
	s_cbranch_vccnz .LBB98_1047
; %bb.1046:
	v_cvt_i32_f32_e32 v3, v18
	global_store_dword v[1:2], v3, off
.LBB98_1047:
	s_mov_b32 s4, 0
.LBB98_1048:
	s_andn2_b32 vcc_lo, exec_lo, s4
	s_cbranch_vccnz .LBB98_1050
; %bb.1049:
	v_cvt_i32_f32_e32 v3, v18
	global_store_short v[1:2], v3, off
.LBB98_1050:
	s_mov_b32 s4, 0
.LBB98_1051:
	s_andn2_b32 vcc_lo, exec_lo, s4
	s_cbranch_vccnz .LBB98_1056
; %bb.1052:
	s_cmp_gt_i32 s7, 0
	s_mov_b32 s4, -1
	s_cbranch_scc0 .LBB98_1054
; %bb.1053:
	v_cvt_i32_f32_e32 v3, v18
	s_mov_b32 s4, 0
	global_store_byte v[1:2], v3, off
.LBB98_1054:
	s_andn2_b32 vcc_lo, exec_lo, s4
	s_cbranch_vccnz .LBB98_1056
; %bb.1055:
	v_trunc_f32_e32 v3, v18
	v_mul_f32_e64 v4, 0x2f800000, |v3|
	v_floor_f32_e32 v4, v4
	v_fma_f32 v4, 0xcf800000, v4, |v3|
	v_ashrrev_i32_e32 v3, 31, v3
	v_cvt_u32_f32_e32 v4, v4
	v_xor_b32_e32 v4, v4, v3
	v_sub_nc_u32_e32 v3, v4, v3
	global_store_byte v[1:2], v3, off
.LBB98_1056:
	s_branch .LBB98_942
.LBB98_1057:
	s_mov_b32 s4, 0
	s_mov_b32 s8, 0
                                        ; implicit-def: $sgpr5
                                        ; implicit-def: $vgpr2_vgpr3
.LBB98_1058:
	s_andn2_b32 s7, s24, exec_lo
	s_and_b32 s6, s6, exec_lo
	s_and_b32 s4, s4, exec_lo
	s_and_b32 s45, s8, exec_lo
	s_or_b32 s24, s7, s6
.LBB98_1059:
	s_or_b32 exec_lo, exec_lo, s25
	s_and_saveexec_b32 s6, s24
	s_cbranch_execz .LBB98_1062
; %bb.1060:
	; divergent unreachable
	s_or_b32 exec_lo, exec_lo, s6
	s_and_saveexec_b32 s6, s45
	s_xor_b32 s6, exec_lo, s6
	s_cbranch_execnz .LBB98_1063
.LBB98_1061:
	s_or_b32 exec_lo, exec_lo, s6
	s_and_saveexec_b32 s6, s4
	s_cbranch_execnz .LBB98_1064
	s_branch .LBB98_1101
.LBB98_1062:
	s_or_b32 exec_lo, exec_lo, s6
	s_and_saveexec_b32 s6, s45
	s_xor_b32 s6, exec_lo, s6
	s_cbranch_execz .LBB98_1061
.LBB98_1063:
	v_cmp_neq_f32_e32 vcc_lo, 0, v0
	v_cndmask_b32_e64 v1, 0, 1, vcc_lo
	global_store_byte v[2:3], v1, off
	s_or_b32 exec_lo, exec_lo, s6
	s_and_saveexec_b32 s6, s4
	s_cbranch_execz .LBB98_1101
.LBB98_1064:
	s_sext_i32_i16 s6, s5
	s_mov_b32 s4, -1
	s_cmp_lt_i32 s6, 5
	s_cbranch_scc1 .LBB98_1085
; %bb.1065:
	s_cmp_lt_i32 s6, 8
	s_cbranch_scc1 .LBB98_1075
; %bb.1066:
	;; [unrolled: 3-line block ×3, first 2 shown]
	s_cmp_gt_i32 s6, 9
	s_cbranch_scc0 .LBB98_1069
; %bb.1068:
	v_cvt_f64_f32_e32 v[4:5], v0
	v_mov_b32_e32 v6, 0
	s_mov_b32 s4, 0
	v_mov_b32_e32 v7, v6
	global_store_dwordx4 v[2:3], v[4:7], off
.LBB98_1069:
	s_andn2_b32 vcc_lo, exec_lo, s4
	s_cbranch_vccnz .LBB98_1071
; %bb.1070:
	v_mov_b32_e32 v1, 0
	global_store_dwordx2 v[2:3], v[0:1], off
.LBB98_1071:
	s_mov_b32 s4, 0
.LBB98_1072:
	s_andn2_b32 vcc_lo, exec_lo, s4
	s_cbranch_vccnz .LBB98_1074
; %bb.1073:
	v_cvt_f16_f32_e32 v1, v0
	v_and_b32_e32 v1, 0xffff, v1
	global_store_dword v[2:3], v1, off
.LBB98_1074:
	s_mov_b32 s4, 0
.LBB98_1075:
	s_andn2_b32 vcc_lo, exec_lo, s4
	s_cbranch_vccnz .LBB98_1084
; %bb.1076:
	s_sext_i32_i16 s6, s5
	s_mov_b32 s4, -1
	s_cmp_lt_i32 s6, 6
	s_cbranch_scc1 .LBB98_1082
; %bb.1077:
	s_cmp_gt_i32 s6, 6
	s_cbranch_scc0 .LBB98_1079
; %bb.1078:
	v_cvt_f64_f32_e32 v[4:5], v0
	s_mov_b32 s4, 0
	global_store_dwordx2 v[2:3], v[4:5], off
.LBB98_1079:
	s_andn2_b32 vcc_lo, exec_lo, s4
	s_cbranch_vccnz .LBB98_1081
; %bb.1080:
	global_store_dword v[2:3], v0, off
.LBB98_1081:
	s_mov_b32 s4, 0
.LBB98_1082:
	s_andn2_b32 vcc_lo, exec_lo, s4
	s_cbranch_vccnz .LBB98_1084
; %bb.1083:
	v_cvt_f16_f32_e32 v1, v0
	global_store_short v[2:3], v1, off
.LBB98_1084:
	s_mov_b32 s4, 0
.LBB98_1085:
	s_andn2_b32 vcc_lo, exec_lo, s4
	s_cbranch_vccnz .LBB98_1101
; %bb.1086:
	s_sext_i32_i16 s6, s5
	s_mov_b32 s4, -1
	s_cmp_lt_i32 s6, 2
	s_cbranch_scc1 .LBB98_1096
; %bb.1087:
	s_cmp_lt_i32 s6, 3
	s_cbranch_scc1 .LBB98_1093
; %bb.1088:
	s_cmp_gt_i32 s6, 3
	s_cbranch_scc0 .LBB98_1090
; %bb.1089:
	v_trunc_f32_e32 v1, v0
	s_mov_b32 s4, 0
	v_mul_f32_e64 v4, 0x2f800000, |v1|
	v_floor_f32_e32 v4, v4
	v_fma_f32 v5, 0xcf800000, v4, |v1|
	v_ashrrev_i32_e32 v1, 31, v1
	v_cvt_u32_f32_e32 v4, v4
	v_cvt_u32_f32_e32 v5, v5
	v_xor_b32_e32 v6, v4, v1
	v_xor_b32_e32 v5, v5, v1
	v_sub_co_u32 v4, vcc_lo, v5, v1
	v_sub_co_ci_u32_e64 v5, null, v6, v1, vcc_lo
	global_store_dwordx2 v[2:3], v[4:5], off
.LBB98_1090:
	s_andn2_b32 vcc_lo, exec_lo, s4
	s_cbranch_vccnz .LBB98_1092
; %bb.1091:
	v_cvt_i32_f32_e32 v1, v0
	global_store_dword v[2:3], v1, off
.LBB98_1092:
	s_mov_b32 s4, 0
.LBB98_1093:
	s_andn2_b32 vcc_lo, exec_lo, s4
	s_cbranch_vccnz .LBB98_1095
; %bb.1094:
	v_cvt_i32_f32_e32 v1, v0
	global_store_short v[2:3], v1, off
.LBB98_1095:
	s_mov_b32 s4, 0
.LBB98_1096:
	s_andn2_b32 vcc_lo, exec_lo, s4
	s_cbranch_vccnz .LBB98_1101
; %bb.1097:
	s_sext_i32_i16 s4, s5
	s_cmp_gt_i32 s4, 0
	s_mov_b32 s4, -1
	s_cbranch_scc0 .LBB98_1099
; %bb.1098:
	v_cvt_i32_f32_e32 v1, v0
	s_mov_b32 s4, 0
	global_store_byte v[2:3], v1, off
.LBB98_1099:
	s_andn2_b32 vcc_lo, exec_lo, s4
	s_cbranch_vccnz .LBB98_1101
; %bb.1100:
	v_trunc_f32_e32 v0, v0
	v_mul_f32_e64 v1, 0x2f800000, |v0|
	v_floor_f32_e32 v1, v1
	v_fma_f32 v1, 0xcf800000, v1, |v0|
	v_ashrrev_i32_e32 v0, 31, v0
	v_cvt_u32_f32_e32 v1, v1
	v_xor_b32_e32 v1, v1, v0
	v_sub_nc_u32_e32 v0, v1, v0
	global_store_byte v[2:3], v0, off
	s_endpgm
.LBB98_1101:
	s_endpgm
.LBB98_1102:
	s_mov_b32 s8, 0
	s_mov_b32 s4, -1
	s_branch .LBB98_1058
.LBB98_1103:
	s_andn2_saveexec_b32 s10, s10
	s_cbranch_execz .LBB98_655
.LBB98_1104:
	v_add_f32_e64 v3, 0x46000000, |v20|
	s_andn2_b32 s9, s9, exec_lo
	v_and_b32_e32 v3, 0xff, v3
	v_cmp_ne_u32_e32 vcc_lo, 0, v3
	s_and_b32 s11, vcc_lo, exec_lo
	s_or_b32 s9, s9, s11
	s_or_b32 exec_lo, exec_lo, s10
	v_mov_b32_e32 v4, 0
	s_and_saveexec_b32 s10, s9
	s_cbranch_execnz .LBB98_656
	s_branch .LBB98_657
.LBB98_1105:
	s_or_b32 s6, s24, exec_lo
	s_trap 2
	s_cbranch_execz .LBB98_703
	s_branch .LBB98_704
.LBB98_1106:
	s_andn2_saveexec_b32 s9, s9
	s_cbranch_execz .LBB98_668
.LBB98_1107:
	v_add_f32_e64 v3, 0x42800000, |v20|
	s_andn2_b32 s8, s8, exec_lo
	v_and_b32_e32 v3, 0xff, v3
	v_cmp_ne_u32_e32 vcc_lo, 0, v3
	s_and_b32 s10, vcc_lo, exec_lo
	s_or_b32 s8, s8, s10
	s_or_b32 exec_lo, exec_lo, s9
	v_mov_b32_e32 v4, 0
	s_and_saveexec_b32 s9, s8
	s_cbranch_execnz .LBB98_669
	s_branch .LBB98_670
.LBB98_1108:
	s_andn2_saveexec_b32 s11, s11
	s_cbranch_execz .LBB98_773
.LBB98_1109:
	v_add_f32_e64 v3, 0x46000000, |v19|
	s_andn2_b32 s10, s10, exec_lo
	v_and_b32_e32 v3, 0xff, v3
	v_cmp_ne_u32_e32 vcc_lo, 0, v3
	s_and_b32 s12, vcc_lo, exec_lo
	s_or_b32 s10, s10, s12
	s_or_b32 exec_lo, exec_lo, s11
	v_mov_b32_e32 v4, 0
	s_and_saveexec_b32 s11, s10
	s_cbranch_execnz .LBB98_774
	s_branch .LBB98_775
.LBB98_1110:
	s_or_b32 s6, s6, exec_lo
	s_trap 2
	s_cbranch_execz .LBB98_821
	s_branch .LBB98_822
.LBB98_1111:
	s_andn2_saveexec_b32 s10, s10
	s_cbranch_execz .LBB98_786
.LBB98_1112:
	v_add_f32_e64 v3, 0x42800000, |v19|
	s_andn2_b32 s9, s9, exec_lo
	v_and_b32_e32 v3, 0xff, v3
	v_cmp_ne_u32_e32 vcc_lo, 0, v3
	s_and_b32 s11, vcc_lo, exec_lo
	s_or_b32 s9, s9, s11
	s_or_b32 exec_lo, exec_lo, s10
	v_mov_b32_e32 v4, 0
	s_and_saveexec_b32 s10, s9
	s_cbranch_execnz .LBB98_787
	s_branch .LBB98_788
.LBB98_1113:
	s_andn2_saveexec_b32 s11, s11
	s_cbranch_execz .LBB98_891
.LBB98_1114:
	v_add_f32_e64 v3, 0x46000000, |v18|
	s_andn2_b32 s10, s10, exec_lo
	v_and_b32_e32 v3, 0xff, v3
	v_cmp_ne_u32_e32 vcc_lo, 0, v3
	s_and_b32 s12, vcc_lo, exec_lo
	s_or_b32 s10, s10, s12
	s_or_b32 exec_lo, exec_lo, s11
	v_mov_b32_e32 v4, 0
	s_and_saveexec_b32 s11, s10
	s_cbranch_execnz .LBB98_892
	s_branch .LBB98_893
.LBB98_1115:
	s_or_b32 s6, s6, exec_lo
	s_trap 2
	s_cbranch_execz .LBB98_939
	s_branch .LBB98_940
.LBB98_1116:
	s_andn2_saveexec_b32 s10, s10
	s_cbranch_execz .LBB98_904
.LBB98_1117:
	v_add_f32_e64 v3, 0x42800000, |v18|
	s_andn2_b32 s9, s9, exec_lo
	v_and_b32_e32 v3, 0xff, v3
	v_cmp_ne_u32_e32 vcc_lo, 0, v3
	s_and_b32 s11, vcc_lo, exec_lo
	s_or_b32 s9, s9, s11
	s_or_b32 exec_lo, exec_lo, s10
	v_mov_b32_e32 v4, 0
	s_and_saveexec_b32 s10, s9
	s_cbranch_execnz .LBB98_905
	s_branch .LBB98_906
.LBB98_1118:
	s_andn2_saveexec_b32 s11, s11
	s_cbranch_execz .LBB98_971
.LBB98_1119:
	v_add_f32_e64 v1, 0x46000000, |v0|
	s_andn2_b32 s10, s10, exec_lo
	v_and_b32_e32 v1, 0xff, v1
	v_cmp_ne_u32_e32 vcc_lo, 0, v1
	s_and_b32 s12, vcc_lo, exec_lo
	s_or_b32 s10, s10, s12
	s_or_b32 exec_lo, exec_lo, s11
	v_mov_b32_e32 v4, 0
	s_and_saveexec_b32 s11, s10
	s_cbranch_execnz .LBB98_972
	s_branch .LBB98_973
.LBB98_1120:
	s_mov_b32 s8, 0
	s_or_b32 s6, s6, exec_lo
	s_trap 2
	s_branch .LBB98_1017
.LBB98_1121:
	s_andn2_saveexec_b32 s9, s9
	s_cbranch_execz .LBB98_480
.LBB98_1122:
	v_add_f32_e64 v1, 0x46000000, |v0|
	s_andn2_b32 s8, s8, exec_lo
	v_and_b32_e32 v1, 0xff, v1
	v_cmp_ne_u32_e32 vcc_lo, 0, v1
	s_and_b32 s10, vcc_lo, exec_lo
	s_or_b32 s8, s8, s10
	s_or_b32 exec_lo, exec_lo, s9
	v_mov_b32_e32 v4, 0
	s_and_saveexec_b32 s9, s8
	s_cbranch_execnz .LBB98_481
	s_branch .LBB98_482
.LBB98_1123:
	s_andn2_saveexec_b32 s10, s10
	s_cbranch_execz .LBB98_983
.LBB98_1124:
	v_add_f32_e64 v1, 0x42800000, |v0|
	s_andn2_b32 s9, s9, exec_lo
	v_and_b32_e32 v1, 0xff, v1
	v_cmp_ne_u32_e32 vcc_lo, 0, v1
	s_and_b32 s11, vcc_lo, exec_lo
	s_or_b32 s9, s9, s11
	s_or_b32 exec_lo, exec_lo, s10
	v_mov_b32_e32 v4, 0
	s_and_saveexec_b32 s10, s9
	s_cbranch_execnz .LBB98_984
	s_branch .LBB98_985
.LBB98_1125:
	s_andn2_saveexec_b32 s10, s10
	s_cbranch_execz .LBB98_492
.LBB98_1126:
	v_add_f32_e64 v1, 0x42800000, |v0|
	s_andn2_b32 s9, s9, exec_lo
	v_and_b32_e32 v1, 0xff, v1
	v_cmp_ne_u32_e32 vcc_lo, 0, v1
	s_and_b32 s11, vcc_lo, exec_lo
	s_or_b32 s9, s9, s11
	s_or_b32 exec_lo, exec_lo, s10
	v_mov_b32_e32 v4, 0
	s_and_saveexec_b32 s10, s9
	s_cbranch_execnz .LBB98_493
	s_branch .LBB98_494
	.section	.rodata,"a",@progbits
	.p2align	6, 0x0
	.amdhsa_kernel _ZN2at6native32elementwise_kernel_manual_unrollILi128ELi4EZNS0_15gpu_kernel_implIZZZNS0_21polygamma_kernel_cudaERNS_18TensorIteratorBaseElENKUlvE_clEvENKUlvE0_clEvEUlfE_EEvS4_RKT_EUlibE0_EEviT1_
		.amdhsa_group_segment_fixed_size 0
		.amdhsa_private_segment_fixed_size 0
		.amdhsa_kernarg_size 368
		.amdhsa_user_sgpr_count 6
		.amdhsa_user_sgpr_private_segment_buffer 1
		.amdhsa_user_sgpr_dispatch_ptr 0
		.amdhsa_user_sgpr_queue_ptr 0
		.amdhsa_user_sgpr_kernarg_segment_ptr 1
		.amdhsa_user_sgpr_dispatch_id 0
		.amdhsa_user_sgpr_flat_scratch_init 0
		.amdhsa_user_sgpr_private_segment_size 0
		.amdhsa_wavefront_size32 1
		.amdhsa_uses_dynamic_stack 0
		.amdhsa_system_sgpr_private_segment_wavefront_offset 0
		.amdhsa_system_sgpr_workgroup_id_x 1
		.amdhsa_system_sgpr_workgroup_id_y 0
		.amdhsa_system_sgpr_workgroup_id_z 0
		.amdhsa_system_sgpr_workgroup_info 0
		.amdhsa_system_vgpr_workitem_id 0
		.amdhsa_next_free_vgpr 32
		.amdhsa_next_free_sgpr 76
		.amdhsa_reserve_vcc 1
		.amdhsa_reserve_flat_scratch 0
		.amdhsa_float_round_mode_32 0
		.amdhsa_float_round_mode_16_64 0
		.amdhsa_float_denorm_mode_32 3
		.amdhsa_float_denorm_mode_16_64 3
		.amdhsa_dx10_clamp 1
		.amdhsa_ieee_mode 1
		.amdhsa_fp16_overflow 0
		.amdhsa_workgroup_processor_mode 1
		.amdhsa_memory_ordered 1
		.amdhsa_forward_progress 1
		.amdhsa_shared_vgpr_count 0
		.amdhsa_exception_fp_ieee_invalid_op 0
		.amdhsa_exception_fp_denorm_src 0
		.amdhsa_exception_fp_ieee_div_zero 0
		.amdhsa_exception_fp_ieee_overflow 0
		.amdhsa_exception_fp_ieee_underflow 0
		.amdhsa_exception_fp_ieee_inexact 0
		.amdhsa_exception_int_div_zero 0
	.end_amdhsa_kernel
	.section	.text._ZN2at6native32elementwise_kernel_manual_unrollILi128ELi4EZNS0_15gpu_kernel_implIZZZNS0_21polygamma_kernel_cudaERNS_18TensorIteratorBaseElENKUlvE_clEvENKUlvE0_clEvEUlfE_EEvS4_RKT_EUlibE0_EEviT1_,"axG",@progbits,_ZN2at6native32elementwise_kernel_manual_unrollILi128ELi4EZNS0_15gpu_kernel_implIZZZNS0_21polygamma_kernel_cudaERNS_18TensorIteratorBaseElENKUlvE_clEvENKUlvE0_clEvEUlfE_EEvS4_RKT_EUlibE0_EEviT1_,comdat
.Lfunc_end98:
	.size	_ZN2at6native32elementwise_kernel_manual_unrollILi128ELi4EZNS0_15gpu_kernel_implIZZZNS0_21polygamma_kernel_cudaERNS_18TensorIteratorBaseElENKUlvE_clEvENKUlvE0_clEvEUlfE_EEvS4_RKT_EUlibE0_EEviT1_, .Lfunc_end98-_ZN2at6native32elementwise_kernel_manual_unrollILi128ELi4EZNS0_15gpu_kernel_implIZZZNS0_21polygamma_kernel_cudaERNS_18TensorIteratorBaseElENKUlvE_clEvENKUlvE0_clEvEUlfE_EEvS4_RKT_EUlibE0_EEviT1_
                                        ; -- End function
	.set _ZN2at6native32elementwise_kernel_manual_unrollILi128ELi4EZNS0_15gpu_kernel_implIZZZNS0_21polygamma_kernel_cudaERNS_18TensorIteratorBaseElENKUlvE_clEvENKUlvE0_clEvEUlfE_EEvS4_RKT_EUlibE0_EEviT1_.num_vgpr, max(32, .L_ZN2at6native6invokeIZZZNS0_21polygamma_kernel_cudaERNS_18TensorIteratorBaseElENKUlvE_clEvENKUlvE0_clEvEUlfE_j15function_traitsIS6_EEENT1_11result_typeERKT_PrKPcPKT0_PKN3c1010ScalarTypeEi.num_vgpr)
	.set _ZN2at6native32elementwise_kernel_manual_unrollILi128ELi4EZNS0_15gpu_kernel_implIZZZNS0_21polygamma_kernel_cudaERNS_18TensorIteratorBaseElENKUlvE_clEvENKUlvE0_clEvEUlfE_EEvS4_RKT_EUlibE0_EEviT1_.num_agpr, max(0, .L_ZN2at6native6invokeIZZZNS0_21polygamma_kernel_cudaERNS_18TensorIteratorBaseElENKUlvE_clEvENKUlvE0_clEvEUlfE_j15function_traitsIS6_EEENT1_11result_typeERKT_PrKPcPKT0_PKN3c1010ScalarTypeEi.num_agpr)
	.set _ZN2at6native32elementwise_kernel_manual_unrollILi128ELi4EZNS0_15gpu_kernel_implIZZZNS0_21polygamma_kernel_cudaERNS_18TensorIteratorBaseElENKUlvE_clEvENKUlvE0_clEvEUlfE_EEvS4_RKT_EUlibE0_EEviT1_.numbered_sgpr, max(76, .L_ZN2at6native6invokeIZZZNS0_21polygamma_kernel_cudaERNS_18TensorIteratorBaseElENKUlvE_clEvENKUlvE0_clEvEUlfE_j15function_traitsIS6_EEENT1_11result_typeERKT_PrKPcPKT0_PKN3c1010ScalarTypeEi.numbered_sgpr)
	.set _ZN2at6native32elementwise_kernel_manual_unrollILi128ELi4EZNS0_15gpu_kernel_implIZZZNS0_21polygamma_kernel_cudaERNS_18TensorIteratorBaseElENKUlvE_clEvENKUlvE0_clEvEUlfE_EEvS4_RKT_EUlibE0_EEviT1_.num_named_barrier, max(0, .L_ZN2at6native6invokeIZZZNS0_21polygamma_kernel_cudaERNS_18TensorIteratorBaseElENKUlvE_clEvENKUlvE0_clEvEUlfE_j15function_traitsIS6_EEENT1_11result_typeERKT_PrKPcPKT0_PKN3c1010ScalarTypeEi.num_named_barrier)
	.set _ZN2at6native32elementwise_kernel_manual_unrollILi128ELi4EZNS0_15gpu_kernel_implIZZZNS0_21polygamma_kernel_cudaERNS_18TensorIteratorBaseElENKUlvE_clEvENKUlvE0_clEvEUlfE_EEvS4_RKT_EUlibE0_EEviT1_.private_seg_size, 0+max(.L_ZN2at6native6invokeIZZZNS0_21polygamma_kernel_cudaERNS_18TensorIteratorBaseElENKUlvE_clEvENKUlvE0_clEvEUlfE_j15function_traitsIS6_EEENT1_11result_typeERKT_PrKPcPKT0_PKN3c1010ScalarTypeEi.private_seg_size)
	.set _ZN2at6native32elementwise_kernel_manual_unrollILi128ELi4EZNS0_15gpu_kernel_implIZZZNS0_21polygamma_kernel_cudaERNS_18TensorIteratorBaseElENKUlvE_clEvENKUlvE0_clEvEUlfE_EEvS4_RKT_EUlibE0_EEviT1_.uses_vcc, or(1, .L_ZN2at6native6invokeIZZZNS0_21polygamma_kernel_cudaERNS_18TensorIteratorBaseElENKUlvE_clEvENKUlvE0_clEvEUlfE_j15function_traitsIS6_EEENT1_11result_typeERKT_PrKPcPKT0_PKN3c1010ScalarTypeEi.uses_vcc)
	.set _ZN2at6native32elementwise_kernel_manual_unrollILi128ELi4EZNS0_15gpu_kernel_implIZZZNS0_21polygamma_kernel_cudaERNS_18TensorIteratorBaseElENKUlvE_clEvENKUlvE0_clEvEUlfE_EEvS4_RKT_EUlibE0_EEviT1_.uses_flat_scratch, or(0, .L_ZN2at6native6invokeIZZZNS0_21polygamma_kernel_cudaERNS_18TensorIteratorBaseElENKUlvE_clEvENKUlvE0_clEvEUlfE_j15function_traitsIS6_EEENT1_11result_typeERKT_PrKPcPKT0_PKN3c1010ScalarTypeEi.uses_flat_scratch)
	.set _ZN2at6native32elementwise_kernel_manual_unrollILi128ELi4EZNS0_15gpu_kernel_implIZZZNS0_21polygamma_kernel_cudaERNS_18TensorIteratorBaseElENKUlvE_clEvENKUlvE0_clEvEUlfE_EEvS4_RKT_EUlibE0_EEviT1_.has_dyn_sized_stack, or(0, .L_ZN2at6native6invokeIZZZNS0_21polygamma_kernel_cudaERNS_18TensorIteratorBaseElENKUlvE_clEvENKUlvE0_clEvEUlfE_j15function_traitsIS6_EEENT1_11result_typeERKT_PrKPcPKT0_PKN3c1010ScalarTypeEi.has_dyn_sized_stack)
	.set _ZN2at6native32elementwise_kernel_manual_unrollILi128ELi4EZNS0_15gpu_kernel_implIZZZNS0_21polygamma_kernel_cudaERNS_18TensorIteratorBaseElENKUlvE_clEvENKUlvE0_clEvEUlfE_EEvS4_RKT_EUlibE0_EEviT1_.has_recursion, or(0, .L_ZN2at6native6invokeIZZZNS0_21polygamma_kernel_cudaERNS_18TensorIteratorBaseElENKUlvE_clEvENKUlvE0_clEvEUlfE_j15function_traitsIS6_EEENT1_11result_typeERKT_PrKPcPKT0_PKN3c1010ScalarTypeEi.has_recursion)
	.set _ZN2at6native32elementwise_kernel_manual_unrollILi128ELi4EZNS0_15gpu_kernel_implIZZZNS0_21polygamma_kernel_cudaERNS_18TensorIteratorBaseElENKUlvE_clEvENKUlvE0_clEvEUlfE_EEvS4_RKT_EUlibE0_EEviT1_.has_indirect_call, or(0, .L_ZN2at6native6invokeIZZZNS0_21polygamma_kernel_cudaERNS_18TensorIteratorBaseElENKUlvE_clEvENKUlvE0_clEvEUlfE_j15function_traitsIS6_EEENT1_11result_typeERKT_PrKPcPKT0_PKN3c1010ScalarTypeEi.has_indirect_call)
	.section	.AMDGPU.csdata,"",@progbits
; Kernel info:
; codeLenInByte = 21876
; TotalNumSgprs: 78
; NumVgprs: 32
; ScratchSize: 0
; MemoryBound: 0
; FloatMode: 240
; IeeeMode: 1
; LDSByteSize: 0 bytes/workgroup (compile time only)
; SGPRBlocks: 0
; VGPRBlocks: 3
; NumSGPRsForWavesPerEU: 78
; NumVGPRsForWavesPerEU: 32
; Occupancy: 16
; WaveLimiterHint : 1
; COMPUTE_PGM_RSRC2:SCRATCH_EN: 0
; COMPUTE_PGM_RSRC2:USER_SGPR: 6
; COMPUTE_PGM_RSRC2:TRAP_HANDLER: 0
; COMPUTE_PGM_RSRC2:TGID_X_EN: 1
; COMPUTE_PGM_RSRC2:TGID_Y_EN: 0
; COMPUTE_PGM_RSRC2:TGID_Z_EN: 0
; COMPUTE_PGM_RSRC2:TIDIG_COMP_CNT: 0
	.text
	.p2align	2                               ; -- Begin function _ZN3c104guts5applyIRZZZN2at6native21polygamma_kernel_cudaERNS2_18TensorIteratorBaseElENKUlvE_clEvENKUlvE1_clEvEUlNS_4HalfEE_RSt5tupleIJS8_EEEEDaOT_OT0_
	.type	_ZN3c104guts5applyIRZZZN2at6native21polygamma_kernel_cudaERNS2_18TensorIteratorBaseElENKUlvE_clEvENKUlvE1_clEvEUlNS_4HalfEE_RSt5tupleIJS8_EEEEDaOT_OT0_,@function
_ZN3c104guts5applyIRZZZN2at6native21polygamma_kernel_cudaERNS2_18TensorIteratorBaseElENKUlvE_clEvENKUlvE1_clEvEUlNS_4HalfEE_RSt5tupleIJS8_EEEEDaOT_OT0_: ; @_ZN3c104guts5applyIRZZZN2at6native21polygamma_kernel_cudaERNS2_18TensorIteratorBaseElENKUlvE_clEvENKUlvE1_clEvEUlNS_4HalfEE_RSt5tupleIJS8_EEEEDaOT_OT0_
; %bb.0:
	s_waitcnt vmcnt(0) expcnt(0) lgkmcnt(0)
	v_cvt_f32_i32_e32 v1, v0
	s_mov_b32 s5, exec_lo
                                        ; implicit-def: $vgpr3
	v_cvt_f16_f32_e32 v1, v1
	v_add_f16_e32 v5, 1.0, v1
	v_cvt_f32_f16_e32 v1, v5
	v_and_b32_e32 v4, 0x7fffffff, v1
	v_cmpx_ngt_f32_e64 0x3c800000, |v1|
	s_xor_b32 s5, exec_lo, s5
	s_cbranch_execz .LBB99_30
; %bb.1:
	s_mov_b32 s6, exec_lo
                                        ; implicit-def: $vgpr3
	v_cmpx_nlt_f32_e64 |v1|, 2.0
	s_xor_b32 s6, exec_lo, s6
	s_cbranch_execz .LBB99_11
; %bb.2:
	v_cmp_ngt_f32_e64 s4, 0x41000000, |v1|
                                        ; implicit-def: $vgpr3
	s_and_saveexec_b32 s7, s4
	s_xor_b32 s4, exec_lo, s7
	s_cbranch_execz .LBB99_8
; %bb.3:
	v_cmp_ngt_f32_e64 s7, 0x5c800000, |v1|
                                        ; implicit-def: $vgpr3
	s_and_saveexec_b32 s8, s7
	s_xor_b32 s7, exec_lo, s8
	s_cbranch_execz .LBB99_5
; %bb.4:
	v_cmp_gt_f32_e64 s8, 0x800000, |v1|
	v_cndmask_b32_e64 v3, 0, 32, s8
	v_ldexp_f32 v3, |v1|, v3
	v_log_f32_e32 v3, v3
	v_mul_f32_e32 v6, 0x3f317217, v3
	v_cmp_gt_f32_e64 vcc_lo, 0x7f800000, |v3|
	v_fma_f32 v7, 0x3f317217, v3, -v6
	v_fmamk_f32 v7, v3, 0x3377d1cf, v7
	v_add_f32_e32 v6, v6, v7
	v_cndmask_b32_e32 v3, v3, v6, vcc_lo
	v_cndmask_b32_e64 v6, 0, 0x41b17218, s8
	v_sub_f32_e32 v3, v3, v6
	v_fma_f32 v3, |v1|, v3, -|v1|
.LBB99_5:
	s_andn2_saveexec_b32 s7, s7
	s_cbranch_execz .LBB99_7
; %bb.6:
	v_cmp_gt_f32_e64 s8, 0x800000, |v1|
	v_rcp_f32_e64 v6, |v1|
	s_mov_b32 s9, 0xbad5c4e8
	v_cndmask_b32_e64 v3, 0, 32, s8
	v_ldexp_f32 v3, |v1|, v3
	v_mul_f32_e32 v7, v6, v6
	v_log_f32_e32 v3, v3
	v_fmaak_f32 v9, s9, v7, 0x3a5b3dd2
	v_fmaak_f32 v9, v7, v9, 0xba1c065c
	v_mul_f32_e32 v8, 0x3f317217, v3
	v_fmaak_f32 v9, v7, v9, 0x3a500cfd
	v_cmp_gt_f32_e64 vcc_lo, 0x7f800000, |v3|
	v_fma_f32 v10, 0x3f317217, v3, -v8
	v_fmaak_f32 v9, v7, v9, 0xbb360b61
	v_fmamk_f32 v10, v3, 0x3377d1cf, v10
	v_fmaak_f32 v7, v7, v9, 0x3daaaaab
	v_add_f32_e32 v8, v8, v10
	v_cndmask_b32_e32 v3, v3, v8, vcc_lo
	v_cndmask_b32_e64 v8, 0, 0x41b17218, s8
	v_sub_f32_e32 v8, v3, v8
	v_fmaak_f32 v3, v6, v7, 0x3ed67f1d
	v_add_f32_e64 v6, |v1|, -0.5
	v_add_f32_e32 v7, -1.0, v8
	v_fmac_f32_e32 v3, v6, v7
.LBB99_7:
	s_or_b32 exec_lo, exec_lo, s7
.LBB99_8:
	s_andn2_saveexec_b32 s7, s4
	s_cbranch_execz .LBB99_10
; %bb.9:
	v_cvt_i32_f32_e32 v3, v4
	s_mov_b32 s4, 0x36f5d7bd
	s_mov_b32 s8, 0x3805ff67
	v_cvt_f32_i32_e32 v6, v3
	v_cmp_lt_i32_e32 vcc_lo, 2, v3
	v_sub_f32_e64 v6, |v1|, v6
	v_add_f32_e32 v7, 2.0, v6
	v_add_f32_e32 v8, 0x40400000, v6
	v_add_f32_e32 v9, 4.0, v6
	v_add_f32_e32 v10, 0x40a00000, v6
	v_cndmask_b32_e32 v7, 1.0, v7, vcc_lo
	v_cmp_lt_i32_e32 vcc_lo, 3, v3
	v_cndmask_b32_e32 v8, 1.0, v8, vcc_lo
	v_cmp_lt_i32_e32 vcc_lo, 4, v3
	v_mul_f32_e32 v7, v7, v8
	v_cndmask_b32_e32 v9, 1.0, v9, vcc_lo
	v_cmp_lt_i32_e32 vcc_lo, 5, v3
	v_add_f32_e32 v8, 0x40c00000, v6
	v_mul_f32_e32 v7, v9, v7
	v_cndmask_b32_e32 v10, 1.0, v10, vcc_lo
	v_cmp_lt_i32_e32 vcc_lo, 6, v3
	v_fmaak_f32 v9, s8, v6, 0x3af135b4
	v_mul_f32_e32 v7, v10, v7
	v_cndmask_b32_e32 v3, 1.0, v8, vcc_lo
	v_mul_f32_e32 v3, v3, v7
	v_fmaak_f32 v7, s4, v6, 0x3a4beed6
	v_cmp_gt_f32_e32 vcc_lo, 0x800000, v3
	v_fmaak_f32 v7, v6, v7, 0x3c98bf54
	v_cndmask_b32_e64 v8, 0, 32, vcc_lo
	v_fmaak_f32 v7, v6, v7, 0x3e300f6e
	v_ldexp_f32 v3, v3, v8
	v_fmaak_f32 v8, v6, v9, 0x3cda40e4
	v_fmaak_f32 v7, v6, v7, 0x3f38d0c5
	v_log_f32_e32 v3, v3
	v_fmaak_f32 v8, v6, v8, 0x3e15dce6
	v_fmaak_f32 v7, v6, v7, 0x3fb22d3b
	;; [unrolled: 1-line block ×3, first 2 shown]
	v_fma_f32 v7, v6, v7, 1.0
	v_mul_f32_e32 v9, 0x3f317217, v3
	v_fmaak_f32 v8, v6, v8, 0x3e5c245a
	v_rcp_f32_e32 v7, v7
	v_cmp_gt_f32_e64 s4, 0x7f800000, |v3|
	v_fma_f32 v10, 0x3f317217, v3, -v9
	v_fmaak_f32 v8, v6, v8, 0xbd9e233f
	v_fmamk_f32 v10, v3, 0x3377d1cf, v10
	v_mul_f32_e32 v8, v6, v8
	v_add_f32_e32 v9, v9, v10
	v_mul_f32_e32 v7, v8, v7
	v_cndmask_b32_e64 v8, 0, 0x41b17218, vcc_lo
	v_cndmask_b32_e64 v3, v3, v9, s4
	v_fmac_f32_e32 v7, 0.5, v6
	v_sub_f32_e32 v3, v3, v8
	v_add_f32_e32 v3, v3, v7
.LBB99_10:
	s_or_b32 exec_lo, exec_lo, s7
.LBB99_11:
	s_andn2_saveexec_b32 s6, s6
	s_cbranch_execz .LBB99_29
; %bb.12:
	s_mov_b32 s7, exec_lo
                                        ; implicit-def: $vgpr3
                                        ; implicit-def: $vgpr7
                                        ; implicit-def: $vgpr6
	v_cmpx_ge_f32_e64 0x3f666666, |v1|
	s_xor_b32 s7, exec_lo, s7
	s_cbranch_execz .LBB99_14
; %bb.13:
	v_cmp_gt_f32_e64 s4, 0x800000, |v1|
	v_sub_f32_e64 v8, 1.0, |v1|
	v_cmp_gt_f32_e64 vcc_lo, 0x3f3b4a23, |v1|
	v_cndmask_b32_e64 v3, 0, 32, s4
	v_cndmask_b32_e64 v9, 0, 0x41b17218, s4
	v_ldexp_f32 v3, |v1|, v3
	v_log_f32_e32 v3, v3
	v_mul_f32_e32 v6, 0x3f317217, v3
	v_cmp_gt_f32_e64 s4, 0x7f800000, |v3|
	v_fma_f32 v7, 0x3f317217, v3, -v6
	v_fmamk_f32 v7, v3, 0x3377d1cf, v7
	v_add_f32_e32 v6, v6, v7
	v_add_f32_e64 v7, 0xbeec5b0c, |v1|
	v_cndmask_b32_e64 v3, v3, v6, s4
	v_cndmask_b32_e32 v6, v8, v7, vcc_lo
	v_cndmask_b32_e64 v7, 0, 1, vcc_lo
	v_cmp_gt_f32_e64 s4, 0x3e6d3309, |v1|
	v_sub_f32_e32 v3, v3, v9
	v_cndmask_b32_e64 v6, v6, |v1|, s4
	v_cndmask_b32_e64 v7, v7, 2, s4
	v_xor_b32_e32 v3, 0x80000000, v3
.LBB99_14:
	s_andn2_saveexec_b32 s4, s7
	s_cbranch_execz .LBB99_16
; %bb.15:
	v_sub_f32_e64 v3, 2.0, |v1|
	v_add_f32_e64 v6, 0xbfbb16c3, |v1|
	v_cmp_gt_f32_e64 vcc_lo, 0x3fdda512, |v1|
	v_add_f32_e64 v7, |v1|, -1.0
	v_cndmask_b32_e32 v6, v3, v6, vcc_lo
	v_cndmask_b32_e64 v3, v3, 1.0, vcc_lo
	v_cmp_gt_f32_e64 vcc_lo, 0x3f9d70a4, |v1|
	v_cvt_i32_f32_e32 v3, v3
	v_cndmask_b32_e32 v6, v6, v7, vcc_lo
	v_cndmask_b32_e64 v7, v3, 2, vcc_lo
	v_mov_b32_e32 v3, 0
.LBB99_16:
	s_or_b32 exec_lo, exec_lo, s4
	s_mov_b32 s4, exec_lo
	v_cmpx_lt_i32_e32 0, v7
	s_xor_b32 s4, exec_lo, s4
	s_cbranch_execz .LBB99_24
; %bb.17:
	s_mov_b32 s7, exec_lo
	v_cmpx_lt_i32_e32 1, v7
	s_xor_b32 s7, exec_lo, s7
	s_cbranch_execz .LBB99_21
; %bb.18:
	s_mov_b32 s8, exec_lo
	v_cmpx_eq_u32_e32 2, v7
	s_cbranch_execz .LBB99_20
; %bb.19:
	s_mov_b32 s9, 0x3b52d5db
	v_fmaak_f32 v7, s9, v6, 0x3dd572af
	s_mov_b32 s9, 0x3c5b3c5e
	v_fmaak_f32 v8, s9, v6, 0x3e6a7578
	v_fmaak_f32 v7, v6, v7, 0x3f44efdf
	;; [unrolled: 1-line block ×7, first 2 shown]
	v_fma_f32 v7, v6, v7, 1.0
	v_fmaak_f32 v8, v6, v8, 0xbd9e233f
	v_rcp_f32_e32 v7, v7
	v_mul_f32_e32 v8, v6, v8
	v_mul_f32_e32 v7, v8, v7
	v_fmac_f32_e32 v7, -0.5, v6
	v_add_f32_e32 v3, v3, v7
.LBB99_20:
	s_or_b32 exec_lo, exec_lo, s8
                                        ; implicit-def: $vgpr6
.LBB99_21:
	s_andn2_saveexec_b32 s7, s7
	s_cbranch_execz .LBB99_23
; %bb.22:
	v_mul_f32_e32 v7, v6, v6
	s_mov_b32 s8, 0xb9a3f927
	s_mov_b32 s9, 0x39afe9f7
	v_mul_f32_e32 v8, v6, v7
	v_fmaak_f32 v9, s8, v8, 0x3a66f867
	v_fmaak_f32 v10, s9, v8, 0xba0d3085
	s_mov_b32 s8, 0x39a57b6b
	v_fmaak_f32 v11, s8, v8, 0xbab7f476
	v_fmaak_f32 v9, v8, v9, 0xbb7177fe
	;; [unrolled: 1-line block ×9, first 2 shown]
	v_fmac_f32_e32 v9, v6, v10
	v_fmaak_f32 v6, v8, v11, 0x3ef7b95e
	v_fma_f32 v8, v8, -v9, 0xa2863e55
	v_fma_f32 v6, v7, v6, -v8
	v_add_f32_e32 v6, 0xbdf8cdce, v6
	v_add_f32_e32 v3, v3, v6
.LBB99_23:
	s_or_b32 exec_lo, exec_lo, s7
                                        ; implicit-def: $vgpr7
                                        ; implicit-def: $vgpr6
.LBB99_24:
	s_andn2_saveexec_b32 s4, s4
	s_cbranch_execz .LBB99_28
; %bb.25:
	s_mov_b32 s7, exec_lo
	v_cmpx_eq_u32_e32 0, v7
	s_cbranch_execz .LBB99_27
; %bb.26:
	v_mul_f32_e32 v7, v6, v6
	s_mov_b32 s8, 0x383c2c75
	v_fmaak_f32 v8, s8, v7, 0x38e28445
	s_mov_b32 s8, 0x37d383a2
	v_fmaak_f32 v9, s8, v7, 0x39679767
	v_fmaak_f32 v8, v7, v8, 0x3a05b634
	;; [unrolled: 1-line block ×9, first 2 shown]
	v_mul_f32_e32 v7, v7, v8
	v_fmac_f32_e32 v7, v6, v9
	v_fmac_f32_e32 v7, -0.5, v6
	v_add_f32_e32 v3, v3, v7
.LBB99_27:
	s_or_b32 exec_lo, exec_lo, s7
.LBB99_28:
	s_or_b32 exec_lo, exec_lo, s4
.LBB99_29:
	s_or_b32 exec_lo, exec_lo, s6
.LBB99_30:
	s_andn2_saveexec_b32 s4, s5
	s_cbranch_execz .LBB99_32
; %bb.31:
	v_cmp_gt_f32_e64 s5, 0x800000, |v1|
	s_mov_b32 s6, 0x3e8a8991
	v_fma_f32 v8, |v1|, s6, 0xbecd26ab
	v_cndmask_b32_e64 v3, 0, 32, s5
	v_ldexp_f32 v3, |v1|, v3
	v_log_f32_e32 v3, v3
	v_mul_f32_e32 v6, 0x3f317217, v3
	v_cmp_gt_f32_e64 vcc_lo, 0x7f800000, |v3|
	v_fma_f32 v7, 0x3f317217, v3, -v6
	v_fmamk_f32 v7, v3, 0x3377d1cf, v7
	v_add_f32_e32 v6, v6, v7
	v_fma_f32 v7, |v1|, v8, 0x3f528d33
	v_cndmask_b32_e32 v3, v3, v6, vcc_lo
	v_cndmask_b32_e64 v6, 0, 0x41b17218, s5
	v_fma_f32 v7, |v1|, v7, 0xbf13c468
	v_sub_f32_e32 v3, v3, v6
	v_fma_f32 v3, |v1|, v7, -v3
.LBB99_32:
	s_or_b32 exec_lo, exec_lo, s4
	v_cmp_le_f16_e64 s4, 0, v5
	s_mov_b32 s5, exec_lo
	v_cmpx_nle_f16_e32 0, v5
	s_xor_b32 s6, exec_lo, s5
	s_cbranch_execz .LBB99_36
; %bb.33:
	v_cmp_gt_f32_e64 s5, 0x4b000000, |v1|
	v_cmp_lt_f32_e64 s7, 0x35000000, |v1|
	s_and_b32 s5, s5, s7
	s_and_saveexec_b32 s7, s5
	s_cbranch_execz .LBB99_35
; %bb.34:
	v_mul_f32_e64 v5, |v1|, 0.5
	v_cmp_gt_f32_e64 s5, |v1|, 1.0
	s_mov_b32 s8, 0x3d4be544
	v_xor_b32_e32 v4, v4, v1
	v_fract_f32_e32 v6, v5
	v_cmp_neq_f32_e32 vcc_lo, 0x7f800000, v5
	v_add_f32_e32 v6, v6, v6
	v_cndmask_b32_e32 v5, 0, v6, vcc_lo
	v_cndmask_b32_e64 v5, |v1|, v5, s5
	s_mov_b32 s5, 0x3e75aa41
	v_add_f32_e32 v6, v5, v5
	v_rndne_f32_e32 v6, v6
	v_fmac_f32_e32 v5, -0.5, v6
	v_cvt_i32_f32_e32 v6, v6
	v_mul_f32_e32 v7, v5, v5
	v_fmaak_f32 v8, s5, v7, 0xbf1f24be
	v_fmaak_f32 v9, s8, v7, 0x3e642e9d
	v_mul_f32_e32 v10, v5, v7
	v_fmaak_f32 v8, v7, v8, 0x40234736
	v_fmaak_f32 v9, v7, v9, 0xbfaad1da
	;; [unrolled: 1-line block ×4, first 2 shown]
	v_mul_f32_e32 v8, v10, v8
	v_fmaak_f32 v9, v7, v9, 0xc09de9e6
	v_and_b32_e32 v10, 1, v6
	v_lshlrev_b32_e32 v6, 30, v6
	v_fmamk_f32 v5, v5, 0x40490fdb, v8
	v_fma_f32 v7, v7, v9, 1.0
	v_cmp_eq_u32_e32 vcc_lo, 0, v10
	v_and_b32_e32 v6, 0x80000000, v6
	v_cndmask_b32_e32 v5, v7, v5, vcc_lo
	v_xor3_b32 v4, v4, v6, v5
	v_mul_f32_e32 v4, v1, v4
	v_frexp_mant_f32_e64 v5, |v4|
	v_frexp_exp_i32_f32_e32 v4, v4
	v_rcp_f32_e32 v5, v5
	v_sub_nc_u32_e32 v4, 2, v4
	v_mul_f32_e32 v5, 0x3f490fdb, v5
	v_ldexp_f32 v4, v5, v4
	v_cmp_gt_f32_e32 vcc_lo, 0x800000, v4
	v_cndmask_b32_e64 v5, 0, 32, vcc_lo
	v_ldexp_f32 v4, v4, v5
	v_log_f32_e32 v4, v4
	v_mul_f32_e32 v5, 0x3f317217, v4
	v_cmp_gt_f32_e64 s5, 0x7f800000, |v4|
	v_fma_f32 v6, 0x3f317217, v4, -v5
	v_fmamk_f32 v6, v4, 0x3377d1cf, v6
	v_add_f32_e32 v5, v5, v6
	v_cndmask_b32_e64 v4, v4, v5, s5
	v_cndmask_b32_e64 v5, 0, 0x41b17218, vcc_lo
	v_sub_f32_e32 v4, v4, v5
	v_fract_f32_e32 v5, v1
	v_sub_f32_e32 v3, v4, v3
	v_cmp_neq_f32_e32 vcc_lo, 0, v5
	v_cndmask_b32_e32 v3, 0x7f800000, v3, vcc_lo
.LBB99_35:
	s_or_b32 exec_lo, exec_lo, s7
                                        ; implicit-def: $vgpr5
.LBB99_36:
	s_andn2_saveexec_b32 s6, s6
; %bb.37:
	v_cmp_eq_f16_e32 vcc_lo, 1.0, v5
	v_cmp_eq_f16_e64 s5, 2.0, v5
	s_or_b32 s5, vcc_lo, s5
	v_cndmask_b32_e64 v3, v3, 0, s5
; %bb.38:
	s_or_b32 exec_lo, exec_lo, s6
	v_add_nc_u32_e32 v4, 1, v0
	v_mov_b32_e32 v8, 0x7c00
	s_mov_b32 s8, exec_lo
	v_cvt_f32_i32_e32 v4, v4
	v_cvt_f16_f32_e32 v6, v4
	v_cmpx_neq_f16_e32 1.0, v6
	s_cbranch_execz .LBB99_66
; %bb.39:
	v_mov_b32_e32 v8, 0x7e00
	s_mov_b32 s6, -1
	s_mov_b32 s9, exec_lo
	v_cmpx_lt_i32_e32 -1, v0
	s_cbranch_execz .LBB99_65
; %bb.40:
	v_cvt_f32_f16_e32 v4, v6
	v_cvt_f32_f16_e32 v5, v2
	s_mov_b32 s7, 0
	s_mov_b32 s5, exec_lo
                                        ; implicit-def: $vgpr8
	v_cmpx_ge_f16_e32 0, v2
	s_cbranch_execz .LBB99_44
; %bb.41:
	v_floor_f32_e32 v7, v5
	v_mov_b32_e32 v8, 0x7c00
	s_mov_b32 s6, exec_lo
	v_cmpx_neq_f32_e32 v7, v5
; %bb.42:
	v_floor_f32_e32 v7, v4
	v_mov_b32_e32 v8, 0x7e00
	v_cmp_eq_f32_e32 vcc_lo, v7, v4
	s_and_b32 s7, vcc_lo, exec_lo
; %bb.43:
	s_or_b32 exec_lo, exec_lo, s6
	s_orn2_b32 s6, s7, exec_lo
.LBB99_44:
	s_or_b32 exec_lo, exec_lo, s5
	s_and_saveexec_b32 s10, s6
	s_cbranch_execz .LBB99_64
; %bb.45:
	v_frexp_mant_f32_e64 v7, |v5|
	s_mov_b32 s11, 0x3e76c4e1
	v_cvt_f32_f16_e64 v6, -v6
	v_cmp_lt_f32_e64 s12, |v5|, 1.0
	s_mov_b32 s16, 0
	v_cmp_gt_f32_e32 vcc_lo, 0x3f2aaaab, v7
                                        ; implicit-def: $sgpr15
                                        ; implicit-def: $sgpr14
	v_cndmask_b32_e64 v8, 1.0, 2.0, vcc_lo
	v_mul_f32_e32 v7, v7, v8
	v_add_f32_e32 v8, 1.0, v7
	v_add_f32_e32 v10, -1.0, v7
	v_rcp_f32_e32 v9, v8
	v_add_f32_e32 v12, -1.0, v8
	v_sub_f32_e32 v7, v7, v12
	v_mul_f32_e32 v11, v10, v9
	v_mul_f32_e32 v13, v8, v11
	v_fma_f32 v8, v11, v8, -v13
	v_fmac_f32_e32 v8, v11, v7
	v_add_f32_e32 v7, v13, v8
	v_sub_f32_e32 v12, v10, v7
	v_sub_f32_e32 v13, v7, v13
	;; [unrolled: 1-line block ×5, first 2 shown]
	v_add_f32_e32 v7, v8, v7
	v_add_f32_e32 v7, v12, v7
	v_mul_f32_e32 v7, v9, v7
	v_add_f32_e32 v9, v11, v7
	v_sub_f32_e32 v8, v9, v11
	v_mul_f32_e32 v10, v9, v9
	v_sub_f32_e32 v11, v7, v8
	v_fma_f32 v7, v9, v9, -v10
	v_add_f32_e32 v8, v11, v11
	v_fmac_f32_e32 v7, v9, v8
	v_add_f32_e32 v12, v10, v7
	v_fmaak_f32 v8, s11, v12, 0x3e91f4c4
	v_sub_f32_e32 v10, v12, v10
	v_mul_f32_e32 v17, v9, v12
	v_fmaak_f32 v8, v12, v8, 0x3ecccdef
	v_sub_f32_e32 v10, v7, v10
	v_fma_f32 v18, v12, v9, -v17
	v_mul_f32_e32 v13, v12, v8
	v_fmac_f32_e32 v18, v12, v11
	v_ldexp_f32 v11, v11, 1
	v_fma_f32 v14, v12, v8, -v13
	v_fmac_f32_e32 v18, v10, v9
	v_fmac_f32_e32 v14, v10, v8
	v_cvt_f64_f32_e64 v[7:8], |v5|
	v_add_f32_e32 v15, v13, v14
	v_sub_f32_e32 v13, v15, v13
	v_add_f32_e32 v16, 0x3f2aaaaa, v15
	v_sub_f32_e32 v13, v14, v13
	v_add_f32_e32 v14, 0xbf2aaaaa, v16
	v_add_f32_e32 v13, 0x31739010, v13
	v_sub_f32_e32 v14, v15, v14
	v_frexp_exp_i32_f64_e32 v7, v[7:8]
	v_add_f32_e32 v12, v13, v14
	v_add_f32_e32 v13, v17, v18
	;; [unrolled: 1-line block ×3, first 2 shown]
	v_sub_f32_e32 v15, v13, v17
	v_sub_f32_e32 v8, v16, v10
	v_mul_f32_e32 v14, v13, v10
	v_sub_f32_e32 v15, v18, v15
	v_add_f32_e32 v8, v12, v8
	v_fma_f32 v12, v13, v10, -v14
	v_subrev_co_ci_u32_e64 v7, null, 0, v7, vcc_lo
	v_fmac_f32_e32 v12, v13, v8
	v_ldexp_f32 v8, v9, 1
	v_cmp_neq_f16_e32 vcc_lo, 1.0, v2
	v_cvt_f32_i32_e32 v7, v7
	v_fmac_f32_e32 v12, v15, v10
	v_add_f32_e32 v9, v14, v12
	v_add_f32_e32 v10, v8, v9
	v_sub_f32_e32 v13, v9, v14
	v_mul_f32_e32 v14, 0x3f317218, v7
	v_sub_f32_e32 v8, v10, v8
	v_sub_f32_e32 v12, v12, v13
	v_fma_f32 v13, 0x3f317218, v7, -v14
	v_sub_f32_e32 v8, v9, v8
	v_add_f32_e32 v9, v11, v12
	v_fmac_f32_e32 v13, 0xb102e308, v7
	v_add_f32_e32 v7, v9, v8
	v_add_f32_e32 v8, v14, v13
	;; [unrolled: 1-line block ×3, first 2 shown]
	v_sub_f32_e32 v14, v8, v14
	v_add_f32_e32 v11, v8, v9
	v_sub_f32_e32 v10, v9, v10
	v_sub_f32_e32 v13, v13, v14
	;; [unrolled: 1-line block ×6, first 2 shown]
	v_add_f32_e32 v10, v13, v7
	v_sub_f32_e32 v8, v8, v15
	v_add_f32_e32 v8, v9, v8
	v_sub_f32_e32 v9, v10, v13
	;; [unrolled: 2-line block ×3, first 2 shown]
	v_sub_f32_e32 v7, v7, v9
	v_add_f32_e32 v12, v11, v8
	v_sub_f32_e32 v9, v13, v10
	v_sub_f32_e32 v10, v12, v11
	v_add_f32_e32 v7, v7, v9
	v_cndmask_b32_e32 v9, 1.0, v6, vcc_lo
	v_sub_f32_e32 v8, v8, v10
	v_cmp_neq_f32_e64 s13, v9, |v9|
	v_cmp_gt_f32_e64 s7, 0, v9
	v_add_f32_e32 v7, v7, v8
	s_xor_b32 s12, s12, s13
                                        ; implicit-def: $sgpr13
	v_add_f32_e32 v8, v12, v7
	v_sub_f32_e32 v10, v8, v12
	v_mul_f32_e32 v11, v9, v8
	v_sub_f32_e32 v7, v7, v10
	v_fma_f32 v8, v9, v8, -v11
	v_cmp_class_f32_e64 vcc_lo, v11, 0x204
	v_fmac_f32_e32 v8, v9, v7
	v_add_f32_e32 v7, v11, v8
	v_cndmask_b32_e32 v10, v7, v11, vcc_lo
	v_sub_f32_e32 v7, v7, v11
	v_cmp_eq_f32_e32 vcc_lo, 0x42b17218, v10
	v_sub_f32_e32 v7, v8, v7
	v_cndmask_b32_e64 v12, 0, 0x37000000, vcc_lo
	v_cmp_neq_f32_e64 vcc_lo, 0x7f800000, |v10|
	v_sub_f32_e32 v13, v10, v12
	v_cndmask_b32_e32 v7, 0, v7, vcc_lo
	v_trunc_f32_e32 v10, v9
	v_mul_f32_e32 v14, 0x3fb8aa3b, v13
	v_cmp_ngt_f32_e32 vcc_lo, 0xc2ce8ed0, v13
	v_add_f32_e32 v7, v12, v7
	v_fma_f32 v15, 0x3fb8aa3b, v13, -v14
	v_rndne_f32_e32 v16, v14
	v_fmac_f32_e32 v15, 0x32a5705f, v13
	v_sub_f32_e32 v14, v14, v16
	v_cvt_i32_f32_e32 v11, v16
	v_add_f32_e32 v14, v14, v15
	v_exp_f32_e32 v14, v14
	v_ldexp_f32 v8, v14, v11
	v_mul_f32_e32 v11, 0.5, v9
	v_cndmask_b32_e32 v8, 0, v8, vcc_lo
	v_cmp_nlt_f32_e32 vcc_lo, 0x42b17218, v13
	v_trunc_f32_e32 v14, v11
	v_cndmask_b32_e32 v8, 0x7f800000, v8, vcc_lo
	v_cmp_eq_f32_e32 vcc_lo, v10, v9
	v_cmp_neq_f32_e64 s5, v14, v11
	v_fma_f32 v7, v8, v7, v8
	v_cmp_class_f32_e64 s6, v8, 0x204
	s_and_b32 s5, vcc_lo, s5
	v_cndmask_b32_e64 v10, 1.0, v5, s5
	v_cndmask_b32_e64 v7, v7, v8, s6
	v_cndmask_b32_e64 v8, 0x7f800000, 0, s12
	v_cmp_eq_f16_e64 s6, 0, v2
	s_mov_b32 s12, 0
	v_bfi_b32 v7, 0x7fffffff, v7, v10
	s_xor_b32 s7, s6, s7
	v_cndmask_b32_e64 v11, 0x7f800000, 0, s7
	v_cndmask_b32_e32 v10, 0x7fc00000, v7, vcc_lo
	v_cmp_neq_f32_e64 vcc_lo, |v5|, 1.0
	v_cndmask_b32_e32 v8, 1.0, v8, vcc_lo
	v_cmp_gt_f16_e32 vcc_lo, 0, v2
	v_cndmask_b32_e32 v7, v7, v10, vcc_lo
	v_cndmask_b32_e64 v10, 0, v5, s5
	v_cmp_class_f32_e64 vcc_lo, v9, 0x204
	v_cmp_class_f32_e64 s5, v5, 0x204
	v_cndmask_b32_e32 v7, v7, v8, vcc_lo
	v_bfi_b32 v8, 0x7fffffff, v11, v10
	s_or_b32 vcc_lo, s6, s5
	v_cndmask_b32_e32 v7, v7, v8, vcc_lo
	v_cmp_o_f16_e32 vcc_lo, v2, v2
	v_cndmask_b32_e32 v2, 0x7fc00000, v7, vcc_lo
	s_branch .LBB99_47
.LBB99_46:                              ;   in Loop: Header=BB99_47 Depth=1
	s_or_b32 exec_lo, exec_lo, s5
	s_and_b32 s5, exec_lo, s15
	s_or_b32 s12, s5, s12
	s_andn2_b32 s5, s13, exec_lo
	s_and_b32 s6, s14, exec_lo
	s_or_b32 s13, s5, s6
	s_andn2_b32 exec_lo, exec_lo, s12
	s_cbranch_execz .LBB99_49
.LBB99_47:                              ; =>This Inner Loop Header: Depth=1
	v_add_f32_e32 v5, 1.0, v5
	s_or_b32 s14, s14, exec_lo
	s_or_b32 s15, s15, exec_lo
	v_frexp_mant_f32_e64 v7, |v5|
	v_cmp_lt_f32_e64 s17, |v5|, 1.0
	v_cmp_gt_f32_e32 vcc_lo, 0x3f2aaaab, v7
	v_cndmask_b32_e64 v8, 1.0, 2.0, vcc_lo
	v_mul_f32_e32 v7, v7, v8
	v_add_f32_e32 v8, 1.0, v7
	v_add_f32_e32 v10, -1.0, v7
	v_rcp_f32_e32 v9, v8
	v_add_f32_e32 v12, -1.0, v8
	v_sub_f32_e32 v7, v7, v12
	v_mul_f32_e32 v11, v10, v9
	v_mul_f32_e32 v13, v8, v11
	v_fma_f32 v8, v11, v8, -v13
	v_fmac_f32_e32 v8, v11, v7
	v_add_f32_e32 v7, v13, v8
	v_sub_f32_e32 v12, v10, v7
	v_sub_f32_e32 v13, v7, v13
	;; [unrolled: 1-line block ×5, first 2 shown]
	v_add_f32_e32 v7, v8, v7
	v_add_f32_e32 v7, v12, v7
	v_mul_f32_e32 v7, v9, v7
	v_add_f32_e32 v9, v11, v7
	v_sub_f32_e32 v8, v9, v11
	v_mul_f32_e32 v10, v9, v9
	v_sub_f32_e32 v11, v7, v8
	v_fma_f32 v7, v9, v9, -v10
	v_add_f32_e32 v8, v11, v11
	v_fmac_f32_e32 v7, v9, v8
	v_add_f32_e32 v12, v10, v7
	v_fmaak_f32 v8, s11, v12, 0x3e91f4c4
	v_sub_f32_e32 v10, v12, v10
	v_mul_f32_e32 v17, v9, v12
	v_fmaak_f32 v8, v12, v8, 0x3ecccdef
	v_sub_f32_e32 v10, v7, v10
	v_fma_f32 v18, v12, v9, -v17
	v_mul_f32_e32 v13, v12, v8
	v_fmac_f32_e32 v18, v12, v11
	v_ldexp_f32 v11, v11, 1
	v_fma_f32 v14, v12, v8, -v13
	v_fmac_f32_e32 v18, v10, v9
	v_fmac_f32_e32 v14, v10, v8
	v_cvt_f64_f32_e64 v[7:8], |v5|
	v_add_f32_e32 v15, v13, v14
	v_sub_f32_e32 v13, v15, v13
	v_add_f32_e32 v16, 0x3f2aaaaa, v15
	v_sub_f32_e32 v13, v14, v13
	v_add_f32_e32 v14, 0xbf2aaaaa, v16
	v_add_f32_e32 v13, 0x31739010, v13
	v_sub_f32_e32 v14, v15, v14
	v_frexp_exp_i32_f64_e32 v7, v[7:8]
	v_add_f32_e32 v12, v13, v14
	v_add_f32_e32 v13, v17, v18
	;; [unrolled: 1-line block ×3, first 2 shown]
	v_sub_f32_e32 v15, v13, v17
	v_sub_f32_e32 v8, v16, v10
	v_mul_f32_e32 v14, v13, v10
	v_sub_f32_e32 v15, v18, v15
	v_add_f32_e32 v8, v12, v8
	v_fma_f32 v12, v13, v10, -v14
	v_subrev_co_ci_u32_e64 v7, null, 0, v7, vcc_lo
	v_fmac_f32_e32 v12, v13, v8
	v_ldexp_f32 v8, v9, 1
	v_cmp_neq_f32_e32 vcc_lo, 1.0, v5
	v_cvt_f32_i32_e32 v7, v7
	v_fmac_f32_e32 v12, v15, v10
	v_add_f32_e32 v9, v14, v12
	v_add_f32_e32 v10, v8, v9
	v_sub_f32_e32 v13, v9, v14
	v_mul_f32_e32 v14, 0x3f317218, v7
	v_sub_f32_e32 v8, v10, v8
	v_sub_f32_e32 v12, v12, v13
	v_fma_f32 v13, 0x3f317218, v7, -v14
	v_sub_f32_e32 v8, v9, v8
	v_add_f32_e32 v9, v11, v12
	v_fmac_f32_e32 v13, 0xb102e308, v7
	v_add_f32_e32 v7, v9, v8
	v_add_f32_e32 v8, v14, v13
	;; [unrolled: 1-line block ×3, first 2 shown]
	v_sub_f32_e32 v14, v8, v14
	v_add_f32_e32 v11, v8, v9
	v_sub_f32_e32 v10, v9, v10
	v_sub_f32_e32 v13, v13, v14
	;; [unrolled: 1-line block ×6, first 2 shown]
	v_add_f32_e32 v10, v13, v7
	v_sub_f32_e32 v8, v8, v15
	v_add_f32_e32 v8, v9, v8
	v_sub_f32_e32 v9, v10, v13
	;; [unrolled: 2-line block ×3, first 2 shown]
	v_sub_f32_e32 v7, v7, v9
	v_add_f32_e32 v12, v11, v8
	v_sub_f32_e32 v9, v13, v10
	v_sub_f32_e32 v10, v12, v11
	v_add_f32_e32 v7, v7, v9
	v_cndmask_b32_e32 v9, 1.0, v6, vcc_lo
	v_sub_f32_e32 v8, v8, v10
	v_cmp_neq_f32_e64 s18, v9, |v9|
	v_cmp_gt_f32_e64 s7, 0, v9
	v_add_f32_e32 v7, v7, v8
	s_xor_b32 s17, s17, s18
	v_add_f32_e32 v8, v12, v7
	v_sub_f32_e32 v10, v8, v12
	v_mul_f32_e32 v11, v9, v8
	v_sub_f32_e32 v7, v7, v10
	v_fma_f32 v8, v9, v8, -v11
	v_cmp_class_f32_e64 vcc_lo, v11, 0x204
	v_fmac_f32_e32 v8, v9, v7
	v_add_f32_e32 v7, v11, v8
	v_cndmask_b32_e32 v10, v7, v11, vcc_lo
	v_sub_f32_e32 v7, v7, v11
	v_cmp_eq_f32_e32 vcc_lo, 0x42b17218, v10
	v_sub_f32_e32 v7, v8, v7
	v_cndmask_b32_e64 v12, 0, 0x37000000, vcc_lo
	v_cmp_neq_f32_e64 vcc_lo, 0x7f800000, |v10|
	v_sub_f32_e32 v13, v10, v12
	v_cndmask_b32_e32 v7, 0, v7, vcc_lo
	v_trunc_f32_e32 v10, v9
	v_mul_f32_e32 v14, 0x3fb8aa3b, v13
	v_cmp_ngt_f32_e32 vcc_lo, 0xc2ce8ed0, v13
	v_add_f32_e32 v7, v12, v7
	v_fma_f32 v15, 0x3fb8aa3b, v13, -v14
	v_rndne_f32_e32 v16, v14
	v_fmac_f32_e32 v15, 0x32a5705f, v13
	v_sub_f32_e32 v14, v14, v16
	v_cvt_i32_f32_e32 v11, v16
	v_add_f32_e32 v14, v14, v15
	v_exp_f32_e32 v14, v14
	v_ldexp_f32 v8, v14, v11
	v_mul_f32_e32 v11, 0.5, v9
	v_cndmask_b32_e32 v8, 0, v8, vcc_lo
	v_cmp_nlt_f32_e32 vcc_lo, 0x42b17218, v13
	v_trunc_f32_e32 v14, v11
	v_cndmask_b32_e32 v8, 0x7f800000, v8, vcc_lo
	v_cmp_eq_f32_e32 vcc_lo, v10, v9
	v_cmp_neq_f32_e64 s5, v14, v11
	v_fma_f32 v7, v8, v7, v8
	v_cmp_class_f32_e64 s6, v8, 0x204
	s_and_b32 s5, vcc_lo, s5
	v_cndmask_b32_e64 v10, 1.0, v5, s5
	v_cndmask_b32_e64 v12, 0, v5, s5
	v_cndmask_b32_e64 v7, v7, v8, s6
	;; [unrolled: 1-line block ×3, first 2 shown]
	v_cmp_eq_f32_e64 s6, 0, v5
	v_cmp_class_f32_e64 s5, v5, 0x204
	v_bfi_b32 v7, 0x7fffffff, v7, v10
	s_xor_b32 s7, s6, s7
	v_cndmask_b32_e64 v10, 0x7f800000, 0, s7
	v_cndmask_b32_e32 v11, 0x7fc00000, v7, vcc_lo
	v_cmp_neq_f32_e64 vcc_lo, |v5|, 1.0
	v_bfi_b32 v10, 0x7fffffff, v10, v12
	v_cndmask_b32_e32 v8, 1.0, v8, vcc_lo
	v_cmp_gt_f32_e32 vcc_lo, 0, v5
	v_cndmask_b32_e32 v7, v7, v11, vcc_lo
	v_cmp_class_f32_e64 vcc_lo, v9, 0x204
	v_cndmask_b32_e32 v7, v7, v8, vcc_lo
	s_or_b32 vcc_lo, s6, s5
	v_cndmask_b32_e32 v7, v7, v10, vcc_lo
	v_cmp_o_f32_e32 vcc_lo, v5, v5
	v_cndmask_b32_e32 v7, 0x7fc00000, v7, vcc_lo
	v_add_f32_e32 v2, v2, v7
	v_mul_f32_e32 v8, 0xa5000000, v2
	v_mul_f32_e32 v9, 0x25000000, v2
	v_cmp_nlt_f32_e32 vcc_lo, v8, v7
	v_cmp_nlt_f32_e64 s5, v7, v9
	s_or_b32 s6, vcc_lo, s5
	s_and_saveexec_b32 s5, s6
	s_cbranch_execz .LBB99_46
; %bb.48:                               ;   in Loop: Header=BB99_47 Depth=1
	s_add_i32 s6, s16, 1
	v_cmp_nge_f32_e32 vcc_lo, 0x41100000, v5
	s_cmp_gt_u32 s16, 7
	s_mov_b32 s16, s6
	s_cselect_b32 s7, -1, 0
	s_andn2_b32 s15, s15, exec_lo
	s_and_b32 s7, s7, vcc_lo
	s_andn2_b32 s14, s14, exec_lo
	s_and_b32 s7, s7, exec_lo
	s_or_b32 s15, s15, s7
	s_branch .LBB99_46
.LBB99_49:
	s_or_b32 exec_lo, exec_lo, s12
	s_xor_b32 s5, s13, -1
                                        ; implicit-def: $vgpr8
	s_and_saveexec_b32 s6, s5
	s_xor_b32 s5, exec_lo, s6
	s_cbranch_execz .LBB99_61
; %bb.50:
	v_mul_f32_e32 v6, v5, v7
	v_add_f32_e32 v8, -1.0, v4
	s_mov_b64 s[6:7], 0
	s_mov_b32 s11, 0
                                        ; implicit-def: $sgpr12
                                        ; implicit-def: $sgpr13
                                        ; implicit-def: $sgpr14
	v_div_scale_f32 v9, null, v8, v8, v6
	v_div_scale_f32 v12, vcc_lo, v6, v8, v6
	v_rcp_f32_e32 v10, v9
	v_fma_f32 v11, -v9, v10, 1.0
	v_fmac_f32_e32 v10, v11, v10
	v_mul_f32_e32 v11, v12, v10
	v_fma_f32 v13, -v9, v11, v12
	v_fmac_f32_e32 v11, v13, v10
	v_fma_f32 v9, -v9, v11, v12
	v_div_fmas_f32 v9, v9, v10, v11
	v_div_fixup_f32 v6, v9, v8, v6
	v_mov_b32_e32 v9, 1.0
	v_mov_b32_e32 v8, 0
	v_add_f32_e32 v6, v2, v6
	v_fmac_f32_e32 v6, -0.5, v7
	s_branch .LBB99_53
.LBB99_51:                              ;   in Loop: Header=BB99_53 Depth=1
	s_or_b32 exec_lo, exec_lo, s16
	s_andn2_b32 s14, s14, exec_lo
	s_and_b32 s16, s18, exec_lo
	s_andn2_b32 s13, s13, exec_lo
	s_and_b32 s17, s17, exec_lo
	s_or_b32 s14, s14, s16
	s_or_b32 s13, s13, s17
.LBB99_52:                              ;   in Loop: Header=BB99_53 Depth=1
	s_or_b32 exec_lo, exec_lo, s15
	s_and_b32 s15, exec_lo, s13
	s_or_b32 s11, s15, s11
	s_andn2_b32 s12, s12, exec_lo
	s_and_b32 s15, s14, exec_lo
	s_or_b32 s12, s12, s15
	s_andn2_b32 exec_lo, exec_lo, s11
	s_cbranch_execz .LBB99_56
.LBB99_53:                              ; =>This Inner Loop Header: Depth=1
	v_div_scale_f32 v10, null, v5, v5, v7
	v_div_scale_f32 v13, vcc_lo, v7, v5, v7
	s_getpc_b64 s[16:17]
	s_add_u32 s16, s16, _ZZ4zetaIN3c104HalfELb1EET_S2_S2_E1A@rel32@lo+4
	s_addc_u32 s17, s17, _ZZ4zetaIN3c104HalfELb1EET_S2_S2_E1A@rel32@hi+12
	v_rcp_f32_e32 v11, v10
	s_add_u32 s16, s16, s6
	s_addc_u32 s17, s17, s7
	s_or_b32 s14, s14, exec_lo
	s_load_dword s15, s[16:17], 0x0
	s_or_b32 s13, s13, exec_lo
	v_fma_f32 v12, -v10, v11, 1.0
	v_fmac_f32_e32 v11, v12, v11
	v_mul_f32_e32 v12, v13, v11
	v_fma_f32 v14, -v10, v12, v13
	v_fmac_f32_e32 v12, v14, v11
	v_fma_f32 v10, -v10, v12, v13
	v_add_f32_e32 v13, v8, v4
	v_div_fmas_f32 v11, v10, v11, v12
	v_mul_f32_e32 v10, v9, v13
	v_div_fixup_f32 v11, v11, v5, v7
	v_mul_f32_e32 v7, v11, v10
	s_waitcnt lgkmcnt(0)
	v_div_scale_f32 v9, null, s15, s15, v7
	v_div_scale_f32 v14, vcc_lo, v7, s15, v7
	v_rcp_f32_e32 v12, v9
	v_fma_f32 v13, -v9, v12, 1.0
	v_fmac_f32_e32 v12, v13, v12
	v_mul_f32_e32 v13, v14, v12
	v_fma_f32 v15, -v9, v13, v14
	v_fmac_f32_e32 v13, v15, v12
	v_fma_f32 v9, -v9, v13, v14
	v_div_fmas_f32 v9, v9, v12, v13
	v_div_fixup_f32 v7, v9, s15, v7
	v_add_f32_e32 v6, v6, v7
	v_div_scale_f32 v9, null, v6, v6, v7
	v_rcp_f32_e32 v12, v9
	v_fma_f32 v13, -v9, v12, 1.0
	v_fmac_f32_e32 v12, v13, v12
	v_div_scale_f32 v13, vcc_lo, v7, v6, v7
	v_mul_f32_e32 v14, v13, v12
	v_fma_f32 v15, -v9, v14, v13
	v_fmac_f32_e32 v14, v15, v12
	v_fma_f32 v9, -v9, v14, v13
	v_div_fmas_f32 v9, v9, v12, v14
	v_div_fixup_f32 v7, v9, v6, v7
                                        ; implicit-def: $vgpr9
	v_cmp_ngt_f32_e64 s16, 0x25000000, |v7|
                                        ; implicit-def: $vgpr7
	s_and_saveexec_b32 s15, s16
	s_cbranch_execz .LBB99_52
; %bb.54:                               ;   in Loop: Header=BB99_53 Depth=1
	v_div_scale_f32 v7, null, v5, v5, v11
	v_div_scale_f32 v13, vcc_lo, v11, v5, v11
	v_add_f32_e32 v8, 1.0, v8
	v_rcp_f32_e32 v9, v7
	s_getpc_b64 s[16:17]
	s_add_u32 s16, s16, _ZZ4zetaIN3c104HalfELb1EET_S2_S2_E1A@rel32@lo+8
	s_addc_u32 s17, s17, _ZZ4zetaIN3c104HalfELb1EET_S2_S2_E1A@rel32@hi+16
	s_add_u32 s16, s16, s6
	s_addc_u32 s17, s17, s7
	v_add_f32_e32 v16, v8, v4
	s_load_dword s16, s[16:17], 0x0
	s_mov_b32 s17, -1
	s_mov_b32 s18, -1
	v_fma_f32 v12, -v7, v9, 1.0
	v_fmac_f32_e32 v9, v12, v9
	v_mul_f32_e32 v12, v13, v9
	v_fma_f32 v14, -v7, v12, v13
	v_fmac_f32_e32 v12, v14, v9
	v_fma_f32 v7, -v7, v12, v13
	v_div_fmas_f32 v7, v7, v9, v12
	v_div_fixup_f32 v7, v7, v5, v11
	v_div_scale_f32 v9, null, v5, v5, v7
	v_div_scale_f32 v13, vcc_lo, v7, v5, v7
	v_rcp_f32_e32 v11, v9
	v_fma_f32 v12, -v9, v11, 1.0
	v_fmac_f32_e32 v11, v12, v11
	v_add_f32_e32 v12, 1.0, v8
	v_mul_f32_e32 v14, v13, v11
	v_fma_f32 v15, -v9, v14, v13
	v_fmac_f32_e32 v14, v15, v11
	v_fma_f32 v8, -v9, v14, v13
	v_mul_f32_e32 v9, v16, v10
	v_add_f32_e32 v10, v12, v4
	v_div_fmas_f32 v8, v8, v11, v14
	v_mul_f32_e32 v10, v9, v10
	v_div_fixup_f32 v11, v8, v5, v7
	v_mul_f32_e32 v7, v11, v10
	s_waitcnt lgkmcnt(0)
	v_div_scale_f32 v8, null, s16, s16, v7
	v_div_scale_f32 v14, vcc_lo, v7, s16, v7
	v_rcp_f32_e32 v9, v8
	v_fma_f32 v13, -v8, v9, 1.0
	v_fmac_f32_e32 v9, v13, v9
	v_mul_f32_e32 v13, v14, v9
	v_fma_f32 v15, -v8, v13, v14
	v_fmac_f32_e32 v13, v15, v9
	v_fma_f32 v8, -v8, v13, v14
	v_div_fmas_f32 v8, v8, v9, v13
	v_div_fixup_f32 v7, v8, s16, v7
	v_add_f32_e32 v6, v6, v7
	v_div_scale_f32 v8, null, v6, v6, v7
	v_rcp_f32_e32 v9, v8
	v_fma_f32 v13, -v8, v9, 1.0
	v_fmac_f32_e32 v9, v13, v9
	v_div_scale_f32 v13, vcc_lo, v7, v6, v7
	v_mul_f32_e32 v14, v13, v9
	v_fma_f32 v15, -v8, v14, v13
	v_fmac_f32_e32 v14, v15, v9
	v_fma_f32 v8, -v8, v14, v13
	v_div_fmas_f32 v8, v8, v9, v14
                                        ; implicit-def: $vgpr9
	v_div_fixup_f32 v7, v8, v6, v7
                                        ; implicit-def: $vgpr8
	v_cmp_ngt_f32_e64 s19, 0x25000000, |v7|
                                        ; implicit-def: $vgpr7
	s_and_saveexec_b32 s16, s19
	s_cbranch_execz .LBB99_51
; %bb.55:                               ;   in Loop: Header=BB99_53 Depth=1
	v_div_scale_f32 v7, null, v5, v5, v11
	v_div_scale_f32 v13, vcc_lo, v11, v5, v11
	v_add_f32_e32 v12, 1.0, v12
	v_rcp_f32_e32 v8, v7
	s_add_u32 s6, s6, 8
	s_addc_u32 s7, s7, 0
	s_cmp_eq_u32 s6, 48
	s_cselect_b32 s17, -1, 0
	s_xor_b32 s18, exec_lo, -1
	s_orn2_b32 s17, s17, exec_lo
	v_fma_f32 v9, -v7, v8, 1.0
	v_fmac_f32_e32 v8, v9, v8
	v_mul_f32_e32 v9, v13, v8
	v_fma_f32 v14, -v7, v9, v13
	v_fmac_f32_e32 v9, v14, v8
	v_fma_f32 v7, -v7, v9, v13
	v_add_f32_e32 v13, v12, v4
	v_div_fmas_f32 v7, v7, v8, v9
	v_mul_f32_e32 v9, v13, v10
	v_add_f32_e32 v8, 1.0, v12
	v_div_fixup_f32 v7, v7, v5, v11
	s_branch .LBB99_51
.LBB99_56:
	s_or_b32 exec_lo, exec_lo, s11
	s_xor_b32 s6, s12, -1
                                        ; implicit-def: $vgpr8
	s_and_saveexec_b32 s7, s6
	s_xor_b32 s6, exec_lo, s7
; %bb.57:
	v_cvt_f16_f32_e32 v8, v6
; %bb.58:
	s_andn2_saveexec_b32 s6, s6
; %bb.59:
	v_cvt_f16_f32_e32 v8, v6
; %bb.60:
	s_or_b32 exec_lo, exec_lo, s6
.LBB99_61:
	s_andn2_saveexec_b32 s5, s5
; %bb.62:
	v_cvt_f16_f32_e32 v8, v2
; %bb.63:
	s_or_b32 exec_lo, exec_lo, s5
.LBB99_64:
	s_or_b32 exec_lo, exec_lo, s10
.LBB99_65:
	s_or_b32 exec_lo, exec_lo, s9
.LBB99_66:
	s_or_b32 exec_lo, exec_lo, s8
	v_cmp_gt_f32_e64 s5, 0x4b000000, |v1|
	v_and_b32_e32 v0, 1, v0
	s_or_b32 vcc_lo, s4, s5
	v_cmp_class_f32_e64 s4, v1, 0x244
	v_cndmask_b32_e32 v2, 0x7f800000, v3, vcc_lo
	v_cndmask_b32_e64 v1, v2, 0x7f800000, s4
	v_mul_f32_e32 v2, 0x3fb8aa3b, v1
	v_cmp_ngt_f32_e32 vcc_lo, 0xc2ce8ed0, v1
	v_fma_f32 v3, 0x3fb8aa3b, v1, -v2
	v_rndne_f32_e32 v4, v2
	v_fmamk_f32 v3, v1, 0x32a5705f, v3
	v_sub_f32_e32 v2, v2, v4
	v_add_f32_e32 v2, v2, v3
	v_cvt_i32_f32_e32 v3, v4
	v_exp_f32_e32 v2, v2
	v_ldexp_f32 v2, v2, v3
	v_cndmask_b32_e32 v2, 0, v2, vcc_lo
	v_cmp_nlt_f32_e32 vcc_lo, 0x42b17218, v1
	v_cndmask_b32_e32 v1, 0x7f800000, v2, vcc_lo
	v_cmp_eq_u32_e32 vcc_lo, 0, v0
	v_cndmask_b32_e64 v0, v1, -v1, vcc_lo
	v_fma_mixlo_f16 v0, v0, v8, 0 op_sel_hi:[0,1,0]
	s_setpc_b64 s[30:31]
.Lfunc_end99:
	.size	_ZN3c104guts5applyIRZZZN2at6native21polygamma_kernel_cudaERNS2_18TensorIteratorBaseElENKUlvE_clEvENKUlvE1_clEvEUlNS_4HalfEE_RSt5tupleIJS8_EEEEDaOT_OT0_, .Lfunc_end99-_ZN3c104guts5applyIRZZZN2at6native21polygamma_kernel_cudaERNS2_18TensorIteratorBaseElENKUlvE_clEvENKUlvE1_clEvEUlNS_4HalfEE_RSt5tupleIJS8_EEEEDaOT_OT0_
                                        ; -- End function
	.set .L_ZN3c104guts5applyIRZZZN2at6native21polygamma_kernel_cudaERNS2_18TensorIteratorBaseElENKUlvE_clEvENKUlvE1_clEvEUlNS_4HalfEE_RSt5tupleIJS8_EEEEDaOT_OT0_.num_vgpr, 19
	.set .L_ZN3c104guts5applyIRZZZN2at6native21polygamma_kernel_cudaERNS2_18TensorIteratorBaseElENKUlvE_clEvENKUlvE1_clEvEUlNS_4HalfEE_RSt5tupleIJS8_EEEEDaOT_OT0_.num_agpr, 0
	.set .L_ZN3c104guts5applyIRZZZN2at6native21polygamma_kernel_cudaERNS2_18TensorIteratorBaseElENKUlvE_clEvENKUlvE1_clEvEUlNS_4HalfEE_RSt5tupleIJS8_EEEEDaOT_OT0_.numbered_sgpr, 32
	.set .L_ZN3c104guts5applyIRZZZN2at6native21polygamma_kernel_cudaERNS2_18TensorIteratorBaseElENKUlvE_clEvENKUlvE1_clEvEUlNS_4HalfEE_RSt5tupleIJS8_EEEEDaOT_OT0_.num_named_barrier, 0
	.set .L_ZN3c104guts5applyIRZZZN2at6native21polygamma_kernel_cudaERNS2_18TensorIteratorBaseElENKUlvE_clEvENKUlvE1_clEvEUlNS_4HalfEE_RSt5tupleIJS8_EEEEDaOT_OT0_.private_seg_size, 0
	.set .L_ZN3c104guts5applyIRZZZN2at6native21polygamma_kernel_cudaERNS2_18TensorIteratorBaseElENKUlvE_clEvENKUlvE1_clEvEUlNS_4HalfEE_RSt5tupleIJS8_EEEEDaOT_OT0_.uses_vcc, 1
	.set .L_ZN3c104guts5applyIRZZZN2at6native21polygamma_kernel_cudaERNS2_18TensorIteratorBaseElENKUlvE_clEvENKUlvE1_clEvEUlNS_4HalfEE_RSt5tupleIJS8_EEEEDaOT_OT0_.uses_flat_scratch, 0
	.set .L_ZN3c104guts5applyIRZZZN2at6native21polygamma_kernel_cudaERNS2_18TensorIteratorBaseElENKUlvE_clEvENKUlvE1_clEvEUlNS_4HalfEE_RSt5tupleIJS8_EEEEDaOT_OT0_.has_dyn_sized_stack, 0
	.set .L_ZN3c104guts5applyIRZZZN2at6native21polygamma_kernel_cudaERNS2_18TensorIteratorBaseElENKUlvE_clEvENKUlvE1_clEvEUlNS_4HalfEE_RSt5tupleIJS8_EEEEDaOT_OT0_.has_recursion, 0
	.set .L_ZN3c104guts5applyIRZZZN2at6native21polygamma_kernel_cudaERNS2_18TensorIteratorBaseElENKUlvE_clEvENKUlvE1_clEvEUlNS_4HalfEE_RSt5tupleIJS8_EEEEDaOT_OT0_.has_indirect_call, 0
	.section	.AMDGPU.csdata,"",@progbits
; Function info:
; codeLenInByte = 5492
; TotalNumSgprs: 34
; NumVgprs: 19
; ScratchSize: 0
; MemoryBound: 0
	.section	.text._ZN2at6native29vectorized_elementwise_kernelILi16EZZZNS0_21polygamma_kernel_cudaERNS_18TensorIteratorBaseElENKUlvE_clEvENKUlvE1_clEvEUlN3c104HalfEE_St5arrayIPcLm2EEEEviT0_T1_,"axG",@progbits,_ZN2at6native29vectorized_elementwise_kernelILi16EZZZNS0_21polygamma_kernel_cudaERNS_18TensorIteratorBaseElENKUlvE_clEvENKUlvE1_clEvEUlN3c104HalfEE_St5arrayIPcLm2EEEEviT0_T1_,comdat
	.globl	_ZN2at6native29vectorized_elementwise_kernelILi16EZZZNS0_21polygamma_kernel_cudaERNS_18TensorIteratorBaseElENKUlvE_clEvENKUlvE1_clEvEUlN3c104HalfEE_St5arrayIPcLm2EEEEviT0_T1_ ; -- Begin function _ZN2at6native29vectorized_elementwise_kernelILi16EZZZNS0_21polygamma_kernel_cudaERNS_18TensorIteratorBaseElENKUlvE_clEvENKUlvE1_clEvEUlN3c104HalfEE_St5arrayIPcLm2EEEEviT0_T1_
	.p2align	8
	.type	_ZN2at6native29vectorized_elementwise_kernelILi16EZZZNS0_21polygamma_kernel_cudaERNS_18TensorIteratorBaseElENKUlvE_clEvENKUlvE1_clEvEUlN3c104HalfEE_St5arrayIPcLm2EEEEviT0_T1_,@function
_ZN2at6native29vectorized_elementwise_kernelILi16EZZZNS0_21polygamma_kernel_cudaERNS_18TensorIteratorBaseElENKUlvE_clEvENKUlvE1_clEvEUlN3c104HalfEE_St5arrayIPcLm2EEEEviT0_T1_: ; @_ZN2at6native29vectorized_elementwise_kernelILi16EZZZNS0_21polygamma_kernel_cudaERNS_18TensorIteratorBaseElENKUlvE_clEvENKUlvE1_clEvEUlN3c104HalfEE_St5arrayIPcLm2EEEEviT0_T1_
; %bb.0:
	s_add_u32 s0, s0, s7
	s_clause 0x2
	s_load_dword s7, s[4:5], 0x0
	s_load_dwordx4 s[24:27], s[4:5], 0x8
	s_load_dwordx2 s[28:29], s[4:5], 0x18
	s_addc_u32 s1, s1, 0
	s_lshl_b32 s22, s6, 11
	v_mov_b32_e32 v19, v0
	s_mov_b32 s4, -1
	s_mov_b32 s32, 0
	s_waitcnt lgkmcnt(0)
	s_sub_i32 s21, s7, s22
	s_cmpk_gt_i32 s21, 0x7ff
	s_cbranch_scc0 .LBB100_2
; %bb.1:
	s_ashr_i32 s23, s22, 31
	v_lshlrev_b32_e32 v28, 4, v19
	s_lshl_b64 s[34:35], s[22:23], 1
	v_mov_b32_e32 v0, s24
	s_add_u32 s4, s28, s34
	s_addc_u32 s5, s29, s35
	v_mov_b32_e32 v1, s25
	global_load_dwordx4 v[20:23], v28, s[4:5]
	s_getpc_b64 s[36:37]
	s_add_u32 s36, s36, _ZN3c104guts5applyIRZZZN2at6native21polygamma_kernel_cudaERNS2_18TensorIteratorBaseElENKUlvE_clEvENKUlvE1_clEvEUlNS_4HalfEE_RSt5tupleIJS8_EEEEDaOT_OT0_@rel32@lo+4
	s_addc_u32 s37, s37, _ZN3c104guts5applyIRZZZN2at6native21polygamma_kernel_cudaERNS2_18TensorIteratorBaseElENKUlvE_clEvENKUlvE1_clEvEUlNS_4HalfEE_RSt5tupleIJS8_EEEEDaOT_OT0_@rel32@hi+12
	s_waitcnt vmcnt(0)
	v_mov_b32_e32 v2, v20
	v_lshrrev_b32_e32 v24, 16, v20
	v_lshrrev_b32_e32 v25, 16, v21
	v_lshrrev_b32_e32 v26, 16, v22
	v_lshrrev_b32_e32 v27, 16, v23
	s_swappc_b64 s[30:31], s[36:37]
	v_mov_b32_e32 v20, v0
	v_mov_b32_e32 v0, s24
	v_mov_b32_e32 v1, s25
	v_mov_b32_e32 v2, v24
	s_swappc_b64 s[30:31], s[36:37]
	v_mov_b32_e32 v24, v0
	v_mov_b32_e32 v0, s24
	v_mov_b32_e32 v1, s25
	v_mov_b32_e32 v2, v21
	;; [unrolled: 5-line block ×7, first 2 shown]
	s_swappc_b64 s[30:31], s[36:37]
	v_perm_b32 v1, v24, v20, 0x5040100
	v_perm_b32 v2, v25, v21, 0x5040100
	;; [unrolled: 1-line block ×4, first 2 shown]
	s_add_u32 s6, s26, s34
	s_addc_u32 s7, s27, s35
	s_mov_b32 s4, 0
	global_store_dwordx4 v28, v[1:4], s[6:7]
.LBB100_2:
	s_andn2_b32 vcc_lo, exec_lo, s4
	s_cbranch_vccnz .LBB100_41
; %bb.3:
	v_cmp_gt_i32_e64 s20, s21, v19
	v_mov_b32_e32 v20, 0
	v_or_b32_e32 v29, s22, v19
	v_or_b32_e32 v31, 0x100, v19
	v_mov_b32_e32 v2, 0
	v_mov_b32_e32 v0, v19
	s_and_saveexec_b32 s4, s20
	s_cbranch_execz .LBB100_5
; %bb.4:
	v_mov_b32_e32 v30, 0
	v_lshlrev_b64 v[0:1], 1, v[29:30]
	v_add_co_u32 v0, vcc_lo, s28, v0
	v_add_co_ci_u32_e64 v1, null, s29, v1, vcc_lo
	global_load_ushort v2, v[0:1], off
	v_or_b32_e32 v0, 0x100, v19
.LBB100_5:
	s_or_b32 exec_lo, exec_lo, s4
	s_mov_b32 s4, exec_lo
	v_cmpx_gt_i32_e64 s21, v0
	s_cbranch_execz .LBB100_7
; %bb.6:
	v_add_nc_u32_e32 v3, s22, v0
	v_mov_b32_e32 v4, 0
	v_add_nc_u32_e32 v0, 0x100, v0
	v_lshlrev_b64 v[3:4], 1, v[3:4]
	v_add_co_u32 v3, vcc_lo, s28, v3
	v_add_co_ci_u32_e64 v4, null, s29, v4, vcc_lo
	global_load_ushort v20, v[3:4], off
.LBB100_7:
	s_or_b32 exec_lo, exec_lo, s4
	v_mov_b32_e32 v21, 0
	v_mov_b32_e32 v24, 0
	s_mov_b32 s4, exec_lo
	v_cmpx_gt_i32_e64 s21, v0
	s_cbranch_execz .LBB100_9
; %bb.8:
	v_add_nc_u32_e32 v3, s22, v0
	v_mov_b32_e32 v4, 0
	v_add_nc_u32_e32 v0, 0x100, v0
	v_lshlrev_b64 v[3:4], 1, v[3:4]
	v_add_co_u32 v3, vcc_lo, s28, v3
	v_add_co_ci_u32_e64 v4, null, s29, v4, vcc_lo
	global_load_ushort v24, v[3:4], off
.LBB100_9:
	s_or_b32 exec_lo, exec_lo, s4
	s_mov_b32 s4, exec_lo
	v_cmpx_gt_i32_e64 s21, v0
	s_cbranch_execz .LBB100_11
; %bb.10:
	v_add_nc_u32_e32 v3, s22, v0
	v_mov_b32_e32 v4, 0
	v_add_nc_u32_e32 v0, 0x100, v0
	v_lshlrev_b64 v[3:4], 1, v[3:4]
	v_add_co_u32 v3, vcc_lo, s28, v3
	v_add_co_ci_u32_e64 v4, null, s29, v4, vcc_lo
	global_load_ushort v21, v[3:4], off
.LBB100_11:
	s_or_b32 exec_lo, exec_lo, s4
	v_mov_b32_e32 v22, 0
	v_mov_b32_e32 v26, 0
	s_mov_b32 s4, exec_lo
	v_cmpx_gt_i32_e64 s21, v0
	s_cbranch_execz .LBB100_13
; %bb.12:
	v_add_nc_u32_e32 v3, s22, v0
	v_mov_b32_e32 v4, 0
	v_add_nc_u32_e32 v0, 0x100, v0
	v_lshlrev_b64 v[3:4], 1, v[3:4]
	v_add_co_u32 v3, vcc_lo, s28, v3
	v_add_co_ci_u32_e64 v4, null, s29, v4, vcc_lo
	global_load_ushort v26, v[3:4], off
.LBB100_13:
	s_or_b32 exec_lo, exec_lo, s4
	s_mov_b32 s4, exec_lo
	v_cmpx_gt_i32_e64 s21, v0
	s_cbranch_execz .LBB100_15
; %bb.14:
	v_add_nc_u32_e32 v3, s22, v0
	v_mov_b32_e32 v4, 0
	v_add_nc_u32_e32 v0, 0x100, v0
	v_lshlrev_b64 v[3:4], 1, v[3:4]
	v_add_co_u32 v3, vcc_lo, s28, v3
	v_add_co_ci_u32_e64 v4, null, s29, v4, vcc_lo
	global_load_ushort v22, v[3:4], off
.LBB100_15:
	s_or_b32 exec_lo, exec_lo, s4
	v_mov_b32_e32 v23, 0
	v_mov_b32_e32 v28, 0
	s_mov_b32 s4, exec_lo
	v_cmpx_gt_i32_e64 s21, v0
	s_cbranch_execz .LBB100_42
; %bb.16:
	v_add_nc_u32_e32 v3, s22, v0
	v_mov_b32_e32 v4, 0
	v_add_nc_u32_e32 v0, 0x100, v0
	v_lshlrev_b64 v[3:4], 1, v[3:4]
	v_add_co_u32 v3, vcc_lo, s28, v3
	v_add_co_ci_u32_e64 v4, null, s29, v4, vcc_lo
	global_load_ushort v28, v[3:4], off
	s_or_b32 exec_lo, exec_lo, s4
	s_mov_b32 s4, exec_lo
	v_cmpx_gt_i32_e64 s21, v0
	s_cbranch_execnz .LBB100_43
.LBB100_17:
	s_or_b32 exec_lo, exec_lo, s4
                                        ; implicit-def: $vgpr25
	s_and_saveexec_b32 s23, s20
	s_cbranch_execz .LBB100_19
.LBB100_18:
	v_mov_b32_e32 v0, s24
	v_mov_b32_e32 v1, s25
	s_getpc_b64 s[4:5]
	s_add_u32 s4, s4, _ZN3c104guts5applyIRZZZN2at6native21polygamma_kernel_cudaERNS2_18TensorIteratorBaseElENKUlvE_clEvENKUlvE1_clEvEUlNS_4HalfEE_RSt5tupleIJS8_EEEEDaOT_OT0_@rel32@lo+4
	s_addc_u32 s5, s5, _ZN3c104guts5applyIRZZZN2at6native21polygamma_kernel_cudaERNS2_18TensorIteratorBaseElENKUlvE_clEvENKUlvE1_clEvEUlNS_4HalfEE_RSt5tupleIJS8_EEEEDaOT_OT0_@rel32@hi+12
	s_swappc_b64 s[30:31], s[4:5]
	v_mov_b32_e32 v25, v0
.LBB100_19:
	s_or_b32 exec_lo, exec_lo, s23
	s_mov_b32 s23, exec_lo
                                        ; implicit-def: $vgpr27
	v_cmpx_gt_i32_e64 s21, v31
	s_cbranch_execz .LBB100_21
; %bb.20:
	v_mov_b32_e32 v0, s24
	v_mov_b32_e32 v1, s25
	s_waitcnt vmcnt(0)
	v_mov_b32_e32 v2, v20
	s_getpc_b64 s[4:5]
	s_add_u32 s4, s4, _ZN3c104guts5applyIRZZZN2at6native21polygamma_kernel_cudaERNS2_18TensorIteratorBaseElENKUlvE_clEvENKUlvE1_clEvEUlNS_4HalfEE_RSt5tupleIJS8_EEEEDaOT_OT0_@rel32@lo+4
	s_addc_u32 s5, s5, _ZN3c104guts5applyIRZZZN2at6native21polygamma_kernel_cudaERNS2_18TensorIteratorBaseElENKUlvE_clEvENKUlvE1_clEvEUlNS_4HalfEE_RSt5tupleIJS8_EEEEDaOT_OT0_@rel32@hi+12
	s_swappc_b64 s[30:31], s[4:5]
	v_mov_b32_e32 v27, v0
.LBB100_21:
	s_or_b32 exec_lo, exec_lo, s23
	v_or_b32_e32 v0, 0x200, v19
	s_mov_b32 s23, exec_lo
                                        ; implicit-def: $vgpr20
	v_cmpx_gt_i32_e64 s21, v0
	s_cbranch_execz .LBB100_23
; %bb.22:
	v_mov_b32_e32 v0, s24
	v_mov_b32_e32 v1, s25
	s_waitcnt vmcnt(0)
	v_mov_b32_e32 v2, v24
	s_getpc_b64 s[4:5]
	s_add_u32 s4, s4, _ZN3c104guts5applyIRZZZN2at6native21polygamma_kernel_cudaERNS2_18TensorIteratorBaseElENKUlvE_clEvENKUlvE1_clEvEUlNS_4HalfEE_RSt5tupleIJS8_EEEEDaOT_OT0_@rel32@lo+4
	s_addc_u32 s5, s5, _ZN3c104guts5applyIRZZZN2at6native21polygamma_kernel_cudaERNS2_18TensorIteratorBaseElENKUlvE_clEvENKUlvE1_clEvEUlNS_4HalfEE_RSt5tupleIJS8_EEEEDaOT_OT0_@rel32@hi+12
	s_swappc_b64 s[30:31], s[4:5]
	v_mov_b32_e32 v20, v0
.LBB100_23:
	s_or_b32 exec_lo, exec_lo, s23
	v_or_b32_e32 v0, 0x300, v19
	s_mov_b32 s23, exec_lo
                                        ; implicit-def: $vgpr24
	v_cmpx_gt_i32_e64 s21, v0
	s_cbranch_execz .LBB100_25
; %bb.24:
	v_mov_b32_e32 v0, s24
	v_mov_b32_e32 v1, s25
	s_waitcnt vmcnt(0)
	v_mov_b32_e32 v2, v21
	s_getpc_b64 s[4:5]
	s_add_u32 s4, s4, _ZN3c104guts5applyIRZZZN2at6native21polygamma_kernel_cudaERNS2_18TensorIteratorBaseElENKUlvE_clEvENKUlvE1_clEvEUlNS_4HalfEE_RSt5tupleIJS8_EEEEDaOT_OT0_@rel32@lo+4
	s_addc_u32 s5, s5, _ZN3c104guts5applyIRZZZN2at6native21polygamma_kernel_cudaERNS2_18TensorIteratorBaseElENKUlvE_clEvENKUlvE1_clEvEUlNS_4HalfEE_RSt5tupleIJS8_EEEEDaOT_OT0_@rel32@hi+12
	s_swappc_b64 s[30:31], s[4:5]
	v_mov_b32_e32 v24, v0
.LBB100_25:
	s_or_b32 exec_lo, exec_lo, s23
	v_or_b32_e32 v0, 0x400, v19
	s_mov_b32 s23, exec_lo
                                        ; implicit-def: $vgpr21
	v_cmpx_gt_i32_e64 s21, v0
	s_cbranch_execz .LBB100_27
; %bb.26:
	v_mov_b32_e32 v0, s24
	v_mov_b32_e32 v1, s25
	s_waitcnt vmcnt(0)
	v_mov_b32_e32 v2, v26
	s_getpc_b64 s[4:5]
	s_add_u32 s4, s4, _ZN3c104guts5applyIRZZZN2at6native21polygamma_kernel_cudaERNS2_18TensorIteratorBaseElENKUlvE_clEvENKUlvE1_clEvEUlNS_4HalfEE_RSt5tupleIJS8_EEEEDaOT_OT0_@rel32@lo+4
	s_addc_u32 s5, s5, _ZN3c104guts5applyIRZZZN2at6native21polygamma_kernel_cudaERNS2_18TensorIteratorBaseElENKUlvE_clEvENKUlvE1_clEvEUlNS_4HalfEE_RSt5tupleIJS8_EEEEDaOT_OT0_@rel32@hi+12
	s_swappc_b64 s[30:31], s[4:5]
	v_mov_b32_e32 v21, v0
.LBB100_27:
	s_or_b32 exec_lo, exec_lo, s23
	v_or_b32_e32 v0, 0x500, v19
	s_mov_b32 s23, exec_lo
                                        ; implicit-def: $vgpr26
	v_cmpx_gt_i32_e64 s21, v0
	s_cbranch_execz .LBB100_29
; %bb.28:
	v_mov_b32_e32 v0, s24
	v_mov_b32_e32 v1, s25
	s_waitcnt vmcnt(0)
	v_mov_b32_e32 v2, v22
	s_getpc_b64 s[4:5]
	s_add_u32 s4, s4, _ZN3c104guts5applyIRZZZN2at6native21polygamma_kernel_cudaERNS2_18TensorIteratorBaseElENKUlvE_clEvENKUlvE1_clEvEUlNS_4HalfEE_RSt5tupleIJS8_EEEEDaOT_OT0_@rel32@lo+4
	s_addc_u32 s5, s5, _ZN3c104guts5applyIRZZZN2at6native21polygamma_kernel_cudaERNS2_18TensorIteratorBaseElENKUlvE_clEvENKUlvE1_clEvEUlNS_4HalfEE_RSt5tupleIJS8_EEEEDaOT_OT0_@rel32@hi+12
	s_swappc_b64 s[30:31], s[4:5]
	v_mov_b32_e32 v26, v0
.LBB100_29:
	s_or_b32 exec_lo, exec_lo, s23
	v_or_b32_e32 v0, 0x600, v19
	s_mov_b32 s23, exec_lo
                                        ; implicit-def: $vgpr22
	v_cmpx_gt_i32_e64 s21, v0
	s_cbranch_execz .LBB100_31
; %bb.30:
	v_mov_b32_e32 v0, s24
	v_mov_b32_e32 v1, s25
	s_waitcnt vmcnt(0)
	v_mov_b32_e32 v2, v28
	s_getpc_b64 s[4:5]
	s_add_u32 s4, s4, _ZN3c104guts5applyIRZZZN2at6native21polygamma_kernel_cudaERNS2_18TensorIteratorBaseElENKUlvE_clEvENKUlvE1_clEvEUlNS_4HalfEE_RSt5tupleIJS8_EEEEDaOT_OT0_@rel32@lo+4
	s_addc_u32 s5, s5, _ZN3c104guts5applyIRZZZN2at6native21polygamma_kernel_cudaERNS2_18TensorIteratorBaseElENKUlvE_clEvENKUlvE1_clEvEUlNS_4HalfEE_RSt5tupleIJS8_EEEEDaOT_OT0_@rel32@hi+12
	s_swappc_b64 s[30:31], s[4:5]
	v_mov_b32_e32 v22, v0
.LBB100_31:
	s_or_b32 exec_lo, exec_lo, s23
	v_or_b32_e32 v0, 0x700, v19
	v_cmp_gt_i32_e32 vcc_lo, s21, v0
                                        ; implicit-def: $vgpr0
	s_and_saveexec_b32 s23, vcc_lo
	s_cbranch_execz .LBB100_44
; %bb.32:
	v_mov_b32_e32 v0, s24
	v_mov_b32_e32 v1, s25
	s_waitcnt vmcnt(0)
	v_mov_b32_e32 v2, v23
	s_getpc_b64 s[4:5]
	s_add_u32 s4, s4, _ZN3c104guts5applyIRZZZN2at6native21polygamma_kernel_cudaERNS2_18TensorIteratorBaseElENKUlvE_clEvENKUlvE1_clEvEUlNS_4HalfEE_RSt5tupleIJS8_EEEEDaOT_OT0_@rel32@lo+4
	s_addc_u32 s5, s5, _ZN3c104guts5applyIRZZZN2at6native21polygamma_kernel_cudaERNS2_18TensorIteratorBaseElENKUlvE_clEvENKUlvE1_clEvEUlNS_4HalfEE_RSt5tupleIJS8_EEEEDaOT_OT0_@rel32@hi+12
	s_swappc_b64 s[30:31], s[4:5]
	s_or_b32 exec_lo, exec_lo, s23
	s_and_saveexec_b32 s4, s20
	s_xor_b32 s4, exec_lo, s4
	s_cbranch_execnz .LBB100_45
.LBB100_33:
	s_or_b32 exec_lo, exec_lo, s4
	s_mov_b32 s4, exec_lo
	v_cmpx_gt_i32_e64 s21, v19
	s_cbranch_execz .LBB100_46
.LBB100_34:
	v_add_nc_u32_e32 v1, s22, v19
	s_waitcnt vmcnt(0)
	v_mov_b32_e32 v2, 0
	v_add_nc_u32_e32 v19, 0x100, v19
	v_lshlrev_b64 v[1:2], 1, v[1:2]
	v_add_co_u32 v1, vcc_lo, s26, v1
	v_add_co_ci_u32_e64 v2, null, s27, v2, vcc_lo
	global_store_short v[1:2], v27, off
	s_or_b32 exec_lo, exec_lo, s4
	s_mov_b32 s4, exec_lo
	v_cmpx_gt_i32_e64 s21, v19
	s_cbranch_execnz .LBB100_47
.LBB100_35:
	s_or_b32 exec_lo, exec_lo, s4
	s_mov_b32 s4, exec_lo
	v_cmpx_gt_i32_e64 s21, v19
	s_cbranch_execz .LBB100_48
.LBB100_36:
	v_add_nc_u32_e32 v1, s22, v19
	s_waitcnt vmcnt(0)
	v_mov_b32_e32 v2, 0
	v_add_nc_u32_e32 v19, 0x100, v19
	v_lshlrev_b64 v[1:2], 1, v[1:2]
	v_add_co_u32 v1, vcc_lo, s26, v1
	v_add_co_ci_u32_e64 v2, null, s27, v2, vcc_lo
	global_store_short v[1:2], v24, off
	s_or_b32 exec_lo, exec_lo, s4
	s_mov_b32 s4, exec_lo
	v_cmpx_gt_i32_e64 s21, v19
	s_cbranch_execnz .LBB100_49
.LBB100_37:
	s_or_b32 exec_lo, exec_lo, s4
	s_mov_b32 s4, exec_lo
	v_cmpx_gt_i32_e64 s21, v19
	s_cbranch_execz .LBB100_50
.LBB100_38:
	v_add_nc_u32_e32 v1, s22, v19
	s_waitcnt vmcnt(0)
	v_mov_b32_e32 v2, 0
	v_add_nc_u32_e32 v19, 0x100, v19
	v_lshlrev_b64 v[1:2], 1, v[1:2]
	v_add_co_u32 v1, vcc_lo, s26, v1
	v_add_co_ci_u32_e64 v2, null, s27, v2, vcc_lo
	global_store_short v[1:2], v26, off
	s_or_b32 exec_lo, exec_lo, s4
	s_mov_b32 s4, exec_lo
	v_cmpx_gt_i32_e64 s21, v19
	s_cbranch_execnz .LBB100_51
.LBB100_39:
	s_or_b32 exec_lo, exec_lo, s4
	s_mov_b32 s4, exec_lo
	v_cmpx_gt_i32_e64 s21, v19
	s_cbranch_execz .LBB100_41
.LBB100_40:
	v_add_nc_u32_e32 v1, s22, v19
	s_waitcnt vmcnt(0)
	v_mov_b32_e32 v2, 0
	v_lshlrev_b64 v[1:2], 1, v[1:2]
	v_add_co_u32 v1, vcc_lo, s26, v1
	v_add_co_ci_u32_e64 v2, null, s27, v2, vcc_lo
	global_store_short v[1:2], v0, off
.LBB100_41:
	s_endpgm
.LBB100_42:
	s_or_b32 exec_lo, exec_lo, s4
	s_mov_b32 s4, exec_lo
	v_cmpx_gt_i32_e64 s21, v0
	s_cbranch_execz .LBB100_17
.LBB100_43:
	v_add_nc_u32_e32 v0, s22, v0
	v_mov_b32_e32 v1, 0
	v_lshlrev_b64 v[0:1], 1, v[0:1]
	v_add_co_u32 v0, vcc_lo, s28, v0
	v_add_co_ci_u32_e64 v1, null, s29, v1, vcc_lo
	global_load_ushort v23, v[0:1], off
	s_or_b32 exec_lo, exec_lo, s4
                                        ; implicit-def: $vgpr25
	s_and_saveexec_b32 s23, s20
	s_cbranch_execz .LBB100_19
	s_branch .LBB100_18
.LBB100_44:
	s_or_b32 exec_lo, exec_lo, s23
	s_and_saveexec_b32 s4, s20
	s_xor_b32 s4, exec_lo, s4
	s_cbranch_execz .LBB100_33
.LBB100_45:
	v_mov_b32_e32 v30, 0
	v_mov_b32_e32 v19, v31
	s_waitcnt vmcnt(0)
	v_lshlrev_b64 v[1:2], 1, v[29:30]
	v_add_co_u32 v1, vcc_lo, s26, v1
	v_add_co_ci_u32_e64 v2, null, s27, v2, vcc_lo
	global_store_short v[1:2], v25, off
	s_or_b32 exec_lo, exec_lo, s4
	s_mov_b32 s4, exec_lo
	v_cmpx_gt_i32_e64 s21, v19
	s_cbranch_execnz .LBB100_34
.LBB100_46:
	s_or_b32 exec_lo, exec_lo, s4
	s_mov_b32 s4, exec_lo
	v_cmpx_gt_i32_e64 s21, v19
	s_cbranch_execz .LBB100_35
.LBB100_47:
	v_add_nc_u32_e32 v1, s22, v19
	s_waitcnt vmcnt(0)
	v_mov_b32_e32 v2, 0
	v_add_nc_u32_e32 v19, 0x100, v19
	v_lshlrev_b64 v[1:2], 1, v[1:2]
	v_add_co_u32 v1, vcc_lo, s26, v1
	v_add_co_ci_u32_e64 v2, null, s27, v2, vcc_lo
	global_store_short v[1:2], v20, off
	s_or_b32 exec_lo, exec_lo, s4
	s_mov_b32 s4, exec_lo
	v_cmpx_gt_i32_e64 s21, v19
	s_cbranch_execnz .LBB100_36
.LBB100_48:
	s_or_b32 exec_lo, exec_lo, s4
	s_mov_b32 s4, exec_lo
	v_cmpx_gt_i32_e64 s21, v19
	s_cbranch_execz .LBB100_37
.LBB100_49:
	v_add_nc_u32_e32 v1, s22, v19
	s_waitcnt vmcnt(0)
	v_mov_b32_e32 v2, 0
	v_add_nc_u32_e32 v19, 0x100, v19
	v_lshlrev_b64 v[1:2], 1, v[1:2]
	v_add_co_u32 v1, vcc_lo, s26, v1
	v_add_co_ci_u32_e64 v2, null, s27, v2, vcc_lo
	global_store_short v[1:2], v21, off
	s_or_b32 exec_lo, exec_lo, s4
	s_mov_b32 s4, exec_lo
	v_cmpx_gt_i32_e64 s21, v19
	s_cbranch_execnz .LBB100_38
.LBB100_50:
	s_or_b32 exec_lo, exec_lo, s4
	s_mov_b32 s4, exec_lo
	v_cmpx_gt_i32_e64 s21, v19
	s_cbranch_execz .LBB100_39
.LBB100_51:
	v_add_nc_u32_e32 v1, s22, v19
	s_waitcnt vmcnt(0)
	v_mov_b32_e32 v2, 0
	v_add_nc_u32_e32 v19, 0x100, v19
	v_lshlrev_b64 v[1:2], 1, v[1:2]
	v_add_co_u32 v1, vcc_lo, s26, v1
	v_add_co_ci_u32_e64 v2, null, s27, v2, vcc_lo
	global_store_short v[1:2], v22, off
	s_or_b32 exec_lo, exec_lo, s4
	s_mov_b32 s4, exec_lo
	v_cmpx_gt_i32_e64 s21, v19
	s_cbranch_execnz .LBB100_40
	s_branch .LBB100_41
	.section	.rodata,"a",@progbits
	.p2align	6, 0x0
	.amdhsa_kernel _ZN2at6native29vectorized_elementwise_kernelILi16EZZZNS0_21polygamma_kernel_cudaERNS_18TensorIteratorBaseElENKUlvE_clEvENKUlvE1_clEvEUlN3c104HalfEE_St5arrayIPcLm2EEEEviT0_T1_
		.amdhsa_group_segment_fixed_size 0
		.amdhsa_private_segment_fixed_size 0
		.amdhsa_kernarg_size 32
		.amdhsa_user_sgpr_count 6
		.amdhsa_user_sgpr_private_segment_buffer 1
		.amdhsa_user_sgpr_dispatch_ptr 0
		.amdhsa_user_sgpr_queue_ptr 0
		.amdhsa_user_sgpr_kernarg_segment_ptr 1
		.amdhsa_user_sgpr_dispatch_id 0
		.amdhsa_user_sgpr_flat_scratch_init 0
		.amdhsa_user_sgpr_private_segment_size 0
		.amdhsa_wavefront_size32 1
		.amdhsa_uses_dynamic_stack 0
		.amdhsa_system_sgpr_private_segment_wavefront_offset 0
		.amdhsa_system_sgpr_workgroup_id_x 1
		.amdhsa_system_sgpr_workgroup_id_y 0
		.amdhsa_system_sgpr_workgroup_id_z 0
		.amdhsa_system_sgpr_workgroup_info 0
		.amdhsa_system_vgpr_workitem_id 0
		.amdhsa_next_free_vgpr 32
		.amdhsa_next_free_sgpr 38
		.amdhsa_reserve_vcc 1
		.amdhsa_reserve_flat_scratch 0
		.amdhsa_float_round_mode_32 0
		.amdhsa_float_round_mode_16_64 0
		.amdhsa_float_denorm_mode_32 3
		.amdhsa_float_denorm_mode_16_64 3
		.amdhsa_dx10_clamp 1
		.amdhsa_ieee_mode 1
		.amdhsa_fp16_overflow 0
		.amdhsa_workgroup_processor_mode 1
		.amdhsa_memory_ordered 1
		.amdhsa_forward_progress 1
		.amdhsa_shared_vgpr_count 0
		.amdhsa_exception_fp_ieee_invalid_op 0
		.amdhsa_exception_fp_denorm_src 0
		.amdhsa_exception_fp_ieee_div_zero 0
		.amdhsa_exception_fp_ieee_overflow 0
		.amdhsa_exception_fp_ieee_underflow 0
		.amdhsa_exception_fp_ieee_inexact 0
		.amdhsa_exception_int_div_zero 0
	.end_amdhsa_kernel
	.section	.text._ZN2at6native29vectorized_elementwise_kernelILi16EZZZNS0_21polygamma_kernel_cudaERNS_18TensorIteratorBaseElENKUlvE_clEvENKUlvE1_clEvEUlN3c104HalfEE_St5arrayIPcLm2EEEEviT0_T1_,"axG",@progbits,_ZN2at6native29vectorized_elementwise_kernelILi16EZZZNS0_21polygamma_kernel_cudaERNS_18TensorIteratorBaseElENKUlvE_clEvENKUlvE1_clEvEUlN3c104HalfEE_St5arrayIPcLm2EEEEviT0_T1_,comdat
.Lfunc_end100:
	.size	_ZN2at6native29vectorized_elementwise_kernelILi16EZZZNS0_21polygamma_kernel_cudaERNS_18TensorIteratorBaseElENKUlvE_clEvENKUlvE1_clEvEUlN3c104HalfEE_St5arrayIPcLm2EEEEviT0_T1_, .Lfunc_end100-_ZN2at6native29vectorized_elementwise_kernelILi16EZZZNS0_21polygamma_kernel_cudaERNS_18TensorIteratorBaseElENKUlvE_clEvENKUlvE1_clEvEUlN3c104HalfEE_St5arrayIPcLm2EEEEviT0_T1_
                                        ; -- End function
	.set _ZN2at6native29vectorized_elementwise_kernelILi16EZZZNS0_21polygamma_kernel_cudaERNS_18TensorIteratorBaseElENKUlvE_clEvENKUlvE1_clEvEUlN3c104HalfEE_St5arrayIPcLm2EEEEviT0_T1_.num_vgpr, max(32, .L_ZN3c104guts5applyIRZZZN2at6native21polygamma_kernel_cudaERNS2_18TensorIteratorBaseElENKUlvE_clEvENKUlvE1_clEvEUlNS_4HalfEE_RSt5tupleIJS8_EEEEDaOT_OT0_.num_vgpr)
	.set _ZN2at6native29vectorized_elementwise_kernelILi16EZZZNS0_21polygamma_kernel_cudaERNS_18TensorIteratorBaseElENKUlvE_clEvENKUlvE1_clEvEUlN3c104HalfEE_St5arrayIPcLm2EEEEviT0_T1_.num_agpr, max(0, .L_ZN3c104guts5applyIRZZZN2at6native21polygamma_kernel_cudaERNS2_18TensorIteratorBaseElENKUlvE_clEvENKUlvE1_clEvEUlNS_4HalfEE_RSt5tupleIJS8_EEEEDaOT_OT0_.num_agpr)
	.set _ZN2at6native29vectorized_elementwise_kernelILi16EZZZNS0_21polygamma_kernel_cudaERNS_18TensorIteratorBaseElENKUlvE_clEvENKUlvE1_clEvEUlN3c104HalfEE_St5arrayIPcLm2EEEEviT0_T1_.numbered_sgpr, max(38, .L_ZN3c104guts5applyIRZZZN2at6native21polygamma_kernel_cudaERNS2_18TensorIteratorBaseElENKUlvE_clEvENKUlvE1_clEvEUlNS_4HalfEE_RSt5tupleIJS8_EEEEDaOT_OT0_.numbered_sgpr)
	.set _ZN2at6native29vectorized_elementwise_kernelILi16EZZZNS0_21polygamma_kernel_cudaERNS_18TensorIteratorBaseElENKUlvE_clEvENKUlvE1_clEvEUlN3c104HalfEE_St5arrayIPcLm2EEEEviT0_T1_.num_named_barrier, max(0, .L_ZN3c104guts5applyIRZZZN2at6native21polygamma_kernel_cudaERNS2_18TensorIteratorBaseElENKUlvE_clEvENKUlvE1_clEvEUlNS_4HalfEE_RSt5tupleIJS8_EEEEDaOT_OT0_.num_named_barrier)
	.set _ZN2at6native29vectorized_elementwise_kernelILi16EZZZNS0_21polygamma_kernel_cudaERNS_18TensorIteratorBaseElENKUlvE_clEvENKUlvE1_clEvEUlN3c104HalfEE_St5arrayIPcLm2EEEEviT0_T1_.private_seg_size, 0+max(.L_ZN3c104guts5applyIRZZZN2at6native21polygamma_kernel_cudaERNS2_18TensorIteratorBaseElENKUlvE_clEvENKUlvE1_clEvEUlNS_4HalfEE_RSt5tupleIJS8_EEEEDaOT_OT0_.private_seg_size)
	.set _ZN2at6native29vectorized_elementwise_kernelILi16EZZZNS0_21polygamma_kernel_cudaERNS_18TensorIteratorBaseElENKUlvE_clEvENKUlvE1_clEvEUlN3c104HalfEE_St5arrayIPcLm2EEEEviT0_T1_.uses_vcc, or(1, .L_ZN3c104guts5applyIRZZZN2at6native21polygamma_kernel_cudaERNS2_18TensorIteratorBaseElENKUlvE_clEvENKUlvE1_clEvEUlNS_4HalfEE_RSt5tupleIJS8_EEEEDaOT_OT0_.uses_vcc)
	.set _ZN2at6native29vectorized_elementwise_kernelILi16EZZZNS0_21polygamma_kernel_cudaERNS_18TensorIteratorBaseElENKUlvE_clEvENKUlvE1_clEvEUlN3c104HalfEE_St5arrayIPcLm2EEEEviT0_T1_.uses_flat_scratch, or(0, .L_ZN3c104guts5applyIRZZZN2at6native21polygamma_kernel_cudaERNS2_18TensorIteratorBaseElENKUlvE_clEvENKUlvE1_clEvEUlNS_4HalfEE_RSt5tupleIJS8_EEEEDaOT_OT0_.uses_flat_scratch)
	.set _ZN2at6native29vectorized_elementwise_kernelILi16EZZZNS0_21polygamma_kernel_cudaERNS_18TensorIteratorBaseElENKUlvE_clEvENKUlvE1_clEvEUlN3c104HalfEE_St5arrayIPcLm2EEEEviT0_T1_.has_dyn_sized_stack, or(0, .L_ZN3c104guts5applyIRZZZN2at6native21polygamma_kernel_cudaERNS2_18TensorIteratorBaseElENKUlvE_clEvENKUlvE1_clEvEUlNS_4HalfEE_RSt5tupleIJS8_EEEEDaOT_OT0_.has_dyn_sized_stack)
	.set _ZN2at6native29vectorized_elementwise_kernelILi16EZZZNS0_21polygamma_kernel_cudaERNS_18TensorIteratorBaseElENKUlvE_clEvENKUlvE1_clEvEUlN3c104HalfEE_St5arrayIPcLm2EEEEviT0_T1_.has_recursion, or(0, .L_ZN3c104guts5applyIRZZZN2at6native21polygamma_kernel_cudaERNS2_18TensorIteratorBaseElENKUlvE_clEvENKUlvE1_clEvEUlNS_4HalfEE_RSt5tupleIJS8_EEEEDaOT_OT0_.has_recursion)
	.set _ZN2at6native29vectorized_elementwise_kernelILi16EZZZNS0_21polygamma_kernel_cudaERNS_18TensorIteratorBaseElENKUlvE_clEvENKUlvE1_clEvEUlN3c104HalfEE_St5arrayIPcLm2EEEEviT0_T1_.has_indirect_call, or(0, .L_ZN3c104guts5applyIRZZZN2at6native21polygamma_kernel_cudaERNS2_18TensorIteratorBaseElENKUlvE_clEvENKUlvE1_clEvEUlNS_4HalfEE_RSt5tupleIJS8_EEEEDaOT_OT0_.has_indirect_call)
	.section	.AMDGPU.csdata,"",@progbits
; Kernel info:
; codeLenInByte = 2236
; TotalNumSgprs: 40
; NumVgprs: 32
; ScratchSize: 0
; MemoryBound: 0
; FloatMode: 240
; IeeeMode: 1
; LDSByteSize: 0 bytes/workgroup (compile time only)
; SGPRBlocks: 0
; VGPRBlocks: 3
; NumSGPRsForWavesPerEU: 40
; NumVGPRsForWavesPerEU: 32
; Occupancy: 16
; WaveLimiterHint : 0
; COMPUTE_PGM_RSRC2:SCRATCH_EN: 0
; COMPUTE_PGM_RSRC2:USER_SGPR: 6
; COMPUTE_PGM_RSRC2:TRAP_HANDLER: 0
; COMPUTE_PGM_RSRC2:TGID_X_EN: 1
; COMPUTE_PGM_RSRC2:TGID_Y_EN: 0
; COMPUTE_PGM_RSRC2:TGID_Z_EN: 0
; COMPUTE_PGM_RSRC2:TIDIG_COMP_CNT: 0
	.section	.text._ZN2at6native29vectorized_elementwise_kernelILi8EZZZNS0_21polygamma_kernel_cudaERNS_18TensorIteratorBaseElENKUlvE_clEvENKUlvE1_clEvEUlN3c104HalfEE_St5arrayIPcLm2EEEEviT0_T1_,"axG",@progbits,_ZN2at6native29vectorized_elementwise_kernelILi8EZZZNS0_21polygamma_kernel_cudaERNS_18TensorIteratorBaseElENKUlvE_clEvENKUlvE1_clEvEUlN3c104HalfEE_St5arrayIPcLm2EEEEviT0_T1_,comdat
	.globl	_ZN2at6native29vectorized_elementwise_kernelILi8EZZZNS0_21polygamma_kernel_cudaERNS_18TensorIteratorBaseElENKUlvE_clEvENKUlvE1_clEvEUlN3c104HalfEE_St5arrayIPcLm2EEEEviT0_T1_ ; -- Begin function _ZN2at6native29vectorized_elementwise_kernelILi8EZZZNS0_21polygamma_kernel_cudaERNS_18TensorIteratorBaseElENKUlvE_clEvENKUlvE1_clEvEUlN3c104HalfEE_St5arrayIPcLm2EEEEviT0_T1_
	.p2align	8
	.type	_ZN2at6native29vectorized_elementwise_kernelILi8EZZZNS0_21polygamma_kernel_cudaERNS_18TensorIteratorBaseElENKUlvE_clEvENKUlvE1_clEvEUlN3c104HalfEE_St5arrayIPcLm2EEEEviT0_T1_,@function
_ZN2at6native29vectorized_elementwise_kernelILi8EZZZNS0_21polygamma_kernel_cudaERNS_18TensorIteratorBaseElENKUlvE_clEvENKUlvE1_clEvEUlN3c104HalfEE_St5arrayIPcLm2EEEEviT0_T1_: ; @_ZN2at6native29vectorized_elementwise_kernelILi8EZZZNS0_21polygamma_kernel_cudaERNS_18TensorIteratorBaseElENKUlvE_clEvENKUlvE1_clEvEUlN3c104HalfEE_St5arrayIPcLm2EEEEviT0_T1_
; %bb.0:
	s_add_u32 s0, s0, s7
	s_clause 0x2
	s_load_dword s7, s[4:5], 0x0
	s_load_dwordx4 s[24:27], s[4:5], 0x8
	s_load_dwordx2 s[28:29], s[4:5], 0x18
	s_addc_u32 s1, s1, 0
	s_lshl_b32 s22, s6, 11
	v_mov_b32_e32 v19, v0
	s_mov_b32 s4, -1
	s_mov_b32 s32, 0
	s_waitcnt lgkmcnt(0)
	s_sub_i32 s21, s7, s22
	s_cmpk_gt_i32 s21, 0x7ff
	s_cbranch_scc0 .LBB101_2
; %bb.1:
	s_ashr_i32 s23, s22, 31
	v_lshlrev_b32_e32 v28, 4, v19
	s_lshl_b64 s[34:35], s[22:23], 1
	v_mov_b32_e32 v0, s24
	s_add_u32 s4, s28, s34
	s_addc_u32 s5, s29, s35
	v_mov_b32_e32 v1, s25
	global_load_dwordx4 v[20:23], v28, s[4:5]
	s_getpc_b64 s[36:37]
	s_add_u32 s36, s36, _ZN3c104guts5applyIRZZZN2at6native21polygamma_kernel_cudaERNS2_18TensorIteratorBaseElENKUlvE_clEvENKUlvE1_clEvEUlNS_4HalfEE_RSt5tupleIJS8_EEEEDaOT_OT0_@rel32@lo+4
	s_addc_u32 s37, s37, _ZN3c104guts5applyIRZZZN2at6native21polygamma_kernel_cudaERNS2_18TensorIteratorBaseElENKUlvE_clEvENKUlvE1_clEvEUlNS_4HalfEE_RSt5tupleIJS8_EEEEDaOT_OT0_@rel32@hi+12
	s_waitcnt vmcnt(0)
	v_mov_b32_e32 v2, v20
	v_lshrrev_b32_e32 v24, 16, v20
	v_lshrrev_b32_e32 v25, 16, v21
	;; [unrolled: 1-line block ×4, first 2 shown]
	s_swappc_b64 s[30:31], s[36:37]
	v_mov_b32_e32 v20, v0
	v_mov_b32_e32 v0, s24
	v_mov_b32_e32 v1, s25
	v_mov_b32_e32 v2, v24
	s_swappc_b64 s[30:31], s[36:37]
	v_mov_b32_e32 v24, v0
	v_mov_b32_e32 v0, s24
	v_mov_b32_e32 v1, s25
	v_mov_b32_e32 v2, v21
	s_swappc_b64 s[30:31], s[36:37]
	v_mov_b32_e32 v21, v0
	v_mov_b32_e32 v0, s24
	v_mov_b32_e32 v1, s25
	v_mov_b32_e32 v2, v25
	s_swappc_b64 s[30:31], s[36:37]
	v_mov_b32_e32 v25, v0
	v_mov_b32_e32 v0, s24
	v_mov_b32_e32 v1, s25
	v_mov_b32_e32 v2, v22
	s_swappc_b64 s[30:31], s[36:37]
	v_mov_b32_e32 v22, v0
	v_mov_b32_e32 v0, s24
	v_mov_b32_e32 v1, s25
	v_mov_b32_e32 v2, v26
	s_swappc_b64 s[30:31], s[36:37]
	v_mov_b32_e32 v26, v0
	v_mov_b32_e32 v0, s24
	v_mov_b32_e32 v1, s25
	v_mov_b32_e32 v2, v23
	s_swappc_b64 s[30:31], s[36:37]
	v_mov_b32_e32 v23, v0
	v_mov_b32_e32 v0, s24
	v_mov_b32_e32 v1, s25
	v_mov_b32_e32 v2, v27
	s_swappc_b64 s[30:31], s[36:37]
	v_perm_b32 v1, v24, v20, 0x5040100
	v_perm_b32 v2, v25, v21, 0x5040100
	;; [unrolled: 1-line block ×4, first 2 shown]
	s_add_u32 s6, s26, s34
	s_addc_u32 s7, s27, s35
	s_mov_b32 s4, 0
	global_store_dwordx4 v28, v[1:4], s[6:7]
.LBB101_2:
	s_andn2_b32 vcc_lo, exec_lo, s4
	s_cbranch_vccnz .LBB101_41
; %bb.3:
	v_cmp_gt_i32_e64 s20, s21, v19
	v_mov_b32_e32 v20, 0
	v_or_b32_e32 v29, s22, v19
	v_or_b32_e32 v31, 0x100, v19
	v_mov_b32_e32 v2, 0
	v_mov_b32_e32 v0, v19
	s_and_saveexec_b32 s4, s20
	s_cbranch_execz .LBB101_5
; %bb.4:
	v_mov_b32_e32 v30, 0
	v_lshlrev_b64 v[0:1], 1, v[29:30]
	v_add_co_u32 v0, vcc_lo, s28, v0
	v_add_co_ci_u32_e64 v1, null, s29, v1, vcc_lo
	global_load_ushort v2, v[0:1], off
	v_or_b32_e32 v0, 0x100, v19
.LBB101_5:
	s_or_b32 exec_lo, exec_lo, s4
	s_mov_b32 s4, exec_lo
	v_cmpx_gt_i32_e64 s21, v0
	s_cbranch_execz .LBB101_7
; %bb.6:
	v_add_nc_u32_e32 v3, s22, v0
	v_mov_b32_e32 v4, 0
	v_add_nc_u32_e32 v0, 0x100, v0
	v_lshlrev_b64 v[3:4], 1, v[3:4]
	v_add_co_u32 v3, vcc_lo, s28, v3
	v_add_co_ci_u32_e64 v4, null, s29, v4, vcc_lo
	global_load_ushort v20, v[3:4], off
.LBB101_7:
	s_or_b32 exec_lo, exec_lo, s4
	v_mov_b32_e32 v21, 0
	v_mov_b32_e32 v24, 0
	s_mov_b32 s4, exec_lo
	v_cmpx_gt_i32_e64 s21, v0
	s_cbranch_execz .LBB101_9
; %bb.8:
	v_add_nc_u32_e32 v3, s22, v0
	v_mov_b32_e32 v4, 0
	v_add_nc_u32_e32 v0, 0x100, v0
	v_lshlrev_b64 v[3:4], 1, v[3:4]
	v_add_co_u32 v3, vcc_lo, s28, v3
	v_add_co_ci_u32_e64 v4, null, s29, v4, vcc_lo
	global_load_ushort v24, v[3:4], off
.LBB101_9:
	s_or_b32 exec_lo, exec_lo, s4
	s_mov_b32 s4, exec_lo
	v_cmpx_gt_i32_e64 s21, v0
	s_cbranch_execz .LBB101_11
; %bb.10:
	v_add_nc_u32_e32 v3, s22, v0
	v_mov_b32_e32 v4, 0
	v_add_nc_u32_e32 v0, 0x100, v0
	v_lshlrev_b64 v[3:4], 1, v[3:4]
	v_add_co_u32 v3, vcc_lo, s28, v3
	v_add_co_ci_u32_e64 v4, null, s29, v4, vcc_lo
	global_load_ushort v21, v[3:4], off
.LBB101_11:
	s_or_b32 exec_lo, exec_lo, s4
	v_mov_b32_e32 v22, 0
	v_mov_b32_e32 v26, 0
	s_mov_b32 s4, exec_lo
	v_cmpx_gt_i32_e64 s21, v0
	s_cbranch_execz .LBB101_13
; %bb.12:
	v_add_nc_u32_e32 v3, s22, v0
	v_mov_b32_e32 v4, 0
	v_add_nc_u32_e32 v0, 0x100, v0
	v_lshlrev_b64 v[3:4], 1, v[3:4]
	v_add_co_u32 v3, vcc_lo, s28, v3
	v_add_co_ci_u32_e64 v4, null, s29, v4, vcc_lo
	global_load_ushort v26, v[3:4], off
.LBB101_13:
	s_or_b32 exec_lo, exec_lo, s4
	s_mov_b32 s4, exec_lo
	v_cmpx_gt_i32_e64 s21, v0
	s_cbranch_execz .LBB101_15
; %bb.14:
	v_add_nc_u32_e32 v3, s22, v0
	v_mov_b32_e32 v4, 0
	v_add_nc_u32_e32 v0, 0x100, v0
	v_lshlrev_b64 v[3:4], 1, v[3:4]
	v_add_co_u32 v3, vcc_lo, s28, v3
	v_add_co_ci_u32_e64 v4, null, s29, v4, vcc_lo
	global_load_ushort v22, v[3:4], off
.LBB101_15:
	s_or_b32 exec_lo, exec_lo, s4
	v_mov_b32_e32 v23, 0
	v_mov_b32_e32 v28, 0
	s_mov_b32 s4, exec_lo
	v_cmpx_gt_i32_e64 s21, v0
	s_cbranch_execz .LBB101_42
; %bb.16:
	v_add_nc_u32_e32 v3, s22, v0
	v_mov_b32_e32 v4, 0
	v_add_nc_u32_e32 v0, 0x100, v0
	v_lshlrev_b64 v[3:4], 1, v[3:4]
	v_add_co_u32 v3, vcc_lo, s28, v3
	v_add_co_ci_u32_e64 v4, null, s29, v4, vcc_lo
	global_load_ushort v28, v[3:4], off
	s_or_b32 exec_lo, exec_lo, s4
	s_mov_b32 s4, exec_lo
	v_cmpx_gt_i32_e64 s21, v0
	s_cbranch_execnz .LBB101_43
.LBB101_17:
	s_or_b32 exec_lo, exec_lo, s4
                                        ; implicit-def: $vgpr25
	s_and_saveexec_b32 s23, s20
	s_cbranch_execz .LBB101_19
.LBB101_18:
	v_mov_b32_e32 v0, s24
	v_mov_b32_e32 v1, s25
	s_getpc_b64 s[4:5]
	s_add_u32 s4, s4, _ZN3c104guts5applyIRZZZN2at6native21polygamma_kernel_cudaERNS2_18TensorIteratorBaseElENKUlvE_clEvENKUlvE1_clEvEUlNS_4HalfEE_RSt5tupleIJS8_EEEEDaOT_OT0_@rel32@lo+4
	s_addc_u32 s5, s5, _ZN3c104guts5applyIRZZZN2at6native21polygamma_kernel_cudaERNS2_18TensorIteratorBaseElENKUlvE_clEvENKUlvE1_clEvEUlNS_4HalfEE_RSt5tupleIJS8_EEEEDaOT_OT0_@rel32@hi+12
	s_swappc_b64 s[30:31], s[4:5]
	v_mov_b32_e32 v25, v0
.LBB101_19:
	s_or_b32 exec_lo, exec_lo, s23
	s_mov_b32 s23, exec_lo
                                        ; implicit-def: $vgpr27
	v_cmpx_gt_i32_e64 s21, v31
	s_cbranch_execz .LBB101_21
; %bb.20:
	v_mov_b32_e32 v0, s24
	v_mov_b32_e32 v1, s25
	s_waitcnt vmcnt(0)
	v_mov_b32_e32 v2, v20
	s_getpc_b64 s[4:5]
	s_add_u32 s4, s4, _ZN3c104guts5applyIRZZZN2at6native21polygamma_kernel_cudaERNS2_18TensorIteratorBaseElENKUlvE_clEvENKUlvE1_clEvEUlNS_4HalfEE_RSt5tupleIJS8_EEEEDaOT_OT0_@rel32@lo+4
	s_addc_u32 s5, s5, _ZN3c104guts5applyIRZZZN2at6native21polygamma_kernel_cudaERNS2_18TensorIteratorBaseElENKUlvE_clEvENKUlvE1_clEvEUlNS_4HalfEE_RSt5tupleIJS8_EEEEDaOT_OT0_@rel32@hi+12
	s_swappc_b64 s[30:31], s[4:5]
	v_mov_b32_e32 v27, v0
.LBB101_21:
	s_or_b32 exec_lo, exec_lo, s23
	v_or_b32_e32 v0, 0x200, v19
	s_mov_b32 s23, exec_lo
                                        ; implicit-def: $vgpr20
	v_cmpx_gt_i32_e64 s21, v0
	s_cbranch_execz .LBB101_23
; %bb.22:
	v_mov_b32_e32 v0, s24
	v_mov_b32_e32 v1, s25
	s_waitcnt vmcnt(0)
	v_mov_b32_e32 v2, v24
	s_getpc_b64 s[4:5]
	s_add_u32 s4, s4, _ZN3c104guts5applyIRZZZN2at6native21polygamma_kernel_cudaERNS2_18TensorIteratorBaseElENKUlvE_clEvENKUlvE1_clEvEUlNS_4HalfEE_RSt5tupleIJS8_EEEEDaOT_OT0_@rel32@lo+4
	s_addc_u32 s5, s5, _ZN3c104guts5applyIRZZZN2at6native21polygamma_kernel_cudaERNS2_18TensorIteratorBaseElENKUlvE_clEvENKUlvE1_clEvEUlNS_4HalfEE_RSt5tupleIJS8_EEEEDaOT_OT0_@rel32@hi+12
	s_swappc_b64 s[30:31], s[4:5]
	v_mov_b32_e32 v20, v0
.LBB101_23:
	s_or_b32 exec_lo, exec_lo, s23
	v_or_b32_e32 v0, 0x300, v19
	s_mov_b32 s23, exec_lo
                                        ; implicit-def: $vgpr24
	v_cmpx_gt_i32_e64 s21, v0
	s_cbranch_execz .LBB101_25
; %bb.24:
	v_mov_b32_e32 v0, s24
	v_mov_b32_e32 v1, s25
	s_waitcnt vmcnt(0)
	v_mov_b32_e32 v2, v21
	s_getpc_b64 s[4:5]
	s_add_u32 s4, s4, _ZN3c104guts5applyIRZZZN2at6native21polygamma_kernel_cudaERNS2_18TensorIteratorBaseElENKUlvE_clEvENKUlvE1_clEvEUlNS_4HalfEE_RSt5tupleIJS8_EEEEDaOT_OT0_@rel32@lo+4
	s_addc_u32 s5, s5, _ZN3c104guts5applyIRZZZN2at6native21polygamma_kernel_cudaERNS2_18TensorIteratorBaseElENKUlvE_clEvENKUlvE1_clEvEUlNS_4HalfEE_RSt5tupleIJS8_EEEEDaOT_OT0_@rel32@hi+12
	s_swappc_b64 s[30:31], s[4:5]
	v_mov_b32_e32 v24, v0
.LBB101_25:
	s_or_b32 exec_lo, exec_lo, s23
	v_or_b32_e32 v0, 0x400, v19
	s_mov_b32 s23, exec_lo
                                        ; implicit-def: $vgpr21
	v_cmpx_gt_i32_e64 s21, v0
	s_cbranch_execz .LBB101_27
; %bb.26:
	v_mov_b32_e32 v0, s24
	v_mov_b32_e32 v1, s25
	s_waitcnt vmcnt(0)
	v_mov_b32_e32 v2, v26
	s_getpc_b64 s[4:5]
	s_add_u32 s4, s4, _ZN3c104guts5applyIRZZZN2at6native21polygamma_kernel_cudaERNS2_18TensorIteratorBaseElENKUlvE_clEvENKUlvE1_clEvEUlNS_4HalfEE_RSt5tupleIJS8_EEEEDaOT_OT0_@rel32@lo+4
	s_addc_u32 s5, s5, _ZN3c104guts5applyIRZZZN2at6native21polygamma_kernel_cudaERNS2_18TensorIteratorBaseElENKUlvE_clEvENKUlvE1_clEvEUlNS_4HalfEE_RSt5tupleIJS8_EEEEDaOT_OT0_@rel32@hi+12
	s_swappc_b64 s[30:31], s[4:5]
	v_mov_b32_e32 v21, v0
.LBB101_27:
	s_or_b32 exec_lo, exec_lo, s23
	v_or_b32_e32 v0, 0x500, v19
	s_mov_b32 s23, exec_lo
                                        ; implicit-def: $vgpr26
	v_cmpx_gt_i32_e64 s21, v0
	s_cbranch_execz .LBB101_29
; %bb.28:
	v_mov_b32_e32 v0, s24
	v_mov_b32_e32 v1, s25
	s_waitcnt vmcnt(0)
	v_mov_b32_e32 v2, v22
	s_getpc_b64 s[4:5]
	s_add_u32 s4, s4, _ZN3c104guts5applyIRZZZN2at6native21polygamma_kernel_cudaERNS2_18TensorIteratorBaseElENKUlvE_clEvENKUlvE1_clEvEUlNS_4HalfEE_RSt5tupleIJS8_EEEEDaOT_OT0_@rel32@lo+4
	s_addc_u32 s5, s5, _ZN3c104guts5applyIRZZZN2at6native21polygamma_kernel_cudaERNS2_18TensorIteratorBaseElENKUlvE_clEvENKUlvE1_clEvEUlNS_4HalfEE_RSt5tupleIJS8_EEEEDaOT_OT0_@rel32@hi+12
	s_swappc_b64 s[30:31], s[4:5]
	v_mov_b32_e32 v26, v0
.LBB101_29:
	s_or_b32 exec_lo, exec_lo, s23
	v_or_b32_e32 v0, 0x600, v19
	s_mov_b32 s23, exec_lo
                                        ; implicit-def: $vgpr22
	v_cmpx_gt_i32_e64 s21, v0
	s_cbranch_execz .LBB101_31
; %bb.30:
	v_mov_b32_e32 v0, s24
	v_mov_b32_e32 v1, s25
	s_waitcnt vmcnt(0)
	v_mov_b32_e32 v2, v28
	s_getpc_b64 s[4:5]
	s_add_u32 s4, s4, _ZN3c104guts5applyIRZZZN2at6native21polygamma_kernel_cudaERNS2_18TensorIteratorBaseElENKUlvE_clEvENKUlvE1_clEvEUlNS_4HalfEE_RSt5tupleIJS8_EEEEDaOT_OT0_@rel32@lo+4
	s_addc_u32 s5, s5, _ZN3c104guts5applyIRZZZN2at6native21polygamma_kernel_cudaERNS2_18TensorIteratorBaseElENKUlvE_clEvENKUlvE1_clEvEUlNS_4HalfEE_RSt5tupleIJS8_EEEEDaOT_OT0_@rel32@hi+12
	s_swappc_b64 s[30:31], s[4:5]
	v_mov_b32_e32 v22, v0
.LBB101_31:
	s_or_b32 exec_lo, exec_lo, s23
	v_or_b32_e32 v0, 0x700, v19
	v_cmp_gt_i32_e32 vcc_lo, s21, v0
                                        ; implicit-def: $vgpr0
	s_and_saveexec_b32 s23, vcc_lo
	s_cbranch_execz .LBB101_44
; %bb.32:
	v_mov_b32_e32 v0, s24
	v_mov_b32_e32 v1, s25
	s_waitcnt vmcnt(0)
	v_mov_b32_e32 v2, v23
	s_getpc_b64 s[4:5]
	s_add_u32 s4, s4, _ZN3c104guts5applyIRZZZN2at6native21polygamma_kernel_cudaERNS2_18TensorIteratorBaseElENKUlvE_clEvENKUlvE1_clEvEUlNS_4HalfEE_RSt5tupleIJS8_EEEEDaOT_OT0_@rel32@lo+4
	s_addc_u32 s5, s5, _ZN3c104guts5applyIRZZZN2at6native21polygamma_kernel_cudaERNS2_18TensorIteratorBaseElENKUlvE_clEvENKUlvE1_clEvEUlNS_4HalfEE_RSt5tupleIJS8_EEEEDaOT_OT0_@rel32@hi+12
	s_swappc_b64 s[30:31], s[4:5]
	s_or_b32 exec_lo, exec_lo, s23
	s_and_saveexec_b32 s4, s20
	s_xor_b32 s4, exec_lo, s4
	s_cbranch_execnz .LBB101_45
.LBB101_33:
	s_or_b32 exec_lo, exec_lo, s4
	s_mov_b32 s4, exec_lo
	v_cmpx_gt_i32_e64 s21, v19
	s_cbranch_execz .LBB101_46
.LBB101_34:
	v_add_nc_u32_e32 v1, s22, v19
	s_waitcnt vmcnt(0)
	v_mov_b32_e32 v2, 0
	v_add_nc_u32_e32 v19, 0x100, v19
	v_lshlrev_b64 v[1:2], 1, v[1:2]
	v_add_co_u32 v1, vcc_lo, s26, v1
	v_add_co_ci_u32_e64 v2, null, s27, v2, vcc_lo
	global_store_short v[1:2], v27, off
	s_or_b32 exec_lo, exec_lo, s4
	s_mov_b32 s4, exec_lo
	v_cmpx_gt_i32_e64 s21, v19
	s_cbranch_execnz .LBB101_47
.LBB101_35:
	s_or_b32 exec_lo, exec_lo, s4
	s_mov_b32 s4, exec_lo
	v_cmpx_gt_i32_e64 s21, v19
	s_cbranch_execz .LBB101_48
.LBB101_36:
	v_add_nc_u32_e32 v1, s22, v19
	s_waitcnt vmcnt(0)
	v_mov_b32_e32 v2, 0
	v_add_nc_u32_e32 v19, 0x100, v19
	v_lshlrev_b64 v[1:2], 1, v[1:2]
	v_add_co_u32 v1, vcc_lo, s26, v1
	v_add_co_ci_u32_e64 v2, null, s27, v2, vcc_lo
	global_store_short v[1:2], v24, off
	s_or_b32 exec_lo, exec_lo, s4
	s_mov_b32 s4, exec_lo
	v_cmpx_gt_i32_e64 s21, v19
	s_cbranch_execnz .LBB101_49
.LBB101_37:
	s_or_b32 exec_lo, exec_lo, s4
	s_mov_b32 s4, exec_lo
	v_cmpx_gt_i32_e64 s21, v19
	s_cbranch_execz .LBB101_50
.LBB101_38:
	v_add_nc_u32_e32 v1, s22, v19
	s_waitcnt vmcnt(0)
	v_mov_b32_e32 v2, 0
	v_add_nc_u32_e32 v19, 0x100, v19
	v_lshlrev_b64 v[1:2], 1, v[1:2]
	v_add_co_u32 v1, vcc_lo, s26, v1
	v_add_co_ci_u32_e64 v2, null, s27, v2, vcc_lo
	global_store_short v[1:2], v26, off
	s_or_b32 exec_lo, exec_lo, s4
	s_mov_b32 s4, exec_lo
	v_cmpx_gt_i32_e64 s21, v19
	s_cbranch_execnz .LBB101_51
.LBB101_39:
	s_or_b32 exec_lo, exec_lo, s4
	s_mov_b32 s4, exec_lo
	v_cmpx_gt_i32_e64 s21, v19
	s_cbranch_execz .LBB101_41
.LBB101_40:
	v_add_nc_u32_e32 v1, s22, v19
	s_waitcnt vmcnt(0)
	v_mov_b32_e32 v2, 0
	v_lshlrev_b64 v[1:2], 1, v[1:2]
	v_add_co_u32 v1, vcc_lo, s26, v1
	v_add_co_ci_u32_e64 v2, null, s27, v2, vcc_lo
	global_store_short v[1:2], v0, off
.LBB101_41:
	s_endpgm
.LBB101_42:
	s_or_b32 exec_lo, exec_lo, s4
	s_mov_b32 s4, exec_lo
	v_cmpx_gt_i32_e64 s21, v0
	s_cbranch_execz .LBB101_17
.LBB101_43:
	v_add_nc_u32_e32 v0, s22, v0
	v_mov_b32_e32 v1, 0
	v_lshlrev_b64 v[0:1], 1, v[0:1]
	v_add_co_u32 v0, vcc_lo, s28, v0
	v_add_co_ci_u32_e64 v1, null, s29, v1, vcc_lo
	global_load_ushort v23, v[0:1], off
	s_or_b32 exec_lo, exec_lo, s4
                                        ; implicit-def: $vgpr25
	s_and_saveexec_b32 s23, s20
	s_cbranch_execz .LBB101_19
	s_branch .LBB101_18
.LBB101_44:
	s_or_b32 exec_lo, exec_lo, s23
	s_and_saveexec_b32 s4, s20
	s_xor_b32 s4, exec_lo, s4
	s_cbranch_execz .LBB101_33
.LBB101_45:
	v_mov_b32_e32 v30, 0
	v_mov_b32_e32 v19, v31
	s_waitcnt vmcnt(0)
	v_lshlrev_b64 v[1:2], 1, v[29:30]
	v_add_co_u32 v1, vcc_lo, s26, v1
	v_add_co_ci_u32_e64 v2, null, s27, v2, vcc_lo
	global_store_short v[1:2], v25, off
	s_or_b32 exec_lo, exec_lo, s4
	s_mov_b32 s4, exec_lo
	v_cmpx_gt_i32_e64 s21, v19
	s_cbranch_execnz .LBB101_34
.LBB101_46:
	s_or_b32 exec_lo, exec_lo, s4
	s_mov_b32 s4, exec_lo
	v_cmpx_gt_i32_e64 s21, v19
	s_cbranch_execz .LBB101_35
.LBB101_47:
	v_add_nc_u32_e32 v1, s22, v19
	s_waitcnt vmcnt(0)
	v_mov_b32_e32 v2, 0
	v_add_nc_u32_e32 v19, 0x100, v19
	v_lshlrev_b64 v[1:2], 1, v[1:2]
	v_add_co_u32 v1, vcc_lo, s26, v1
	v_add_co_ci_u32_e64 v2, null, s27, v2, vcc_lo
	global_store_short v[1:2], v20, off
	s_or_b32 exec_lo, exec_lo, s4
	s_mov_b32 s4, exec_lo
	v_cmpx_gt_i32_e64 s21, v19
	s_cbranch_execnz .LBB101_36
.LBB101_48:
	s_or_b32 exec_lo, exec_lo, s4
	s_mov_b32 s4, exec_lo
	v_cmpx_gt_i32_e64 s21, v19
	s_cbranch_execz .LBB101_37
.LBB101_49:
	v_add_nc_u32_e32 v1, s22, v19
	s_waitcnt vmcnt(0)
	v_mov_b32_e32 v2, 0
	v_add_nc_u32_e32 v19, 0x100, v19
	v_lshlrev_b64 v[1:2], 1, v[1:2]
	v_add_co_u32 v1, vcc_lo, s26, v1
	v_add_co_ci_u32_e64 v2, null, s27, v2, vcc_lo
	global_store_short v[1:2], v21, off
	s_or_b32 exec_lo, exec_lo, s4
	s_mov_b32 s4, exec_lo
	v_cmpx_gt_i32_e64 s21, v19
	s_cbranch_execnz .LBB101_38
.LBB101_50:
	s_or_b32 exec_lo, exec_lo, s4
	s_mov_b32 s4, exec_lo
	v_cmpx_gt_i32_e64 s21, v19
	s_cbranch_execz .LBB101_39
.LBB101_51:
	v_add_nc_u32_e32 v1, s22, v19
	s_waitcnt vmcnt(0)
	v_mov_b32_e32 v2, 0
	v_add_nc_u32_e32 v19, 0x100, v19
	v_lshlrev_b64 v[1:2], 1, v[1:2]
	v_add_co_u32 v1, vcc_lo, s26, v1
	v_add_co_ci_u32_e64 v2, null, s27, v2, vcc_lo
	global_store_short v[1:2], v22, off
	s_or_b32 exec_lo, exec_lo, s4
	s_mov_b32 s4, exec_lo
	v_cmpx_gt_i32_e64 s21, v19
	s_cbranch_execnz .LBB101_40
	s_branch .LBB101_41
	.section	.rodata,"a",@progbits
	.p2align	6, 0x0
	.amdhsa_kernel _ZN2at6native29vectorized_elementwise_kernelILi8EZZZNS0_21polygamma_kernel_cudaERNS_18TensorIteratorBaseElENKUlvE_clEvENKUlvE1_clEvEUlN3c104HalfEE_St5arrayIPcLm2EEEEviT0_T1_
		.amdhsa_group_segment_fixed_size 0
		.amdhsa_private_segment_fixed_size 0
		.amdhsa_kernarg_size 32
		.amdhsa_user_sgpr_count 6
		.amdhsa_user_sgpr_private_segment_buffer 1
		.amdhsa_user_sgpr_dispatch_ptr 0
		.amdhsa_user_sgpr_queue_ptr 0
		.amdhsa_user_sgpr_kernarg_segment_ptr 1
		.amdhsa_user_sgpr_dispatch_id 0
		.amdhsa_user_sgpr_flat_scratch_init 0
		.amdhsa_user_sgpr_private_segment_size 0
		.amdhsa_wavefront_size32 1
		.amdhsa_uses_dynamic_stack 0
		.amdhsa_system_sgpr_private_segment_wavefront_offset 0
		.amdhsa_system_sgpr_workgroup_id_x 1
		.amdhsa_system_sgpr_workgroup_id_y 0
		.amdhsa_system_sgpr_workgroup_id_z 0
		.amdhsa_system_sgpr_workgroup_info 0
		.amdhsa_system_vgpr_workitem_id 0
		.amdhsa_next_free_vgpr 32
		.amdhsa_next_free_sgpr 38
		.amdhsa_reserve_vcc 1
		.amdhsa_reserve_flat_scratch 0
		.amdhsa_float_round_mode_32 0
		.amdhsa_float_round_mode_16_64 0
		.amdhsa_float_denorm_mode_32 3
		.amdhsa_float_denorm_mode_16_64 3
		.amdhsa_dx10_clamp 1
		.amdhsa_ieee_mode 1
		.amdhsa_fp16_overflow 0
		.amdhsa_workgroup_processor_mode 1
		.amdhsa_memory_ordered 1
		.amdhsa_forward_progress 1
		.amdhsa_shared_vgpr_count 0
		.amdhsa_exception_fp_ieee_invalid_op 0
		.amdhsa_exception_fp_denorm_src 0
		.amdhsa_exception_fp_ieee_div_zero 0
		.amdhsa_exception_fp_ieee_overflow 0
		.amdhsa_exception_fp_ieee_underflow 0
		.amdhsa_exception_fp_ieee_inexact 0
		.amdhsa_exception_int_div_zero 0
	.end_amdhsa_kernel
	.section	.text._ZN2at6native29vectorized_elementwise_kernelILi8EZZZNS0_21polygamma_kernel_cudaERNS_18TensorIteratorBaseElENKUlvE_clEvENKUlvE1_clEvEUlN3c104HalfEE_St5arrayIPcLm2EEEEviT0_T1_,"axG",@progbits,_ZN2at6native29vectorized_elementwise_kernelILi8EZZZNS0_21polygamma_kernel_cudaERNS_18TensorIteratorBaseElENKUlvE_clEvENKUlvE1_clEvEUlN3c104HalfEE_St5arrayIPcLm2EEEEviT0_T1_,comdat
.Lfunc_end101:
	.size	_ZN2at6native29vectorized_elementwise_kernelILi8EZZZNS0_21polygamma_kernel_cudaERNS_18TensorIteratorBaseElENKUlvE_clEvENKUlvE1_clEvEUlN3c104HalfEE_St5arrayIPcLm2EEEEviT0_T1_, .Lfunc_end101-_ZN2at6native29vectorized_elementwise_kernelILi8EZZZNS0_21polygamma_kernel_cudaERNS_18TensorIteratorBaseElENKUlvE_clEvENKUlvE1_clEvEUlN3c104HalfEE_St5arrayIPcLm2EEEEviT0_T1_
                                        ; -- End function
	.set _ZN2at6native29vectorized_elementwise_kernelILi8EZZZNS0_21polygamma_kernel_cudaERNS_18TensorIteratorBaseElENKUlvE_clEvENKUlvE1_clEvEUlN3c104HalfEE_St5arrayIPcLm2EEEEviT0_T1_.num_vgpr, max(32, .L_ZN3c104guts5applyIRZZZN2at6native21polygamma_kernel_cudaERNS2_18TensorIteratorBaseElENKUlvE_clEvENKUlvE1_clEvEUlNS_4HalfEE_RSt5tupleIJS8_EEEEDaOT_OT0_.num_vgpr)
	.set _ZN2at6native29vectorized_elementwise_kernelILi8EZZZNS0_21polygamma_kernel_cudaERNS_18TensorIteratorBaseElENKUlvE_clEvENKUlvE1_clEvEUlN3c104HalfEE_St5arrayIPcLm2EEEEviT0_T1_.num_agpr, max(0, .L_ZN3c104guts5applyIRZZZN2at6native21polygamma_kernel_cudaERNS2_18TensorIteratorBaseElENKUlvE_clEvENKUlvE1_clEvEUlNS_4HalfEE_RSt5tupleIJS8_EEEEDaOT_OT0_.num_agpr)
	.set _ZN2at6native29vectorized_elementwise_kernelILi8EZZZNS0_21polygamma_kernel_cudaERNS_18TensorIteratorBaseElENKUlvE_clEvENKUlvE1_clEvEUlN3c104HalfEE_St5arrayIPcLm2EEEEviT0_T1_.numbered_sgpr, max(38, .L_ZN3c104guts5applyIRZZZN2at6native21polygamma_kernel_cudaERNS2_18TensorIteratorBaseElENKUlvE_clEvENKUlvE1_clEvEUlNS_4HalfEE_RSt5tupleIJS8_EEEEDaOT_OT0_.numbered_sgpr)
	.set _ZN2at6native29vectorized_elementwise_kernelILi8EZZZNS0_21polygamma_kernel_cudaERNS_18TensorIteratorBaseElENKUlvE_clEvENKUlvE1_clEvEUlN3c104HalfEE_St5arrayIPcLm2EEEEviT0_T1_.num_named_barrier, max(0, .L_ZN3c104guts5applyIRZZZN2at6native21polygamma_kernel_cudaERNS2_18TensorIteratorBaseElENKUlvE_clEvENKUlvE1_clEvEUlNS_4HalfEE_RSt5tupleIJS8_EEEEDaOT_OT0_.num_named_barrier)
	.set _ZN2at6native29vectorized_elementwise_kernelILi8EZZZNS0_21polygamma_kernel_cudaERNS_18TensorIteratorBaseElENKUlvE_clEvENKUlvE1_clEvEUlN3c104HalfEE_St5arrayIPcLm2EEEEviT0_T1_.private_seg_size, 0+max(.L_ZN3c104guts5applyIRZZZN2at6native21polygamma_kernel_cudaERNS2_18TensorIteratorBaseElENKUlvE_clEvENKUlvE1_clEvEUlNS_4HalfEE_RSt5tupleIJS8_EEEEDaOT_OT0_.private_seg_size)
	.set _ZN2at6native29vectorized_elementwise_kernelILi8EZZZNS0_21polygamma_kernel_cudaERNS_18TensorIteratorBaseElENKUlvE_clEvENKUlvE1_clEvEUlN3c104HalfEE_St5arrayIPcLm2EEEEviT0_T1_.uses_vcc, or(1, .L_ZN3c104guts5applyIRZZZN2at6native21polygamma_kernel_cudaERNS2_18TensorIteratorBaseElENKUlvE_clEvENKUlvE1_clEvEUlNS_4HalfEE_RSt5tupleIJS8_EEEEDaOT_OT0_.uses_vcc)
	.set _ZN2at6native29vectorized_elementwise_kernelILi8EZZZNS0_21polygamma_kernel_cudaERNS_18TensorIteratorBaseElENKUlvE_clEvENKUlvE1_clEvEUlN3c104HalfEE_St5arrayIPcLm2EEEEviT0_T1_.uses_flat_scratch, or(0, .L_ZN3c104guts5applyIRZZZN2at6native21polygamma_kernel_cudaERNS2_18TensorIteratorBaseElENKUlvE_clEvENKUlvE1_clEvEUlNS_4HalfEE_RSt5tupleIJS8_EEEEDaOT_OT0_.uses_flat_scratch)
	.set _ZN2at6native29vectorized_elementwise_kernelILi8EZZZNS0_21polygamma_kernel_cudaERNS_18TensorIteratorBaseElENKUlvE_clEvENKUlvE1_clEvEUlN3c104HalfEE_St5arrayIPcLm2EEEEviT0_T1_.has_dyn_sized_stack, or(0, .L_ZN3c104guts5applyIRZZZN2at6native21polygamma_kernel_cudaERNS2_18TensorIteratorBaseElENKUlvE_clEvENKUlvE1_clEvEUlNS_4HalfEE_RSt5tupleIJS8_EEEEDaOT_OT0_.has_dyn_sized_stack)
	.set _ZN2at6native29vectorized_elementwise_kernelILi8EZZZNS0_21polygamma_kernel_cudaERNS_18TensorIteratorBaseElENKUlvE_clEvENKUlvE1_clEvEUlN3c104HalfEE_St5arrayIPcLm2EEEEviT0_T1_.has_recursion, or(0, .L_ZN3c104guts5applyIRZZZN2at6native21polygamma_kernel_cudaERNS2_18TensorIteratorBaseElENKUlvE_clEvENKUlvE1_clEvEUlNS_4HalfEE_RSt5tupleIJS8_EEEEDaOT_OT0_.has_recursion)
	.set _ZN2at6native29vectorized_elementwise_kernelILi8EZZZNS0_21polygamma_kernel_cudaERNS_18TensorIteratorBaseElENKUlvE_clEvENKUlvE1_clEvEUlN3c104HalfEE_St5arrayIPcLm2EEEEviT0_T1_.has_indirect_call, or(0, .L_ZN3c104guts5applyIRZZZN2at6native21polygamma_kernel_cudaERNS2_18TensorIteratorBaseElENKUlvE_clEvENKUlvE1_clEvEUlNS_4HalfEE_RSt5tupleIJS8_EEEEDaOT_OT0_.has_indirect_call)
	.section	.AMDGPU.csdata,"",@progbits
; Kernel info:
; codeLenInByte = 2236
; TotalNumSgprs: 40
; NumVgprs: 32
; ScratchSize: 0
; MemoryBound: 0
; FloatMode: 240
; IeeeMode: 1
; LDSByteSize: 0 bytes/workgroup (compile time only)
; SGPRBlocks: 0
; VGPRBlocks: 3
; NumSGPRsForWavesPerEU: 40
; NumVGPRsForWavesPerEU: 32
; Occupancy: 16
; WaveLimiterHint : 0
; COMPUTE_PGM_RSRC2:SCRATCH_EN: 0
; COMPUTE_PGM_RSRC2:USER_SGPR: 6
; COMPUTE_PGM_RSRC2:TRAP_HANDLER: 0
; COMPUTE_PGM_RSRC2:TGID_X_EN: 1
; COMPUTE_PGM_RSRC2:TGID_Y_EN: 0
; COMPUTE_PGM_RSRC2:TGID_Z_EN: 0
; COMPUTE_PGM_RSRC2:TIDIG_COMP_CNT: 0
	.section	.text._ZN2at6native29vectorized_elementwise_kernelILi4EZZZNS0_21polygamma_kernel_cudaERNS_18TensorIteratorBaseElENKUlvE_clEvENKUlvE1_clEvEUlN3c104HalfEE_St5arrayIPcLm2EEEEviT0_T1_,"axG",@progbits,_ZN2at6native29vectorized_elementwise_kernelILi4EZZZNS0_21polygamma_kernel_cudaERNS_18TensorIteratorBaseElENKUlvE_clEvENKUlvE1_clEvEUlN3c104HalfEE_St5arrayIPcLm2EEEEviT0_T1_,comdat
	.globl	_ZN2at6native29vectorized_elementwise_kernelILi4EZZZNS0_21polygamma_kernel_cudaERNS_18TensorIteratorBaseElENKUlvE_clEvENKUlvE1_clEvEUlN3c104HalfEE_St5arrayIPcLm2EEEEviT0_T1_ ; -- Begin function _ZN2at6native29vectorized_elementwise_kernelILi4EZZZNS0_21polygamma_kernel_cudaERNS_18TensorIteratorBaseElENKUlvE_clEvENKUlvE1_clEvEUlN3c104HalfEE_St5arrayIPcLm2EEEEviT0_T1_
	.p2align	8
	.type	_ZN2at6native29vectorized_elementwise_kernelILi4EZZZNS0_21polygamma_kernel_cudaERNS_18TensorIteratorBaseElENKUlvE_clEvENKUlvE1_clEvEUlN3c104HalfEE_St5arrayIPcLm2EEEEviT0_T1_,@function
_ZN2at6native29vectorized_elementwise_kernelILi4EZZZNS0_21polygamma_kernel_cudaERNS_18TensorIteratorBaseElENKUlvE_clEvENKUlvE1_clEvEUlN3c104HalfEE_St5arrayIPcLm2EEEEviT0_T1_: ; @_ZN2at6native29vectorized_elementwise_kernelILi4EZZZNS0_21polygamma_kernel_cudaERNS_18TensorIteratorBaseElENKUlvE_clEvENKUlvE1_clEvEUlN3c104HalfEE_St5arrayIPcLm2EEEEviT0_T1_
; %bb.0:
	s_add_u32 s0, s0, s7
	s_clause 0x2
	s_load_dword s7, s[4:5], 0x0
	s_load_dwordx4 s[24:27], s[4:5], 0x8
	s_load_dwordx2 s[28:29], s[4:5], 0x18
	s_addc_u32 s1, s1, 0
	s_lshl_b32 s22, s6, 11
	v_mov_b32_e32 v19, v0
	s_mov_b32 s23, -1
	s_mov_b32 s32, 0
	s_waitcnt lgkmcnt(0)
	s_sub_i32 s33, s7, s22
	s_cmpk_gt_i32 s33, 0x7ff
	s_cbranch_scc0 .LBB102_2
; %bb.1:
	s_ashr_i32 s23, s22, 31
	v_lshlrev_b32_e32 v24, 3, v19
	s_lshl_b64 s[20:21], s[22:23], 1
	s_mov_b32 s23, 0
	s_add_u32 s4, s28, s20
	s_addc_u32 s5, s29, s21
	v_add_co_u32 v0, s6, s4, v24
	v_add_co_ci_u32_e64 v1, null, s5, 0, s6
	global_load_dwordx2 v[20:21], v24, s[4:5]
	v_add_co_u32 v0, vcc_lo, 0x800, v0
	v_add_co_ci_u32_e64 v1, null, 0, v1, vcc_lo
	s_getpc_b64 s[34:35]
	s_add_u32 s34, s34, _ZN3c104guts5applyIRZZZN2at6native21polygamma_kernel_cudaERNS2_18TensorIteratorBaseElENKUlvE_clEvENKUlvE1_clEvEUlNS_4HalfEE_RSt5tupleIJS8_EEEEDaOT_OT0_@rel32@lo+4
	s_addc_u32 s35, s35, _ZN3c104guts5applyIRZZZN2at6native21polygamma_kernel_cudaERNS2_18TensorIteratorBaseElENKUlvE_clEvENKUlvE1_clEvEUlNS_4HalfEE_RSt5tupleIJS8_EEEEDaOT_OT0_@rel32@hi+12
	global_load_dwordx2 v[22:23], v[0:1], off
	v_mov_b32_e32 v0, s24
	v_mov_b32_e32 v1, s25
	s_waitcnt vmcnt(1)
	v_mov_b32_e32 v2, v20
	s_swappc_b64 s[30:31], s[34:35]
	v_lshrrev_b32_e32 v2, 16, v20
	v_and_b32_e32 v20, 0xffff, v0
	v_mov_b32_e32 v0, s24
	v_mov_b32_e32 v1, s25
	s_swappc_b64 s[30:31], s[34:35]
	v_lshlrev_b32_e32 v0, 16, v0
	v_mov_b32_e32 v1, s25
	v_mov_b32_e32 v2, v21
	v_or_b32_e32 v20, v0, v20
	v_mov_b32_e32 v0, s24
	s_swappc_b64 s[30:31], s[34:35]
	v_lshrrev_b32_e32 v2, 16, v21
	v_and_b32_e32 v21, 0xffff, v0
	v_mov_b32_e32 v0, s24
	v_mov_b32_e32 v1, s25
	s_swappc_b64 s[30:31], s[34:35]
	v_lshlrev_b32_e32 v0, 16, v0
	v_mov_b32_e32 v1, s25
	v_mov_b32_e32 v2, v22
	v_or3_b32 v20, v20, 0, 0
	v_or3_b32 v21, 0, v21, v0
	v_mov_b32_e32 v0, s24
	s_swappc_b64 s[30:31], s[34:35]
	v_lshrrev_b32_e32 v2, 16, v22
	v_and_b32_e32 v22, 0xffff, v0
	v_mov_b32_e32 v0, s24
	v_mov_b32_e32 v1, s25
	s_swappc_b64 s[30:31], s[34:35]
	v_lshlrev_b32_e32 v0, 16, v0
	v_mov_b32_e32 v1, s25
	v_mov_b32_e32 v2, v23
	v_or_b32_e32 v22, v0, v22
	v_mov_b32_e32 v0, s24
	s_swappc_b64 s[30:31], s[34:35]
	v_lshrrev_b32_e32 v2, 16, v23
	v_and_b32_e32 v23, 0xffff, v0
	v_mov_b32_e32 v0, s24
	v_mov_b32_e32 v1, s25
	s_swappc_b64 s[30:31], s[34:35]
	s_add_u32 s4, s26, s20
	s_addc_u32 s5, s27, s21
	v_add_co_u32 v3, s6, s4, v24
	v_lshlrev_b32_e32 v0, 16, v0
	v_add_co_ci_u32_e64 v4, null, s5, 0, s6
	v_add_co_u32 v3, vcc_lo, 0x800, v3
	v_or3_b32 v1, v22, 0, 0
	v_or3_b32 v2, 0, v23, v0
	v_add_co_ci_u32_e64 v4, null, 0, v4, vcc_lo
	global_store_dwordx2 v24, v[20:21], s[4:5]
	global_store_dwordx2 v[3:4], v[1:2], off
.LBB102_2:
	s_andn2_b32 vcc_lo, exec_lo, s23
	s_cbranch_vccnz .LBB102_41
; %bb.3:
	v_cmp_gt_i32_e64 s20, s33, v19
	v_mov_b32_e32 v20, 0
	v_or_b32_e32 v29, s22, v19
	v_or_b32_e32 v31, 0x100, v19
	v_mov_b32_e32 v2, 0
	v_mov_b32_e32 v0, v19
	s_and_saveexec_b32 s4, s20
	s_cbranch_execz .LBB102_5
; %bb.4:
	v_mov_b32_e32 v30, 0
	v_lshlrev_b64 v[0:1], 1, v[29:30]
	v_add_co_u32 v0, vcc_lo, s28, v0
	v_add_co_ci_u32_e64 v1, null, s29, v1, vcc_lo
	global_load_ushort v2, v[0:1], off
	v_or_b32_e32 v0, 0x100, v19
.LBB102_5:
	s_or_b32 exec_lo, exec_lo, s4
	s_mov_b32 s4, exec_lo
	v_cmpx_gt_i32_e64 s33, v0
	s_cbranch_execz .LBB102_7
; %bb.6:
	v_add_nc_u32_e32 v3, s22, v0
	v_mov_b32_e32 v4, 0
	v_add_nc_u32_e32 v0, 0x100, v0
	v_lshlrev_b64 v[3:4], 1, v[3:4]
	v_add_co_u32 v3, vcc_lo, s28, v3
	v_add_co_ci_u32_e64 v4, null, s29, v4, vcc_lo
	global_load_ushort v20, v[3:4], off
.LBB102_7:
	s_or_b32 exec_lo, exec_lo, s4
	v_mov_b32_e32 v21, 0
	v_mov_b32_e32 v24, 0
	s_mov_b32 s4, exec_lo
	v_cmpx_gt_i32_e64 s33, v0
	s_cbranch_execz .LBB102_9
; %bb.8:
	v_add_nc_u32_e32 v3, s22, v0
	v_mov_b32_e32 v4, 0
	v_add_nc_u32_e32 v0, 0x100, v0
	v_lshlrev_b64 v[3:4], 1, v[3:4]
	v_add_co_u32 v3, vcc_lo, s28, v3
	v_add_co_ci_u32_e64 v4, null, s29, v4, vcc_lo
	global_load_ushort v24, v[3:4], off
.LBB102_9:
	s_or_b32 exec_lo, exec_lo, s4
	s_mov_b32 s4, exec_lo
	v_cmpx_gt_i32_e64 s33, v0
	s_cbranch_execz .LBB102_11
; %bb.10:
	v_add_nc_u32_e32 v3, s22, v0
	v_mov_b32_e32 v4, 0
	v_add_nc_u32_e32 v0, 0x100, v0
	v_lshlrev_b64 v[3:4], 1, v[3:4]
	v_add_co_u32 v3, vcc_lo, s28, v3
	v_add_co_ci_u32_e64 v4, null, s29, v4, vcc_lo
	global_load_ushort v21, v[3:4], off
.LBB102_11:
	s_or_b32 exec_lo, exec_lo, s4
	v_mov_b32_e32 v22, 0
	v_mov_b32_e32 v26, 0
	s_mov_b32 s4, exec_lo
	v_cmpx_gt_i32_e64 s33, v0
	s_cbranch_execz .LBB102_13
; %bb.12:
	v_add_nc_u32_e32 v3, s22, v0
	v_mov_b32_e32 v4, 0
	v_add_nc_u32_e32 v0, 0x100, v0
	v_lshlrev_b64 v[3:4], 1, v[3:4]
	v_add_co_u32 v3, vcc_lo, s28, v3
	v_add_co_ci_u32_e64 v4, null, s29, v4, vcc_lo
	global_load_ushort v26, v[3:4], off
.LBB102_13:
	s_or_b32 exec_lo, exec_lo, s4
	s_mov_b32 s4, exec_lo
	v_cmpx_gt_i32_e64 s33, v0
	s_cbranch_execz .LBB102_15
; %bb.14:
	v_add_nc_u32_e32 v3, s22, v0
	v_mov_b32_e32 v4, 0
	v_add_nc_u32_e32 v0, 0x100, v0
	v_lshlrev_b64 v[3:4], 1, v[3:4]
	v_add_co_u32 v3, vcc_lo, s28, v3
	v_add_co_ci_u32_e64 v4, null, s29, v4, vcc_lo
	global_load_ushort v22, v[3:4], off
.LBB102_15:
	s_or_b32 exec_lo, exec_lo, s4
	v_mov_b32_e32 v23, 0
	v_mov_b32_e32 v28, 0
	s_mov_b32 s4, exec_lo
	v_cmpx_gt_i32_e64 s33, v0
	s_cbranch_execz .LBB102_42
; %bb.16:
	v_add_nc_u32_e32 v3, s22, v0
	v_mov_b32_e32 v4, 0
	v_add_nc_u32_e32 v0, 0x100, v0
	v_lshlrev_b64 v[3:4], 1, v[3:4]
	v_add_co_u32 v3, vcc_lo, s28, v3
	v_add_co_ci_u32_e64 v4, null, s29, v4, vcc_lo
	global_load_ushort v28, v[3:4], off
	s_or_b32 exec_lo, exec_lo, s4
	s_mov_b32 s4, exec_lo
	v_cmpx_gt_i32_e64 s33, v0
	s_cbranch_execnz .LBB102_43
.LBB102_17:
	s_or_b32 exec_lo, exec_lo, s4
                                        ; implicit-def: $vgpr25
	s_and_saveexec_b32 s21, s20
	s_cbranch_execz .LBB102_19
.LBB102_18:
	v_mov_b32_e32 v0, s24
	v_mov_b32_e32 v1, s25
	s_getpc_b64 s[4:5]
	s_add_u32 s4, s4, _ZN3c104guts5applyIRZZZN2at6native21polygamma_kernel_cudaERNS2_18TensorIteratorBaseElENKUlvE_clEvENKUlvE1_clEvEUlNS_4HalfEE_RSt5tupleIJS8_EEEEDaOT_OT0_@rel32@lo+4
	s_addc_u32 s5, s5, _ZN3c104guts5applyIRZZZN2at6native21polygamma_kernel_cudaERNS2_18TensorIteratorBaseElENKUlvE_clEvENKUlvE1_clEvEUlNS_4HalfEE_RSt5tupleIJS8_EEEEDaOT_OT0_@rel32@hi+12
	s_swappc_b64 s[30:31], s[4:5]
	v_mov_b32_e32 v25, v0
.LBB102_19:
	s_or_b32 exec_lo, exec_lo, s21
	s_mov_b32 s21, exec_lo
                                        ; implicit-def: $vgpr27
	v_cmpx_gt_i32_e64 s33, v31
	s_cbranch_execz .LBB102_21
; %bb.20:
	v_mov_b32_e32 v0, s24
	v_mov_b32_e32 v1, s25
	s_waitcnt vmcnt(0)
	v_mov_b32_e32 v2, v20
	s_getpc_b64 s[4:5]
	s_add_u32 s4, s4, _ZN3c104guts5applyIRZZZN2at6native21polygamma_kernel_cudaERNS2_18TensorIteratorBaseElENKUlvE_clEvENKUlvE1_clEvEUlNS_4HalfEE_RSt5tupleIJS8_EEEEDaOT_OT0_@rel32@lo+4
	s_addc_u32 s5, s5, _ZN3c104guts5applyIRZZZN2at6native21polygamma_kernel_cudaERNS2_18TensorIteratorBaseElENKUlvE_clEvENKUlvE1_clEvEUlNS_4HalfEE_RSt5tupleIJS8_EEEEDaOT_OT0_@rel32@hi+12
	s_swappc_b64 s[30:31], s[4:5]
	v_mov_b32_e32 v27, v0
.LBB102_21:
	s_or_b32 exec_lo, exec_lo, s21
	v_or_b32_e32 v0, 0x200, v19
	s_mov_b32 s21, exec_lo
                                        ; implicit-def: $vgpr20
	v_cmpx_gt_i32_e64 s33, v0
	s_cbranch_execz .LBB102_23
; %bb.22:
	v_mov_b32_e32 v0, s24
	v_mov_b32_e32 v1, s25
	s_waitcnt vmcnt(0)
	v_mov_b32_e32 v2, v24
	s_getpc_b64 s[4:5]
	s_add_u32 s4, s4, _ZN3c104guts5applyIRZZZN2at6native21polygamma_kernel_cudaERNS2_18TensorIteratorBaseElENKUlvE_clEvENKUlvE1_clEvEUlNS_4HalfEE_RSt5tupleIJS8_EEEEDaOT_OT0_@rel32@lo+4
	s_addc_u32 s5, s5, _ZN3c104guts5applyIRZZZN2at6native21polygamma_kernel_cudaERNS2_18TensorIteratorBaseElENKUlvE_clEvENKUlvE1_clEvEUlNS_4HalfEE_RSt5tupleIJS8_EEEEDaOT_OT0_@rel32@hi+12
	s_swappc_b64 s[30:31], s[4:5]
	v_mov_b32_e32 v20, v0
.LBB102_23:
	s_or_b32 exec_lo, exec_lo, s21
	v_or_b32_e32 v0, 0x300, v19
	s_mov_b32 s21, exec_lo
                                        ; implicit-def: $vgpr24
	v_cmpx_gt_i32_e64 s33, v0
	s_cbranch_execz .LBB102_25
; %bb.24:
	v_mov_b32_e32 v0, s24
	v_mov_b32_e32 v1, s25
	s_waitcnt vmcnt(0)
	v_mov_b32_e32 v2, v21
	s_getpc_b64 s[4:5]
	s_add_u32 s4, s4, _ZN3c104guts5applyIRZZZN2at6native21polygamma_kernel_cudaERNS2_18TensorIteratorBaseElENKUlvE_clEvENKUlvE1_clEvEUlNS_4HalfEE_RSt5tupleIJS8_EEEEDaOT_OT0_@rel32@lo+4
	s_addc_u32 s5, s5, _ZN3c104guts5applyIRZZZN2at6native21polygamma_kernel_cudaERNS2_18TensorIteratorBaseElENKUlvE_clEvENKUlvE1_clEvEUlNS_4HalfEE_RSt5tupleIJS8_EEEEDaOT_OT0_@rel32@hi+12
	s_swappc_b64 s[30:31], s[4:5]
	v_mov_b32_e32 v24, v0
.LBB102_25:
	s_or_b32 exec_lo, exec_lo, s21
	v_or_b32_e32 v0, 0x400, v19
	s_mov_b32 s21, exec_lo
                                        ; implicit-def: $vgpr21
	v_cmpx_gt_i32_e64 s33, v0
	s_cbranch_execz .LBB102_27
; %bb.26:
	v_mov_b32_e32 v0, s24
	v_mov_b32_e32 v1, s25
	s_waitcnt vmcnt(0)
	v_mov_b32_e32 v2, v26
	s_getpc_b64 s[4:5]
	s_add_u32 s4, s4, _ZN3c104guts5applyIRZZZN2at6native21polygamma_kernel_cudaERNS2_18TensorIteratorBaseElENKUlvE_clEvENKUlvE1_clEvEUlNS_4HalfEE_RSt5tupleIJS8_EEEEDaOT_OT0_@rel32@lo+4
	s_addc_u32 s5, s5, _ZN3c104guts5applyIRZZZN2at6native21polygamma_kernel_cudaERNS2_18TensorIteratorBaseElENKUlvE_clEvENKUlvE1_clEvEUlNS_4HalfEE_RSt5tupleIJS8_EEEEDaOT_OT0_@rel32@hi+12
	s_swappc_b64 s[30:31], s[4:5]
	v_mov_b32_e32 v21, v0
.LBB102_27:
	s_or_b32 exec_lo, exec_lo, s21
	v_or_b32_e32 v0, 0x500, v19
	s_mov_b32 s21, exec_lo
                                        ; implicit-def: $vgpr26
	v_cmpx_gt_i32_e64 s33, v0
	s_cbranch_execz .LBB102_29
; %bb.28:
	v_mov_b32_e32 v0, s24
	v_mov_b32_e32 v1, s25
	s_waitcnt vmcnt(0)
	v_mov_b32_e32 v2, v22
	s_getpc_b64 s[4:5]
	s_add_u32 s4, s4, _ZN3c104guts5applyIRZZZN2at6native21polygamma_kernel_cudaERNS2_18TensorIteratorBaseElENKUlvE_clEvENKUlvE1_clEvEUlNS_4HalfEE_RSt5tupleIJS8_EEEEDaOT_OT0_@rel32@lo+4
	s_addc_u32 s5, s5, _ZN3c104guts5applyIRZZZN2at6native21polygamma_kernel_cudaERNS2_18TensorIteratorBaseElENKUlvE_clEvENKUlvE1_clEvEUlNS_4HalfEE_RSt5tupleIJS8_EEEEDaOT_OT0_@rel32@hi+12
	s_swappc_b64 s[30:31], s[4:5]
	v_mov_b32_e32 v26, v0
.LBB102_29:
	s_or_b32 exec_lo, exec_lo, s21
	v_or_b32_e32 v0, 0x600, v19
	s_mov_b32 s21, exec_lo
                                        ; implicit-def: $vgpr22
	v_cmpx_gt_i32_e64 s33, v0
	s_cbranch_execz .LBB102_31
; %bb.30:
	v_mov_b32_e32 v0, s24
	v_mov_b32_e32 v1, s25
	s_waitcnt vmcnt(0)
	v_mov_b32_e32 v2, v28
	s_getpc_b64 s[4:5]
	s_add_u32 s4, s4, _ZN3c104guts5applyIRZZZN2at6native21polygamma_kernel_cudaERNS2_18TensorIteratorBaseElENKUlvE_clEvENKUlvE1_clEvEUlNS_4HalfEE_RSt5tupleIJS8_EEEEDaOT_OT0_@rel32@lo+4
	s_addc_u32 s5, s5, _ZN3c104guts5applyIRZZZN2at6native21polygamma_kernel_cudaERNS2_18TensorIteratorBaseElENKUlvE_clEvENKUlvE1_clEvEUlNS_4HalfEE_RSt5tupleIJS8_EEEEDaOT_OT0_@rel32@hi+12
	s_swappc_b64 s[30:31], s[4:5]
	v_mov_b32_e32 v22, v0
.LBB102_31:
	s_or_b32 exec_lo, exec_lo, s21
	v_or_b32_e32 v0, 0x700, v19
	v_cmp_gt_i32_e32 vcc_lo, s33, v0
                                        ; implicit-def: $vgpr0
	s_and_saveexec_b32 s21, vcc_lo
	s_cbranch_execz .LBB102_44
; %bb.32:
	v_mov_b32_e32 v0, s24
	v_mov_b32_e32 v1, s25
	s_waitcnt vmcnt(0)
	v_mov_b32_e32 v2, v23
	s_getpc_b64 s[4:5]
	s_add_u32 s4, s4, _ZN3c104guts5applyIRZZZN2at6native21polygamma_kernel_cudaERNS2_18TensorIteratorBaseElENKUlvE_clEvENKUlvE1_clEvEUlNS_4HalfEE_RSt5tupleIJS8_EEEEDaOT_OT0_@rel32@lo+4
	s_addc_u32 s5, s5, _ZN3c104guts5applyIRZZZN2at6native21polygamma_kernel_cudaERNS2_18TensorIteratorBaseElENKUlvE_clEvENKUlvE1_clEvEUlNS_4HalfEE_RSt5tupleIJS8_EEEEDaOT_OT0_@rel32@hi+12
	s_swappc_b64 s[30:31], s[4:5]
	s_or_b32 exec_lo, exec_lo, s21
	s_and_saveexec_b32 s4, s20
	s_xor_b32 s4, exec_lo, s4
	s_cbranch_execnz .LBB102_45
.LBB102_33:
	s_or_b32 exec_lo, exec_lo, s4
	s_mov_b32 s4, exec_lo
	v_cmpx_gt_i32_e64 s33, v19
	s_cbranch_execz .LBB102_46
.LBB102_34:
	v_add_nc_u32_e32 v1, s22, v19
	s_waitcnt vmcnt(0)
	v_mov_b32_e32 v2, 0
	v_add_nc_u32_e32 v19, 0x100, v19
	v_lshlrev_b64 v[1:2], 1, v[1:2]
	v_add_co_u32 v1, vcc_lo, s26, v1
	v_add_co_ci_u32_e64 v2, null, s27, v2, vcc_lo
	global_store_short v[1:2], v27, off
	s_or_b32 exec_lo, exec_lo, s4
	s_mov_b32 s4, exec_lo
	v_cmpx_gt_i32_e64 s33, v19
	s_cbranch_execnz .LBB102_47
.LBB102_35:
	s_or_b32 exec_lo, exec_lo, s4
	s_mov_b32 s4, exec_lo
	v_cmpx_gt_i32_e64 s33, v19
	s_cbranch_execz .LBB102_48
.LBB102_36:
	v_add_nc_u32_e32 v1, s22, v19
	s_waitcnt vmcnt(0)
	v_mov_b32_e32 v2, 0
	v_add_nc_u32_e32 v19, 0x100, v19
	v_lshlrev_b64 v[1:2], 1, v[1:2]
	v_add_co_u32 v1, vcc_lo, s26, v1
	v_add_co_ci_u32_e64 v2, null, s27, v2, vcc_lo
	global_store_short v[1:2], v24, off
	s_or_b32 exec_lo, exec_lo, s4
	s_mov_b32 s4, exec_lo
	v_cmpx_gt_i32_e64 s33, v19
	s_cbranch_execnz .LBB102_49
.LBB102_37:
	s_or_b32 exec_lo, exec_lo, s4
	s_mov_b32 s4, exec_lo
	v_cmpx_gt_i32_e64 s33, v19
	s_cbranch_execz .LBB102_50
.LBB102_38:
	v_add_nc_u32_e32 v1, s22, v19
	s_waitcnt vmcnt(0)
	v_mov_b32_e32 v2, 0
	v_add_nc_u32_e32 v19, 0x100, v19
	v_lshlrev_b64 v[1:2], 1, v[1:2]
	v_add_co_u32 v1, vcc_lo, s26, v1
	v_add_co_ci_u32_e64 v2, null, s27, v2, vcc_lo
	global_store_short v[1:2], v26, off
	s_or_b32 exec_lo, exec_lo, s4
	s_mov_b32 s4, exec_lo
	v_cmpx_gt_i32_e64 s33, v19
	s_cbranch_execnz .LBB102_51
.LBB102_39:
	s_or_b32 exec_lo, exec_lo, s4
	s_mov_b32 s4, exec_lo
	v_cmpx_gt_i32_e64 s33, v19
	s_cbranch_execz .LBB102_41
.LBB102_40:
	v_add_nc_u32_e32 v1, s22, v19
	s_waitcnt vmcnt(0)
	v_mov_b32_e32 v2, 0
	v_lshlrev_b64 v[1:2], 1, v[1:2]
	v_add_co_u32 v1, vcc_lo, s26, v1
	v_add_co_ci_u32_e64 v2, null, s27, v2, vcc_lo
	global_store_short v[1:2], v0, off
.LBB102_41:
	s_endpgm
.LBB102_42:
	s_or_b32 exec_lo, exec_lo, s4
	s_mov_b32 s4, exec_lo
	v_cmpx_gt_i32_e64 s33, v0
	s_cbranch_execz .LBB102_17
.LBB102_43:
	v_add_nc_u32_e32 v0, s22, v0
	v_mov_b32_e32 v1, 0
	v_lshlrev_b64 v[0:1], 1, v[0:1]
	v_add_co_u32 v0, vcc_lo, s28, v0
	v_add_co_ci_u32_e64 v1, null, s29, v1, vcc_lo
	global_load_ushort v23, v[0:1], off
	s_or_b32 exec_lo, exec_lo, s4
                                        ; implicit-def: $vgpr25
	s_and_saveexec_b32 s21, s20
	s_cbranch_execz .LBB102_19
	s_branch .LBB102_18
.LBB102_44:
	s_or_b32 exec_lo, exec_lo, s21
	s_and_saveexec_b32 s4, s20
	s_xor_b32 s4, exec_lo, s4
	s_cbranch_execz .LBB102_33
.LBB102_45:
	v_mov_b32_e32 v30, 0
	v_mov_b32_e32 v19, v31
	s_waitcnt vmcnt(0)
	v_lshlrev_b64 v[1:2], 1, v[29:30]
	v_add_co_u32 v1, vcc_lo, s26, v1
	v_add_co_ci_u32_e64 v2, null, s27, v2, vcc_lo
	global_store_short v[1:2], v25, off
	s_or_b32 exec_lo, exec_lo, s4
	s_mov_b32 s4, exec_lo
	v_cmpx_gt_i32_e64 s33, v19
	s_cbranch_execnz .LBB102_34
.LBB102_46:
	s_or_b32 exec_lo, exec_lo, s4
	s_mov_b32 s4, exec_lo
	v_cmpx_gt_i32_e64 s33, v19
	s_cbranch_execz .LBB102_35
.LBB102_47:
	v_add_nc_u32_e32 v1, s22, v19
	s_waitcnt vmcnt(0)
	v_mov_b32_e32 v2, 0
	v_add_nc_u32_e32 v19, 0x100, v19
	v_lshlrev_b64 v[1:2], 1, v[1:2]
	v_add_co_u32 v1, vcc_lo, s26, v1
	v_add_co_ci_u32_e64 v2, null, s27, v2, vcc_lo
	global_store_short v[1:2], v20, off
	s_or_b32 exec_lo, exec_lo, s4
	s_mov_b32 s4, exec_lo
	v_cmpx_gt_i32_e64 s33, v19
	s_cbranch_execnz .LBB102_36
.LBB102_48:
	s_or_b32 exec_lo, exec_lo, s4
	s_mov_b32 s4, exec_lo
	v_cmpx_gt_i32_e64 s33, v19
	s_cbranch_execz .LBB102_37
.LBB102_49:
	v_add_nc_u32_e32 v1, s22, v19
	s_waitcnt vmcnt(0)
	v_mov_b32_e32 v2, 0
	v_add_nc_u32_e32 v19, 0x100, v19
	v_lshlrev_b64 v[1:2], 1, v[1:2]
	v_add_co_u32 v1, vcc_lo, s26, v1
	v_add_co_ci_u32_e64 v2, null, s27, v2, vcc_lo
	global_store_short v[1:2], v21, off
	s_or_b32 exec_lo, exec_lo, s4
	s_mov_b32 s4, exec_lo
	v_cmpx_gt_i32_e64 s33, v19
	s_cbranch_execnz .LBB102_38
.LBB102_50:
	s_or_b32 exec_lo, exec_lo, s4
	s_mov_b32 s4, exec_lo
	v_cmpx_gt_i32_e64 s33, v19
	s_cbranch_execz .LBB102_39
.LBB102_51:
	v_add_nc_u32_e32 v1, s22, v19
	s_waitcnt vmcnt(0)
	v_mov_b32_e32 v2, 0
	v_add_nc_u32_e32 v19, 0x100, v19
	v_lshlrev_b64 v[1:2], 1, v[1:2]
	v_add_co_u32 v1, vcc_lo, s26, v1
	v_add_co_ci_u32_e64 v2, null, s27, v2, vcc_lo
	global_store_short v[1:2], v22, off
	s_or_b32 exec_lo, exec_lo, s4
	s_mov_b32 s4, exec_lo
	v_cmpx_gt_i32_e64 s33, v19
	s_cbranch_execnz .LBB102_40
	s_branch .LBB102_41
	.section	.rodata,"a",@progbits
	.p2align	6, 0x0
	.amdhsa_kernel _ZN2at6native29vectorized_elementwise_kernelILi4EZZZNS0_21polygamma_kernel_cudaERNS_18TensorIteratorBaseElENKUlvE_clEvENKUlvE1_clEvEUlN3c104HalfEE_St5arrayIPcLm2EEEEviT0_T1_
		.amdhsa_group_segment_fixed_size 0
		.amdhsa_private_segment_fixed_size 0
		.amdhsa_kernarg_size 32
		.amdhsa_user_sgpr_count 6
		.amdhsa_user_sgpr_private_segment_buffer 1
		.amdhsa_user_sgpr_dispatch_ptr 0
		.amdhsa_user_sgpr_queue_ptr 0
		.amdhsa_user_sgpr_kernarg_segment_ptr 1
		.amdhsa_user_sgpr_dispatch_id 0
		.amdhsa_user_sgpr_flat_scratch_init 0
		.amdhsa_user_sgpr_private_segment_size 0
		.amdhsa_wavefront_size32 1
		.amdhsa_uses_dynamic_stack 0
		.amdhsa_system_sgpr_private_segment_wavefront_offset 0
		.amdhsa_system_sgpr_workgroup_id_x 1
		.amdhsa_system_sgpr_workgroup_id_y 0
		.amdhsa_system_sgpr_workgroup_id_z 0
		.amdhsa_system_sgpr_workgroup_info 0
		.amdhsa_system_vgpr_workitem_id 0
		.amdhsa_next_free_vgpr 32
		.amdhsa_next_free_sgpr 36
		.amdhsa_reserve_vcc 1
		.amdhsa_reserve_flat_scratch 0
		.amdhsa_float_round_mode_32 0
		.amdhsa_float_round_mode_16_64 0
		.amdhsa_float_denorm_mode_32 3
		.amdhsa_float_denorm_mode_16_64 3
		.amdhsa_dx10_clamp 1
		.amdhsa_ieee_mode 1
		.amdhsa_fp16_overflow 0
		.amdhsa_workgroup_processor_mode 1
		.amdhsa_memory_ordered 1
		.amdhsa_forward_progress 1
		.amdhsa_shared_vgpr_count 0
		.amdhsa_exception_fp_ieee_invalid_op 0
		.amdhsa_exception_fp_denorm_src 0
		.amdhsa_exception_fp_ieee_div_zero 0
		.amdhsa_exception_fp_ieee_overflow 0
		.amdhsa_exception_fp_ieee_underflow 0
		.amdhsa_exception_fp_ieee_inexact 0
		.amdhsa_exception_int_div_zero 0
	.end_amdhsa_kernel
	.section	.text._ZN2at6native29vectorized_elementwise_kernelILi4EZZZNS0_21polygamma_kernel_cudaERNS_18TensorIteratorBaseElENKUlvE_clEvENKUlvE1_clEvEUlN3c104HalfEE_St5arrayIPcLm2EEEEviT0_T1_,"axG",@progbits,_ZN2at6native29vectorized_elementwise_kernelILi4EZZZNS0_21polygamma_kernel_cudaERNS_18TensorIteratorBaseElENKUlvE_clEvENKUlvE1_clEvEUlN3c104HalfEE_St5arrayIPcLm2EEEEviT0_T1_,comdat
.Lfunc_end102:
	.size	_ZN2at6native29vectorized_elementwise_kernelILi4EZZZNS0_21polygamma_kernel_cudaERNS_18TensorIteratorBaseElENKUlvE_clEvENKUlvE1_clEvEUlN3c104HalfEE_St5arrayIPcLm2EEEEviT0_T1_, .Lfunc_end102-_ZN2at6native29vectorized_elementwise_kernelILi4EZZZNS0_21polygamma_kernel_cudaERNS_18TensorIteratorBaseElENKUlvE_clEvENKUlvE1_clEvEUlN3c104HalfEE_St5arrayIPcLm2EEEEviT0_T1_
                                        ; -- End function
	.set _ZN2at6native29vectorized_elementwise_kernelILi4EZZZNS0_21polygamma_kernel_cudaERNS_18TensorIteratorBaseElENKUlvE_clEvENKUlvE1_clEvEUlN3c104HalfEE_St5arrayIPcLm2EEEEviT0_T1_.num_vgpr, max(32, .L_ZN3c104guts5applyIRZZZN2at6native21polygamma_kernel_cudaERNS2_18TensorIteratorBaseElENKUlvE_clEvENKUlvE1_clEvEUlNS_4HalfEE_RSt5tupleIJS8_EEEEDaOT_OT0_.num_vgpr)
	.set _ZN2at6native29vectorized_elementwise_kernelILi4EZZZNS0_21polygamma_kernel_cudaERNS_18TensorIteratorBaseElENKUlvE_clEvENKUlvE1_clEvEUlN3c104HalfEE_St5arrayIPcLm2EEEEviT0_T1_.num_agpr, max(0, .L_ZN3c104guts5applyIRZZZN2at6native21polygamma_kernel_cudaERNS2_18TensorIteratorBaseElENKUlvE_clEvENKUlvE1_clEvEUlNS_4HalfEE_RSt5tupleIJS8_EEEEDaOT_OT0_.num_agpr)
	.set _ZN2at6native29vectorized_elementwise_kernelILi4EZZZNS0_21polygamma_kernel_cudaERNS_18TensorIteratorBaseElENKUlvE_clEvENKUlvE1_clEvEUlN3c104HalfEE_St5arrayIPcLm2EEEEviT0_T1_.numbered_sgpr, max(36, .L_ZN3c104guts5applyIRZZZN2at6native21polygamma_kernel_cudaERNS2_18TensorIteratorBaseElENKUlvE_clEvENKUlvE1_clEvEUlNS_4HalfEE_RSt5tupleIJS8_EEEEDaOT_OT0_.numbered_sgpr)
	.set _ZN2at6native29vectorized_elementwise_kernelILi4EZZZNS0_21polygamma_kernel_cudaERNS_18TensorIteratorBaseElENKUlvE_clEvENKUlvE1_clEvEUlN3c104HalfEE_St5arrayIPcLm2EEEEviT0_T1_.num_named_barrier, max(0, .L_ZN3c104guts5applyIRZZZN2at6native21polygamma_kernel_cudaERNS2_18TensorIteratorBaseElENKUlvE_clEvENKUlvE1_clEvEUlNS_4HalfEE_RSt5tupleIJS8_EEEEDaOT_OT0_.num_named_barrier)
	.set _ZN2at6native29vectorized_elementwise_kernelILi4EZZZNS0_21polygamma_kernel_cudaERNS_18TensorIteratorBaseElENKUlvE_clEvENKUlvE1_clEvEUlN3c104HalfEE_St5arrayIPcLm2EEEEviT0_T1_.private_seg_size, 0+max(.L_ZN3c104guts5applyIRZZZN2at6native21polygamma_kernel_cudaERNS2_18TensorIteratorBaseElENKUlvE_clEvENKUlvE1_clEvEUlNS_4HalfEE_RSt5tupleIJS8_EEEEDaOT_OT0_.private_seg_size)
	.set _ZN2at6native29vectorized_elementwise_kernelILi4EZZZNS0_21polygamma_kernel_cudaERNS_18TensorIteratorBaseElENKUlvE_clEvENKUlvE1_clEvEUlN3c104HalfEE_St5arrayIPcLm2EEEEviT0_T1_.uses_vcc, or(1, .L_ZN3c104guts5applyIRZZZN2at6native21polygamma_kernel_cudaERNS2_18TensorIteratorBaseElENKUlvE_clEvENKUlvE1_clEvEUlNS_4HalfEE_RSt5tupleIJS8_EEEEDaOT_OT0_.uses_vcc)
	.set _ZN2at6native29vectorized_elementwise_kernelILi4EZZZNS0_21polygamma_kernel_cudaERNS_18TensorIteratorBaseElENKUlvE_clEvENKUlvE1_clEvEUlN3c104HalfEE_St5arrayIPcLm2EEEEviT0_T1_.uses_flat_scratch, or(0, .L_ZN3c104guts5applyIRZZZN2at6native21polygamma_kernel_cudaERNS2_18TensorIteratorBaseElENKUlvE_clEvENKUlvE1_clEvEUlNS_4HalfEE_RSt5tupleIJS8_EEEEDaOT_OT0_.uses_flat_scratch)
	.set _ZN2at6native29vectorized_elementwise_kernelILi4EZZZNS0_21polygamma_kernel_cudaERNS_18TensorIteratorBaseElENKUlvE_clEvENKUlvE1_clEvEUlN3c104HalfEE_St5arrayIPcLm2EEEEviT0_T1_.has_dyn_sized_stack, or(0, .L_ZN3c104guts5applyIRZZZN2at6native21polygamma_kernel_cudaERNS2_18TensorIteratorBaseElENKUlvE_clEvENKUlvE1_clEvEUlNS_4HalfEE_RSt5tupleIJS8_EEEEDaOT_OT0_.has_dyn_sized_stack)
	.set _ZN2at6native29vectorized_elementwise_kernelILi4EZZZNS0_21polygamma_kernel_cudaERNS_18TensorIteratorBaseElENKUlvE_clEvENKUlvE1_clEvEUlN3c104HalfEE_St5arrayIPcLm2EEEEviT0_T1_.has_recursion, or(0, .L_ZN3c104guts5applyIRZZZN2at6native21polygamma_kernel_cudaERNS2_18TensorIteratorBaseElENKUlvE_clEvENKUlvE1_clEvEUlNS_4HalfEE_RSt5tupleIJS8_EEEEDaOT_OT0_.has_recursion)
	.set _ZN2at6native29vectorized_elementwise_kernelILi4EZZZNS0_21polygamma_kernel_cudaERNS_18TensorIteratorBaseElENKUlvE_clEvENKUlvE1_clEvEUlN3c104HalfEE_St5arrayIPcLm2EEEEviT0_T1_.has_indirect_call, or(0, .L_ZN3c104guts5applyIRZZZN2at6native21polygamma_kernel_cudaERNS2_18TensorIteratorBaseElENKUlvE_clEvENKUlvE1_clEvEUlNS_4HalfEE_RSt5tupleIJS8_EEEEDaOT_OT0_.has_indirect_call)
	.section	.AMDGPU.csdata,"",@progbits
; Kernel info:
; codeLenInByte = 2320
; TotalNumSgprs: 38
; NumVgprs: 32
; ScratchSize: 0
; MemoryBound: 0
; FloatMode: 240
; IeeeMode: 1
; LDSByteSize: 0 bytes/workgroup (compile time only)
; SGPRBlocks: 0
; VGPRBlocks: 3
; NumSGPRsForWavesPerEU: 38
; NumVGPRsForWavesPerEU: 32
; Occupancy: 16
; WaveLimiterHint : 0
; COMPUTE_PGM_RSRC2:SCRATCH_EN: 0
; COMPUTE_PGM_RSRC2:USER_SGPR: 6
; COMPUTE_PGM_RSRC2:TRAP_HANDLER: 0
; COMPUTE_PGM_RSRC2:TGID_X_EN: 1
; COMPUTE_PGM_RSRC2:TGID_Y_EN: 0
; COMPUTE_PGM_RSRC2:TGID_Z_EN: 0
; COMPUTE_PGM_RSRC2:TIDIG_COMP_CNT: 0
	.section	.text._ZN2at6native29vectorized_elementwise_kernelILi2EZZZNS0_21polygamma_kernel_cudaERNS_18TensorIteratorBaseElENKUlvE_clEvENKUlvE1_clEvEUlN3c104HalfEE_St5arrayIPcLm2EEEEviT0_T1_,"axG",@progbits,_ZN2at6native29vectorized_elementwise_kernelILi2EZZZNS0_21polygamma_kernel_cudaERNS_18TensorIteratorBaseElENKUlvE_clEvENKUlvE1_clEvEUlN3c104HalfEE_St5arrayIPcLm2EEEEviT0_T1_,comdat
	.globl	_ZN2at6native29vectorized_elementwise_kernelILi2EZZZNS0_21polygamma_kernel_cudaERNS_18TensorIteratorBaseElENKUlvE_clEvENKUlvE1_clEvEUlN3c104HalfEE_St5arrayIPcLm2EEEEviT0_T1_ ; -- Begin function _ZN2at6native29vectorized_elementwise_kernelILi2EZZZNS0_21polygamma_kernel_cudaERNS_18TensorIteratorBaseElENKUlvE_clEvENKUlvE1_clEvEUlN3c104HalfEE_St5arrayIPcLm2EEEEviT0_T1_
	.p2align	8
	.type	_ZN2at6native29vectorized_elementwise_kernelILi2EZZZNS0_21polygamma_kernel_cudaERNS_18TensorIteratorBaseElENKUlvE_clEvENKUlvE1_clEvEUlN3c104HalfEE_St5arrayIPcLm2EEEEviT0_T1_,@function
_ZN2at6native29vectorized_elementwise_kernelILi2EZZZNS0_21polygamma_kernel_cudaERNS_18TensorIteratorBaseElENKUlvE_clEvENKUlvE1_clEvEUlN3c104HalfEE_St5arrayIPcLm2EEEEviT0_T1_: ; @_ZN2at6native29vectorized_elementwise_kernelILi2EZZZNS0_21polygamma_kernel_cudaERNS_18TensorIteratorBaseElENKUlvE_clEvENKUlvE1_clEvEUlN3c104HalfEE_St5arrayIPcLm2EEEEviT0_T1_
; %bb.0:
	s_add_u32 s0, s0, s7
	s_clause 0x2
	s_load_dword s7, s[4:5], 0x0
	s_load_dwordx4 s[24:27], s[4:5], 0x8
	s_load_dwordx2 s[28:29], s[4:5], 0x18
	s_addc_u32 s1, s1, 0
	s_lshl_b32 s22, s6, 11
	v_mov_b32_e32 v19, v0
	s_mov_b32 s23, -1
	s_mov_b32 s32, 0
	s_waitcnt lgkmcnt(0)
	s_sub_i32 s33, s7, s22
	s_cmpk_gt_i32 s33, 0x7ff
	s_cbranch_scc0 .LBB103_2
; %bb.1:
	s_ashr_i32 s23, s22, 31
	v_lshlrev_b32_e32 v25, 2, v19
	s_lshl_b64 s[20:21], s[22:23], 1
	s_mov_b32 s23, 0
	s_add_u32 s4, s28, s20
	s_addc_u32 s5, s29, s21
	v_add_co_u32 v0, s6, s4, v25
	v_add_co_ci_u32_e64 v1, null, s5, 0, s6
	s_getpc_b64 s[34:35]
	s_add_u32 s34, s34, _ZN3c104guts5applyIRZZZN2at6native21polygamma_kernel_cudaERNS2_18TensorIteratorBaseElENKUlvE_clEvENKUlvE1_clEvEUlNS_4HalfEE_RSt5tupleIJS8_EEEEDaOT_OT0_@rel32@lo+4
	s_addc_u32 s35, s35, _ZN3c104guts5applyIRZZZN2at6native21polygamma_kernel_cudaERNS2_18TensorIteratorBaseElENKUlvE_clEvENKUlvE1_clEvEUlNS_4HalfEE_RSt5tupleIJS8_EEEEDaOT_OT0_@rel32@hi+12
	v_add_co_u32 v0, vcc_lo, 0x800, v0
	v_add_co_ci_u32_e64 v1, null, 0, v1, vcc_lo
	s_clause 0x3
	global_load_dword v20, v25, s[4:5]
	global_load_dword v21, v25, s[4:5] offset:1024
	global_load_dword v22, v[0:1], off
	global_load_dword v23, v[0:1], off offset:1024
	v_mov_b32_e32 v0, s24
	v_mov_b32_e32 v1, s25
	s_waitcnt vmcnt(3)
	v_mov_b32_e32 v2, v20
	s_swappc_b64 s[30:31], s[34:35]
	v_mov_b32_e32 v24, v0
	v_lshrrev_b32_e32 v2, 16, v20
	v_mov_b32_e32 v0, s24
	v_mov_b32_e32 v1, s25
	s_swappc_b64 s[30:31], s[34:35]
	v_lshlrev_b32_e32 v0, 16, v0
	v_mov_b32_e32 v1, s25
	v_mov_b32_e32 v2, v21
	v_or_b32_sdwa v24, v0, v24 dst_sel:DWORD dst_unused:UNUSED_PAD src0_sel:DWORD src1_sel:WORD_0
	v_mov_b32_e32 v0, s24
	s_swappc_b64 s[30:31], s[34:35]
	v_mov_b32_e32 v20, v0
	v_lshrrev_b32_e32 v2, 16, v21
	v_mov_b32_e32 v0, s24
	v_mov_b32_e32 v1, s25
	s_swappc_b64 s[30:31], s[34:35]
	v_lshlrev_b32_e32 v0, 16, v0
	v_mov_b32_e32 v1, s25
	v_mov_b32_e32 v2, v22
	v_or_b32_sdwa v21, v0, v20 dst_sel:DWORD dst_unused:UNUSED_PAD src0_sel:DWORD src1_sel:WORD_0
	;; [unrolled: 11-line block ×3, first 2 shown]
	v_mov_b32_e32 v0, s24
	s_swappc_b64 s[30:31], s[34:35]
	v_mov_b32_e32 v20, v0
	v_lshrrev_b32_e32 v2, 16, v23
	v_mov_b32_e32 v0, s24
	v_mov_b32_e32 v1, s25
	s_swappc_b64 s[30:31], s[34:35]
	s_add_u32 s4, s26, s20
	s_addc_u32 s5, s27, s21
	v_add_co_u32 v1, s6, s4, v25
	v_add_co_ci_u32_e64 v2, null, s5, 0, s6
	v_lshlrev_b32_e32 v3, 16, v0
	v_add_co_u32 v0, vcc_lo, 0x800, v1
	v_add_co_ci_u32_e64 v1, null, 0, v2, vcc_lo
	v_or_b32_sdwa v2, v3, v20 dst_sel:DWORD dst_unused:UNUSED_PAD src0_sel:DWORD src1_sel:WORD_0
	global_store_dword v25, v24, s[4:5]
	global_store_dword v25, v21, s[4:5] offset:1024
	global_store_dword v[0:1], v22, off
	global_store_dword v[0:1], v2, off offset:1024
.LBB103_2:
	s_andn2_b32 vcc_lo, exec_lo, s23
	s_cbranch_vccnz .LBB103_41
; %bb.3:
	v_cmp_gt_i32_e64 s20, s33, v19
	v_mov_b32_e32 v20, 0
	v_or_b32_e32 v29, s22, v19
	v_or_b32_e32 v31, 0x100, v19
	v_mov_b32_e32 v2, 0
	v_mov_b32_e32 v0, v19
	s_and_saveexec_b32 s4, s20
	s_cbranch_execz .LBB103_5
; %bb.4:
	v_mov_b32_e32 v30, 0
	v_lshlrev_b64 v[0:1], 1, v[29:30]
	v_add_co_u32 v0, vcc_lo, s28, v0
	v_add_co_ci_u32_e64 v1, null, s29, v1, vcc_lo
	global_load_ushort v2, v[0:1], off
	v_or_b32_e32 v0, 0x100, v19
.LBB103_5:
	s_or_b32 exec_lo, exec_lo, s4
	s_mov_b32 s4, exec_lo
	v_cmpx_gt_i32_e64 s33, v0
	s_cbranch_execz .LBB103_7
; %bb.6:
	v_add_nc_u32_e32 v3, s22, v0
	v_mov_b32_e32 v4, 0
	v_add_nc_u32_e32 v0, 0x100, v0
	v_lshlrev_b64 v[3:4], 1, v[3:4]
	v_add_co_u32 v3, vcc_lo, s28, v3
	v_add_co_ci_u32_e64 v4, null, s29, v4, vcc_lo
	global_load_ushort v20, v[3:4], off
.LBB103_7:
	s_or_b32 exec_lo, exec_lo, s4
	v_mov_b32_e32 v21, 0
	v_mov_b32_e32 v24, 0
	s_mov_b32 s4, exec_lo
	v_cmpx_gt_i32_e64 s33, v0
	s_cbranch_execz .LBB103_9
; %bb.8:
	v_add_nc_u32_e32 v3, s22, v0
	v_mov_b32_e32 v4, 0
	v_add_nc_u32_e32 v0, 0x100, v0
	v_lshlrev_b64 v[3:4], 1, v[3:4]
	v_add_co_u32 v3, vcc_lo, s28, v3
	v_add_co_ci_u32_e64 v4, null, s29, v4, vcc_lo
	global_load_ushort v24, v[3:4], off
.LBB103_9:
	s_or_b32 exec_lo, exec_lo, s4
	s_mov_b32 s4, exec_lo
	v_cmpx_gt_i32_e64 s33, v0
	s_cbranch_execz .LBB103_11
; %bb.10:
	v_add_nc_u32_e32 v3, s22, v0
	v_mov_b32_e32 v4, 0
	v_add_nc_u32_e32 v0, 0x100, v0
	v_lshlrev_b64 v[3:4], 1, v[3:4]
	v_add_co_u32 v3, vcc_lo, s28, v3
	v_add_co_ci_u32_e64 v4, null, s29, v4, vcc_lo
	global_load_ushort v21, v[3:4], off
.LBB103_11:
	s_or_b32 exec_lo, exec_lo, s4
	v_mov_b32_e32 v22, 0
	v_mov_b32_e32 v26, 0
	s_mov_b32 s4, exec_lo
	v_cmpx_gt_i32_e64 s33, v0
	s_cbranch_execz .LBB103_13
; %bb.12:
	v_add_nc_u32_e32 v3, s22, v0
	v_mov_b32_e32 v4, 0
	v_add_nc_u32_e32 v0, 0x100, v0
	v_lshlrev_b64 v[3:4], 1, v[3:4]
	v_add_co_u32 v3, vcc_lo, s28, v3
	v_add_co_ci_u32_e64 v4, null, s29, v4, vcc_lo
	global_load_ushort v26, v[3:4], off
.LBB103_13:
	s_or_b32 exec_lo, exec_lo, s4
	s_mov_b32 s4, exec_lo
	v_cmpx_gt_i32_e64 s33, v0
	s_cbranch_execz .LBB103_15
; %bb.14:
	v_add_nc_u32_e32 v3, s22, v0
	v_mov_b32_e32 v4, 0
	v_add_nc_u32_e32 v0, 0x100, v0
	v_lshlrev_b64 v[3:4], 1, v[3:4]
	v_add_co_u32 v3, vcc_lo, s28, v3
	v_add_co_ci_u32_e64 v4, null, s29, v4, vcc_lo
	global_load_ushort v22, v[3:4], off
.LBB103_15:
	s_or_b32 exec_lo, exec_lo, s4
	v_mov_b32_e32 v23, 0
	v_mov_b32_e32 v28, 0
	s_mov_b32 s4, exec_lo
	v_cmpx_gt_i32_e64 s33, v0
	s_cbranch_execz .LBB103_42
; %bb.16:
	v_add_nc_u32_e32 v3, s22, v0
	v_mov_b32_e32 v4, 0
	v_add_nc_u32_e32 v0, 0x100, v0
	v_lshlrev_b64 v[3:4], 1, v[3:4]
	v_add_co_u32 v3, vcc_lo, s28, v3
	v_add_co_ci_u32_e64 v4, null, s29, v4, vcc_lo
	global_load_ushort v28, v[3:4], off
	s_or_b32 exec_lo, exec_lo, s4
	s_mov_b32 s4, exec_lo
	v_cmpx_gt_i32_e64 s33, v0
	s_cbranch_execnz .LBB103_43
.LBB103_17:
	s_or_b32 exec_lo, exec_lo, s4
                                        ; implicit-def: $vgpr25
	s_and_saveexec_b32 s21, s20
	s_cbranch_execz .LBB103_19
.LBB103_18:
	v_mov_b32_e32 v0, s24
	v_mov_b32_e32 v1, s25
	s_getpc_b64 s[4:5]
	s_add_u32 s4, s4, _ZN3c104guts5applyIRZZZN2at6native21polygamma_kernel_cudaERNS2_18TensorIteratorBaseElENKUlvE_clEvENKUlvE1_clEvEUlNS_4HalfEE_RSt5tupleIJS8_EEEEDaOT_OT0_@rel32@lo+4
	s_addc_u32 s5, s5, _ZN3c104guts5applyIRZZZN2at6native21polygamma_kernel_cudaERNS2_18TensorIteratorBaseElENKUlvE_clEvENKUlvE1_clEvEUlNS_4HalfEE_RSt5tupleIJS8_EEEEDaOT_OT0_@rel32@hi+12
	s_swappc_b64 s[30:31], s[4:5]
	v_mov_b32_e32 v25, v0
.LBB103_19:
	s_or_b32 exec_lo, exec_lo, s21
	s_mov_b32 s21, exec_lo
                                        ; implicit-def: $vgpr27
	v_cmpx_gt_i32_e64 s33, v31
	s_cbranch_execz .LBB103_21
; %bb.20:
	v_mov_b32_e32 v0, s24
	v_mov_b32_e32 v1, s25
	s_waitcnt vmcnt(0)
	v_mov_b32_e32 v2, v20
	s_getpc_b64 s[4:5]
	s_add_u32 s4, s4, _ZN3c104guts5applyIRZZZN2at6native21polygamma_kernel_cudaERNS2_18TensorIteratorBaseElENKUlvE_clEvENKUlvE1_clEvEUlNS_4HalfEE_RSt5tupleIJS8_EEEEDaOT_OT0_@rel32@lo+4
	s_addc_u32 s5, s5, _ZN3c104guts5applyIRZZZN2at6native21polygamma_kernel_cudaERNS2_18TensorIteratorBaseElENKUlvE_clEvENKUlvE1_clEvEUlNS_4HalfEE_RSt5tupleIJS8_EEEEDaOT_OT0_@rel32@hi+12
	s_swappc_b64 s[30:31], s[4:5]
	v_mov_b32_e32 v27, v0
.LBB103_21:
	s_or_b32 exec_lo, exec_lo, s21
	v_or_b32_e32 v0, 0x200, v19
	s_mov_b32 s21, exec_lo
                                        ; implicit-def: $vgpr20
	v_cmpx_gt_i32_e64 s33, v0
	s_cbranch_execz .LBB103_23
; %bb.22:
	v_mov_b32_e32 v0, s24
	v_mov_b32_e32 v1, s25
	s_waitcnt vmcnt(0)
	v_mov_b32_e32 v2, v24
	s_getpc_b64 s[4:5]
	s_add_u32 s4, s4, _ZN3c104guts5applyIRZZZN2at6native21polygamma_kernel_cudaERNS2_18TensorIteratorBaseElENKUlvE_clEvENKUlvE1_clEvEUlNS_4HalfEE_RSt5tupleIJS8_EEEEDaOT_OT0_@rel32@lo+4
	s_addc_u32 s5, s5, _ZN3c104guts5applyIRZZZN2at6native21polygamma_kernel_cudaERNS2_18TensorIteratorBaseElENKUlvE_clEvENKUlvE1_clEvEUlNS_4HalfEE_RSt5tupleIJS8_EEEEDaOT_OT0_@rel32@hi+12
	s_swappc_b64 s[30:31], s[4:5]
	v_mov_b32_e32 v20, v0
.LBB103_23:
	s_or_b32 exec_lo, exec_lo, s21
	v_or_b32_e32 v0, 0x300, v19
	s_mov_b32 s21, exec_lo
                                        ; implicit-def: $vgpr24
	v_cmpx_gt_i32_e64 s33, v0
	s_cbranch_execz .LBB103_25
; %bb.24:
	v_mov_b32_e32 v0, s24
	v_mov_b32_e32 v1, s25
	s_waitcnt vmcnt(0)
	v_mov_b32_e32 v2, v21
	s_getpc_b64 s[4:5]
	s_add_u32 s4, s4, _ZN3c104guts5applyIRZZZN2at6native21polygamma_kernel_cudaERNS2_18TensorIteratorBaseElENKUlvE_clEvENKUlvE1_clEvEUlNS_4HalfEE_RSt5tupleIJS8_EEEEDaOT_OT0_@rel32@lo+4
	s_addc_u32 s5, s5, _ZN3c104guts5applyIRZZZN2at6native21polygamma_kernel_cudaERNS2_18TensorIteratorBaseElENKUlvE_clEvENKUlvE1_clEvEUlNS_4HalfEE_RSt5tupleIJS8_EEEEDaOT_OT0_@rel32@hi+12
	s_swappc_b64 s[30:31], s[4:5]
	v_mov_b32_e32 v24, v0
.LBB103_25:
	s_or_b32 exec_lo, exec_lo, s21
	v_or_b32_e32 v0, 0x400, v19
	s_mov_b32 s21, exec_lo
                                        ; implicit-def: $vgpr21
	v_cmpx_gt_i32_e64 s33, v0
	s_cbranch_execz .LBB103_27
; %bb.26:
	v_mov_b32_e32 v0, s24
	v_mov_b32_e32 v1, s25
	s_waitcnt vmcnt(0)
	v_mov_b32_e32 v2, v26
	s_getpc_b64 s[4:5]
	s_add_u32 s4, s4, _ZN3c104guts5applyIRZZZN2at6native21polygamma_kernel_cudaERNS2_18TensorIteratorBaseElENKUlvE_clEvENKUlvE1_clEvEUlNS_4HalfEE_RSt5tupleIJS8_EEEEDaOT_OT0_@rel32@lo+4
	s_addc_u32 s5, s5, _ZN3c104guts5applyIRZZZN2at6native21polygamma_kernel_cudaERNS2_18TensorIteratorBaseElENKUlvE_clEvENKUlvE1_clEvEUlNS_4HalfEE_RSt5tupleIJS8_EEEEDaOT_OT0_@rel32@hi+12
	s_swappc_b64 s[30:31], s[4:5]
	v_mov_b32_e32 v21, v0
.LBB103_27:
	s_or_b32 exec_lo, exec_lo, s21
	v_or_b32_e32 v0, 0x500, v19
	s_mov_b32 s21, exec_lo
                                        ; implicit-def: $vgpr26
	v_cmpx_gt_i32_e64 s33, v0
	s_cbranch_execz .LBB103_29
; %bb.28:
	v_mov_b32_e32 v0, s24
	v_mov_b32_e32 v1, s25
	s_waitcnt vmcnt(0)
	v_mov_b32_e32 v2, v22
	s_getpc_b64 s[4:5]
	s_add_u32 s4, s4, _ZN3c104guts5applyIRZZZN2at6native21polygamma_kernel_cudaERNS2_18TensorIteratorBaseElENKUlvE_clEvENKUlvE1_clEvEUlNS_4HalfEE_RSt5tupleIJS8_EEEEDaOT_OT0_@rel32@lo+4
	s_addc_u32 s5, s5, _ZN3c104guts5applyIRZZZN2at6native21polygamma_kernel_cudaERNS2_18TensorIteratorBaseElENKUlvE_clEvENKUlvE1_clEvEUlNS_4HalfEE_RSt5tupleIJS8_EEEEDaOT_OT0_@rel32@hi+12
	s_swappc_b64 s[30:31], s[4:5]
	v_mov_b32_e32 v26, v0
.LBB103_29:
	s_or_b32 exec_lo, exec_lo, s21
	v_or_b32_e32 v0, 0x600, v19
	s_mov_b32 s21, exec_lo
                                        ; implicit-def: $vgpr22
	v_cmpx_gt_i32_e64 s33, v0
	s_cbranch_execz .LBB103_31
; %bb.30:
	v_mov_b32_e32 v0, s24
	v_mov_b32_e32 v1, s25
	s_waitcnt vmcnt(0)
	v_mov_b32_e32 v2, v28
	s_getpc_b64 s[4:5]
	s_add_u32 s4, s4, _ZN3c104guts5applyIRZZZN2at6native21polygamma_kernel_cudaERNS2_18TensorIteratorBaseElENKUlvE_clEvENKUlvE1_clEvEUlNS_4HalfEE_RSt5tupleIJS8_EEEEDaOT_OT0_@rel32@lo+4
	s_addc_u32 s5, s5, _ZN3c104guts5applyIRZZZN2at6native21polygamma_kernel_cudaERNS2_18TensorIteratorBaseElENKUlvE_clEvENKUlvE1_clEvEUlNS_4HalfEE_RSt5tupleIJS8_EEEEDaOT_OT0_@rel32@hi+12
	s_swappc_b64 s[30:31], s[4:5]
	v_mov_b32_e32 v22, v0
.LBB103_31:
	s_or_b32 exec_lo, exec_lo, s21
	v_or_b32_e32 v0, 0x700, v19
	v_cmp_gt_i32_e32 vcc_lo, s33, v0
                                        ; implicit-def: $vgpr0
	s_and_saveexec_b32 s21, vcc_lo
	s_cbranch_execz .LBB103_44
; %bb.32:
	v_mov_b32_e32 v0, s24
	v_mov_b32_e32 v1, s25
	s_waitcnt vmcnt(0)
	v_mov_b32_e32 v2, v23
	s_getpc_b64 s[4:5]
	s_add_u32 s4, s4, _ZN3c104guts5applyIRZZZN2at6native21polygamma_kernel_cudaERNS2_18TensorIteratorBaseElENKUlvE_clEvENKUlvE1_clEvEUlNS_4HalfEE_RSt5tupleIJS8_EEEEDaOT_OT0_@rel32@lo+4
	s_addc_u32 s5, s5, _ZN3c104guts5applyIRZZZN2at6native21polygamma_kernel_cudaERNS2_18TensorIteratorBaseElENKUlvE_clEvENKUlvE1_clEvEUlNS_4HalfEE_RSt5tupleIJS8_EEEEDaOT_OT0_@rel32@hi+12
	s_swappc_b64 s[30:31], s[4:5]
	s_or_b32 exec_lo, exec_lo, s21
	s_and_saveexec_b32 s4, s20
	s_xor_b32 s4, exec_lo, s4
	s_cbranch_execnz .LBB103_45
.LBB103_33:
	s_or_b32 exec_lo, exec_lo, s4
	s_mov_b32 s4, exec_lo
	v_cmpx_gt_i32_e64 s33, v19
	s_cbranch_execz .LBB103_46
.LBB103_34:
	v_add_nc_u32_e32 v1, s22, v19
	s_waitcnt vmcnt(0)
	v_mov_b32_e32 v2, 0
	v_add_nc_u32_e32 v19, 0x100, v19
	v_lshlrev_b64 v[1:2], 1, v[1:2]
	v_add_co_u32 v1, vcc_lo, s26, v1
	v_add_co_ci_u32_e64 v2, null, s27, v2, vcc_lo
	global_store_short v[1:2], v27, off
	s_or_b32 exec_lo, exec_lo, s4
	s_mov_b32 s4, exec_lo
	v_cmpx_gt_i32_e64 s33, v19
	s_cbranch_execnz .LBB103_47
.LBB103_35:
	s_or_b32 exec_lo, exec_lo, s4
	s_mov_b32 s4, exec_lo
	v_cmpx_gt_i32_e64 s33, v19
	s_cbranch_execz .LBB103_48
.LBB103_36:
	v_add_nc_u32_e32 v1, s22, v19
	s_waitcnt vmcnt(0)
	v_mov_b32_e32 v2, 0
	v_add_nc_u32_e32 v19, 0x100, v19
	v_lshlrev_b64 v[1:2], 1, v[1:2]
	v_add_co_u32 v1, vcc_lo, s26, v1
	v_add_co_ci_u32_e64 v2, null, s27, v2, vcc_lo
	global_store_short v[1:2], v24, off
	s_or_b32 exec_lo, exec_lo, s4
	s_mov_b32 s4, exec_lo
	v_cmpx_gt_i32_e64 s33, v19
	s_cbranch_execnz .LBB103_49
.LBB103_37:
	s_or_b32 exec_lo, exec_lo, s4
	s_mov_b32 s4, exec_lo
	v_cmpx_gt_i32_e64 s33, v19
	s_cbranch_execz .LBB103_50
.LBB103_38:
	v_add_nc_u32_e32 v1, s22, v19
	s_waitcnt vmcnt(0)
	v_mov_b32_e32 v2, 0
	v_add_nc_u32_e32 v19, 0x100, v19
	v_lshlrev_b64 v[1:2], 1, v[1:2]
	v_add_co_u32 v1, vcc_lo, s26, v1
	v_add_co_ci_u32_e64 v2, null, s27, v2, vcc_lo
	global_store_short v[1:2], v26, off
	s_or_b32 exec_lo, exec_lo, s4
	s_mov_b32 s4, exec_lo
	v_cmpx_gt_i32_e64 s33, v19
	s_cbranch_execnz .LBB103_51
.LBB103_39:
	s_or_b32 exec_lo, exec_lo, s4
	s_mov_b32 s4, exec_lo
	v_cmpx_gt_i32_e64 s33, v19
	s_cbranch_execz .LBB103_41
.LBB103_40:
	v_add_nc_u32_e32 v1, s22, v19
	s_waitcnt vmcnt(0)
	v_mov_b32_e32 v2, 0
	v_lshlrev_b64 v[1:2], 1, v[1:2]
	v_add_co_u32 v1, vcc_lo, s26, v1
	v_add_co_ci_u32_e64 v2, null, s27, v2, vcc_lo
	global_store_short v[1:2], v0, off
.LBB103_41:
	s_endpgm
.LBB103_42:
	s_or_b32 exec_lo, exec_lo, s4
	s_mov_b32 s4, exec_lo
	v_cmpx_gt_i32_e64 s33, v0
	s_cbranch_execz .LBB103_17
.LBB103_43:
	v_add_nc_u32_e32 v0, s22, v0
	v_mov_b32_e32 v1, 0
	v_lshlrev_b64 v[0:1], 1, v[0:1]
	v_add_co_u32 v0, vcc_lo, s28, v0
	v_add_co_ci_u32_e64 v1, null, s29, v1, vcc_lo
	global_load_ushort v23, v[0:1], off
	s_or_b32 exec_lo, exec_lo, s4
                                        ; implicit-def: $vgpr25
	s_and_saveexec_b32 s21, s20
	s_cbranch_execz .LBB103_19
	s_branch .LBB103_18
.LBB103_44:
	s_or_b32 exec_lo, exec_lo, s21
	s_and_saveexec_b32 s4, s20
	s_xor_b32 s4, exec_lo, s4
	s_cbranch_execz .LBB103_33
.LBB103_45:
	v_mov_b32_e32 v30, 0
	v_mov_b32_e32 v19, v31
	s_waitcnt vmcnt(0)
	v_lshlrev_b64 v[1:2], 1, v[29:30]
	v_add_co_u32 v1, vcc_lo, s26, v1
	v_add_co_ci_u32_e64 v2, null, s27, v2, vcc_lo
	global_store_short v[1:2], v25, off
	s_or_b32 exec_lo, exec_lo, s4
	s_mov_b32 s4, exec_lo
	v_cmpx_gt_i32_e64 s33, v19
	s_cbranch_execnz .LBB103_34
.LBB103_46:
	s_or_b32 exec_lo, exec_lo, s4
	s_mov_b32 s4, exec_lo
	v_cmpx_gt_i32_e64 s33, v19
	s_cbranch_execz .LBB103_35
.LBB103_47:
	v_add_nc_u32_e32 v1, s22, v19
	s_waitcnt vmcnt(0)
	v_mov_b32_e32 v2, 0
	v_add_nc_u32_e32 v19, 0x100, v19
	v_lshlrev_b64 v[1:2], 1, v[1:2]
	v_add_co_u32 v1, vcc_lo, s26, v1
	v_add_co_ci_u32_e64 v2, null, s27, v2, vcc_lo
	global_store_short v[1:2], v20, off
	s_or_b32 exec_lo, exec_lo, s4
	s_mov_b32 s4, exec_lo
	v_cmpx_gt_i32_e64 s33, v19
	s_cbranch_execnz .LBB103_36
.LBB103_48:
	s_or_b32 exec_lo, exec_lo, s4
	s_mov_b32 s4, exec_lo
	v_cmpx_gt_i32_e64 s33, v19
	s_cbranch_execz .LBB103_37
.LBB103_49:
	v_add_nc_u32_e32 v1, s22, v19
	s_waitcnt vmcnt(0)
	v_mov_b32_e32 v2, 0
	v_add_nc_u32_e32 v19, 0x100, v19
	v_lshlrev_b64 v[1:2], 1, v[1:2]
	v_add_co_u32 v1, vcc_lo, s26, v1
	v_add_co_ci_u32_e64 v2, null, s27, v2, vcc_lo
	global_store_short v[1:2], v21, off
	s_or_b32 exec_lo, exec_lo, s4
	s_mov_b32 s4, exec_lo
	v_cmpx_gt_i32_e64 s33, v19
	s_cbranch_execnz .LBB103_38
.LBB103_50:
	s_or_b32 exec_lo, exec_lo, s4
	s_mov_b32 s4, exec_lo
	v_cmpx_gt_i32_e64 s33, v19
	s_cbranch_execz .LBB103_39
.LBB103_51:
	v_add_nc_u32_e32 v1, s22, v19
	s_waitcnt vmcnt(0)
	v_mov_b32_e32 v2, 0
	v_add_nc_u32_e32 v19, 0x100, v19
	v_lshlrev_b64 v[1:2], 1, v[1:2]
	v_add_co_u32 v1, vcc_lo, s26, v1
	v_add_co_ci_u32_e64 v2, null, s27, v2, vcc_lo
	global_store_short v[1:2], v22, off
	s_or_b32 exec_lo, exec_lo, s4
	s_mov_b32 s4, exec_lo
	v_cmpx_gt_i32_e64 s33, v19
	s_cbranch_execnz .LBB103_40
	s_branch .LBB103_41
	.section	.rodata,"a",@progbits
	.p2align	6, 0x0
	.amdhsa_kernel _ZN2at6native29vectorized_elementwise_kernelILi2EZZZNS0_21polygamma_kernel_cudaERNS_18TensorIteratorBaseElENKUlvE_clEvENKUlvE1_clEvEUlN3c104HalfEE_St5arrayIPcLm2EEEEviT0_T1_
		.amdhsa_group_segment_fixed_size 0
		.amdhsa_private_segment_fixed_size 0
		.amdhsa_kernarg_size 32
		.amdhsa_user_sgpr_count 6
		.amdhsa_user_sgpr_private_segment_buffer 1
		.amdhsa_user_sgpr_dispatch_ptr 0
		.amdhsa_user_sgpr_queue_ptr 0
		.amdhsa_user_sgpr_kernarg_segment_ptr 1
		.amdhsa_user_sgpr_dispatch_id 0
		.amdhsa_user_sgpr_flat_scratch_init 0
		.amdhsa_user_sgpr_private_segment_size 0
		.amdhsa_wavefront_size32 1
		.amdhsa_uses_dynamic_stack 0
		.amdhsa_system_sgpr_private_segment_wavefront_offset 0
		.amdhsa_system_sgpr_workgroup_id_x 1
		.amdhsa_system_sgpr_workgroup_id_y 0
		.amdhsa_system_sgpr_workgroup_id_z 0
		.amdhsa_system_sgpr_workgroup_info 0
		.amdhsa_system_vgpr_workitem_id 0
		.amdhsa_next_free_vgpr 32
		.amdhsa_next_free_sgpr 36
		.amdhsa_reserve_vcc 1
		.amdhsa_reserve_flat_scratch 0
		.amdhsa_float_round_mode_32 0
		.amdhsa_float_round_mode_16_64 0
		.amdhsa_float_denorm_mode_32 3
		.amdhsa_float_denorm_mode_16_64 3
		.amdhsa_dx10_clamp 1
		.amdhsa_ieee_mode 1
		.amdhsa_fp16_overflow 0
		.amdhsa_workgroup_processor_mode 1
		.amdhsa_memory_ordered 1
		.amdhsa_forward_progress 1
		.amdhsa_shared_vgpr_count 0
		.amdhsa_exception_fp_ieee_invalid_op 0
		.amdhsa_exception_fp_denorm_src 0
		.amdhsa_exception_fp_ieee_div_zero 0
		.amdhsa_exception_fp_ieee_overflow 0
		.amdhsa_exception_fp_ieee_underflow 0
		.amdhsa_exception_fp_ieee_inexact 0
		.amdhsa_exception_int_div_zero 0
	.end_amdhsa_kernel
	.section	.text._ZN2at6native29vectorized_elementwise_kernelILi2EZZZNS0_21polygamma_kernel_cudaERNS_18TensorIteratorBaseElENKUlvE_clEvENKUlvE1_clEvEUlN3c104HalfEE_St5arrayIPcLm2EEEEviT0_T1_,"axG",@progbits,_ZN2at6native29vectorized_elementwise_kernelILi2EZZZNS0_21polygamma_kernel_cudaERNS_18TensorIteratorBaseElENKUlvE_clEvENKUlvE1_clEvEUlN3c104HalfEE_St5arrayIPcLm2EEEEviT0_T1_,comdat
.Lfunc_end103:
	.size	_ZN2at6native29vectorized_elementwise_kernelILi2EZZZNS0_21polygamma_kernel_cudaERNS_18TensorIteratorBaseElENKUlvE_clEvENKUlvE1_clEvEUlN3c104HalfEE_St5arrayIPcLm2EEEEviT0_T1_, .Lfunc_end103-_ZN2at6native29vectorized_elementwise_kernelILi2EZZZNS0_21polygamma_kernel_cudaERNS_18TensorIteratorBaseElENKUlvE_clEvENKUlvE1_clEvEUlN3c104HalfEE_St5arrayIPcLm2EEEEviT0_T1_
                                        ; -- End function
	.set _ZN2at6native29vectorized_elementwise_kernelILi2EZZZNS0_21polygamma_kernel_cudaERNS_18TensorIteratorBaseElENKUlvE_clEvENKUlvE1_clEvEUlN3c104HalfEE_St5arrayIPcLm2EEEEviT0_T1_.num_vgpr, max(32, .L_ZN3c104guts5applyIRZZZN2at6native21polygamma_kernel_cudaERNS2_18TensorIteratorBaseElENKUlvE_clEvENKUlvE1_clEvEUlNS_4HalfEE_RSt5tupleIJS8_EEEEDaOT_OT0_.num_vgpr)
	.set _ZN2at6native29vectorized_elementwise_kernelILi2EZZZNS0_21polygamma_kernel_cudaERNS_18TensorIteratorBaseElENKUlvE_clEvENKUlvE1_clEvEUlN3c104HalfEE_St5arrayIPcLm2EEEEviT0_T1_.num_agpr, max(0, .L_ZN3c104guts5applyIRZZZN2at6native21polygamma_kernel_cudaERNS2_18TensorIteratorBaseElENKUlvE_clEvENKUlvE1_clEvEUlNS_4HalfEE_RSt5tupleIJS8_EEEEDaOT_OT0_.num_agpr)
	.set _ZN2at6native29vectorized_elementwise_kernelILi2EZZZNS0_21polygamma_kernel_cudaERNS_18TensorIteratorBaseElENKUlvE_clEvENKUlvE1_clEvEUlN3c104HalfEE_St5arrayIPcLm2EEEEviT0_T1_.numbered_sgpr, max(36, .L_ZN3c104guts5applyIRZZZN2at6native21polygamma_kernel_cudaERNS2_18TensorIteratorBaseElENKUlvE_clEvENKUlvE1_clEvEUlNS_4HalfEE_RSt5tupleIJS8_EEEEDaOT_OT0_.numbered_sgpr)
	.set _ZN2at6native29vectorized_elementwise_kernelILi2EZZZNS0_21polygamma_kernel_cudaERNS_18TensorIteratorBaseElENKUlvE_clEvENKUlvE1_clEvEUlN3c104HalfEE_St5arrayIPcLm2EEEEviT0_T1_.num_named_barrier, max(0, .L_ZN3c104guts5applyIRZZZN2at6native21polygamma_kernel_cudaERNS2_18TensorIteratorBaseElENKUlvE_clEvENKUlvE1_clEvEUlNS_4HalfEE_RSt5tupleIJS8_EEEEDaOT_OT0_.num_named_barrier)
	.set _ZN2at6native29vectorized_elementwise_kernelILi2EZZZNS0_21polygamma_kernel_cudaERNS_18TensorIteratorBaseElENKUlvE_clEvENKUlvE1_clEvEUlN3c104HalfEE_St5arrayIPcLm2EEEEviT0_T1_.private_seg_size, 0+max(.L_ZN3c104guts5applyIRZZZN2at6native21polygamma_kernel_cudaERNS2_18TensorIteratorBaseElENKUlvE_clEvENKUlvE1_clEvEUlNS_4HalfEE_RSt5tupleIJS8_EEEEDaOT_OT0_.private_seg_size)
	.set _ZN2at6native29vectorized_elementwise_kernelILi2EZZZNS0_21polygamma_kernel_cudaERNS_18TensorIteratorBaseElENKUlvE_clEvENKUlvE1_clEvEUlN3c104HalfEE_St5arrayIPcLm2EEEEviT0_T1_.uses_vcc, or(1, .L_ZN3c104guts5applyIRZZZN2at6native21polygamma_kernel_cudaERNS2_18TensorIteratorBaseElENKUlvE_clEvENKUlvE1_clEvEUlNS_4HalfEE_RSt5tupleIJS8_EEEEDaOT_OT0_.uses_vcc)
	.set _ZN2at6native29vectorized_elementwise_kernelILi2EZZZNS0_21polygamma_kernel_cudaERNS_18TensorIteratorBaseElENKUlvE_clEvENKUlvE1_clEvEUlN3c104HalfEE_St5arrayIPcLm2EEEEviT0_T1_.uses_flat_scratch, or(0, .L_ZN3c104guts5applyIRZZZN2at6native21polygamma_kernel_cudaERNS2_18TensorIteratorBaseElENKUlvE_clEvENKUlvE1_clEvEUlNS_4HalfEE_RSt5tupleIJS8_EEEEDaOT_OT0_.uses_flat_scratch)
	.set _ZN2at6native29vectorized_elementwise_kernelILi2EZZZNS0_21polygamma_kernel_cudaERNS_18TensorIteratorBaseElENKUlvE_clEvENKUlvE1_clEvEUlN3c104HalfEE_St5arrayIPcLm2EEEEviT0_T1_.has_dyn_sized_stack, or(0, .L_ZN3c104guts5applyIRZZZN2at6native21polygamma_kernel_cudaERNS2_18TensorIteratorBaseElENKUlvE_clEvENKUlvE1_clEvEUlNS_4HalfEE_RSt5tupleIJS8_EEEEDaOT_OT0_.has_dyn_sized_stack)
	.set _ZN2at6native29vectorized_elementwise_kernelILi2EZZZNS0_21polygamma_kernel_cudaERNS_18TensorIteratorBaseElENKUlvE_clEvENKUlvE1_clEvEUlN3c104HalfEE_St5arrayIPcLm2EEEEviT0_T1_.has_recursion, or(0, .L_ZN3c104guts5applyIRZZZN2at6native21polygamma_kernel_cudaERNS2_18TensorIteratorBaseElENKUlvE_clEvENKUlvE1_clEvEUlNS_4HalfEE_RSt5tupleIJS8_EEEEDaOT_OT0_.has_recursion)
	.set _ZN2at6native29vectorized_elementwise_kernelILi2EZZZNS0_21polygamma_kernel_cudaERNS_18TensorIteratorBaseElENKUlvE_clEvENKUlvE1_clEvEUlN3c104HalfEE_St5arrayIPcLm2EEEEviT0_T1_.has_indirect_call, or(0, .L_ZN3c104guts5applyIRZZZN2at6native21polygamma_kernel_cudaERNS2_18TensorIteratorBaseElENKUlvE_clEvENKUlvE1_clEvEUlNS_4HalfEE_RSt5tupleIJS8_EEEEDaOT_OT0_.has_indirect_call)
	.section	.AMDGPU.csdata,"",@progbits
; Kernel info:
; codeLenInByte = 2332
; TotalNumSgprs: 38
; NumVgprs: 32
; ScratchSize: 0
; MemoryBound: 0
; FloatMode: 240
; IeeeMode: 1
; LDSByteSize: 0 bytes/workgroup (compile time only)
; SGPRBlocks: 0
; VGPRBlocks: 3
; NumSGPRsForWavesPerEU: 38
; NumVGPRsForWavesPerEU: 32
; Occupancy: 16
; WaveLimiterHint : 0
; COMPUTE_PGM_RSRC2:SCRATCH_EN: 0
; COMPUTE_PGM_RSRC2:USER_SGPR: 6
; COMPUTE_PGM_RSRC2:TRAP_HANDLER: 0
; COMPUTE_PGM_RSRC2:TGID_X_EN: 1
; COMPUTE_PGM_RSRC2:TGID_Y_EN: 0
; COMPUTE_PGM_RSRC2:TGID_Z_EN: 0
; COMPUTE_PGM_RSRC2:TIDIG_COMP_CNT: 0
	.section	.text._ZN2at6native27unrolled_elementwise_kernelIZZZNS0_21polygamma_kernel_cudaERNS_18TensorIteratorBaseElENKUlvE_clEvENKUlvE1_clEvEUlN3c104HalfEE_St5arrayIPcLm2EELi4E23TrivialOffsetCalculatorILi1EjESD_NS0_6memory15LoadWithoutCastENSE_16StoreWithoutCastEEEviT_T0_T2_T3_T4_T5_,"axG",@progbits,_ZN2at6native27unrolled_elementwise_kernelIZZZNS0_21polygamma_kernel_cudaERNS_18TensorIteratorBaseElENKUlvE_clEvENKUlvE1_clEvEUlN3c104HalfEE_St5arrayIPcLm2EELi4E23TrivialOffsetCalculatorILi1EjESD_NS0_6memory15LoadWithoutCastENSE_16StoreWithoutCastEEEviT_T0_T2_T3_T4_T5_,comdat
	.globl	_ZN2at6native27unrolled_elementwise_kernelIZZZNS0_21polygamma_kernel_cudaERNS_18TensorIteratorBaseElENKUlvE_clEvENKUlvE1_clEvEUlN3c104HalfEE_St5arrayIPcLm2EELi4E23TrivialOffsetCalculatorILi1EjESD_NS0_6memory15LoadWithoutCastENSE_16StoreWithoutCastEEEviT_T0_T2_T3_T4_T5_ ; -- Begin function _ZN2at6native27unrolled_elementwise_kernelIZZZNS0_21polygamma_kernel_cudaERNS_18TensorIteratorBaseElENKUlvE_clEvENKUlvE1_clEvEUlN3c104HalfEE_St5arrayIPcLm2EELi4E23TrivialOffsetCalculatorILi1EjESD_NS0_6memory15LoadWithoutCastENSE_16StoreWithoutCastEEEviT_T0_T2_T3_T4_T5_
	.p2align	8
	.type	_ZN2at6native27unrolled_elementwise_kernelIZZZNS0_21polygamma_kernel_cudaERNS_18TensorIteratorBaseElENKUlvE_clEvENKUlvE1_clEvEUlN3c104HalfEE_St5arrayIPcLm2EELi4E23TrivialOffsetCalculatorILi1EjESD_NS0_6memory15LoadWithoutCastENSE_16StoreWithoutCastEEEviT_T0_T2_T3_T4_T5_,@function
_ZN2at6native27unrolled_elementwise_kernelIZZZNS0_21polygamma_kernel_cudaERNS_18TensorIteratorBaseElENKUlvE_clEvENKUlvE1_clEvEUlN3c104HalfEE_St5arrayIPcLm2EELi4E23TrivialOffsetCalculatorILi1EjESD_NS0_6memory15LoadWithoutCastENSE_16StoreWithoutCastEEEviT_T0_T2_T3_T4_T5_: ; @_ZN2at6native27unrolled_elementwise_kernelIZZZNS0_21polygamma_kernel_cudaERNS_18TensorIteratorBaseElENKUlvE_clEvENKUlvE1_clEvEUlN3c104HalfEE_St5arrayIPcLm2EELi4E23TrivialOffsetCalculatorILi1EjESD_NS0_6memory15LoadWithoutCastENSE_16StoreWithoutCastEEEviT_T0_T2_T3_T4_T5_
; %bb.0:
	s_add_u32 s0, s0, s7
	s_clause 0x1
	s_load_dword s7, s[4:5], 0x0
	s_load_dwordx2 s[8:9], s[4:5], 0x18
	v_mov_b32_e32 v19, v0
	s_addc_u32 s1, s1, 0
	s_lshl_b32 s21, s6, 10
	v_mov_b32_e32 v20, 0
	v_mov_b32_e32 v2, 0
	v_or_b32_e32 v25, s21, v19
	v_or_b32_e32 v27, 0x100, v19
	s_mov_b32 s32, 0
	s_waitcnt lgkmcnt(0)
	s_sub_i32 s22, s7, s21
	v_cmp_gt_i32_e64 s20, s22, v19
	s_and_saveexec_b32 s6, s20
	s_cbranch_execz .LBB104_2
; %bb.1:
	v_mov_b32_e32 v26, 0
	v_lshlrev_b64 v[0:1], 1, v[25:26]
	v_add_co_u32 v0, vcc_lo, s8, v0
	v_add_co_ci_u32_e64 v1, null, s9, v1, vcc_lo
	global_load_ushort v2, v[0:1], off
	v_or_b32_e32 v0, 0x100, v19
.LBB104_2:
	s_or_b32 exec_lo, exec_lo, s6
	s_load_dwordx4 s[24:27], s[4:5], 0x8
	s_mov_b32 s4, exec_lo
	v_cmpx_gt_i32_e64 s22, v0
	s_cbranch_execz .LBB104_4
; %bb.3:
	v_add_nc_u32_e32 v3, s21, v0
	v_mov_b32_e32 v4, 0
	v_add_nc_u32_e32 v0, 0x100, v0
	v_lshlrev_b64 v[3:4], 1, v[3:4]
	v_add_co_u32 v3, vcc_lo, s8, v3
	v_add_co_ci_u32_e64 v4, null, s9, v4, vcc_lo
	global_load_ushort v20, v[3:4], off
.LBB104_4:
	s_or_b32 exec_lo, exec_lo, s4
	v_mov_b32_e32 v21, 0
	v_mov_b32_e32 v24, 0
	s_mov_b32 s4, exec_lo
	v_cmpx_gt_i32_e64 s22, v0
	s_cbranch_execz .LBB104_18
; %bb.5:
	v_add_nc_u32_e32 v3, s21, v0
	v_mov_b32_e32 v4, 0
	v_add_nc_u32_e32 v0, 0x100, v0
	v_lshlrev_b64 v[3:4], 1, v[3:4]
	v_add_co_u32 v3, vcc_lo, s8, v3
	v_add_co_ci_u32_e64 v4, null, s9, v4, vcc_lo
	global_load_ushort v24, v[3:4], off
	s_or_b32 exec_lo, exec_lo, s4
	s_mov_b32 s4, exec_lo
	v_cmpx_gt_i32_e64 s22, v0
	s_cbranch_execnz .LBB104_19
.LBB104_6:
	s_or_b32 exec_lo, exec_lo, s4
                                        ; implicit-def: $vgpr23
	s_and_saveexec_b32 s23, s20
	s_cbranch_execz .LBB104_8
.LBB104_7:
	s_waitcnt lgkmcnt(0)
	v_mov_b32_e32 v0, s24
	v_mov_b32_e32 v1, s25
	s_getpc_b64 s[4:5]
	s_add_u32 s4, s4, _ZN3c104guts5applyIRZZZN2at6native21polygamma_kernel_cudaERNS2_18TensorIteratorBaseElENKUlvE_clEvENKUlvE1_clEvEUlNS_4HalfEE_RSt5tupleIJS8_EEEEDaOT_OT0_@rel32@lo+4
	s_addc_u32 s5, s5, _ZN3c104guts5applyIRZZZN2at6native21polygamma_kernel_cudaERNS2_18TensorIteratorBaseElENKUlvE_clEvENKUlvE1_clEvEUlNS_4HalfEE_RSt5tupleIJS8_EEEEDaOT_OT0_@rel32@hi+12
	s_swappc_b64 s[30:31], s[4:5]
	v_mov_b32_e32 v23, v0
.LBB104_8:
	s_or_b32 exec_lo, exec_lo, s23
	s_mov_b32 s23, exec_lo
                                        ; implicit-def: $vgpr22
	v_cmpx_gt_i32_e64 s22, v27
	s_cbranch_execz .LBB104_10
; %bb.9:
	s_waitcnt lgkmcnt(0)
	v_mov_b32_e32 v0, s24
	v_mov_b32_e32 v1, s25
	s_waitcnt vmcnt(0)
	v_mov_b32_e32 v2, v20
	s_getpc_b64 s[4:5]
	s_add_u32 s4, s4, _ZN3c104guts5applyIRZZZN2at6native21polygamma_kernel_cudaERNS2_18TensorIteratorBaseElENKUlvE_clEvENKUlvE1_clEvEUlNS_4HalfEE_RSt5tupleIJS8_EEEEDaOT_OT0_@rel32@lo+4
	s_addc_u32 s5, s5, _ZN3c104guts5applyIRZZZN2at6native21polygamma_kernel_cudaERNS2_18TensorIteratorBaseElENKUlvE_clEvENKUlvE1_clEvEUlNS_4HalfEE_RSt5tupleIJS8_EEEEDaOT_OT0_@rel32@hi+12
	s_swappc_b64 s[30:31], s[4:5]
	v_mov_b32_e32 v22, v0
.LBB104_10:
	s_or_b32 exec_lo, exec_lo, s23
	v_or_b32_e32 v0, 0x200, v19
	s_mov_b32 s23, exec_lo
                                        ; implicit-def: $vgpr20
	v_cmpx_gt_i32_e64 s22, v0
	s_cbranch_execz .LBB104_12
; %bb.11:
	s_waitcnt lgkmcnt(0)
	v_mov_b32_e32 v0, s24
	v_mov_b32_e32 v1, s25
	s_waitcnt vmcnt(0)
	v_mov_b32_e32 v2, v24
	s_getpc_b64 s[4:5]
	s_add_u32 s4, s4, _ZN3c104guts5applyIRZZZN2at6native21polygamma_kernel_cudaERNS2_18TensorIteratorBaseElENKUlvE_clEvENKUlvE1_clEvEUlNS_4HalfEE_RSt5tupleIJS8_EEEEDaOT_OT0_@rel32@lo+4
	s_addc_u32 s5, s5, _ZN3c104guts5applyIRZZZN2at6native21polygamma_kernel_cudaERNS2_18TensorIteratorBaseElENKUlvE_clEvENKUlvE1_clEvEUlNS_4HalfEE_RSt5tupleIJS8_EEEEDaOT_OT0_@rel32@hi+12
	s_swappc_b64 s[30:31], s[4:5]
	v_mov_b32_e32 v20, v0
.LBB104_12:
	s_or_b32 exec_lo, exec_lo, s23
	v_or_b32_e32 v0, 0x300, v19
	v_cmp_gt_i32_e32 vcc_lo, s22, v0
                                        ; implicit-def: $vgpr0
	s_and_saveexec_b32 s23, vcc_lo
	s_cbranch_execz .LBB104_20
; %bb.13:
	s_waitcnt lgkmcnt(0)
	v_mov_b32_e32 v0, s24
	v_mov_b32_e32 v1, s25
	s_waitcnt vmcnt(0)
	v_mov_b32_e32 v2, v21
	s_getpc_b64 s[4:5]
	s_add_u32 s4, s4, _ZN3c104guts5applyIRZZZN2at6native21polygamma_kernel_cudaERNS2_18TensorIteratorBaseElENKUlvE_clEvENKUlvE1_clEvEUlNS_4HalfEE_RSt5tupleIJS8_EEEEDaOT_OT0_@rel32@lo+4
	s_addc_u32 s5, s5, _ZN3c104guts5applyIRZZZN2at6native21polygamma_kernel_cudaERNS2_18TensorIteratorBaseElENKUlvE_clEvENKUlvE1_clEvEUlNS_4HalfEE_RSt5tupleIJS8_EEEEDaOT_OT0_@rel32@hi+12
	s_swappc_b64 s[30:31], s[4:5]
	s_or_b32 exec_lo, exec_lo, s23
	s_and_saveexec_b32 s4, s20
	s_xor_b32 s4, exec_lo, s4
	s_cbranch_execnz .LBB104_21
.LBB104_14:
	s_or_b32 exec_lo, exec_lo, s4
	s_mov_b32 s4, exec_lo
	v_cmpx_gt_i32_e64 s22, v19
	s_cbranch_execz .LBB104_22
.LBB104_15:
	v_add_nc_u32_e32 v1, s21, v19
	s_waitcnt vmcnt(0)
	v_mov_b32_e32 v2, 0
	v_add_nc_u32_e32 v19, 0x100, v19
	v_lshlrev_b64 v[1:2], 1, v[1:2]
	s_waitcnt lgkmcnt(0)
	v_add_co_u32 v1, vcc_lo, s26, v1
	v_add_co_ci_u32_e64 v2, null, s27, v2, vcc_lo
	global_store_short v[1:2], v22, off
	s_or_b32 exec_lo, exec_lo, s4
	s_mov_b32 s4, exec_lo
	v_cmpx_gt_i32_e64 s22, v19
	s_cbranch_execnz .LBB104_23
.LBB104_16:
	s_or_b32 exec_lo, exec_lo, s4
	s_mov_b32 s4, exec_lo
	v_cmpx_gt_i32_e64 s22, v19
	s_cbranch_execz .LBB104_24
.LBB104_17:
	v_add_nc_u32_e32 v1, s21, v19
	s_waitcnt vmcnt(0)
	v_mov_b32_e32 v2, 0
	v_lshlrev_b64 v[1:2], 1, v[1:2]
	s_waitcnt lgkmcnt(0)
	v_add_co_u32 v1, vcc_lo, s26, v1
	v_add_co_ci_u32_e64 v2, null, s27, v2, vcc_lo
	global_store_short v[1:2], v0, off
	s_endpgm
.LBB104_18:
	s_or_b32 exec_lo, exec_lo, s4
	s_mov_b32 s4, exec_lo
	v_cmpx_gt_i32_e64 s22, v0
	s_cbranch_execz .LBB104_6
.LBB104_19:
	v_add_nc_u32_e32 v0, s21, v0
	v_mov_b32_e32 v1, 0
	v_lshlrev_b64 v[0:1], 1, v[0:1]
	v_add_co_u32 v0, vcc_lo, s8, v0
	v_add_co_ci_u32_e64 v1, null, s9, v1, vcc_lo
	global_load_ushort v21, v[0:1], off
	s_or_b32 exec_lo, exec_lo, s4
                                        ; implicit-def: $vgpr23
	s_and_saveexec_b32 s23, s20
	s_cbranch_execz .LBB104_8
	s_branch .LBB104_7
.LBB104_20:
	s_or_b32 exec_lo, exec_lo, s23
	s_and_saveexec_b32 s4, s20
	s_xor_b32 s4, exec_lo, s4
	s_cbranch_execz .LBB104_14
.LBB104_21:
	v_mov_b32_e32 v26, 0
	v_mov_b32_e32 v19, v27
	s_waitcnt vmcnt(0)
	v_lshlrev_b64 v[1:2], 1, v[25:26]
	s_waitcnt lgkmcnt(0)
	v_add_co_u32 v1, vcc_lo, s26, v1
	v_add_co_ci_u32_e64 v2, null, s27, v2, vcc_lo
	global_store_short v[1:2], v23, off
	s_or_b32 exec_lo, exec_lo, s4
	s_mov_b32 s4, exec_lo
	v_cmpx_gt_i32_e64 s22, v19
	s_cbranch_execnz .LBB104_15
.LBB104_22:
	s_or_b32 exec_lo, exec_lo, s4
	s_mov_b32 s4, exec_lo
	v_cmpx_gt_i32_e64 s22, v19
	s_cbranch_execz .LBB104_16
.LBB104_23:
	v_add_nc_u32_e32 v1, s21, v19
	s_waitcnt vmcnt(0)
	v_mov_b32_e32 v2, 0
	v_add_nc_u32_e32 v19, 0x100, v19
	v_lshlrev_b64 v[1:2], 1, v[1:2]
	s_waitcnt lgkmcnt(0)
	v_add_co_u32 v1, vcc_lo, s26, v1
	v_add_co_ci_u32_e64 v2, null, s27, v2, vcc_lo
	global_store_short v[1:2], v20, off
	s_or_b32 exec_lo, exec_lo, s4
	s_mov_b32 s4, exec_lo
	v_cmpx_gt_i32_e64 s22, v19
	s_cbranch_execnz .LBB104_17
.LBB104_24:
	s_endpgm
	.section	.rodata,"a",@progbits
	.p2align	6, 0x0
	.amdhsa_kernel _ZN2at6native27unrolled_elementwise_kernelIZZZNS0_21polygamma_kernel_cudaERNS_18TensorIteratorBaseElENKUlvE_clEvENKUlvE1_clEvEUlN3c104HalfEE_St5arrayIPcLm2EELi4E23TrivialOffsetCalculatorILi1EjESD_NS0_6memory15LoadWithoutCastENSE_16StoreWithoutCastEEEviT_T0_T2_T3_T4_T5_
		.amdhsa_group_segment_fixed_size 0
		.amdhsa_private_segment_fixed_size 0
		.amdhsa_kernarg_size 36
		.amdhsa_user_sgpr_count 6
		.amdhsa_user_sgpr_private_segment_buffer 1
		.amdhsa_user_sgpr_dispatch_ptr 0
		.amdhsa_user_sgpr_queue_ptr 0
		.amdhsa_user_sgpr_kernarg_segment_ptr 1
		.amdhsa_user_sgpr_dispatch_id 0
		.amdhsa_user_sgpr_flat_scratch_init 0
		.amdhsa_user_sgpr_private_segment_size 0
		.amdhsa_wavefront_size32 1
		.amdhsa_uses_dynamic_stack 0
		.amdhsa_system_sgpr_private_segment_wavefront_offset 0
		.amdhsa_system_sgpr_workgroup_id_x 1
		.amdhsa_system_sgpr_workgroup_id_y 0
		.amdhsa_system_sgpr_workgroup_id_z 0
		.amdhsa_system_sgpr_workgroup_info 0
		.amdhsa_system_vgpr_workitem_id 0
		.amdhsa_next_free_vgpr 28
		.amdhsa_next_free_sgpr 33
		.amdhsa_reserve_vcc 1
		.amdhsa_reserve_flat_scratch 0
		.amdhsa_float_round_mode_32 0
		.amdhsa_float_round_mode_16_64 0
		.amdhsa_float_denorm_mode_32 3
		.amdhsa_float_denorm_mode_16_64 3
		.amdhsa_dx10_clamp 1
		.amdhsa_ieee_mode 1
		.amdhsa_fp16_overflow 0
		.amdhsa_workgroup_processor_mode 1
		.amdhsa_memory_ordered 1
		.amdhsa_forward_progress 1
		.amdhsa_shared_vgpr_count 0
		.amdhsa_exception_fp_ieee_invalid_op 0
		.amdhsa_exception_fp_denorm_src 0
		.amdhsa_exception_fp_ieee_div_zero 0
		.amdhsa_exception_fp_ieee_overflow 0
		.amdhsa_exception_fp_ieee_underflow 0
		.amdhsa_exception_fp_ieee_inexact 0
		.amdhsa_exception_int_div_zero 0
	.end_amdhsa_kernel
	.section	.text._ZN2at6native27unrolled_elementwise_kernelIZZZNS0_21polygamma_kernel_cudaERNS_18TensorIteratorBaseElENKUlvE_clEvENKUlvE1_clEvEUlN3c104HalfEE_St5arrayIPcLm2EELi4E23TrivialOffsetCalculatorILi1EjESD_NS0_6memory15LoadWithoutCastENSE_16StoreWithoutCastEEEviT_T0_T2_T3_T4_T5_,"axG",@progbits,_ZN2at6native27unrolled_elementwise_kernelIZZZNS0_21polygamma_kernel_cudaERNS_18TensorIteratorBaseElENKUlvE_clEvENKUlvE1_clEvEUlN3c104HalfEE_St5arrayIPcLm2EELi4E23TrivialOffsetCalculatorILi1EjESD_NS0_6memory15LoadWithoutCastENSE_16StoreWithoutCastEEEviT_T0_T2_T3_T4_T5_,comdat
.Lfunc_end104:
	.size	_ZN2at6native27unrolled_elementwise_kernelIZZZNS0_21polygamma_kernel_cudaERNS_18TensorIteratorBaseElENKUlvE_clEvENKUlvE1_clEvEUlN3c104HalfEE_St5arrayIPcLm2EELi4E23TrivialOffsetCalculatorILi1EjESD_NS0_6memory15LoadWithoutCastENSE_16StoreWithoutCastEEEviT_T0_T2_T3_T4_T5_, .Lfunc_end104-_ZN2at6native27unrolled_elementwise_kernelIZZZNS0_21polygamma_kernel_cudaERNS_18TensorIteratorBaseElENKUlvE_clEvENKUlvE1_clEvEUlN3c104HalfEE_St5arrayIPcLm2EELi4E23TrivialOffsetCalculatorILi1EjESD_NS0_6memory15LoadWithoutCastENSE_16StoreWithoutCastEEEviT_T0_T2_T3_T4_T5_
                                        ; -- End function
	.set _ZN2at6native27unrolled_elementwise_kernelIZZZNS0_21polygamma_kernel_cudaERNS_18TensorIteratorBaseElENKUlvE_clEvENKUlvE1_clEvEUlN3c104HalfEE_St5arrayIPcLm2EELi4E23TrivialOffsetCalculatorILi1EjESD_NS0_6memory15LoadWithoutCastENSE_16StoreWithoutCastEEEviT_T0_T2_T3_T4_T5_.num_vgpr, max(28, .L_ZN3c104guts5applyIRZZZN2at6native21polygamma_kernel_cudaERNS2_18TensorIteratorBaseElENKUlvE_clEvENKUlvE1_clEvEUlNS_4HalfEE_RSt5tupleIJS8_EEEEDaOT_OT0_.num_vgpr)
	.set _ZN2at6native27unrolled_elementwise_kernelIZZZNS0_21polygamma_kernel_cudaERNS_18TensorIteratorBaseElENKUlvE_clEvENKUlvE1_clEvEUlN3c104HalfEE_St5arrayIPcLm2EELi4E23TrivialOffsetCalculatorILi1EjESD_NS0_6memory15LoadWithoutCastENSE_16StoreWithoutCastEEEviT_T0_T2_T3_T4_T5_.num_agpr, max(0, .L_ZN3c104guts5applyIRZZZN2at6native21polygamma_kernel_cudaERNS2_18TensorIteratorBaseElENKUlvE_clEvENKUlvE1_clEvEUlNS_4HalfEE_RSt5tupleIJS8_EEEEDaOT_OT0_.num_agpr)
	.set _ZN2at6native27unrolled_elementwise_kernelIZZZNS0_21polygamma_kernel_cudaERNS_18TensorIteratorBaseElENKUlvE_clEvENKUlvE1_clEvEUlN3c104HalfEE_St5arrayIPcLm2EELi4E23TrivialOffsetCalculatorILi1EjESD_NS0_6memory15LoadWithoutCastENSE_16StoreWithoutCastEEEviT_T0_T2_T3_T4_T5_.numbered_sgpr, max(33, .L_ZN3c104guts5applyIRZZZN2at6native21polygamma_kernel_cudaERNS2_18TensorIteratorBaseElENKUlvE_clEvENKUlvE1_clEvEUlNS_4HalfEE_RSt5tupleIJS8_EEEEDaOT_OT0_.numbered_sgpr)
	.set _ZN2at6native27unrolled_elementwise_kernelIZZZNS0_21polygamma_kernel_cudaERNS_18TensorIteratorBaseElENKUlvE_clEvENKUlvE1_clEvEUlN3c104HalfEE_St5arrayIPcLm2EELi4E23TrivialOffsetCalculatorILi1EjESD_NS0_6memory15LoadWithoutCastENSE_16StoreWithoutCastEEEviT_T0_T2_T3_T4_T5_.num_named_barrier, max(0, .L_ZN3c104guts5applyIRZZZN2at6native21polygamma_kernel_cudaERNS2_18TensorIteratorBaseElENKUlvE_clEvENKUlvE1_clEvEUlNS_4HalfEE_RSt5tupleIJS8_EEEEDaOT_OT0_.num_named_barrier)
	.set _ZN2at6native27unrolled_elementwise_kernelIZZZNS0_21polygamma_kernel_cudaERNS_18TensorIteratorBaseElENKUlvE_clEvENKUlvE1_clEvEUlN3c104HalfEE_St5arrayIPcLm2EELi4E23TrivialOffsetCalculatorILi1EjESD_NS0_6memory15LoadWithoutCastENSE_16StoreWithoutCastEEEviT_T0_T2_T3_T4_T5_.private_seg_size, 0+max(.L_ZN3c104guts5applyIRZZZN2at6native21polygamma_kernel_cudaERNS2_18TensorIteratorBaseElENKUlvE_clEvENKUlvE1_clEvEUlNS_4HalfEE_RSt5tupleIJS8_EEEEDaOT_OT0_.private_seg_size)
	.set _ZN2at6native27unrolled_elementwise_kernelIZZZNS0_21polygamma_kernel_cudaERNS_18TensorIteratorBaseElENKUlvE_clEvENKUlvE1_clEvEUlN3c104HalfEE_St5arrayIPcLm2EELi4E23TrivialOffsetCalculatorILi1EjESD_NS0_6memory15LoadWithoutCastENSE_16StoreWithoutCastEEEviT_T0_T2_T3_T4_T5_.uses_vcc, or(1, .L_ZN3c104guts5applyIRZZZN2at6native21polygamma_kernel_cudaERNS2_18TensorIteratorBaseElENKUlvE_clEvENKUlvE1_clEvEUlNS_4HalfEE_RSt5tupleIJS8_EEEEDaOT_OT0_.uses_vcc)
	.set _ZN2at6native27unrolled_elementwise_kernelIZZZNS0_21polygamma_kernel_cudaERNS_18TensorIteratorBaseElENKUlvE_clEvENKUlvE1_clEvEUlN3c104HalfEE_St5arrayIPcLm2EELi4E23TrivialOffsetCalculatorILi1EjESD_NS0_6memory15LoadWithoutCastENSE_16StoreWithoutCastEEEviT_T0_T2_T3_T4_T5_.uses_flat_scratch, or(0, .L_ZN3c104guts5applyIRZZZN2at6native21polygamma_kernel_cudaERNS2_18TensorIteratorBaseElENKUlvE_clEvENKUlvE1_clEvEUlNS_4HalfEE_RSt5tupleIJS8_EEEEDaOT_OT0_.uses_flat_scratch)
	.set _ZN2at6native27unrolled_elementwise_kernelIZZZNS0_21polygamma_kernel_cudaERNS_18TensorIteratorBaseElENKUlvE_clEvENKUlvE1_clEvEUlN3c104HalfEE_St5arrayIPcLm2EELi4E23TrivialOffsetCalculatorILi1EjESD_NS0_6memory15LoadWithoutCastENSE_16StoreWithoutCastEEEviT_T0_T2_T3_T4_T5_.has_dyn_sized_stack, or(0, .L_ZN3c104guts5applyIRZZZN2at6native21polygamma_kernel_cudaERNS2_18TensorIteratorBaseElENKUlvE_clEvENKUlvE1_clEvEUlNS_4HalfEE_RSt5tupleIJS8_EEEEDaOT_OT0_.has_dyn_sized_stack)
	.set _ZN2at6native27unrolled_elementwise_kernelIZZZNS0_21polygamma_kernel_cudaERNS_18TensorIteratorBaseElENKUlvE_clEvENKUlvE1_clEvEUlN3c104HalfEE_St5arrayIPcLm2EELi4E23TrivialOffsetCalculatorILi1EjESD_NS0_6memory15LoadWithoutCastENSE_16StoreWithoutCastEEEviT_T0_T2_T3_T4_T5_.has_recursion, or(0, .L_ZN3c104guts5applyIRZZZN2at6native21polygamma_kernel_cudaERNS2_18TensorIteratorBaseElENKUlvE_clEvENKUlvE1_clEvEUlNS_4HalfEE_RSt5tupleIJS8_EEEEDaOT_OT0_.has_recursion)
	.set _ZN2at6native27unrolled_elementwise_kernelIZZZNS0_21polygamma_kernel_cudaERNS_18TensorIteratorBaseElENKUlvE_clEvENKUlvE1_clEvEUlN3c104HalfEE_St5arrayIPcLm2EELi4E23TrivialOffsetCalculatorILi1EjESD_NS0_6memory15LoadWithoutCastENSE_16StoreWithoutCastEEEviT_T0_T2_T3_T4_T5_.has_indirect_call, or(0, .L_ZN3c104guts5applyIRZZZN2at6native21polygamma_kernel_cudaERNS2_18TensorIteratorBaseElENKUlvE_clEvENKUlvE1_clEvEUlNS_4HalfEE_RSt5tupleIJS8_EEEEDaOT_OT0_.has_indirect_call)
	.section	.AMDGPU.csdata,"",@progbits
; Kernel info:
; codeLenInByte = 1008
; TotalNumSgprs: 35
; NumVgprs: 28
; ScratchSize: 0
; MemoryBound: 0
; FloatMode: 240
; IeeeMode: 1
; LDSByteSize: 0 bytes/workgroup (compile time only)
; SGPRBlocks: 0
; VGPRBlocks: 3
; NumSGPRsForWavesPerEU: 35
; NumVGPRsForWavesPerEU: 28
; Occupancy: 16
; WaveLimiterHint : 0
; COMPUTE_PGM_RSRC2:SCRATCH_EN: 0
; COMPUTE_PGM_RSRC2:USER_SGPR: 6
; COMPUTE_PGM_RSRC2:TRAP_HANDLER: 0
; COMPUTE_PGM_RSRC2:TGID_X_EN: 1
; COMPUTE_PGM_RSRC2:TGID_Y_EN: 0
; COMPUTE_PGM_RSRC2:TGID_Z_EN: 0
; COMPUTE_PGM_RSRC2:TIDIG_COMP_CNT: 0
	.text
	.p2align	2                               ; -- Begin function _ZN2at6native6invokeIZZZNS0_21polygamma_kernel_cudaERNS_18TensorIteratorBaseElENKUlvE_clEvENKUlvE1_clEvEUlN3c104HalfEE_j15function_traitsIS8_EEENT1_11result_typeERKT_PrKPcPKT0_i
	.type	_ZN2at6native6invokeIZZZNS0_21polygamma_kernel_cudaERNS_18TensorIteratorBaseElENKUlvE_clEvENKUlvE1_clEvEUlN3c104HalfEE_j15function_traitsIS8_EEENT1_11result_typeERKT_PrKPcPKT0_i,@function
_ZN2at6native6invokeIZZZNS0_21polygamma_kernel_cudaERNS_18TensorIteratorBaseElENKUlvE_clEvENKUlvE1_clEvEUlN3c104HalfEE_j15function_traitsIS8_EEENT1_11result_typeERKT_PrKPcPKT0_i: ; @_ZN2at6native6invokeIZZZNS0_21polygamma_kernel_cudaERNS_18TensorIteratorBaseElENKUlvE_clEvENKUlvE1_clEvEUlN3c104HalfEE_j15function_traitsIS8_EEENT1_11result_typeERKT_PrKPcPKT0_i
; %bb.0:
	s_waitcnt vmcnt(0) expcnt(0) lgkmcnt(0)
	v_add_co_u32 v1, vcc_lo, v2, v4
	v_add_co_ci_u32_e64 v2, null, 0, v3, vcc_lo
	s_mov_b32 s5, exec_lo
	flat_load_ushort v5, v[1:2]
	v_cvt_f32_i32_e32 v1, v0
                                        ; implicit-def: $vgpr2
	v_cvt_f16_f32_e32 v1, v1
	v_add_f16_e32 v4, 1.0, v1
	v_cvt_f32_f16_e32 v1, v4
	v_and_b32_e32 v3, 0x7fffffff, v1
	v_cmpx_ngt_f32_e64 0x3c800000, |v1|
	s_xor_b32 s5, exec_lo, s5
	s_cbranch_execz .LBB105_30
; %bb.1:
	s_mov_b32 s6, exec_lo
                                        ; implicit-def: $vgpr2
	v_cmpx_nlt_f32_e64 |v1|, 2.0
	s_xor_b32 s6, exec_lo, s6
	s_cbranch_execz .LBB105_11
; %bb.2:
	v_cmp_ngt_f32_e64 s4, 0x41000000, |v1|
                                        ; implicit-def: $vgpr2
	s_and_saveexec_b32 s7, s4
	s_xor_b32 s4, exec_lo, s7
	s_cbranch_execz .LBB105_8
; %bb.3:
	v_cmp_ngt_f32_e64 s7, 0x5c800000, |v1|
                                        ; implicit-def: $vgpr2
	s_and_saveexec_b32 s8, s7
	s_xor_b32 s7, exec_lo, s8
	s_cbranch_execz .LBB105_5
; %bb.4:
	v_cmp_gt_f32_e64 s8, 0x800000, |v1|
	v_cndmask_b32_e64 v2, 0, 32, s8
	v_ldexp_f32 v2, |v1|, v2
	v_log_f32_e32 v2, v2
	v_mul_f32_e32 v6, 0x3f317217, v2
	v_cmp_gt_f32_e64 vcc_lo, 0x7f800000, |v2|
	v_fma_f32 v7, 0x3f317217, v2, -v6
	v_fmamk_f32 v7, v2, 0x3377d1cf, v7
	v_add_f32_e32 v6, v6, v7
	v_cndmask_b32_e32 v2, v2, v6, vcc_lo
	v_cndmask_b32_e64 v6, 0, 0x41b17218, s8
	v_sub_f32_e32 v2, v2, v6
	v_fma_f32 v2, |v1|, v2, -|v1|
.LBB105_5:
	s_andn2_saveexec_b32 s7, s7
	s_cbranch_execz .LBB105_7
; %bb.6:
	v_cmp_gt_f32_e64 s8, 0x800000, |v1|
	v_rcp_f32_e64 v6, |v1|
	s_mov_b32 s9, 0xbad5c4e8
	v_cndmask_b32_e64 v2, 0, 32, s8
	v_ldexp_f32 v2, |v1|, v2
	v_mul_f32_e32 v7, v6, v6
	v_log_f32_e32 v2, v2
	v_fmaak_f32 v9, s9, v7, 0x3a5b3dd2
	v_fmaak_f32 v9, v7, v9, 0xba1c065c
	v_mul_f32_e32 v8, 0x3f317217, v2
	v_fmaak_f32 v9, v7, v9, 0x3a500cfd
	v_cmp_gt_f32_e64 vcc_lo, 0x7f800000, |v2|
	v_fma_f32 v10, 0x3f317217, v2, -v8
	v_fmaak_f32 v9, v7, v9, 0xbb360b61
	v_fmamk_f32 v10, v2, 0x3377d1cf, v10
	v_fmaak_f32 v7, v7, v9, 0x3daaaaab
	v_add_f32_e32 v8, v8, v10
	v_cndmask_b32_e32 v2, v2, v8, vcc_lo
	v_cndmask_b32_e64 v8, 0, 0x41b17218, s8
	v_sub_f32_e32 v8, v2, v8
	v_fmaak_f32 v2, v6, v7, 0x3ed67f1d
	v_add_f32_e64 v6, |v1|, -0.5
	v_add_f32_e32 v7, -1.0, v8
	v_fmac_f32_e32 v2, v6, v7
.LBB105_7:
	s_or_b32 exec_lo, exec_lo, s7
.LBB105_8:
	s_andn2_saveexec_b32 s7, s4
	s_cbranch_execz .LBB105_10
; %bb.9:
	v_cvt_i32_f32_e32 v2, v3
	s_mov_b32 s4, 0x36f5d7bd
	s_mov_b32 s8, 0x3805ff67
	v_cvt_f32_i32_e32 v6, v2
	v_cmp_lt_i32_e32 vcc_lo, 2, v2
	v_sub_f32_e64 v6, |v1|, v6
	v_add_f32_e32 v7, 2.0, v6
	v_add_f32_e32 v8, 0x40400000, v6
	v_add_f32_e32 v9, 4.0, v6
	v_add_f32_e32 v10, 0x40a00000, v6
	v_cndmask_b32_e32 v7, 1.0, v7, vcc_lo
	v_cmp_lt_i32_e32 vcc_lo, 3, v2
	v_cndmask_b32_e32 v8, 1.0, v8, vcc_lo
	v_cmp_lt_i32_e32 vcc_lo, 4, v2
	v_mul_f32_e32 v7, v7, v8
	v_cndmask_b32_e32 v9, 1.0, v9, vcc_lo
	v_cmp_lt_i32_e32 vcc_lo, 5, v2
	v_add_f32_e32 v8, 0x40c00000, v6
	v_mul_f32_e32 v7, v9, v7
	v_cndmask_b32_e32 v10, 1.0, v10, vcc_lo
	v_cmp_lt_i32_e32 vcc_lo, 6, v2
	v_fmaak_f32 v9, s8, v6, 0x3af135b4
	v_mul_f32_e32 v7, v10, v7
	v_cndmask_b32_e32 v2, 1.0, v8, vcc_lo
	v_mul_f32_e32 v2, v2, v7
	v_fmaak_f32 v7, s4, v6, 0x3a4beed6
	v_cmp_gt_f32_e32 vcc_lo, 0x800000, v2
	v_fmaak_f32 v7, v6, v7, 0x3c98bf54
	v_cndmask_b32_e64 v8, 0, 32, vcc_lo
	v_fmaak_f32 v7, v6, v7, 0x3e300f6e
	v_ldexp_f32 v2, v2, v8
	v_fmaak_f32 v8, v6, v9, 0x3cda40e4
	v_fmaak_f32 v7, v6, v7, 0x3f38d0c5
	v_log_f32_e32 v2, v2
	v_fmaak_f32 v8, v6, v8, 0x3e15dce6
	v_fmaak_f32 v7, v6, v7, 0x3fb22d3b
	v_fmaak_f32 v8, v6, v8, 0x3ea6cc7a
	v_fma_f32 v7, v6, v7, 1.0
	v_mul_f32_e32 v9, 0x3f317217, v2
	v_fmaak_f32 v8, v6, v8, 0x3e5c245a
	v_rcp_f32_e32 v7, v7
	v_cmp_gt_f32_e64 s4, 0x7f800000, |v2|
	v_fma_f32 v10, 0x3f317217, v2, -v9
	v_fmaak_f32 v8, v6, v8, 0xbd9e233f
	v_fmamk_f32 v10, v2, 0x3377d1cf, v10
	v_mul_f32_e32 v8, v6, v8
	v_add_f32_e32 v9, v9, v10
	v_mul_f32_e32 v7, v8, v7
	v_cndmask_b32_e64 v8, 0, 0x41b17218, vcc_lo
	v_cndmask_b32_e64 v2, v2, v9, s4
	v_fmac_f32_e32 v7, 0.5, v6
	v_sub_f32_e32 v2, v2, v8
	v_add_f32_e32 v2, v2, v7
.LBB105_10:
	s_or_b32 exec_lo, exec_lo, s7
.LBB105_11:
	s_andn2_saveexec_b32 s6, s6
	s_cbranch_execz .LBB105_29
; %bb.12:
	s_mov_b32 s7, exec_lo
                                        ; implicit-def: $vgpr2
                                        ; implicit-def: $vgpr7
                                        ; implicit-def: $vgpr6
	v_cmpx_ge_f32_e64 0x3f666666, |v1|
	s_xor_b32 s7, exec_lo, s7
	s_cbranch_execz .LBB105_14
; %bb.13:
	v_cmp_gt_f32_e64 s4, 0x800000, |v1|
	v_sub_f32_e64 v8, 1.0, |v1|
	v_cmp_gt_f32_e64 vcc_lo, 0x3f3b4a23, |v1|
	v_cndmask_b32_e64 v2, 0, 32, s4
	v_cndmask_b32_e64 v9, 0, 0x41b17218, s4
	v_ldexp_f32 v2, |v1|, v2
	v_log_f32_e32 v2, v2
	v_mul_f32_e32 v6, 0x3f317217, v2
	v_cmp_gt_f32_e64 s4, 0x7f800000, |v2|
	v_fma_f32 v7, 0x3f317217, v2, -v6
	v_fmamk_f32 v7, v2, 0x3377d1cf, v7
	v_add_f32_e32 v6, v6, v7
	v_add_f32_e64 v7, 0xbeec5b0c, |v1|
	v_cndmask_b32_e64 v2, v2, v6, s4
	v_cndmask_b32_e32 v6, v8, v7, vcc_lo
	v_cndmask_b32_e64 v7, 0, 1, vcc_lo
	v_cmp_gt_f32_e64 s4, 0x3e6d3309, |v1|
	v_sub_f32_e32 v2, v2, v9
	v_cndmask_b32_e64 v6, v6, |v1|, s4
	v_cndmask_b32_e64 v7, v7, 2, s4
	v_xor_b32_e32 v2, 0x80000000, v2
.LBB105_14:
	s_andn2_saveexec_b32 s4, s7
	s_cbranch_execz .LBB105_16
; %bb.15:
	v_sub_f32_e64 v2, 2.0, |v1|
	v_add_f32_e64 v6, 0xbfbb16c3, |v1|
	v_cmp_gt_f32_e64 vcc_lo, 0x3fdda512, |v1|
	v_add_f32_e64 v7, |v1|, -1.0
	v_cndmask_b32_e32 v6, v2, v6, vcc_lo
	v_cndmask_b32_e64 v2, v2, 1.0, vcc_lo
	v_cmp_gt_f32_e64 vcc_lo, 0x3f9d70a4, |v1|
	v_cvt_i32_f32_e32 v2, v2
	v_cndmask_b32_e32 v6, v6, v7, vcc_lo
	v_cndmask_b32_e64 v7, v2, 2, vcc_lo
	v_mov_b32_e32 v2, 0
.LBB105_16:
	s_or_b32 exec_lo, exec_lo, s4
	s_mov_b32 s4, exec_lo
	v_cmpx_lt_i32_e32 0, v7
	s_xor_b32 s4, exec_lo, s4
	s_cbranch_execz .LBB105_24
; %bb.17:
	s_mov_b32 s7, exec_lo
	v_cmpx_lt_i32_e32 1, v7
	s_xor_b32 s7, exec_lo, s7
	s_cbranch_execz .LBB105_21
; %bb.18:
	s_mov_b32 s8, exec_lo
	v_cmpx_eq_u32_e32 2, v7
	s_cbranch_execz .LBB105_20
; %bb.19:
	s_mov_b32 s9, 0x3b52d5db
	v_fmaak_f32 v7, s9, v6, 0x3dd572af
	s_mov_b32 s9, 0x3c5b3c5e
	v_fmaak_f32 v8, s9, v6, 0x3e6a7578
	v_fmaak_f32 v7, v6, v7, 0x3f44efdf
	v_fmaak_f32 v8, v6, v8, 0x3f7a4bb2
	v_fmaak_f32 v7, v6, v7, 0x4008392d
	v_fmaak_f32 v8, v6, v8, 0x3fba3ae7
	v_fmaak_f32 v7, v6, v7, 0x401d2ebe
	v_fmaak_f32 v8, v6, v8, 0x3f2200f4
	v_fma_f32 v7, v6, v7, 1.0
	v_fmaak_f32 v8, v6, v8, 0xbd9e233f
	v_rcp_f32_e32 v7, v7
	v_mul_f32_e32 v8, v6, v8
	v_mul_f32_e32 v7, v8, v7
	v_fmac_f32_e32 v7, -0.5, v6
	v_add_f32_e32 v2, v2, v7
.LBB105_20:
	s_or_b32 exec_lo, exec_lo, s8
                                        ; implicit-def: $vgpr6
.LBB105_21:
	s_andn2_saveexec_b32 s7, s7
	s_cbranch_execz .LBB105_23
; %bb.22:
	v_mul_f32_e32 v7, v6, v6
	s_mov_b32 s8, 0xb9a3f927
	s_mov_b32 s9, 0x39afe9f7
	v_mul_f32_e32 v8, v6, v7
	v_fmaak_f32 v9, s8, v8, 0x3a66f867
	v_fmaak_f32 v10, s9, v8, 0xba0d3085
	s_mov_b32 s8, 0x39a57b6b
	v_fmaak_f32 v11, s8, v8, 0xbab7f476
	v_fmaak_f32 v9, v8, v9, 0xbb7177fe
	;; [unrolled: 1-line block ×9, first 2 shown]
	v_fmac_f32_e32 v9, v6, v10
	v_fmaak_f32 v6, v8, v11, 0x3ef7b95e
	v_fma_f32 v8, v8, -v9, 0xa2863e55
	v_fma_f32 v6, v7, v6, -v8
	v_add_f32_e32 v6, 0xbdf8cdce, v6
	v_add_f32_e32 v2, v2, v6
.LBB105_23:
	s_or_b32 exec_lo, exec_lo, s7
                                        ; implicit-def: $vgpr7
                                        ; implicit-def: $vgpr6
.LBB105_24:
	s_andn2_saveexec_b32 s4, s4
	s_cbranch_execz .LBB105_28
; %bb.25:
	s_mov_b32 s7, exec_lo
	v_cmpx_eq_u32_e32 0, v7
	s_cbranch_execz .LBB105_27
; %bb.26:
	v_mul_f32_e32 v7, v6, v6
	s_mov_b32 s8, 0x383c2c75
	v_fmaak_f32 v8, s8, v7, 0x38e28445
	s_mov_b32 s8, 0x37d383a2
	v_fmaak_f32 v9, s8, v7, 0x39679767
	v_fmaak_f32 v8, v7, v8, 0x3a05b634
	v_fmaak_f32 v9, v7, v9, 0x3a9c54a1
	v_fmaak_f32 v8, v7, v8, 0x3b3d6ec6
	v_fmaak_f32 v9, v7, v9, 0x3bf2027e
	v_fmaak_f32 v8, v7, v8, 0x3ca89915
	v_fmaak_f32 v9, v7, v9, 0x3d89f001
	v_fmaak_f32 v8, v7, v8, 0x3ea51a66
	v_fmaak_f32 v9, v7, v9, 0x3d9e233f
	v_mul_f32_e32 v7, v7, v8
	v_fmac_f32_e32 v7, v6, v9
	v_fmac_f32_e32 v7, -0.5, v6
	v_add_f32_e32 v2, v2, v7
.LBB105_27:
	s_or_b32 exec_lo, exec_lo, s7
.LBB105_28:
	s_or_b32 exec_lo, exec_lo, s4
.LBB105_29:
	s_or_b32 exec_lo, exec_lo, s6
.LBB105_30:
	s_andn2_saveexec_b32 s4, s5
	s_cbranch_execz .LBB105_32
; %bb.31:
	v_cmp_gt_f32_e64 s5, 0x800000, |v1|
	s_mov_b32 s6, 0x3e8a8991
	v_fma_f32 v8, |v1|, s6, 0xbecd26ab
	v_cndmask_b32_e64 v2, 0, 32, s5
	v_ldexp_f32 v2, |v1|, v2
	v_log_f32_e32 v2, v2
	v_mul_f32_e32 v6, 0x3f317217, v2
	v_cmp_gt_f32_e64 vcc_lo, 0x7f800000, |v2|
	v_fma_f32 v7, 0x3f317217, v2, -v6
	v_fmamk_f32 v7, v2, 0x3377d1cf, v7
	v_add_f32_e32 v6, v6, v7
	v_fma_f32 v7, |v1|, v8, 0x3f528d33
	v_cndmask_b32_e32 v2, v2, v6, vcc_lo
	v_cndmask_b32_e64 v6, 0, 0x41b17218, s5
	v_fma_f32 v7, |v1|, v7, 0xbf13c468
	v_sub_f32_e32 v2, v2, v6
	v_fma_f32 v2, |v1|, v7, -v2
.LBB105_32:
	s_or_b32 exec_lo, exec_lo, s4
	v_cmp_le_f16_e64 s4, 0, v4
	s_mov_b32 s5, exec_lo
	v_cmpx_nle_f16_e32 0, v4
	s_xor_b32 s6, exec_lo, s5
	s_cbranch_execz .LBB105_36
; %bb.33:
	v_cmp_gt_f32_e64 s5, 0x4b000000, |v1|
	v_cmp_lt_f32_e64 s7, 0x35000000, |v1|
	s_and_b32 s5, s5, s7
	s_and_saveexec_b32 s7, s5
	s_cbranch_execz .LBB105_35
; %bb.34:
	v_mul_f32_e64 v4, |v1|, 0.5
	v_cmp_gt_f32_e64 s5, |v1|, 1.0
	s_mov_b32 s8, 0x3d4be544
	v_xor_b32_e32 v3, v3, v1
	v_fract_f32_e32 v6, v4
	v_cmp_neq_f32_e32 vcc_lo, 0x7f800000, v4
	v_add_f32_e32 v6, v6, v6
	v_cndmask_b32_e32 v4, 0, v6, vcc_lo
	v_cndmask_b32_e64 v4, |v1|, v4, s5
	s_mov_b32 s5, 0x3e75aa41
	v_add_f32_e32 v6, v4, v4
	v_rndne_f32_e32 v6, v6
	v_fmac_f32_e32 v4, -0.5, v6
	v_cvt_i32_f32_e32 v6, v6
	v_mul_f32_e32 v7, v4, v4
	v_fmaak_f32 v8, s5, v7, 0xbf1f24be
	v_fmaak_f32 v9, s8, v7, 0x3e642e9d
	v_mul_f32_e32 v10, v4, v7
	v_fmaak_f32 v8, v7, v8, 0x40234736
	v_fmaak_f32 v9, v7, v9, 0xbfaad1da
	;; [unrolled: 1-line block ×4, first 2 shown]
	v_mul_f32_e32 v8, v10, v8
	v_fmaak_f32 v9, v7, v9, 0xc09de9e6
	v_and_b32_e32 v10, 1, v6
	v_lshlrev_b32_e32 v6, 30, v6
	v_fmamk_f32 v4, v4, 0x40490fdb, v8
	v_fma_f32 v7, v7, v9, 1.0
	v_cmp_eq_u32_e32 vcc_lo, 0, v10
	v_and_b32_e32 v6, 0x80000000, v6
	v_cndmask_b32_e32 v4, v7, v4, vcc_lo
	v_xor3_b32 v3, v3, v6, v4
	v_mul_f32_e32 v3, v1, v3
	v_frexp_mant_f32_e64 v4, |v3|
	v_frexp_exp_i32_f32_e32 v3, v3
	v_rcp_f32_e32 v4, v4
	v_sub_nc_u32_e32 v3, 2, v3
	v_mul_f32_e32 v4, 0x3f490fdb, v4
	v_ldexp_f32 v3, v4, v3
	v_cmp_gt_f32_e32 vcc_lo, 0x800000, v3
	v_cndmask_b32_e64 v4, 0, 32, vcc_lo
	v_ldexp_f32 v3, v3, v4
	v_log_f32_e32 v3, v3
	v_mul_f32_e32 v4, 0x3f317217, v3
	v_cmp_gt_f32_e64 s5, 0x7f800000, |v3|
	v_fma_f32 v6, 0x3f317217, v3, -v4
	v_fmamk_f32 v6, v3, 0x3377d1cf, v6
	v_add_f32_e32 v4, v4, v6
	v_cndmask_b32_e64 v3, v3, v4, s5
	v_cndmask_b32_e64 v4, 0, 0x41b17218, vcc_lo
	v_sub_f32_e32 v3, v3, v4
	v_fract_f32_e32 v4, v1
	v_sub_f32_e32 v2, v3, v2
	v_cmp_neq_f32_e32 vcc_lo, 0, v4
	v_cndmask_b32_e32 v2, 0x7f800000, v2, vcc_lo
.LBB105_35:
	s_or_b32 exec_lo, exec_lo, s7
                                        ; implicit-def: $vgpr4
.LBB105_36:
	s_andn2_saveexec_b32 s6, s6
; %bb.37:
	v_cmp_eq_f16_e32 vcc_lo, 1.0, v4
	v_cmp_eq_f16_e64 s5, 2.0, v4
	s_or_b32 s5, vcc_lo, s5
	v_cndmask_b32_e64 v2, v2, 0, s5
; %bb.38:
	s_or_b32 exec_lo, exec_lo, s6
	v_add_nc_u32_e32 v3, 1, v0
	v_mov_b32_e32 v8, 0x7c00
	s_mov_b32 s8, exec_lo
	v_cvt_f32_i32_e32 v3, v3
	v_cvt_f16_f32_e32 v6, v3
	v_cmpx_neq_f16_e32 1.0, v6
	s_cbranch_execz .LBB105_66
; %bb.39:
	v_mov_b32_e32 v8, 0x7e00
	s_mov_b32 s6, -1
	s_mov_b32 s9, exec_lo
	v_cmpx_lt_i32_e32 -1, v0
	s_cbranch_execz .LBB105_65
; %bb.40:
	v_cvt_f32_f16_e32 v3, v6
	s_waitcnt vmcnt(0) lgkmcnt(0)
	v_cvt_f32_f16_e32 v4, v5
	s_mov_b32 s7, 0
	s_mov_b32 s5, exec_lo
                                        ; implicit-def: $vgpr8
	v_cmpx_ge_f16_e32 0, v5
	s_cbranch_execz .LBB105_44
; %bb.41:
	v_floor_f32_e32 v7, v4
	v_mov_b32_e32 v8, 0x7c00
	s_mov_b32 s6, exec_lo
	v_cmpx_neq_f32_e32 v7, v4
; %bb.42:
	v_floor_f32_e32 v7, v3
	v_mov_b32_e32 v8, 0x7e00
	v_cmp_eq_f32_e32 vcc_lo, v7, v3
	s_and_b32 s7, vcc_lo, exec_lo
; %bb.43:
	s_or_b32 exec_lo, exec_lo, s6
	s_orn2_b32 s6, s7, exec_lo
.LBB105_44:
	s_or_b32 exec_lo, exec_lo, s5
	s_and_saveexec_b32 s10, s6
	s_cbranch_execz .LBB105_64
; %bb.45:
	v_frexp_mant_f32_e64 v7, |v4|
	s_mov_b32 s11, 0x3e76c4e1
	v_cvt_f32_f16_e64 v6, -v6
	v_cmp_lt_f32_e64 s12, |v4|, 1.0
	s_mov_b32 s16, 0
	v_cmp_gt_f32_e32 vcc_lo, 0x3f2aaaab, v7
                                        ; implicit-def: $sgpr15
                                        ; implicit-def: $sgpr14
	v_cndmask_b32_e64 v8, 1.0, 2.0, vcc_lo
	v_mul_f32_e32 v7, v7, v8
	v_add_f32_e32 v8, 1.0, v7
	v_add_f32_e32 v10, -1.0, v7
	v_rcp_f32_e32 v9, v8
	v_add_f32_e32 v12, -1.0, v8
	v_sub_f32_e32 v7, v7, v12
	v_mul_f32_e32 v11, v10, v9
	v_mul_f32_e32 v13, v8, v11
	v_fma_f32 v8, v11, v8, -v13
	v_fmac_f32_e32 v8, v11, v7
	v_add_f32_e32 v7, v13, v8
	v_sub_f32_e32 v12, v10, v7
	v_sub_f32_e32 v13, v7, v13
	v_sub_f32_e32 v10, v10, v12
	v_sub_f32_e32 v8, v13, v8
	v_sub_f32_e32 v7, v10, v7
	v_add_f32_e32 v7, v8, v7
	v_add_f32_e32 v7, v12, v7
	v_mul_f32_e32 v7, v9, v7
	v_add_f32_e32 v9, v11, v7
	v_sub_f32_e32 v8, v9, v11
	v_mul_f32_e32 v10, v9, v9
	v_sub_f32_e32 v11, v7, v8
	v_fma_f32 v7, v9, v9, -v10
	v_add_f32_e32 v8, v11, v11
	v_fmac_f32_e32 v7, v9, v8
	v_add_f32_e32 v12, v10, v7
	v_fmaak_f32 v8, s11, v12, 0x3e91f4c4
	v_sub_f32_e32 v10, v12, v10
	v_mul_f32_e32 v17, v9, v12
	v_fmaak_f32 v8, v12, v8, 0x3ecccdef
	v_sub_f32_e32 v10, v7, v10
	v_fma_f32 v18, v12, v9, -v17
	v_mul_f32_e32 v13, v12, v8
	v_fmac_f32_e32 v18, v12, v11
	v_ldexp_f32 v11, v11, 1
	v_fma_f32 v14, v12, v8, -v13
	v_fmac_f32_e32 v18, v10, v9
	v_fmac_f32_e32 v14, v10, v8
	v_cvt_f64_f32_e64 v[7:8], |v4|
	v_add_f32_e32 v15, v13, v14
	v_sub_f32_e32 v13, v15, v13
	v_add_f32_e32 v16, 0x3f2aaaaa, v15
	v_sub_f32_e32 v13, v14, v13
	v_add_f32_e32 v14, 0xbf2aaaaa, v16
	v_add_f32_e32 v13, 0x31739010, v13
	v_sub_f32_e32 v14, v15, v14
	v_frexp_exp_i32_f64_e32 v7, v[7:8]
	v_add_f32_e32 v12, v13, v14
	v_add_f32_e32 v13, v17, v18
	;; [unrolled: 1-line block ×3, first 2 shown]
	v_sub_f32_e32 v15, v13, v17
	v_sub_f32_e32 v8, v16, v10
	v_mul_f32_e32 v14, v13, v10
	v_sub_f32_e32 v15, v18, v15
	v_add_f32_e32 v8, v12, v8
	v_fma_f32 v12, v13, v10, -v14
	v_subrev_co_ci_u32_e64 v7, null, 0, v7, vcc_lo
	v_fmac_f32_e32 v12, v13, v8
	v_ldexp_f32 v8, v9, 1
	v_cmp_neq_f16_e32 vcc_lo, 1.0, v5
	v_cvt_f32_i32_e32 v7, v7
	v_fmac_f32_e32 v12, v15, v10
	v_add_f32_e32 v9, v14, v12
	v_add_f32_e32 v10, v8, v9
	v_sub_f32_e32 v13, v9, v14
	v_mul_f32_e32 v14, 0x3f317218, v7
	v_sub_f32_e32 v8, v10, v8
	v_sub_f32_e32 v12, v12, v13
	v_fma_f32 v13, 0x3f317218, v7, -v14
	v_sub_f32_e32 v8, v9, v8
	v_add_f32_e32 v9, v11, v12
	v_fmac_f32_e32 v13, 0xb102e308, v7
	v_add_f32_e32 v7, v9, v8
	v_add_f32_e32 v8, v14, v13
	;; [unrolled: 1-line block ×3, first 2 shown]
	v_sub_f32_e32 v14, v8, v14
	v_add_f32_e32 v11, v8, v9
	v_sub_f32_e32 v10, v9, v10
	v_sub_f32_e32 v13, v13, v14
	v_sub_f32_e32 v12, v11, v8
	v_sub_f32_e32 v7, v7, v10
	v_sub_f32_e32 v15, v11, v12
	v_sub_f32_e32 v9, v9, v12
	v_add_f32_e32 v10, v13, v7
	v_sub_f32_e32 v8, v8, v15
	v_add_f32_e32 v8, v9, v8
	v_sub_f32_e32 v9, v10, v13
	;; [unrolled: 2-line block ×3, first 2 shown]
	v_sub_f32_e32 v7, v7, v9
	v_add_f32_e32 v12, v11, v8
	v_sub_f32_e32 v9, v13, v10
	v_sub_f32_e32 v10, v12, v11
	v_add_f32_e32 v7, v7, v9
	v_cndmask_b32_e32 v9, 1.0, v6, vcc_lo
	v_sub_f32_e32 v8, v8, v10
	v_cmp_neq_f32_e64 s13, v9, |v9|
	v_cmp_gt_f32_e64 s7, 0, v9
	v_add_f32_e32 v7, v7, v8
	s_xor_b32 s12, s12, s13
                                        ; implicit-def: $sgpr13
	v_add_f32_e32 v8, v12, v7
	v_sub_f32_e32 v10, v8, v12
	v_mul_f32_e32 v11, v9, v8
	v_sub_f32_e32 v7, v7, v10
	v_fma_f32 v8, v9, v8, -v11
	v_cmp_class_f32_e64 vcc_lo, v11, 0x204
	v_fmac_f32_e32 v8, v9, v7
	v_add_f32_e32 v7, v11, v8
	v_cndmask_b32_e32 v10, v7, v11, vcc_lo
	v_sub_f32_e32 v7, v7, v11
	v_cmp_eq_f32_e32 vcc_lo, 0x42b17218, v10
	v_sub_f32_e32 v7, v8, v7
	v_cndmask_b32_e64 v12, 0, 0x37000000, vcc_lo
	v_cmp_neq_f32_e64 vcc_lo, 0x7f800000, |v10|
	v_sub_f32_e32 v13, v10, v12
	v_cndmask_b32_e32 v7, 0, v7, vcc_lo
	v_trunc_f32_e32 v10, v9
	v_mul_f32_e32 v14, 0x3fb8aa3b, v13
	v_cmp_ngt_f32_e32 vcc_lo, 0xc2ce8ed0, v13
	v_add_f32_e32 v7, v12, v7
	v_fma_f32 v15, 0x3fb8aa3b, v13, -v14
	v_rndne_f32_e32 v16, v14
	v_fmac_f32_e32 v15, 0x32a5705f, v13
	v_sub_f32_e32 v14, v14, v16
	v_cvt_i32_f32_e32 v11, v16
	v_add_f32_e32 v14, v14, v15
	v_exp_f32_e32 v14, v14
	v_ldexp_f32 v8, v14, v11
	v_mul_f32_e32 v11, 0.5, v9
	v_cndmask_b32_e32 v8, 0, v8, vcc_lo
	v_cmp_nlt_f32_e32 vcc_lo, 0x42b17218, v13
	v_trunc_f32_e32 v14, v11
	v_cndmask_b32_e32 v8, 0x7f800000, v8, vcc_lo
	v_cmp_eq_f32_e32 vcc_lo, v10, v9
	v_cmp_neq_f32_e64 s5, v14, v11
	v_fma_f32 v7, v8, v7, v8
	v_cmp_class_f32_e64 s6, v8, 0x204
	s_and_b32 s5, vcc_lo, s5
	v_cndmask_b32_e64 v10, 1.0, v4, s5
	v_cndmask_b32_e64 v7, v7, v8, s6
	v_cndmask_b32_e64 v8, 0x7f800000, 0, s12
	v_cmp_eq_f16_e64 s6, 0, v5
	s_mov_b32 s12, 0
	v_bfi_b32 v7, 0x7fffffff, v7, v10
	s_xor_b32 s7, s6, s7
	v_cndmask_b32_e64 v11, 0x7f800000, 0, s7
	v_cndmask_b32_e32 v10, 0x7fc00000, v7, vcc_lo
	v_cmp_neq_f32_e64 vcc_lo, |v4|, 1.0
	v_cndmask_b32_e32 v8, 1.0, v8, vcc_lo
	v_cmp_gt_f16_e32 vcc_lo, 0, v5
	v_cndmask_b32_e32 v7, v7, v10, vcc_lo
	v_cndmask_b32_e64 v10, 0, v4, s5
	v_cmp_class_f32_e64 vcc_lo, v9, 0x204
	v_cmp_class_f32_e64 s5, v4, 0x204
	v_cndmask_b32_e32 v7, v7, v8, vcc_lo
	v_bfi_b32 v8, 0x7fffffff, v11, v10
	s_or_b32 vcc_lo, s6, s5
	v_cndmask_b32_e32 v7, v7, v8, vcc_lo
	v_cmp_o_f16_e32 vcc_lo, v5, v5
	v_cndmask_b32_e32 v5, 0x7fc00000, v7, vcc_lo
	s_branch .LBB105_47
.LBB105_46:                             ;   in Loop: Header=BB105_47 Depth=1
	s_or_b32 exec_lo, exec_lo, s5
	s_and_b32 s5, exec_lo, s15
	s_or_b32 s12, s5, s12
	s_andn2_b32 s5, s13, exec_lo
	s_and_b32 s6, s14, exec_lo
	s_or_b32 s13, s5, s6
	s_andn2_b32 exec_lo, exec_lo, s12
	s_cbranch_execz .LBB105_49
.LBB105_47:                             ; =>This Inner Loop Header: Depth=1
	v_add_f32_e32 v4, 1.0, v4
	s_or_b32 s14, s14, exec_lo
	s_or_b32 s15, s15, exec_lo
	v_frexp_mant_f32_e64 v7, |v4|
	v_cmp_lt_f32_e64 s17, |v4|, 1.0
	v_cmp_gt_f32_e32 vcc_lo, 0x3f2aaaab, v7
	v_cndmask_b32_e64 v8, 1.0, 2.0, vcc_lo
	v_mul_f32_e32 v7, v7, v8
	v_add_f32_e32 v8, 1.0, v7
	v_add_f32_e32 v10, -1.0, v7
	v_rcp_f32_e32 v9, v8
	v_add_f32_e32 v12, -1.0, v8
	v_sub_f32_e32 v7, v7, v12
	v_mul_f32_e32 v11, v10, v9
	v_mul_f32_e32 v13, v8, v11
	v_fma_f32 v8, v11, v8, -v13
	v_fmac_f32_e32 v8, v11, v7
	v_add_f32_e32 v7, v13, v8
	v_sub_f32_e32 v12, v10, v7
	v_sub_f32_e32 v13, v7, v13
	;; [unrolled: 1-line block ×5, first 2 shown]
	v_add_f32_e32 v7, v8, v7
	v_add_f32_e32 v7, v12, v7
	v_mul_f32_e32 v7, v9, v7
	v_add_f32_e32 v9, v11, v7
	v_sub_f32_e32 v8, v9, v11
	v_mul_f32_e32 v10, v9, v9
	v_sub_f32_e32 v11, v7, v8
	v_fma_f32 v7, v9, v9, -v10
	v_add_f32_e32 v8, v11, v11
	v_fmac_f32_e32 v7, v9, v8
	v_add_f32_e32 v12, v10, v7
	v_fmaak_f32 v8, s11, v12, 0x3e91f4c4
	v_sub_f32_e32 v10, v12, v10
	v_mul_f32_e32 v17, v9, v12
	v_fmaak_f32 v8, v12, v8, 0x3ecccdef
	v_sub_f32_e32 v10, v7, v10
	v_fma_f32 v18, v12, v9, -v17
	v_mul_f32_e32 v13, v12, v8
	v_fmac_f32_e32 v18, v12, v11
	v_ldexp_f32 v11, v11, 1
	v_fma_f32 v14, v12, v8, -v13
	v_fmac_f32_e32 v18, v10, v9
	v_fmac_f32_e32 v14, v10, v8
	v_cvt_f64_f32_e64 v[7:8], |v4|
	v_add_f32_e32 v15, v13, v14
	v_sub_f32_e32 v13, v15, v13
	v_add_f32_e32 v16, 0x3f2aaaaa, v15
	v_sub_f32_e32 v13, v14, v13
	v_add_f32_e32 v14, 0xbf2aaaaa, v16
	v_add_f32_e32 v13, 0x31739010, v13
	v_sub_f32_e32 v14, v15, v14
	v_frexp_exp_i32_f64_e32 v7, v[7:8]
	v_add_f32_e32 v12, v13, v14
	v_add_f32_e32 v13, v17, v18
	;; [unrolled: 1-line block ×3, first 2 shown]
	v_sub_f32_e32 v15, v13, v17
	v_sub_f32_e32 v8, v16, v10
	v_mul_f32_e32 v14, v13, v10
	v_sub_f32_e32 v15, v18, v15
	v_add_f32_e32 v8, v12, v8
	v_fma_f32 v12, v13, v10, -v14
	v_subrev_co_ci_u32_e64 v7, null, 0, v7, vcc_lo
	v_fmac_f32_e32 v12, v13, v8
	v_ldexp_f32 v8, v9, 1
	v_cmp_neq_f32_e32 vcc_lo, 1.0, v4
	v_cvt_f32_i32_e32 v7, v7
	v_fmac_f32_e32 v12, v15, v10
	v_add_f32_e32 v9, v14, v12
	v_add_f32_e32 v10, v8, v9
	v_sub_f32_e32 v13, v9, v14
	v_mul_f32_e32 v14, 0x3f317218, v7
	v_sub_f32_e32 v8, v10, v8
	v_sub_f32_e32 v12, v12, v13
	v_fma_f32 v13, 0x3f317218, v7, -v14
	v_sub_f32_e32 v8, v9, v8
	v_add_f32_e32 v9, v11, v12
	v_fmac_f32_e32 v13, 0xb102e308, v7
	v_add_f32_e32 v7, v9, v8
	v_add_f32_e32 v8, v14, v13
	;; [unrolled: 1-line block ×3, first 2 shown]
	v_sub_f32_e32 v14, v8, v14
	v_add_f32_e32 v11, v8, v9
	v_sub_f32_e32 v10, v9, v10
	v_sub_f32_e32 v13, v13, v14
	;; [unrolled: 1-line block ×6, first 2 shown]
	v_add_f32_e32 v10, v13, v7
	v_sub_f32_e32 v8, v8, v15
	v_add_f32_e32 v8, v9, v8
	v_sub_f32_e32 v9, v10, v13
	;; [unrolled: 2-line block ×3, first 2 shown]
	v_sub_f32_e32 v7, v7, v9
	v_add_f32_e32 v12, v11, v8
	v_sub_f32_e32 v9, v13, v10
	v_sub_f32_e32 v10, v12, v11
	v_add_f32_e32 v7, v7, v9
	v_cndmask_b32_e32 v9, 1.0, v6, vcc_lo
	v_sub_f32_e32 v8, v8, v10
	v_cmp_neq_f32_e64 s18, v9, |v9|
	v_cmp_gt_f32_e64 s7, 0, v9
	v_add_f32_e32 v7, v7, v8
	s_xor_b32 s17, s17, s18
	v_add_f32_e32 v8, v12, v7
	v_sub_f32_e32 v10, v8, v12
	v_mul_f32_e32 v11, v9, v8
	v_sub_f32_e32 v7, v7, v10
	v_fma_f32 v8, v9, v8, -v11
	v_cmp_class_f32_e64 vcc_lo, v11, 0x204
	v_fmac_f32_e32 v8, v9, v7
	v_add_f32_e32 v7, v11, v8
	v_cndmask_b32_e32 v10, v7, v11, vcc_lo
	v_sub_f32_e32 v7, v7, v11
	v_cmp_eq_f32_e32 vcc_lo, 0x42b17218, v10
	v_sub_f32_e32 v7, v8, v7
	v_cndmask_b32_e64 v12, 0, 0x37000000, vcc_lo
	v_cmp_neq_f32_e64 vcc_lo, 0x7f800000, |v10|
	v_sub_f32_e32 v13, v10, v12
	v_cndmask_b32_e32 v7, 0, v7, vcc_lo
	v_trunc_f32_e32 v10, v9
	v_mul_f32_e32 v14, 0x3fb8aa3b, v13
	v_cmp_ngt_f32_e32 vcc_lo, 0xc2ce8ed0, v13
	v_add_f32_e32 v7, v12, v7
	v_fma_f32 v15, 0x3fb8aa3b, v13, -v14
	v_rndne_f32_e32 v16, v14
	v_fmac_f32_e32 v15, 0x32a5705f, v13
	v_sub_f32_e32 v14, v14, v16
	v_cvt_i32_f32_e32 v11, v16
	v_add_f32_e32 v14, v14, v15
	v_exp_f32_e32 v14, v14
	v_ldexp_f32 v8, v14, v11
	v_mul_f32_e32 v11, 0.5, v9
	v_cndmask_b32_e32 v8, 0, v8, vcc_lo
	v_cmp_nlt_f32_e32 vcc_lo, 0x42b17218, v13
	v_trunc_f32_e32 v14, v11
	v_cndmask_b32_e32 v8, 0x7f800000, v8, vcc_lo
	v_cmp_eq_f32_e32 vcc_lo, v10, v9
	v_cmp_neq_f32_e64 s5, v14, v11
	v_fma_f32 v7, v8, v7, v8
	v_cmp_class_f32_e64 s6, v8, 0x204
	s_and_b32 s5, vcc_lo, s5
	v_cndmask_b32_e64 v10, 1.0, v4, s5
	v_cndmask_b32_e64 v12, 0, v4, s5
	v_cndmask_b32_e64 v7, v7, v8, s6
	;; [unrolled: 1-line block ×3, first 2 shown]
	v_cmp_eq_f32_e64 s6, 0, v4
	v_cmp_class_f32_e64 s5, v4, 0x204
	v_bfi_b32 v7, 0x7fffffff, v7, v10
	s_xor_b32 s7, s6, s7
	v_cndmask_b32_e64 v10, 0x7f800000, 0, s7
	v_cndmask_b32_e32 v11, 0x7fc00000, v7, vcc_lo
	v_cmp_neq_f32_e64 vcc_lo, |v4|, 1.0
	v_bfi_b32 v10, 0x7fffffff, v10, v12
	v_cndmask_b32_e32 v8, 1.0, v8, vcc_lo
	v_cmp_gt_f32_e32 vcc_lo, 0, v4
	v_cndmask_b32_e32 v7, v7, v11, vcc_lo
	v_cmp_class_f32_e64 vcc_lo, v9, 0x204
	v_cndmask_b32_e32 v7, v7, v8, vcc_lo
	s_or_b32 vcc_lo, s6, s5
	v_cndmask_b32_e32 v7, v7, v10, vcc_lo
	v_cmp_o_f32_e32 vcc_lo, v4, v4
	v_cndmask_b32_e32 v7, 0x7fc00000, v7, vcc_lo
	v_add_f32_e32 v5, v5, v7
	v_mul_f32_e32 v8, 0xa5000000, v5
	v_mul_f32_e32 v9, 0x25000000, v5
	v_cmp_nlt_f32_e32 vcc_lo, v8, v7
	v_cmp_nlt_f32_e64 s5, v7, v9
	s_or_b32 s6, vcc_lo, s5
	s_and_saveexec_b32 s5, s6
	s_cbranch_execz .LBB105_46
; %bb.48:                               ;   in Loop: Header=BB105_47 Depth=1
	s_add_i32 s6, s16, 1
	v_cmp_nge_f32_e32 vcc_lo, 0x41100000, v4
	s_cmp_gt_u32 s16, 7
	s_mov_b32 s16, s6
	s_cselect_b32 s7, -1, 0
	s_andn2_b32 s15, s15, exec_lo
	s_and_b32 s7, s7, vcc_lo
	s_andn2_b32 s14, s14, exec_lo
	s_and_b32 s7, s7, exec_lo
	s_or_b32 s15, s15, s7
	s_branch .LBB105_46
.LBB105_49:
	s_or_b32 exec_lo, exec_lo, s12
	s_xor_b32 s5, s13, -1
                                        ; implicit-def: $vgpr8
	s_and_saveexec_b32 s6, s5
	s_xor_b32 s5, exec_lo, s6
	s_cbranch_execz .LBB105_61
; %bb.50:
	v_mul_f32_e32 v6, v4, v7
	v_add_f32_e32 v8, -1.0, v3
	s_mov_b64 s[6:7], 0
	s_mov_b32 s11, 0
                                        ; implicit-def: $sgpr12
                                        ; implicit-def: $sgpr13
                                        ; implicit-def: $sgpr14
	v_div_scale_f32 v9, null, v8, v8, v6
	v_div_scale_f32 v12, vcc_lo, v6, v8, v6
	v_rcp_f32_e32 v10, v9
	v_fma_f32 v11, -v9, v10, 1.0
	v_fmac_f32_e32 v10, v11, v10
	v_mul_f32_e32 v11, v12, v10
	v_fma_f32 v13, -v9, v11, v12
	v_fmac_f32_e32 v11, v13, v10
	v_fma_f32 v9, -v9, v11, v12
	v_div_fmas_f32 v9, v9, v10, v11
	v_div_fixup_f32 v6, v9, v8, v6
	v_mov_b32_e32 v9, 1.0
	v_mov_b32_e32 v8, 0
	v_add_f32_e32 v6, v5, v6
	v_fmac_f32_e32 v6, -0.5, v7
	s_branch .LBB105_53
.LBB105_51:                             ;   in Loop: Header=BB105_53 Depth=1
	s_or_b32 exec_lo, exec_lo, s16
	s_andn2_b32 s14, s14, exec_lo
	s_and_b32 s16, s18, exec_lo
	s_andn2_b32 s13, s13, exec_lo
	s_and_b32 s17, s17, exec_lo
	s_or_b32 s14, s14, s16
	s_or_b32 s13, s13, s17
.LBB105_52:                             ;   in Loop: Header=BB105_53 Depth=1
	s_or_b32 exec_lo, exec_lo, s15
	s_and_b32 s15, exec_lo, s13
	s_or_b32 s11, s15, s11
	s_andn2_b32 s12, s12, exec_lo
	s_and_b32 s15, s14, exec_lo
	s_or_b32 s12, s12, s15
	s_andn2_b32 exec_lo, exec_lo, s11
	s_cbranch_execz .LBB105_56
.LBB105_53:                             ; =>This Inner Loop Header: Depth=1
	v_div_scale_f32 v10, null, v4, v4, v7
	v_div_scale_f32 v13, vcc_lo, v7, v4, v7
	s_getpc_b64 s[16:17]
	s_add_u32 s16, s16, _ZZ4zetaIN3c104HalfELb1EET_S2_S2_E1A@rel32@lo+4
	s_addc_u32 s17, s17, _ZZ4zetaIN3c104HalfELb1EET_S2_S2_E1A@rel32@hi+12
	v_rcp_f32_e32 v11, v10
	s_add_u32 s16, s16, s6
	s_addc_u32 s17, s17, s7
	s_or_b32 s14, s14, exec_lo
	s_load_dword s15, s[16:17], 0x0
	s_or_b32 s13, s13, exec_lo
	v_fma_f32 v12, -v10, v11, 1.0
	v_fmac_f32_e32 v11, v12, v11
	v_mul_f32_e32 v12, v13, v11
	v_fma_f32 v14, -v10, v12, v13
	v_fmac_f32_e32 v12, v14, v11
	v_fma_f32 v10, -v10, v12, v13
	v_add_f32_e32 v13, v8, v3
	v_div_fmas_f32 v11, v10, v11, v12
	v_mul_f32_e32 v10, v9, v13
	v_div_fixup_f32 v11, v11, v4, v7
	v_mul_f32_e32 v7, v11, v10
	s_waitcnt lgkmcnt(0)
	v_div_scale_f32 v9, null, s15, s15, v7
	v_div_scale_f32 v14, vcc_lo, v7, s15, v7
	v_rcp_f32_e32 v12, v9
	v_fma_f32 v13, -v9, v12, 1.0
	v_fmac_f32_e32 v12, v13, v12
	v_mul_f32_e32 v13, v14, v12
	v_fma_f32 v15, -v9, v13, v14
	v_fmac_f32_e32 v13, v15, v12
	v_fma_f32 v9, -v9, v13, v14
	v_div_fmas_f32 v9, v9, v12, v13
	v_div_fixup_f32 v7, v9, s15, v7
	v_add_f32_e32 v6, v6, v7
	v_div_scale_f32 v9, null, v6, v6, v7
	v_rcp_f32_e32 v12, v9
	v_fma_f32 v13, -v9, v12, 1.0
	v_fmac_f32_e32 v12, v13, v12
	v_div_scale_f32 v13, vcc_lo, v7, v6, v7
	v_mul_f32_e32 v14, v13, v12
	v_fma_f32 v15, -v9, v14, v13
	v_fmac_f32_e32 v14, v15, v12
	v_fma_f32 v9, -v9, v14, v13
	v_div_fmas_f32 v9, v9, v12, v14
	v_div_fixup_f32 v7, v9, v6, v7
                                        ; implicit-def: $vgpr9
	v_cmp_ngt_f32_e64 s16, 0x25000000, |v7|
                                        ; implicit-def: $vgpr7
	s_and_saveexec_b32 s15, s16
	s_cbranch_execz .LBB105_52
; %bb.54:                               ;   in Loop: Header=BB105_53 Depth=1
	v_div_scale_f32 v7, null, v4, v4, v11
	v_div_scale_f32 v13, vcc_lo, v11, v4, v11
	v_add_f32_e32 v8, 1.0, v8
	v_rcp_f32_e32 v9, v7
	s_getpc_b64 s[16:17]
	s_add_u32 s16, s16, _ZZ4zetaIN3c104HalfELb1EET_S2_S2_E1A@rel32@lo+8
	s_addc_u32 s17, s17, _ZZ4zetaIN3c104HalfELb1EET_S2_S2_E1A@rel32@hi+16
	s_add_u32 s16, s16, s6
	s_addc_u32 s17, s17, s7
	v_add_f32_e32 v16, v8, v3
	s_load_dword s16, s[16:17], 0x0
	s_mov_b32 s17, -1
	s_mov_b32 s18, -1
	v_fma_f32 v12, -v7, v9, 1.0
	v_fmac_f32_e32 v9, v12, v9
	v_mul_f32_e32 v12, v13, v9
	v_fma_f32 v14, -v7, v12, v13
	v_fmac_f32_e32 v12, v14, v9
	v_fma_f32 v7, -v7, v12, v13
	v_div_fmas_f32 v7, v7, v9, v12
	v_div_fixup_f32 v7, v7, v4, v11
	v_div_scale_f32 v9, null, v4, v4, v7
	v_div_scale_f32 v13, vcc_lo, v7, v4, v7
	v_rcp_f32_e32 v11, v9
	v_fma_f32 v12, -v9, v11, 1.0
	v_fmac_f32_e32 v11, v12, v11
	v_add_f32_e32 v12, 1.0, v8
	v_mul_f32_e32 v14, v13, v11
	v_fma_f32 v15, -v9, v14, v13
	v_fmac_f32_e32 v14, v15, v11
	v_fma_f32 v8, -v9, v14, v13
	v_mul_f32_e32 v9, v16, v10
	v_add_f32_e32 v10, v12, v3
	v_div_fmas_f32 v8, v8, v11, v14
	v_mul_f32_e32 v10, v9, v10
	v_div_fixup_f32 v11, v8, v4, v7
	v_mul_f32_e32 v7, v11, v10
	s_waitcnt lgkmcnt(0)
	v_div_scale_f32 v8, null, s16, s16, v7
	v_div_scale_f32 v14, vcc_lo, v7, s16, v7
	v_rcp_f32_e32 v9, v8
	v_fma_f32 v13, -v8, v9, 1.0
	v_fmac_f32_e32 v9, v13, v9
	v_mul_f32_e32 v13, v14, v9
	v_fma_f32 v15, -v8, v13, v14
	v_fmac_f32_e32 v13, v15, v9
	v_fma_f32 v8, -v8, v13, v14
	v_div_fmas_f32 v8, v8, v9, v13
	v_div_fixup_f32 v7, v8, s16, v7
	v_add_f32_e32 v6, v6, v7
	v_div_scale_f32 v8, null, v6, v6, v7
	v_rcp_f32_e32 v9, v8
	v_fma_f32 v13, -v8, v9, 1.0
	v_fmac_f32_e32 v9, v13, v9
	v_div_scale_f32 v13, vcc_lo, v7, v6, v7
	v_mul_f32_e32 v14, v13, v9
	v_fma_f32 v15, -v8, v14, v13
	v_fmac_f32_e32 v14, v15, v9
	v_fma_f32 v8, -v8, v14, v13
	v_div_fmas_f32 v8, v8, v9, v14
                                        ; implicit-def: $vgpr9
	v_div_fixup_f32 v7, v8, v6, v7
                                        ; implicit-def: $vgpr8
	v_cmp_ngt_f32_e64 s19, 0x25000000, |v7|
                                        ; implicit-def: $vgpr7
	s_and_saveexec_b32 s16, s19
	s_cbranch_execz .LBB105_51
; %bb.55:                               ;   in Loop: Header=BB105_53 Depth=1
	v_div_scale_f32 v7, null, v4, v4, v11
	v_div_scale_f32 v13, vcc_lo, v11, v4, v11
	v_add_f32_e32 v12, 1.0, v12
	v_rcp_f32_e32 v8, v7
	s_add_u32 s6, s6, 8
	s_addc_u32 s7, s7, 0
	s_cmp_eq_u32 s6, 48
	s_cselect_b32 s17, -1, 0
	s_xor_b32 s18, exec_lo, -1
	s_orn2_b32 s17, s17, exec_lo
	v_fma_f32 v9, -v7, v8, 1.0
	v_fmac_f32_e32 v8, v9, v8
	v_mul_f32_e32 v9, v13, v8
	v_fma_f32 v14, -v7, v9, v13
	v_fmac_f32_e32 v9, v14, v8
	v_fma_f32 v7, -v7, v9, v13
	v_add_f32_e32 v13, v12, v3
	v_div_fmas_f32 v7, v7, v8, v9
	v_mul_f32_e32 v9, v13, v10
	v_add_f32_e32 v8, 1.0, v12
	v_div_fixup_f32 v7, v7, v4, v11
	s_branch .LBB105_51
.LBB105_56:
	s_or_b32 exec_lo, exec_lo, s11
	s_xor_b32 s6, s12, -1
                                        ; implicit-def: $vgpr8
	s_and_saveexec_b32 s7, s6
	s_xor_b32 s6, exec_lo, s7
; %bb.57:
	v_cvt_f16_f32_e32 v8, v6
; %bb.58:
	s_andn2_saveexec_b32 s6, s6
; %bb.59:
	v_cvt_f16_f32_e32 v8, v6
; %bb.60:
	s_or_b32 exec_lo, exec_lo, s6
.LBB105_61:
	s_andn2_saveexec_b32 s5, s5
; %bb.62:
	v_cvt_f16_f32_e32 v8, v5
; %bb.63:
	s_or_b32 exec_lo, exec_lo, s5
.LBB105_64:
	s_or_b32 exec_lo, exec_lo, s10
.LBB105_65:
	s_or_b32 exec_lo, exec_lo, s9
.LBB105_66:
	s_or_b32 exec_lo, exec_lo, s8
	v_cmp_gt_f32_e64 s5, 0x4b000000, |v1|
	v_and_b32_e32 v0, 1, v0
	s_or_b32 vcc_lo, s4, s5
	v_cmp_class_f32_e64 s4, v1, 0x244
	v_cndmask_b32_e32 v2, 0x7f800000, v2, vcc_lo
	v_cndmask_b32_e64 v1, v2, 0x7f800000, s4
	v_mul_f32_e32 v2, 0x3fb8aa3b, v1
	v_cmp_ngt_f32_e32 vcc_lo, 0xc2ce8ed0, v1
	v_fma_f32 v3, 0x3fb8aa3b, v1, -v2
	v_rndne_f32_e32 v4, v2
	v_fmamk_f32 v3, v1, 0x32a5705f, v3
	v_sub_f32_e32 v2, v2, v4
	v_add_f32_e32 v2, v2, v3
	v_cvt_i32_f32_e32 v3, v4
	v_exp_f32_e32 v2, v2
	v_ldexp_f32 v2, v2, v3
	v_cndmask_b32_e32 v2, 0, v2, vcc_lo
	v_cmp_nlt_f32_e32 vcc_lo, 0x42b17218, v1
	v_cndmask_b32_e32 v1, 0x7f800000, v2, vcc_lo
	v_cmp_eq_u32_e32 vcc_lo, 0, v0
	v_cndmask_b32_e64 v0, v1, -v1, vcc_lo
	v_fma_mixlo_f16 v0, v0, v8, 0 op_sel_hi:[0,1,0]
	s_waitcnt vmcnt(0) lgkmcnt(0)
	s_setpc_b64 s[30:31]
.Lfunc_end105:
	.size	_ZN2at6native6invokeIZZZNS0_21polygamma_kernel_cudaERNS_18TensorIteratorBaseElENKUlvE_clEvENKUlvE1_clEvEUlN3c104HalfEE_j15function_traitsIS8_EEENT1_11result_typeERKT_PrKPcPKT0_i, .Lfunc_end105-_ZN2at6native6invokeIZZZNS0_21polygamma_kernel_cudaERNS_18TensorIteratorBaseElENKUlvE_clEvENKUlvE1_clEvEUlN3c104HalfEE_j15function_traitsIS8_EEENT1_11result_typeERKT_PrKPcPKT0_i
                                        ; -- End function
	.set .L_ZN2at6native6invokeIZZZNS0_21polygamma_kernel_cudaERNS_18TensorIteratorBaseElENKUlvE_clEvENKUlvE1_clEvEUlN3c104HalfEE_j15function_traitsIS8_EEENT1_11result_typeERKT_PrKPcPKT0_i.num_vgpr, 19
	.set .L_ZN2at6native6invokeIZZZNS0_21polygamma_kernel_cudaERNS_18TensorIteratorBaseElENKUlvE_clEvENKUlvE1_clEvEUlN3c104HalfEE_j15function_traitsIS8_EEENT1_11result_typeERKT_PrKPcPKT0_i.num_agpr, 0
	.set .L_ZN2at6native6invokeIZZZNS0_21polygamma_kernel_cudaERNS_18TensorIteratorBaseElENKUlvE_clEvENKUlvE1_clEvEUlN3c104HalfEE_j15function_traitsIS8_EEENT1_11result_typeERKT_PrKPcPKT0_i.numbered_sgpr, 32
	.set .L_ZN2at6native6invokeIZZZNS0_21polygamma_kernel_cudaERNS_18TensorIteratorBaseElENKUlvE_clEvENKUlvE1_clEvEUlN3c104HalfEE_j15function_traitsIS8_EEENT1_11result_typeERKT_PrKPcPKT0_i.num_named_barrier, 0
	.set .L_ZN2at6native6invokeIZZZNS0_21polygamma_kernel_cudaERNS_18TensorIteratorBaseElENKUlvE_clEvENKUlvE1_clEvEUlN3c104HalfEE_j15function_traitsIS8_EEENT1_11result_typeERKT_PrKPcPKT0_i.private_seg_size, 0
	.set .L_ZN2at6native6invokeIZZZNS0_21polygamma_kernel_cudaERNS_18TensorIteratorBaseElENKUlvE_clEvENKUlvE1_clEvEUlN3c104HalfEE_j15function_traitsIS8_EEENT1_11result_typeERKT_PrKPcPKT0_i.uses_vcc, 1
	.set .L_ZN2at6native6invokeIZZZNS0_21polygamma_kernel_cudaERNS_18TensorIteratorBaseElENKUlvE_clEvENKUlvE1_clEvEUlN3c104HalfEE_j15function_traitsIS8_EEENT1_11result_typeERKT_PrKPcPKT0_i.uses_flat_scratch, 0
	.set .L_ZN2at6native6invokeIZZZNS0_21polygamma_kernel_cudaERNS_18TensorIteratorBaseElENKUlvE_clEvENKUlvE1_clEvEUlN3c104HalfEE_j15function_traitsIS8_EEENT1_11result_typeERKT_PrKPcPKT0_i.has_dyn_sized_stack, 0
	.set .L_ZN2at6native6invokeIZZZNS0_21polygamma_kernel_cudaERNS_18TensorIteratorBaseElENKUlvE_clEvENKUlvE1_clEvEUlN3c104HalfEE_j15function_traitsIS8_EEENT1_11result_typeERKT_PrKPcPKT0_i.has_recursion, 0
	.set .L_ZN2at6native6invokeIZZZNS0_21polygamma_kernel_cudaERNS_18TensorIteratorBaseElENKUlvE_clEvENKUlvE1_clEvEUlN3c104HalfEE_j15function_traitsIS8_EEENT1_11result_typeERKT_PrKPcPKT0_i.has_indirect_call, 0
	.section	.AMDGPU.csdata,"",@progbits
; Function info:
; codeLenInByte = 5524
; TotalNumSgprs: 34
; NumVgprs: 19
; ScratchSize: 0
; MemoryBound: 0
	.section	.text._ZN2at6native32elementwise_kernel_manual_unrollILi128ELi8EZNS0_22gpu_kernel_impl_nocastIZZZNS0_21polygamma_kernel_cudaERNS_18TensorIteratorBaseElENKUlvE_clEvENKUlvE1_clEvEUlN3c104HalfEE_EEvS4_RKT_EUlibE_EEviT1_,"axG",@progbits,_ZN2at6native32elementwise_kernel_manual_unrollILi128ELi8EZNS0_22gpu_kernel_impl_nocastIZZZNS0_21polygamma_kernel_cudaERNS_18TensorIteratorBaseElENKUlvE_clEvENKUlvE1_clEvEUlN3c104HalfEE_EEvS4_RKT_EUlibE_EEviT1_,comdat
	.globl	_ZN2at6native32elementwise_kernel_manual_unrollILi128ELi8EZNS0_22gpu_kernel_impl_nocastIZZZNS0_21polygamma_kernel_cudaERNS_18TensorIteratorBaseElENKUlvE_clEvENKUlvE1_clEvEUlN3c104HalfEE_EEvS4_RKT_EUlibE_EEviT1_ ; -- Begin function _ZN2at6native32elementwise_kernel_manual_unrollILi128ELi8EZNS0_22gpu_kernel_impl_nocastIZZZNS0_21polygamma_kernel_cudaERNS_18TensorIteratorBaseElENKUlvE_clEvENKUlvE1_clEvEUlN3c104HalfEE_EEvS4_RKT_EUlibE_EEviT1_
	.p2align	8
	.type	_ZN2at6native32elementwise_kernel_manual_unrollILi128ELi8EZNS0_22gpu_kernel_impl_nocastIZZZNS0_21polygamma_kernel_cudaERNS_18TensorIteratorBaseElENKUlvE_clEvENKUlvE1_clEvEUlN3c104HalfEE_EEvS4_RKT_EUlibE_EEviT1_,@function
_ZN2at6native32elementwise_kernel_manual_unrollILi128ELi8EZNS0_22gpu_kernel_impl_nocastIZZZNS0_21polygamma_kernel_cudaERNS_18TensorIteratorBaseElENKUlvE_clEvENKUlvE1_clEvEUlN3c104HalfEE_EEvS4_RKT_EUlibE_EEviT1_: ; @_ZN2at6native32elementwise_kernel_manual_unrollILi128ELi8EZNS0_22gpu_kernel_impl_nocastIZZZNS0_21polygamma_kernel_cudaERNS_18TensorIteratorBaseElENKUlvE_clEvENKUlvE1_clEvEUlN3c104HalfEE_EEvS4_RKT_EUlibE_EEviT1_
; %bb.0:
	s_clause 0x1
	s_load_dword s33, s[4:5], 0x8
	s_load_dword s48, s[4:5], 0x0
	v_lshl_or_b32 v25, s6, 10, v0
	s_add_u32 s0, s0, s7
	s_addc_u32 s1, s1, 0
	s_add_u32 s28, s4, 8
	s_addc_u32 s29, s5, 0
	v_or_b32_e32 v0, 0x380, v25
	s_mov_b32 s32, 0
	s_mov_b32 s4, exec_lo
	s_waitcnt lgkmcnt(0)
	s_add_i32 s44, s33, -1
	s_cmp_gt_u32 s44, 1
	s_cselect_b32 s45, -1, 0
	v_cmpx_le_i32_e64 s48, v0
	s_xor_b32 s46, exec_lo, s4
	s_cbranch_execz .LBB106_7
; %bb.1:
	s_clause 0x4
	s_load_dwordx4 s[24:27], s[28:29], 0x4
	s_load_dwordx2 s[40:41], s[28:29], 0x14
	s_load_dwordx2 s[34:35], s[28:29], 0x158
	s_load_dwordx4 s[36:39], s[28:29], 0xc4
	s_load_dwordx4 s[20:23], s[28:29], 0x148
	s_cmp_lg_u32 s33, 0
	s_mov_b32 s51, exec_lo
	s_cselect_b32 s50, -1, 0
	s_add_u32 s42, s28, 0xc4
	s_addc_u32 s43, s29, 0
	s_min_u32 s49, s44, 15
	s_cmp_gt_u32 s33, 1
	s_cselect_b32 s47, -1, 0
	v_cmpx_gt_i32_e64 s48, v25
	s_cbranch_execz .LBB106_14
; %bb.2:
	s_andn2_b32 vcc_lo, exec_lo, s45
	s_cbranch_vccnz .LBB106_21
; %bb.3:
	s_andn2_b32 vcc_lo, exec_lo, s50
	s_cbranch_vccnz .LBB106_129
; %bb.4:
	s_add_i32 s9, s49, 1
	s_cmp_eq_u32 s44, 2
	s_cbranch_scc1 .LBB106_131
; %bb.5:
	v_mov_b32_e32 v4, 0
	v_mov_b32_e32 v19, 0
	;; [unrolled: 1-line block ×3, first 2 shown]
	s_and_b32 s8, s9, 28
	s_mov_b32 s10, 0
	s_mov_b64 s[4:5], s[28:29]
	s_mov_b64 s[6:7], s[42:43]
.LBB106_6:                              ; =>This Inner Loop Header: Depth=1
	s_clause 0x1
	s_load_dwordx8 s[12:19], s[4:5], 0x4
	s_load_dwordx4 s[60:63], s[4:5], 0x24
	s_load_dwordx8 s[52:59], s[6:7], 0x0
	s_add_u32 s4, s4, 48
	s_addc_u32 s5, s5, 0
	s_add_i32 s10, s10, 4
	s_add_u32 s6, s6, 32
	s_addc_u32 s7, s7, 0
	s_cmp_lg_u32 s8, s10
	s_waitcnt lgkmcnt(0)
	v_mul_hi_u32 v1, s13, v0
	v_add_nc_u32_e32 v1, v0, v1
	v_lshrrev_b32_e32 v1, s14, v1
	v_mul_hi_u32 v2, s16, v1
	v_mul_lo_u32 v5, v1, s12
	v_add_nc_u32_e32 v2, v1, v2
	v_sub_nc_u32_e32 v0, v0, v5
	v_lshrrev_b32_e32 v2, s17, v2
	v_mul_lo_u32 v5, v0, s52
	v_mul_lo_u32 v7, v0, s53
	v_mul_hi_u32 v3, s19, v2
	v_add_nc_u32_e32 v3, v2, v3
	v_lshrrev_b32_e32 v3, s60, v3
	v_mul_hi_u32 v6, s62, v3
	v_mul_lo_u32 v8, v3, s18
	v_add_nc_u32_e32 v0, v3, v6
	v_mul_lo_u32 v6, v2, s15
	v_sub_nc_u32_e32 v2, v2, v8
	v_lshrrev_b32_e32 v0, s63, v0
	v_mul_lo_u32 v8, v2, s56
	v_mul_lo_u32 v2, v2, s57
	v_sub_nc_u32_e32 v1, v1, v6
	v_mul_lo_u32 v9, v0, s61
	v_mul_lo_u32 v6, v1, s54
	;; [unrolled: 1-line block ×3, first 2 shown]
	v_sub_nc_u32_e32 v3, v3, v9
	v_add3_u32 v5, v5, v19, v6
	v_mul_lo_u32 v9, v3, s58
	v_mul_lo_u32 v3, v3, s59
	v_add3_u32 v1, v7, v4, v1
	v_add3_u32 v19, v8, v5, v9
	;; [unrolled: 1-line block ×3, first 2 shown]
	s_cbranch_scc1 .LBB106_6
	s_branch .LBB106_132
.LBB106_7:
	s_andn2_saveexec_b32 s4, s46
	s_cbranch_execz .LBB106_221
.LBB106_8:
	v_cndmask_b32_e64 v1, 0, 1, s45
	s_andn2_b32 vcc_lo, exec_lo, s45
	s_cbranch_vccnz .LBB106_20
; %bb.9:
	s_cmp_lg_u32 s33, 0
	s_mov_b32 s8, 0
	s_cbranch_scc0 .LBB106_23
; %bb.10:
	s_min_u32 s10, s44, 15
	s_add_i32 s10, s10, 1
	s_cmp_eq_u32 s44, 2
	s_cbranch_scc1 .LBB106_24
; %bb.11:
	v_mov_b32_e32 v4, 0
	v_mov_b32_e32 v27, 0
	;; [unrolled: 1-line block ×3, first 2 shown]
	s_and_b32 s9, s10, 28
	s_add_u32 s4, s28, 0xc4
	s_addc_u32 s5, s29, 0
	s_mov_b32 s11, 0
	s_mov_b64 s[6:7], s[28:29]
.LBB106_12:                             ; =>This Inner Loop Header: Depth=1
	s_load_dwordx8 s[12:19], s[6:7], 0x4
	s_waitcnt lgkmcnt(0)
	s_load_dwordx4 s[36:39], s[6:7], 0x24
	s_load_dwordx8 s[20:27], s[4:5], 0x0
	s_add_u32 s6, s6, 48
	s_addc_u32 s7, s7, 0
	s_add_i32 s11, s11, 4
	s_add_u32 s4, s4, 32
	s_addc_u32 s5, s5, 0
	s_cmp_lg_u32 s9, s11
	v_mul_hi_u32 v3, s13, v2
	v_add_nc_u32_e32 v3, v2, v3
	v_lshrrev_b32_e32 v3, s14, v3
	v_mul_hi_u32 v5, s16, v3
	v_mul_lo_u32 v7, v3, s12
	v_add_nc_u32_e32 v5, v3, v5
	v_sub_nc_u32_e32 v2, v2, v7
	v_lshrrev_b32_e32 v5, s17, v5
	s_waitcnt lgkmcnt(0)
	v_mul_lo_u32 v7, v2, s20
	v_mul_lo_u32 v9, v2, s21
	v_mul_hi_u32 v6, s19, v5
	v_add_nc_u32_e32 v6, v5, v6
	v_lshrrev_b32_e32 v6, s36, v6
	v_mul_hi_u32 v8, s38, v6
	v_mul_lo_u32 v10, v6, s18
	v_add_nc_u32_e32 v2, v6, v8
	v_mul_lo_u32 v8, v5, s15
	v_sub_nc_u32_e32 v5, v5, v10
	v_lshrrev_b32_e32 v2, s39, v2
	v_mul_lo_u32 v10, v5, s24
	v_mul_lo_u32 v5, v5, s25
	v_sub_nc_u32_e32 v3, v3, v8
	v_mul_lo_u32 v11, v2, s37
	v_mul_lo_u32 v8, v3, s22
	;; [unrolled: 1-line block ×3, first 2 shown]
	v_sub_nc_u32_e32 v6, v6, v11
	v_add3_u32 v7, v7, v27, v8
	v_mul_lo_u32 v11, v6, s26
	v_mul_lo_u32 v6, v6, s27
	v_add3_u32 v3, v9, v4, v3
	v_add3_u32 v27, v10, v7, v11
	;; [unrolled: 1-line block ×3, first 2 shown]
	s_cbranch_scc1 .LBB106_12
; %bb.13:
	s_and_b32 s10, s10, 3
	s_cmp_eq_u32 s10, 0
	s_cbranch_scc0 .LBB106_25
	s_branch .LBB106_27
.LBB106_14:
	s_or_b32 exec_lo, exec_lo, s51
	s_mov_b32 s51, exec_lo
	v_cmpx_gt_i32_e64 s48, v25
	s_cbranch_execz .LBB106_139
.LBB106_15:
	s_andn2_b32 vcc_lo, exec_lo, s45
	s_cbranch_vccnz .LBB106_22
; %bb.16:
	s_andn2_b32 vcc_lo, exec_lo, s50
	s_cbranch_vccnz .LBB106_130
; %bb.17:
	s_add_i32 s9, s49, 1
	s_cmp_eq_u32 s44, 2
	s_cbranch_scc1 .LBB106_147
; %bb.18:
	v_mov_b32_e32 v4, 0
	v_mov_b32_e32 v19, 0
	;; [unrolled: 1-line block ×3, first 2 shown]
	s_and_b32 s8, s9, 28
	s_mov_b32 s10, 0
	s_mov_b64 s[4:5], s[28:29]
	s_mov_b64 s[6:7], s[42:43]
.LBB106_19:                             ; =>This Inner Loop Header: Depth=1
	s_clause 0x1
	s_load_dwordx8 s[12:19], s[4:5], 0x4
	s_load_dwordx4 s[60:63], s[4:5], 0x24
	s_load_dwordx8 s[52:59], s[6:7], 0x0
	s_add_u32 s4, s4, 48
	s_addc_u32 s5, s5, 0
	s_add_i32 s10, s10, 4
	s_add_u32 s6, s6, 32
	s_addc_u32 s7, s7, 0
	s_cmp_eq_u32 s8, s10
	s_waitcnt lgkmcnt(0)
	v_mul_hi_u32 v1, s13, v0
	v_add_nc_u32_e32 v1, v0, v1
	v_lshrrev_b32_e32 v1, s14, v1
	v_mul_hi_u32 v2, s16, v1
	v_mul_lo_u32 v5, v1, s12
	v_add_nc_u32_e32 v2, v1, v2
	v_sub_nc_u32_e32 v0, v0, v5
	v_lshrrev_b32_e32 v2, s17, v2
	v_mul_lo_u32 v5, v0, s52
	v_mul_lo_u32 v7, v0, s53
	v_mul_hi_u32 v3, s19, v2
	v_add_nc_u32_e32 v3, v2, v3
	v_lshrrev_b32_e32 v3, s60, v3
	v_mul_hi_u32 v6, s62, v3
	v_mul_lo_u32 v8, v3, s18
	v_add_nc_u32_e32 v0, v3, v6
	v_mul_lo_u32 v6, v2, s15
	v_sub_nc_u32_e32 v2, v2, v8
	v_lshrrev_b32_e32 v0, s63, v0
	v_mul_lo_u32 v8, v2, s56
	v_mul_lo_u32 v2, v2, s57
	v_sub_nc_u32_e32 v1, v1, v6
	v_mul_lo_u32 v9, v0, s61
	v_mul_lo_u32 v6, v1, s54
	;; [unrolled: 1-line block ×3, first 2 shown]
	v_sub_nc_u32_e32 v3, v3, v9
	v_add3_u32 v5, v5, v19, v6
	v_mul_lo_u32 v9, v3, s58
	v_mul_lo_u32 v3, v3, s59
	v_add3_u32 v1, v7, v4, v1
	v_add3_u32 v19, v8, v5, v9
	;; [unrolled: 1-line block ×3, first 2 shown]
	s_cbranch_scc0 .LBB106_19
	s_branch .LBB106_148
.LBB106_20:
	s_mov_b32 s8, -1
                                        ; implicit-def: $vgpr27
                                        ; implicit-def: $vgpr4
	s_branch .LBB106_27
.LBB106_21:
                                        ; implicit-def: $vgpr19
                                        ; implicit-def: $vgpr4
	s_branch .LBB106_136
.LBB106_22:
                                        ; implicit-def: $vgpr19
                                        ; implicit-def: $vgpr4
	s_branch .LBB106_152
.LBB106_23:
	v_mov_b32_e32 v27, 0
	v_mov_b32_e32 v4, 0
	s_branch .LBB106_27
.LBB106_24:
	v_mov_b32_e32 v27, 0
	v_mov_b32_e32 v4, 0
	;; [unrolled: 1-line block ×3, first 2 shown]
	s_mov_b32 s9, 0
	s_and_b32 s10, s10, 3
	s_cmp_eq_u32 s10, 0
	s_cbranch_scc1 .LBB106_27
.LBB106_25:
	s_lshl_b32 s4, s9, 3
	s_mul_i32 s6, s9, 12
	s_add_u32 s4, s28, s4
	s_addc_u32 s5, s29, 0
	s_add_u32 s4, s4, 0xc4
	s_addc_u32 s5, s5, 0
	;; [unrolled: 2-line block ×3, first 2 shown]
	.p2align	6
.LBB106_26:                             ; =>This Inner Loop Header: Depth=1
	s_clause 0x1
	s_load_dwordx2 s[12:13], s[6:7], 0x4
	s_load_dword s9, s[6:7], 0xc
	s_load_dwordx2 s[14:15], s[4:5], 0x0
	s_add_u32 s6, s6, 12
	s_addc_u32 s7, s7, 0
	s_add_u32 s4, s4, 8
	s_addc_u32 s5, s5, 0
	s_add_i32 s10, s10, -1
	s_cmp_lg_u32 s10, 0
	s_waitcnt lgkmcnt(0)
	v_mul_hi_u32 v3, s13, v2
	v_add_nc_u32_e32 v3, v2, v3
	v_lshrrev_b32_e32 v3, s9, v3
	v_mul_lo_u32 v5, v3, s12
	v_sub_nc_u32_e32 v2, v2, v5
	v_mad_u64_u32 v[27:28], null, v2, s14, v[27:28]
	v_mad_u64_u32 v[4:5], null, v2, s15, v[4:5]
	v_mov_b32_e32 v2, v3
	s_cbranch_scc1 .LBB106_26
.LBB106_27:
	s_andn2_b32 vcc_lo, exec_lo, s8
	s_cbranch_vccnz .LBB106_30
; %bb.28:
	s_clause 0x1
	s_load_dwordx4 s[4:7], s[28:29], 0x4
	s_load_dwordx2 s[8:9], s[28:29], 0xc4
	s_cmp_lt_u32 s33, 2
	s_waitcnt lgkmcnt(0)
	v_mul_hi_u32 v2, s5, v25
	v_add_nc_u32_e32 v2, v25, v2
	v_lshrrev_b32_e32 v2, s6, v2
	v_mul_lo_u32 v3, v2, s4
	v_sub_nc_u32_e32 v3, v25, v3
	v_mul_lo_u32 v27, v3, s8
	v_mul_lo_u32 v4, v3, s9
	s_cbranch_scc1 .LBB106_30
; %bb.29:
	s_clause 0x1
	s_load_dwordx4 s[4:7], s[28:29], 0x10
	s_load_dwordx2 s[8:9], s[28:29], 0xcc
	s_waitcnt lgkmcnt(0)
	v_mul_hi_u32 v3, s5, v2
	v_add_nc_u32_e32 v3, v2, v3
	v_lshrrev_b32_e32 v3, s6, v3
	v_mul_lo_u32 v3, v3, s4
	v_sub_nc_u32_e32 v2, v2, v3
	v_mad_u64_u32 v[27:28], null, v2, s8, v[27:28]
	v_mad_u64_u32 v[4:5], null, v2, s9, v[4:5]
.LBB106_30:
	v_cmp_ne_u32_e32 vcc_lo, 1, v1
	v_add_nc_u32_e32 v2, 0x80, v25
	s_cbranch_vccnz .LBB106_36
; %bb.31:
	s_cmp_lg_u32 s33, 0
	s_mov_b32 s8, 0
	s_cbranch_scc0 .LBB106_37
; %bb.32:
	s_min_u32 s10, s44, 15
	s_add_i32 s10, s10, 1
	s_cmp_eq_u32 s44, 2
	s_cbranch_scc1 .LBB106_38
; %bb.33:
	v_mov_b32_e32 v19, 0
	v_mov_b32_e32 v28, 0
	;; [unrolled: 1-line block ×3, first 2 shown]
	s_and_b32 s9, s10, 28
	s_add_u32 s4, s28, 0xc4
	s_addc_u32 s5, s29, 0
	s_mov_b32 s11, 0
	s_mov_b64 s[6:7], s[28:29]
.LBB106_34:                             ; =>This Inner Loop Header: Depth=1
	s_load_dwordx8 s[12:19], s[6:7], 0x4
	s_waitcnt lgkmcnt(0)
	s_load_dwordx4 s[36:39], s[6:7], 0x24
	s_load_dwordx8 s[20:27], s[4:5], 0x0
	s_add_u32 s6, s6, 48
	s_addc_u32 s7, s7, 0
	s_add_i32 s11, s11, 4
	s_add_u32 s4, s4, 32
	s_addc_u32 s5, s5, 0
	s_cmp_lg_u32 s9, s11
	v_mul_hi_u32 v5, s13, v3
	v_add_nc_u32_e32 v5, v3, v5
	v_lshrrev_b32_e32 v5, s14, v5
	v_mul_hi_u32 v6, s16, v5
	v_mul_lo_u32 v8, v5, s12
	v_add_nc_u32_e32 v6, v5, v6
	v_sub_nc_u32_e32 v3, v3, v8
	v_lshrrev_b32_e32 v6, s17, v6
	s_waitcnt lgkmcnt(0)
	v_mul_lo_u32 v8, v3, s20
	v_mul_lo_u32 v10, v3, s21
	v_mul_hi_u32 v7, s19, v6
	v_add_nc_u32_e32 v7, v6, v7
	v_lshrrev_b32_e32 v7, s36, v7
	v_mul_hi_u32 v9, s38, v7
	v_mul_lo_u32 v11, v7, s18
	v_add_nc_u32_e32 v3, v7, v9
	v_mul_lo_u32 v9, v6, s15
	v_sub_nc_u32_e32 v6, v6, v11
	v_lshrrev_b32_e32 v3, s39, v3
	v_mul_lo_u32 v11, v6, s24
	v_mul_lo_u32 v6, v6, s25
	v_sub_nc_u32_e32 v5, v5, v9
	v_mul_lo_u32 v12, v3, s37
	v_mul_lo_u32 v9, v5, s22
	;; [unrolled: 1-line block ×3, first 2 shown]
	v_sub_nc_u32_e32 v7, v7, v12
	v_add3_u32 v8, v8, v28, v9
	v_mul_lo_u32 v12, v7, s26
	v_mul_lo_u32 v7, v7, s27
	v_add3_u32 v5, v10, v19, v5
	v_add3_u32 v28, v11, v8, v12
	;; [unrolled: 1-line block ×3, first 2 shown]
	s_cbranch_scc1 .LBB106_34
; %bb.35:
	s_and_b32 s10, s10, 3
	s_cmp_eq_u32 s10, 0
	s_cbranch_scc0 .LBB106_39
	s_branch .LBB106_41
.LBB106_36:
	s_mov_b32 s8, -1
                                        ; implicit-def: $vgpr28
                                        ; implicit-def: $vgpr19
	s_branch .LBB106_41
.LBB106_37:
	v_mov_b32_e32 v28, 0
	v_mov_b32_e32 v19, 0
	s_branch .LBB106_41
.LBB106_38:
	v_mov_b32_e32 v28, 0
	v_mov_b32_e32 v19, 0
	;; [unrolled: 1-line block ×3, first 2 shown]
	s_mov_b32 s9, 0
	s_and_b32 s10, s10, 3
	s_cmp_eq_u32 s10, 0
	s_cbranch_scc1 .LBB106_41
.LBB106_39:
	s_lshl_b32 s4, s9, 3
	s_mul_i32 s6, s9, 12
	s_add_u32 s4, s28, s4
	s_addc_u32 s5, s29, 0
	s_add_u32 s4, s4, 0xc4
	s_addc_u32 s5, s5, 0
	;; [unrolled: 2-line block ×3, first 2 shown]
	.p2align	6
.LBB106_40:                             ; =>This Inner Loop Header: Depth=1
	s_clause 0x1
	s_load_dwordx2 s[12:13], s[6:7], 0x4
	s_load_dword s9, s[6:7], 0xc
	s_load_dwordx2 s[14:15], s[4:5], 0x0
	s_add_u32 s6, s6, 12
	s_addc_u32 s7, s7, 0
	s_add_u32 s4, s4, 8
	s_addc_u32 s5, s5, 0
	s_add_i32 s10, s10, -1
	s_cmp_lg_u32 s10, 0
	s_waitcnt lgkmcnt(0)
	v_mul_hi_u32 v5, s13, v3
	v_add_nc_u32_e32 v5, v3, v5
	v_lshrrev_b32_e32 v5, s9, v5
	v_mul_lo_u32 v6, v5, s12
	v_sub_nc_u32_e32 v3, v3, v6
	v_mad_u64_u32 v[28:29], null, v3, s14, v[28:29]
	v_mad_u64_u32 v[19:20], null, v3, s15, v[19:20]
	v_mov_b32_e32 v3, v5
	s_cbranch_scc1 .LBB106_40
.LBB106_41:
	s_andn2_b32 vcc_lo, exec_lo, s8
	s_cbranch_vccnz .LBB106_44
; %bb.42:
	s_clause 0x1
	s_load_dwordx4 s[4:7], s[28:29], 0x4
	s_load_dwordx2 s[8:9], s[28:29], 0xc4
	s_cmp_lt_u32 s33, 2
	s_waitcnt lgkmcnt(0)
	v_mul_hi_u32 v3, s5, v2
	v_add_nc_u32_e32 v3, v2, v3
	v_lshrrev_b32_e32 v3, s6, v3
	v_mul_lo_u32 v5, v3, s4
	v_sub_nc_u32_e32 v2, v2, v5
	v_mul_lo_u32 v28, v2, s8
	v_mul_lo_u32 v19, v2, s9
	s_cbranch_scc1 .LBB106_44
; %bb.43:
	s_clause 0x1
	s_load_dwordx4 s[4:7], s[28:29], 0x10
	s_load_dwordx2 s[8:9], s[28:29], 0xcc
	s_waitcnt lgkmcnt(0)
	v_mul_hi_u32 v2, s5, v3
	v_add_nc_u32_e32 v2, v3, v2
	v_lshrrev_b32_e32 v2, s6, v2
	v_mul_lo_u32 v2, v2, s4
	v_sub_nc_u32_e32 v2, v3, v2
	v_mad_u64_u32 v[28:29], null, v2, s8, v[28:29]
	v_mad_u64_u32 v[19:20], null, v2, s9, v[19:20]
.LBB106_44:
	v_cmp_ne_u32_e32 vcc_lo, 1, v1
	v_add_nc_u32_e32 v2, 0x100, v25
	s_cbranch_vccnz .LBB106_50
; %bb.45:
	s_cmp_lg_u32 s33, 0
	s_mov_b32 s8, 0
	s_cbranch_scc0 .LBB106_51
; %bb.46:
	s_min_u32 s10, s44, 15
	s_add_i32 s10, s10, 1
	s_cmp_eq_u32 s44, 2
	s_cbranch_scc1 .LBB106_52
; %bb.47:
	v_mov_b32_e32 v20, 0
	v_mov_b32_e32 v29, 0
	;; [unrolled: 1-line block ×3, first 2 shown]
	s_and_b32 s9, s10, 28
	s_add_u32 s4, s28, 0xc4
	s_addc_u32 s5, s29, 0
	s_mov_b32 s11, 0
	s_mov_b64 s[6:7], s[28:29]
.LBB106_48:                             ; =>This Inner Loop Header: Depth=1
	s_load_dwordx8 s[12:19], s[6:7], 0x4
	s_waitcnt lgkmcnt(0)
	s_load_dwordx4 s[36:39], s[6:7], 0x24
	s_load_dwordx8 s[20:27], s[4:5], 0x0
	s_add_u32 s6, s6, 48
	s_addc_u32 s7, s7, 0
	s_add_i32 s11, s11, 4
	s_add_u32 s4, s4, 32
	s_addc_u32 s5, s5, 0
	s_cmp_lg_u32 s9, s11
	v_mul_hi_u32 v5, s13, v3
	v_add_nc_u32_e32 v5, v3, v5
	v_lshrrev_b32_e32 v5, s14, v5
	v_mul_hi_u32 v6, s16, v5
	v_mul_lo_u32 v8, v5, s12
	v_add_nc_u32_e32 v6, v5, v6
	v_sub_nc_u32_e32 v3, v3, v8
	v_lshrrev_b32_e32 v6, s17, v6
	s_waitcnt lgkmcnt(0)
	v_mul_lo_u32 v8, v3, s20
	v_mul_lo_u32 v10, v3, s21
	v_mul_hi_u32 v7, s19, v6
	v_add_nc_u32_e32 v7, v6, v7
	v_lshrrev_b32_e32 v7, s36, v7
	v_mul_hi_u32 v9, s38, v7
	v_mul_lo_u32 v11, v7, s18
	v_add_nc_u32_e32 v3, v7, v9
	v_mul_lo_u32 v9, v6, s15
	v_sub_nc_u32_e32 v6, v6, v11
	v_lshrrev_b32_e32 v3, s39, v3
	v_mul_lo_u32 v11, v6, s24
	v_mul_lo_u32 v6, v6, s25
	v_sub_nc_u32_e32 v5, v5, v9
	v_mul_lo_u32 v12, v3, s37
	v_mul_lo_u32 v9, v5, s22
	;; [unrolled: 1-line block ×3, first 2 shown]
	v_sub_nc_u32_e32 v7, v7, v12
	v_add3_u32 v8, v8, v29, v9
	v_mul_lo_u32 v12, v7, s26
	v_mul_lo_u32 v7, v7, s27
	v_add3_u32 v5, v10, v20, v5
	v_add3_u32 v29, v11, v8, v12
	;; [unrolled: 1-line block ×3, first 2 shown]
	s_cbranch_scc1 .LBB106_48
; %bb.49:
	s_and_b32 s10, s10, 3
	s_cmp_eq_u32 s10, 0
	s_cbranch_scc0 .LBB106_53
	s_branch .LBB106_55
.LBB106_50:
	s_mov_b32 s8, -1
                                        ; implicit-def: $vgpr29
                                        ; implicit-def: $vgpr20
	s_branch .LBB106_55
.LBB106_51:
	v_mov_b32_e32 v29, 0
	v_mov_b32_e32 v20, 0
	s_branch .LBB106_55
.LBB106_52:
	v_mov_b32_e32 v29, 0
	v_mov_b32_e32 v20, 0
	v_mov_b32_e32 v3, v2
	s_mov_b32 s9, 0
	s_and_b32 s10, s10, 3
	s_cmp_eq_u32 s10, 0
	s_cbranch_scc1 .LBB106_55
.LBB106_53:
	s_lshl_b32 s4, s9, 3
	s_mul_i32 s6, s9, 12
	s_add_u32 s4, s28, s4
	s_addc_u32 s5, s29, 0
	s_add_u32 s4, s4, 0xc4
	s_addc_u32 s5, s5, 0
	;; [unrolled: 2-line block ×3, first 2 shown]
	.p2align	6
.LBB106_54:                             ; =>This Inner Loop Header: Depth=1
	s_clause 0x1
	s_load_dwordx2 s[12:13], s[6:7], 0x4
	s_load_dword s9, s[6:7], 0xc
	s_load_dwordx2 s[14:15], s[4:5], 0x0
	s_add_u32 s6, s6, 12
	s_addc_u32 s7, s7, 0
	s_add_u32 s4, s4, 8
	s_addc_u32 s5, s5, 0
	s_add_i32 s10, s10, -1
	s_cmp_lg_u32 s10, 0
	s_waitcnt lgkmcnt(0)
	v_mul_hi_u32 v5, s13, v3
	v_add_nc_u32_e32 v5, v3, v5
	v_lshrrev_b32_e32 v5, s9, v5
	v_mul_lo_u32 v6, v5, s12
	v_sub_nc_u32_e32 v3, v3, v6
	v_mad_u64_u32 v[29:30], null, v3, s14, v[29:30]
	v_mad_u64_u32 v[20:21], null, v3, s15, v[20:21]
	v_mov_b32_e32 v3, v5
	s_cbranch_scc1 .LBB106_54
.LBB106_55:
	s_andn2_b32 vcc_lo, exec_lo, s8
	s_cbranch_vccnz .LBB106_58
; %bb.56:
	s_clause 0x1
	s_load_dwordx4 s[4:7], s[28:29], 0x4
	s_load_dwordx2 s[8:9], s[28:29], 0xc4
	s_cmp_lt_u32 s33, 2
	s_waitcnt lgkmcnt(0)
	v_mul_hi_u32 v3, s5, v2
	v_add_nc_u32_e32 v3, v2, v3
	v_lshrrev_b32_e32 v3, s6, v3
	v_mul_lo_u32 v5, v3, s4
	v_sub_nc_u32_e32 v2, v2, v5
	v_mul_lo_u32 v29, v2, s8
	v_mul_lo_u32 v20, v2, s9
	s_cbranch_scc1 .LBB106_58
; %bb.57:
	s_clause 0x1
	s_load_dwordx4 s[4:7], s[28:29], 0x10
	s_load_dwordx2 s[8:9], s[28:29], 0xcc
	s_waitcnt lgkmcnt(0)
	v_mul_hi_u32 v2, s5, v3
	v_add_nc_u32_e32 v2, v3, v2
	v_lshrrev_b32_e32 v2, s6, v2
	v_mul_lo_u32 v2, v2, s4
	v_sub_nc_u32_e32 v2, v3, v2
	v_mad_u64_u32 v[29:30], null, v2, s8, v[29:30]
	v_mad_u64_u32 v[20:21], null, v2, s9, v[20:21]
.LBB106_58:
	v_cmp_ne_u32_e32 vcc_lo, 1, v1
	v_add_nc_u32_e32 v2, 0x180, v25
	s_cbranch_vccnz .LBB106_64
; %bb.59:
	s_cmp_lg_u32 s33, 0
	s_mov_b32 s8, 0
	s_cbranch_scc0 .LBB106_65
; %bb.60:
	s_min_u32 s10, s44, 15
	s_add_i32 s10, s10, 1
	s_cmp_eq_u32 s44, 2
	s_cbranch_scc1 .LBB106_66
; %bb.61:
	v_mov_b32_e32 v21, 0
	v_mov_b32_e32 v30, 0
	;; [unrolled: 1-line block ×3, first 2 shown]
	s_and_b32 s9, s10, 28
	s_add_u32 s4, s28, 0xc4
	s_addc_u32 s5, s29, 0
	s_mov_b32 s11, 0
	s_mov_b64 s[6:7], s[28:29]
.LBB106_62:                             ; =>This Inner Loop Header: Depth=1
	s_load_dwordx8 s[12:19], s[6:7], 0x4
	s_waitcnt lgkmcnt(0)
	s_load_dwordx4 s[36:39], s[6:7], 0x24
	s_load_dwordx8 s[20:27], s[4:5], 0x0
	s_add_u32 s6, s6, 48
	s_addc_u32 s7, s7, 0
	s_add_i32 s11, s11, 4
	s_add_u32 s4, s4, 32
	s_addc_u32 s5, s5, 0
	s_cmp_lg_u32 s9, s11
	v_mul_hi_u32 v5, s13, v3
	v_add_nc_u32_e32 v5, v3, v5
	v_lshrrev_b32_e32 v5, s14, v5
	v_mul_hi_u32 v6, s16, v5
	v_mul_lo_u32 v8, v5, s12
	v_add_nc_u32_e32 v6, v5, v6
	v_sub_nc_u32_e32 v3, v3, v8
	v_lshrrev_b32_e32 v6, s17, v6
	s_waitcnt lgkmcnt(0)
	v_mul_lo_u32 v8, v3, s20
	v_mul_lo_u32 v10, v3, s21
	v_mul_hi_u32 v7, s19, v6
	v_add_nc_u32_e32 v7, v6, v7
	v_lshrrev_b32_e32 v7, s36, v7
	v_mul_hi_u32 v9, s38, v7
	v_mul_lo_u32 v11, v7, s18
	v_add_nc_u32_e32 v3, v7, v9
	v_mul_lo_u32 v9, v6, s15
	v_sub_nc_u32_e32 v6, v6, v11
	v_lshrrev_b32_e32 v3, s39, v3
	v_mul_lo_u32 v11, v6, s24
	v_mul_lo_u32 v6, v6, s25
	v_sub_nc_u32_e32 v5, v5, v9
	v_mul_lo_u32 v12, v3, s37
	v_mul_lo_u32 v9, v5, s22
	;; [unrolled: 1-line block ×3, first 2 shown]
	v_sub_nc_u32_e32 v7, v7, v12
	v_add3_u32 v8, v8, v30, v9
	v_mul_lo_u32 v12, v7, s26
	v_mul_lo_u32 v7, v7, s27
	v_add3_u32 v5, v10, v21, v5
	v_add3_u32 v30, v11, v8, v12
	;; [unrolled: 1-line block ×3, first 2 shown]
	s_cbranch_scc1 .LBB106_62
; %bb.63:
	s_and_b32 s10, s10, 3
	s_cmp_eq_u32 s10, 0
	s_cbranch_scc0 .LBB106_67
	s_branch .LBB106_69
.LBB106_64:
	s_mov_b32 s8, -1
                                        ; implicit-def: $vgpr30
                                        ; implicit-def: $vgpr21
	s_branch .LBB106_69
.LBB106_65:
	v_mov_b32_e32 v30, 0
	v_mov_b32_e32 v21, 0
	s_branch .LBB106_69
.LBB106_66:
	v_mov_b32_e32 v30, 0
	v_mov_b32_e32 v21, 0
	;; [unrolled: 1-line block ×3, first 2 shown]
	s_mov_b32 s9, 0
	s_and_b32 s10, s10, 3
	s_cmp_eq_u32 s10, 0
	s_cbranch_scc1 .LBB106_69
.LBB106_67:
	s_lshl_b32 s4, s9, 3
	s_mul_i32 s6, s9, 12
	s_add_u32 s4, s28, s4
	s_addc_u32 s5, s29, 0
	s_add_u32 s4, s4, 0xc4
	s_addc_u32 s5, s5, 0
	;; [unrolled: 2-line block ×3, first 2 shown]
	.p2align	6
.LBB106_68:                             ; =>This Inner Loop Header: Depth=1
	s_clause 0x1
	s_load_dwordx2 s[12:13], s[6:7], 0x4
	s_load_dword s9, s[6:7], 0xc
	s_load_dwordx2 s[14:15], s[4:5], 0x0
	s_add_u32 s6, s6, 12
	s_addc_u32 s7, s7, 0
	s_add_u32 s4, s4, 8
	s_addc_u32 s5, s5, 0
	s_add_i32 s10, s10, -1
	s_cmp_lg_u32 s10, 0
	s_waitcnt lgkmcnt(0)
	v_mul_hi_u32 v5, s13, v3
	v_add_nc_u32_e32 v5, v3, v5
	v_lshrrev_b32_e32 v5, s9, v5
	v_mul_lo_u32 v6, v5, s12
	v_sub_nc_u32_e32 v3, v3, v6
	v_mad_u64_u32 v[30:31], null, v3, s14, v[30:31]
	v_mad_u64_u32 v[21:22], null, v3, s15, v[21:22]
	v_mov_b32_e32 v3, v5
	s_cbranch_scc1 .LBB106_68
.LBB106_69:
	s_andn2_b32 vcc_lo, exec_lo, s8
	s_cbranch_vccnz .LBB106_72
; %bb.70:
	s_clause 0x1
	s_load_dwordx4 s[4:7], s[28:29], 0x4
	s_load_dwordx2 s[8:9], s[28:29], 0xc4
	s_cmp_lt_u32 s33, 2
	s_waitcnt lgkmcnt(0)
	v_mul_hi_u32 v3, s5, v2
	v_add_nc_u32_e32 v3, v2, v3
	v_lshrrev_b32_e32 v3, s6, v3
	v_mul_lo_u32 v5, v3, s4
	v_sub_nc_u32_e32 v2, v2, v5
	v_mul_lo_u32 v30, v2, s8
	v_mul_lo_u32 v21, v2, s9
	s_cbranch_scc1 .LBB106_72
; %bb.71:
	s_clause 0x1
	s_load_dwordx4 s[4:7], s[28:29], 0x10
	s_load_dwordx2 s[8:9], s[28:29], 0xcc
	s_waitcnt lgkmcnt(0)
	v_mul_hi_u32 v2, s5, v3
	v_add_nc_u32_e32 v2, v3, v2
	v_lshrrev_b32_e32 v2, s6, v2
	v_mul_lo_u32 v2, v2, s4
	v_sub_nc_u32_e32 v2, v3, v2
	v_mad_u64_u32 v[30:31], null, v2, s8, v[30:31]
	v_mad_u64_u32 v[21:22], null, v2, s9, v[21:22]
.LBB106_72:
	v_cmp_ne_u32_e32 vcc_lo, 1, v1
	v_add_nc_u32_e32 v2, 0x200, v25
	s_cbranch_vccnz .LBB106_78
; %bb.73:
	s_cmp_lg_u32 s33, 0
	s_mov_b32 s8, 0
	s_cbranch_scc0 .LBB106_79
; %bb.74:
	s_min_u32 s10, s44, 15
	s_add_i32 s10, s10, 1
	s_cmp_eq_u32 s44, 2
	s_cbranch_scc1 .LBB106_80
; %bb.75:
	v_mov_b32_e32 v22, 0
	v_mov_b32_e32 v31, 0
	;; [unrolled: 1-line block ×3, first 2 shown]
	s_and_b32 s9, s10, 28
	s_add_u32 s4, s28, 0xc4
	s_addc_u32 s5, s29, 0
	s_mov_b32 s11, 0
	s_mov_b64 s[6:7], s[28:29]
.LBB106_76:                             ; =>This Inner Loop Header: Depth=1
	s_load_dwordx8 s[12:19], s[6:7], 0x4
	s_waitcnt lgkmcnt(0)
	s_load_dwordx4 s[36:39], s[6:7], 0x24
	s_load_dwordx8 s[20:27], s[4:5], 0x0
	s_add_u32 s6, s6, 48
	s_addc_u32 s7, s7, 0
	s_add_i32 s11, s11, 4
	s_add_u32 s4, s4, 32
	s_addc_u32 s5, s5, 0
	s_cmp_lg_u32 s9, s11
	v_mul_hi_u32 v5, s13, v3
	v_add_nc_u32_e32 v5, v3, v5
	v_lshrrev_b32_e32 v5, s14, v5
	v_mul_hi_u32 v6, s16, v5
	v_mul_lo_u32 v8, v5, s12
	v_add_nc_u32_e32 v6, v5, v6
	v_sub_nc_u32_e32 v3, v3, v8
	v_lshrrev_b32_e32 v6, s17, v6
	s_waitcnt lgkmcnt(0)
	v_mul_lo_u32 v8, v3, s20
	v_mul_lo_u32 v10, v3, s21
	v_mul_hi_u32 v7, s19, v6
	v_add_nc_u32_e32 v7, v6, v7
	v_lshrrev_b32_e32 v7, s36, v7
	v_mul_hi_u32 v9, s38, v7
	v_mul_lo_u32 v11, v7, s18
	v_add_nc_u32_e32 v3, v7, v9
	v_mul_lo_u32 v9, v6, s15
	v_sub_nc_u32_e32 v6, v6, v11
	v_lshrrev_b32_e32 v3, s39, v3
	v_mul_lo_u32 v11, v6, s24
	v_mul_lo_u32 v6, v6, s25
	v_sub_nc_u32_e32 v5, v5, v9
	v_mul_lo_u32 v12, v3, s37
	v_mul_lo_u32 v9, v5, s22
	;; [unrolled: 1-line block ×3, first 2 shown]
	v_sub_nc_u32_e32 v7, v7, v12
	v_add3_u32 v8, v8, v31, v9
	v_mul_lo_u32 v12, v7, s26
	v_mul_lo_u32 v7, v7, s27
	v_add3_u32 v5, v10, v22, v5
	v_add3_u32 v31, v11, v8, v12
	;; [unrolled: 1-line block ×3, first 2 shown]
	s_cbranch_scc1 .LBB106_76
; %bb.77:
	s_and_b32 s10, s10, 3
	s_cmp_eq_u32 s10, 0
	s_cbranch_scc0 .LBB106_81
	s_branch .LBB106_83
.LBB106_78:
	s_mov_b32 s8, -1
                                        ; implicit-def: $vgpr31
                                        ; implicit-def: $vgpr22
	s_branch .LBB106_83
.LBB106_79:
	v_mov_b32_e32 v31, 0
	v_mov_b32_e32 v22, 0
	s_branch .LBB106_83
.LBB106_80:
	v_mov_b32_e32 v31, 0
	v_mov_b32_e32 v22, 0
	;; [unrolled: 1-line block ×3, first 2 shown]
	s_mov_b32 s9, 0
	s_and_b32 s10, s10, 3
	s_cmp_eq_u32 s10, 0
	s_cbranch_scc1 .LBB106_83
.LBB106_81:
	s_lshl_b32 s4, s9, 3
	s_mul_i32 s6, s9, 12
	s_add_u32 s4, s28, s4
	s_addc_u32 s5, s29, 0
	s_add_u32 s4, s4, 0xc4
	s_addc_u32 s5, s5, 0
	;; [unrolled: 2-line block ×3, first 2 shown]
	.p2align	6
.LBB106_82:                             ; =>This Inner Loop Header: Depth=1
	s_clause 0x1
	s_load_dwordx2 s[12:13], s[6:7], 0x4
	s_load_dword s9, s[6:7], 0xc
	s_load_dwordx2 s[14:15], s[4:5], 0x0
	s_add_u32 s6, s6, 12
	s_addc_u32 s7, s7, 0
	s_add_u32 s4, s4, 8
	s_addc_u32 s5, s5, 0
	s_add_i32 s10, s10, -1
	s_cmp_lg_u32 s10, 0
	s_waitcnt lgkmcnt(0)
	v_mul_hi_u32 v5, s13, v3
	v_add_nc_u32_e32 v5, v3, v5
	v_lshrrev_b32_e32 v5, s9, v5
	v_mul_lo_u32 v6, v5, s12
	v_sub_nc_u32_e32 v3, v3, v6
	v_mad_u64_u32 v[31:32], null, v3, s14, v[31:32]
	v_mad_u64_u32 v[22:23], null, v3, s15, v[22:23]
	v_mov_b32_e32 v3, v5
	s_cbranch_scc1 .LBB106_82
.LBB106_83:
	s_andn2_b32 vcc_lo, exec_lo, s8
	s_cbranch_vccnz .LBB106_86
; %bb.84:
	s_clause 0x1
	s_load_dwordx4 s[4:7], s[28:29], 0x4
	s_load_dwordx2 s[8:9], s[28:29], 0xc4
	s_cmp_lt_u32 s33, 2
	s_waitcnt lgkmcnt(0)
	v_mul_hi_u32 v3, s5, v2
	v_add_nc_u32_e32 v3, v2, v3
	v_lshrrev_b32_e32 v3, s6, v3
	v_mul_lo_u32 v5, v3, s4
	v_sub_nc_u32_e32 v2, v2, v5
	v_mul_lo_u32 v31, v2, s8
	v_mul_lo_u32 v22, v2, s9
	s_cbranch_scc1 .LBB106_86
; %bb.85:
	s_clause 0x1
	s_load_dwordx4 s[4:7], s[28:29], 0x10
	s_load_dwordx2 s[8:9], s[28:29], 0xcc
	s_waitcnt lgkmcnt(0)
	v_mul_hi_u32 v2, s5, v3
	v_add_nc_u32_e32 v2, v3, v2
	v_lshrrev_b32_e32 v2, s6, v2
	v_mul_lo_u32 v2, v2, s4
	v_sub_nc_u32_e32 v2, v3, v2
	v_mad_u64_u32 v[31:32], null, v2, s8, v[31:32]
	v_mad_u64_u32 v[22:23], null, v2, s9, v[22:23]
.LBB106_86:
	v_cmp_ne_u32_e32 vcc_lo, 1, v1
	v_add_nc_u32_e32 v2, 0x280, v25
	s_cbranch_vccnz .LBB106_92
; %bb.87:
	s_cmp_lg_u32 s33, 0
	s_mov_b32 s8, 0
	s_cbranch_scc0 .LBB106_93
; %bb.88:
	s_min_u32 s10, s44, 15
	s_add_i32 s10, s10, 1
	s_cmp_eq_u32 s44, 2
	s_cbranch_scc1 .LBB106_94
; %bb.89:
	v_mov_b32_e32 v23, 0
	v_mov_b32_e32 v32, 0
	;; [unrolled: 1-line block ×3, first 2 shown]
	s_and_b32 s9, s10, 28
	s_add_u32 s4, s28, 0xc4
	s_addc_u32 s5, s29, 0
	s_mov_b32 s11, 0
	s_mov_b64 s[6:7], s[28:29]
.LBB106_90:                             ; =>This Inner Loop Header: Depth=1
	s_load_dwordx8 s[12:19], s[6:7], 0x4
	s_waitcnt lgkmcnt(0)
	s_load_dwordx4 s[36:39], s[6:7], 0x24
	s_load_dwordx8 s[20:27], s[4:5], 0x0
	s_add_u32 s6, s6, 48
	s_addc_u32 s7, s7, 0
	s_add_i32 s11, s11, 4
	s_add_u32 s4, s4, 32
	s_addc_u32 s5, s5, 0
	s_cmp_lg_u32 s9, s11
	v_mul_hi_u32 v5, s13, v3
	v_add_nc_u32_e32 v5, v3, v5
	v_lshrrev_b32_e32 v5, s14, v5
	v_mul_hi_u32 v6, s16, v5
	v_mul_lo_u32 v8, v5, s12
	v_add_nc_u32_e32 v6, v5, v6
	v_sub_nc_u32_e32 v3, v3, v8
	v_lshrrev_b32_e32 v6, s17, v6
	s_waitcnt lgkmcnt(0)
	v_mul_lo_u32 v8, v3, s20
	v_mul_lo_u32 v10, v3, s21
	v_mul_hi_u32 v7, s19, v6
	v_add_nc_u32_e32 v7, v6, v7
	v_lshrrev_b32_e32 v7, s36, v7
	v_mul_hi_u32 v9, s38, v7
	v_mul_lo_u32 v11, v7, s18
	v_add_nc_u32_e32 v3, v7, v9
	v_mul_lo_u32 v9, v6, s15
	v_sub_nc_u32_e32 v6, v6, v11
	v_lshrrev_b32_e32 v3, s39, v3
	v_mul_lo_u32 v11, v6, s24
	v_mul_lo_u32 v6, v6, s25
	v_sub_nc_u32_e32 v5, v5, v9
	v_mul_lo_u32 v12, v3, s37
	v_mul_lo_u32 v9, v5, s22
	;; [unrolled: 1-line block ×3, first 2 shown]
	v_sub_nc_u32_e32 v7, v7, v12
	v_add3_u32 v8, v8, v32, v9
	v_mul_lo_u32 v12, v7, s26
	v_mul_lo_u32 v7, v7, s27
	v_add3_u32 v5, v10, v23, v5
	v_add3_u32 v32, v11, v8, v12
	;; [unrolled: 1-line block ×3, first 2 shown]
	s_cbranch_scc1 .LBB106_90
; %bb.91:
	s_and_b32 s10, s10, 3
	s_cmp_eq_u32 s10, 0
	s_cbranch_scc0 .LBB106_95
	s_branch .LBB106_97
.LBB106_92:
	s_mov_b32 s8, -1
                                        ; implicit-def: $vgpr32
                                        ; implicit-def: $vgpr23
	s_branch .LBB106_97
.LBB106_93:
	v_mov_b32_e32 v32, 0
	v_mov_b32_e32 v23, 0
	s_branch .LBB106_97
.LBB106_94:
	v_mov_b32_e32 v32, 0
	v_mov_b32_e32 v23, 0
	;; [unrolled: 1-line block ×3, first 2 shown]
	s_mov_b32 s9, 0
	s_and_b32 s10, s10, 3
	s_cmp_eq_u32 s10, 0
	s_cbranch_scc1 .LBB106_97
.LBB106_95:
	s_lshl_b32 s4, s9, 3
	s_mul_i32 s6, s9, 12
	s_add_u32 s4, s28, s4
	s_addc_u32 s5, s29, 0
	s_add_u32 s4, s4, 0xc4
	s_addc_u32 s5, s5, 0
	s_add_u32 s6, s28, s6
	s_addc_u32 s7, s29, 0
	.p2align	6
.LBB106_96:                             ; =>This Inner Loop Header: Depth=1
	s_clause 0x1
	s_load_dwordx2 s[12:13], s[6:7], 0x4
	s_load_dword s9, s[6:7], 0xc
	s_load_dwordx2 s[14:15], s[4:5], 0x0
	s_add_u32 s6, s6, 12
	s_addc_u32 s7, s7, 0
	s_add_u32 s4, s4, 8
	s_addc_u32 s5, s5, 0
	s_add_i32 s10, s10, -1
	s_cmp_lg_u32 s10, 0
	s_waitcnt lgkmcnt(0)
	v_mul_hi_u32 v5, s13, v3
	v_add_nc_u32_e32 v5, v3, v5
	v_lshrrev_b32_e32 v5, s9, v5
	v_mul_lo_u32 v6, v5, s12
	v_sub_nc_u32_e32 v3, v3, v6
	v_mad_u64_u32 v[32:33], null, v3, s14, v[32:33]
	v_mad_u64_u32 v[23:24], null, v3, s15, v[23:24]
	v_mov_b32_e32 v3, v5
	s_cbranch_scc1 .LBB106_96
.LBB106_97:
	s_andn2_b32 vcc_lo, exec_lo, s8
	s_cbranch_vccnz .LBB106_100
; %bb.98:
	s_clause 0x1
	s_load_dwordx4 s[4:7], s[28:29], 0x4
	s_load_dwordx2 s[8:9], s[28:29], 0xc4
	s_cmp_lt_u32 s33, 2
	s_waitcnt lgkmcnt(0)
	v_mul_hi_u32 v3, s5, v2
	v_add_nc_u32_e32 v3, v2, v3
	v_lshrrev_b32_e32 v3, s6, v3
	v_mul_lo_u32 v5, v3, s4
	v_sub_nc_u32_e32 v2, v2, v5
	v_mul_lo_u32 v32, v2, s8
	v_mul_lo_u32 v23, v2, s9
	s_cbranch_scc1 .LBB106_100
; %bb.99:
	s_clause 0x1
	s_load_dwordx4 s[4:7], s[28:29], 0x10
	s_load_dwordx2 s[8:9], s[28:29], 0xcc
	s_waitcnt lgkmcnt(0)
	v_mul_hi_u32 v2, s5, v3
	v_add_nc_u32_e32 v2, v3, v2
	v_lshrrev_b32_e32 v2, s6, v2
	v_mul_lo_u32 v2, v2, s4
	v_sub_nc_u32_e32 v2, v3, v2
	v_mad_u64_u32 v[32:33], null, v2, s8, v[32:33]
	v_mad_u64_u32 v[23:24], null, v2, s9, v[23:24]
.LBB106_100:
	v_cmp_ne_u32_e32 vcc_lo, 1, v1
	v_add_nc_u32_e32 v2, 0x300, v25
	s_cbranch_vccnz .LBB106_106
; %bb.101:
	s_cmp_lg_u32 s33, 0
	s_mov_b32 s8, 0
	s_cbranch_scc0 .LBB106_107
; %bb.102:
	s_min_u32 s10, s44, 15
	s_add_i32 s10, s10, 1
	s_cmp_eq_u32 s44, 2
	s_cbranch_scc1 .LBB106_108
; %bb.103:
	v_mov_b32_e32 v24, 0
	v_mov_b32_e32 v33, 0
	;; [unrolled: 1-line block ×3, first 2 shown]
	s_and_b32 s9, s10, 28
	s_add_u32 s4, s28, 0xc4
	s_addc_u32 s5, s29, 0
	s_mov_b32 s11, 0
	s_mov_b64 s[6:7], s[28:29]
.LBB106_104:                            ; =>This Inner Loop Header: Depth=1
	s_load_dwordx8 s[12:19], s[6:7], 0x4
	s_waitcnt lgkmcnt(0)
	s_load_dwordx4 s[36:39], s[6:7], 0x24
	s_load_dwordx8 s[20:27], s[4:5], 0x0
	s_add_u32 s6, s6, 48
	s_addc_u32 s7, s7, 0
	s_add_i32 s11, s11, 4
	s_add_u32 s4, s4, 32
	s_addc_u32 s5, s5, 0
	s_cmp_lg_u32 s9, s11
	v_mul_hi_u32 v5, s13, v3
	v_add_nc_u32_e32 v5, v3, v5
	v_lshrrev_b32_e32 v5, s14, v5
	v_mul_hi_u32 v6, s16, v5
	v_mul_lo_u32 v8, v5, s12
	v_add_nc_u32_e32 v6, v5, v6
	v_sub_nc_u32_e32 v3, v3, v8
	v_lshrrev_b32_e32 v6, s17, v6
	s_waitcnt lgkmcnt(0)
	v_mul_lo_u32 v8, v3, s20
	v_mul_lo_u32 v10, v3, s21
	v_mul_hi_u32 v7, s19, v6
	v_add_nc_u32_e32 v7, v6, v7
	v_lshrrev_b32_e32 v7, s36, v7
	v_mul_hi_u32 v9, s38, v7
	v_mul_lo_u32 v11, v7, s18
	v_add_nc_u32_e32 v3, v7, v9
	v_mul_lo_u32 v9, v6, s15
	v_sub_nc_u32_e32 v6, v6, v11
	v_lshrrev_b32_e32 v3, s39, v3
	v_mul_lo_u32 v11, v6, s24
	v_mul_lo_u32 v6, v6, s25
	v_sub_nc_u32_e32 v5, v5, v9
	v_mul_lo_u32 v12, v3, s37
	v_mul_lo_u32 v9, v5, s22
	;; [unrolled: 1-line block ×3, first 2 shown]
	v_sub_nc_u32_e32 v7, v7, v12
	v_add3_u32 v8, v8, v33, v9
	v_mul_lo_u32 v12, v7, s26
	v_mul_lo_u32 v7, v7, s27
	v_add3_u32 v5, v10, v24, v5
	v_add3_u32 v33, v11, v8, v12
	;; [unrolled: 1-line block ×3, first 2 shown]
	s_cbranch_scc1 .LBB106_104
; %bb.105:
	s_and_b32 s10, s10, 3
	s_cmp_eq_u32 s10, 0
	s_cbranch_scc0 .LBB106_109
	s_branch .LBB106_111
.LBB106_106:
	s_mov_b32 s8, -1
                                        ; implicit-def: $vgpr33
                                        ; implicit-def: $vgpr24
	s_branch .LBB106_111
.LBB106_107:
	v_mov_b32_e32 v33, 0
	v_mov_b32_e32 v24, 0
	s_branch .LBB106_111
.LBB106_108:
	v_mov_b32_e32 v33, 0
	v_mov_b32_e32 v24, 0
	;; [unrolled: 1-line block ×3, first 2 shown]
	s_mov_b32 s9, 0
	s_and_b32 s10, s10, 3
	s_cmp_eq_u32 s10, 0
	s_cbranch_scc1 .LBB106_111
.LBB106_109:
	s_lshl_b32 s4, s9, 3
	s_mul_i32 s6, s9, 12
	s_add_u32 s4, s28, s4
	s_addc_u32 s5, s29, 0
	s_add_u32 s4, s4, 0xc4
	s_addc_u32 s5, s5, 0
	;; [unrolled: 2-line block ×3, first 2 shown]
	.p2align	6
.LBB106_110:                            ; =>This Inner Loop Header: Depth=1
	s_clause 0x1
	s_load_dwordx2 s[12:13], s[6:7], 0x4
	s_load_dword s9, s[6:7], 0xc
	s_load_dwordx2 s[14:15], s[4:5], 0x0
	s_add_u32 s6, s6, 12
	s_addc_u32 s7, s7, 0
	s_add_u32 s4, s4, 8
	s_addc_u32 s5, s5, 0
	s_add_i32 s10, s10, -1
	s_cmp_lg_u32 s10, 0
	s_waitcnt lgkmcnt(0)
	v_mul_hi_u32 v5, s13, v3
	v_add_nc_u32_e32 v5, v3, v5
	v_lshrrev_b32_e32 v5, s9, v5
	v_mul_lo_u32 v6, v5, s12
	v_sub_nc_u32_e32 v3, v3, v6
	v_mad_u64_u32 v[33:34], null, v3, s14, v[33:34]
	v_mad_u64_u32 v[24:25], null, v3, s15, v[24:25]
	v_mov_b32_e32 v3, v5
	s_cbranch_scc1 .LBB106_110
.LBB106_111:
	s_andn2_b32 vcc_lo, exec_lo, s8
	s_cbranch_vccnz .LBB106_114
; %bb.112:
	s_clause 0x1
	s_load_dwordx4 s[4:7], s[28:29], 0x4
	s_load_dwordx2 s[8:9], s[28:29], 0xc4
	s_cmp_lt_u32 s33, 2
	s_waitcnt lgkmcnt(0)
	v_mul_hi_u32 v3, s5, v2
	v_add_nc_u32_e32 v3, v2, v3
	v_lshrrev_b32_e32 v3, s6, v3
	v_mul_lo_u32 v5, v3, s4
	v_sub_nc_u32_e32 v2, v2, v5
	v_mul_lo_u32 v33, v2, s8
	v_mul_lo_u32 v24, v2, s9
	s_cbranch_scc1 .LBB106_114
; %bb.113:
	s_clause 0x1
	s_load_dwordx4 s[4:7], s[28:29], 0x10
	s_load_dwordx2 s[8:9], s[28:29], 0xcc
	s_waitcnt lgkmcnt(0)
	v_mul_hi_u32 v2, s5, v3
	v_add_nc_u32_e32 v2, v3, v2
	v_lshrrev_b32_e32 v2, s6, v2
	v_mul_lo_u32 v2, v2, s4
	v_sub_nc_u32_e32 v2, v3, v2
	v_mad_u64_u32 v[33:34], null, v2, s8, v[33:34]
	v_mad_u64_u32 v[24:25], null, v2, s9, v[24:25]
.LBB106_114:
	v_cmp_ne_u32_e32 vcc_lo, 1, v1
	s_cbranch_vccnz .LBB106_120
; %bb.115:
	s_cmp_lg_u32 s33, 0
	s_mov_b32 s8, 0
	s_cbranch_scc0 .LBB106_121
; %bb.116:
	s_min_u32 s10, s44, 15
	s_add_i32 s10, s10, 1
	s_cmp_eq_u32 s44, 2
	s_cbranch_scc1 .LBB106_122
; %bb.117:
	v_mov_b32_e32 v25, 0
	v_mov_b32_e32 v34, 0
	v_mov_b32_e32 v1, v0
	s_and_b32 s9, s10, 28
	s_add_u32 s4, s28, 0xc4
	s_addc_u32 s5, s29, 0
	s_mov_b32 s11, 0
	s_mov_b64 s[6:7], s[28:29]
.LBB106_118:                            ; =>This Inner Loop Header: Depth=1
	s_load_dwordx8 s[12:19], s[6:7], 0x4
	s_waitcnt lgkmcnt(0)
	s_load_dwordx4 s[36:39], s[6:7], 0x24
	s_load_dwordx8 s[20:27], s[4:5], 0x0
	s_add_u32 s6, s6, 48
	s_addc_u32 s7, s7, 0
	s_add_i32 s11, s11, 4
	s_add_u32 s4, s4, 32
	s_addc_u32 s5, s5, 0
	s_cmp_lg_u32 s9, s11
	v_mul_hi_u32 v2, s13, v1
	v_add_nc_u32_e32 v2, v1, v2
	v_lshrrev_b32_e32 v2, s14, v2
	v_mul_hi_u32 v3, s16, v2
	v_mul_lo_u32 v6, v2, s12
	v_add_nc_u32_e32 v3, v2, v3
	v_sub_nc_u32_e32 v1, v1, v6
	v_lshrrev_b32_e32 v3, s17, v3
	s_waitcnt lgkmcnt(0)
	v_mul_lo_u32 v6, v1, s20
	v_mul_lo_u32 v8, v1, s21
	v_mul_hi_u32 v5, s19, v3
	v_add_nc_u32_e32 v5, v3, v5
	v_lshrrev_b32_e32 v5, s36, v5
	v_mul_hi_u32 v7, s38, v5
	v_mul_lo_u32 v9, v5, s18
	v_add_nc_u32_e32 v1, v5, v7
	v_mul_lo_u32 v7, v3, s15
	v_sub_nc_u32_e32 v3, v3, v9
	v_lshrrev_b32_e32 v1, s39, v1
	v_mul_lo_u32 v9, v3, s24
	v_mul_lo_u32 v3, v3, s25
	v_sub_nc_u32_e32 v2, v2, v7
	v_mul_lo_u32 v10, v1, s37
	v_mul_lo_u32 v7, v2, s22
	;; [unrolled: 1-line block ×3, first 2 shown]
	v_sub_nc_u32_e32 v5, v5, v10
	v_add3_u32 v6, v6, v34, v7
	v_mul_lo_u32 v10, v5, s26
	v_mul_lo_u32 v5, v5, s27
	v_add3_u32 v2, v8, v25, v2
	v_add3_u32 v34, v9, v6, v10
	;; [unrolled: 1-line block ×3, first 2 shown]
	s_cbranch_scc1 .LBB106_118
; %bb.119:
	s_and_b32 s10, s10, 3
	s_cmp_eq_u32 s10, 0
	s_cbranch_scc0 .LBB106_123
	s_branch .LBB106_125
.LBB106_120:
	s_mov_b32 s8, -1
                                        ; implicit-def: $vgpr34
                                        ; implicit-def: $vgpr25
	s_branch .LBB106_125
.LBB106_121:
	v_mov_b32_e32 v34, 0
	v_mov_b32_e32 v25, 0
	s_branch .LBB106_125
.LBB106_122:
	v_mov_b32_e32 v34, 0
	v_mov_b32_e32 v25, 0
	;; [unrolled: 1-line block ×3, first 2 shown]
	s_mov_b32 s9, 0
	s_and_b32 s10, s10, 3
	s_cmp_eq_u32 s10, 0
	s_cbranch_scc1 .LBB106_125
.LBB106_123:
	s_lshl_b32 s4, s9, 3
	s_mul_i32 s6, s9, 12
	s_add_u32 s4, s28, s4
	s_addc_u32 s5, s29, 0
	s_add_u32 s4, s4, 0xc4
	s_addc_u32 s5, s5, 0
	;; [unrolled: 2-line block ×3, first 2 shown]
	.p2align	6
.LBB106_124:                            ; =>This Inner Loop Header: Depth=1
	s_clause 0x1
	s_load_dwordx2 s[12:13], s[6:7], 0x4
	s_load_dword s9, s[6:7], 0xc
	s_load_dwordx2 s[14:15], s[4:5], 0x0
	s_add_u32 s6, s6, 12
	s_addc_u32 s7, s7, 0
	s_add_u32 s4, s4, 8
	s_addc_u32 s5, s5, 0
	s_add_i32 s10, s10, -1
	s_cmp_lg_u32 s10, 0
	s_waitcnt lgkmcnt(0)
	v_mul_hi_u32 v2, s13, v1
	v_add_nc_u32_e32 v2, v1, v2
	v_lshrrev_b32_e32 v2, s9, v2
	v_mul_lo_u32 v3, v2, s12
	v_sub_nc_u32_e32 v1, v1, v3
	v_mad_u64_u32 v[34:35], null, v1, s14, v[34:35]
	v_mad_u64_u32 v[25:26], null, v1, s15, v[25:26]
	v_mov_b32_e32 v1, v2
	s_cbranch_scc1 .LBB106_124
.LBB106_125:
	s_andn2_b32 vcc_lo, exec_lo, s8
	s_cbranch_vccnz .LBB106_128
; %bb.126:
	s_clause 0x1
	s_load_dwordx4 s[4:7], s[28:29], 0x4
	s_load_dwordx2 s[8:9], s[28:29], 0xc4
	s_cmp_lt_u32 s33, 2
	s_waitcnt lgkmcnt(0)
	v_mul_hi_u32 v1, s5, v0
	v_add_nc_u32_e32 v1, v0, v1
	v_lshrrev_b32_e32 v1, s6, v1
	v_mul_lo_u32 v2, v1, s4
	v_sub_nc_u32_e32 v0, v0, v2
	v_mul_lo_u32 v34, v0, s8
	v_mul_lo_u32 v25, v0, s9
	s_cbranch_scc1 .LBB106_128
; %bb.127:
	s_clause 0x1
	s_load_dwordx4 s[4:7], s[28:29], 0x10
	s_load_dwordx2 s[8:9], s[28:29], 0xcc
	s_waitcnt lgkmcnt(0)
	v_mul_hi_u32 v0, s5, v1
	v_add_nc_u32_e32 v0, v1, v0
	v_lshrrev_b32_e32 v0, s6, v0
	v_mul_lo_u32 v0, v0, s4
	v_sub_nc_u32_e32 v0, v1, v0
	v_mad_u64_u32 v[34:35], null, v0, s8, v[34:35]
	v_mad_u64_u32 v[25:26], null, v0, s9, v[25:26]
.LBB106_128:
	s_waitcnt lgkmcnt(0)
	s_clause 0x1
	s_load_dwordx2 s[24:25], s[28:29], 0x158
	s_load_dwordx4 s[20:23], s[28:29], 0x148
	s_getpc_b64 s[26:27]
	s_add_u32 s26, s26, _ZN2at6native6invokeIZZZNS0_21polygamma_kernel_cudaERNS_18TensorIteratorBaseElENKUlvE_clEvENKUlvE1_clEvEUlN3c104HalfEE_j15function_traitsIS8_EEENT1_11result_typeERKT_PrKPcPKT0_i@rel32@lo+4
	s_addc_u32 s27, s27, _ZN2at6native6invokeIZZZNS0_21polygamma_kernel_cudaERNS_18TensorIteratorBaseElENKUlvE_clEvENKUlvE1_clEvEUlN3c104HalfEE_j15function_traitsIS8_EEENT1_11result_typeERKT_PrKPcPKT0_i@rel32@hi+12
	s_waitcnt lgkmcnt(0)
	v_mov_b32_e32 v0, s24
	v_mov_b32_e32 v1, s25
	v_mov_b32_e32 v2, s22
	v_mov_b32_e32 v3, s23
	s_swappc_b64 s[30:31], s[26:27]
	v_mov_b32_e32 v26, v0
	v_mov_b32_e32 v0, s24
	v_mov_b32_e32 v1, s25
	v_mov_b32_e32 v2, s22
	v_mov_b32_e32 v3, s23
	v_mov_b32_e32 v4, v19
	s_swappc_b64 s[30:31], s[26:27]
	v_mov_b32_e32 v19, v0
	v_mov_b32_e32 v0, s24
	v_mov_b32_e32 v1, s25
	v_mov_b32_e32 v2, s22
	v_mov_b32_e32 v3, s23
	v_mov_b32_e32 v4, v20
	s_swappc_b64 s[30:31], s[26:27]
	v_mov_b32_e32 v20, v0
	v_mov_b32_e32 v0, s24
	v_mov_b32_e32 v1, s25
	v_mov_b32_e32 v2, s22
	v_mov_b32_e32 v3, s23
	v_mov_b32_e32 v4, v21
	s_swappc_b64 s[30:31], s[26:27]
	v_mov_b32_e32 v21, v0
	v_mov_b32_e32 v0, s24
	v_mov_b32_e32 v1, s25
	v_mov_b32_e32 v2, s22
	v_mov_b32_e32 v3, s23
	v_mov_b32_e32 v4, v22
	s_swappc_b64 s[30:31], s[26:27]
	v_mov_b32_e32 v22, v0
	v_mov_b32_e32 v0, s24
	v_mov_b32_e32 v1, s25
	v_mov_b32_e32 v2, s22
	v_mov_b32_e32 v3, s23
	v_mov_b32_e32 v4, v23
	s_swappc_b64 s[30:31], s[26:27]
	v_mov_b32_e32 v23, v0
	v_mov_b32_e32 v0, s24
	v_mov_b32_e32 v1, s25
	v_mov_b32_e32 v2, s22
	v_mov_b32_e32 v3, s23
	v_mov_b32_e32 v4, v24
	s_swappc_b64 s[30:31], s[26:27]
	v_mov_b32_e32 v24, v0
	v_mov_b32_e32 v0, s24
	v_mov_b32_e32 v1, s25
	v_mov_b32_e32 v2, s22
	;; [unrolled: 1-line block ×4, first 2 shown]
	s_swappc_b64 s[30:31], s[26:27]
	global_store_short v27, v26, s[20:21]
	global_store_short v28, v19, s[20:21]
	;; [unrolled: 1-line block ×8, first 2 shown]
	s_endpgm
.LBB106_129:
	v_mov_b32_e32 v19, 0
	v_mov_b32_e32 v4, 0
	s_branch .LBB106_135
.LBB106_130:
	v_mov_b32_e32 v19, 0
	v_mov_b32_e32 v4, 0
	s_branch .LBB106_151
.LBB106_131:
	v_mov_b32_e32 v19, 0
	v_mov_b32_e32 v4, 0
	;; [unrolled: 1-line block ×3, first 2 shown]
	s_mov_b32 s8, 0
.LBB106_132:
	s_and_b32 s9, s9, 3
	s_cmp_eq_u32 s9, 0
	s_cbranch_scc1 .LBB106_135
; %bb.133:
	s_lshl_b32 s4, s8, 3
	s_mul_i32 s6, s8, 12
	s_add_u32 s4, s28, s4
	s_addc_u32 s5, s29, 0
	s_add_u32 s4, s4, 0xc4
	s_addc_u32 s5, s5, 0
	;; [unrolled: 2-line block ×3, first 2 shown]
	.p2align	6
.LBB106_134:                            ; =>This Inner Loop Header: Depth=1
	s_clause 0x1
	s_load_dwordx2 s[10:11], s[6:7], 0x4
	s_load_dword s8, s[6:7], 0xc
	s_load_dwordx2 s[12:13], s[4:5], 0x0
	s_add_u32 s6, s6, 12
	s_addc_u32 s7, s7, 0
	s_add_u32 s4, s4, 8
	s_addc_u32 s5, s5, 0
	s_add_i32 s9, s9, -1
	s_cmp_lg_u32 s9, 0
	s_waitcnt lgkmcnt(0)
	v_mul_hi_u32 v1, s11, v0
	v_add_nc_u32_e32 v1, v0, v1
	v_lshrrev_b32_e32 v1, s8, v1
	v_mul_lo_u32 v2, v1, s10
	v_sub_nc_u32_e32 v0, v0, v2
	v_mad_u64_u32 v[19:20], null, v0, s12, v[19:20]
	v_mad_u64_u32 v[4:5], null, v0, s13, v[4:5]
	v_mov_b32_e32 v0, v1
	s_cbranch_scc1 .LBB106_134
.LBB106_135:
	s_cbranch_execnz .LBB106_138
.LBB106_136:
	s_waitcnt lgkmcnt(0)
	v_mul_hi_u32 v0, s25, v25
	s_andn2_b32 vcc_lo, exec_lo, s47
	v_add_nc_u32_e32 v0, v25, v0
	v_lshrrev_b32_e32 v0, s26, v0
	v_mul_lo_u32 v1, v0, s24
	v_sub_nc_u32_e32 v1, v25, v1
	v_mul_lo_u32 v19, v1, s36
	v_mul_lo_u32 v4, v1, s37
	s_cbranch_vccnz .LBB106_138
; %bb.137:
	v_mul_hi_u32 v1, s40, v0
	v_add_nc_u32_e32 v1, v0, v1
	v_lshrrev_b32_e32 v1, s41, v1
	v_mul_lo_u32 v1, v1, s27
	v_sub_nc_u32_e32 v0, v0, v1
	v_mad_u64_u32 v[19:20], null, v0, s38, v[19:20]
	v_mad_u64_u32 v[4:5], null, v0, s39, v[4:5]
.LBB106_138:
	s_waitcnt lgkmcnt(0)
	v_mov_b32_e32 v0, s34
	v_mov_b32_e32 v1, s35
	;; [unrolled: 1-line block ×4, first 2 shown]
	s_getpc_b64 s[4:5]
	s_add_u32 s4, s4, _ZN2at6native6invokeIZZZNS0_21polygamma_kernel_cudaERNS_18TensorIteratorBaseElENKUlvE_clEvENKUlvE1_clEvEUlN3c104HalfEE_j15function_traitsIS8_EEENT1_11result_typeERKT_PrKPcPKT0_i@rel32@lo+4
	s_addc_u32 s5, s5, _ZN2at6native6invokeIZZZNS0_21polygamma_kernel_cudaERNS_18TensorIteratorBaseElENKUlvE_clEvENKUlvE1_clEvEUlN3c104HalfEE_j15function_traitsIS8_EEENT1_11result_typeERKT_PrKPcPKT0_i@rel32@hi+12
	s_swappc_b64 s[30:31], s[4:5]
	v_add_nc_u32_e32 v25, 0x80, v25
	global_store_short v19, v0, s[20:21]
	s_or_b32 exec_lo, exec_lo, s51
	s_mov_b32 s51, exec_lo
	v_cmpx_gt_i32_e64 s48, v25
	s_cbranch_execnz .LBB106_15
.LBB106_139:
	s_or_b32 exec_lo, exec_lo, s51
	s_mov_b32 s51, exec_lo
	v_cmpx_gt_i32_e64 s48, v25
	s_cbranch_execz .LBB106_155
.LBB106_140:
	s_andn2_b32 vcc_lo, exec_lo, s45
	s_cbranch_vccnz .LBB106_145
; %bb.141:
	s_andn2_b32 vcc_lo, exec_lo, s50
	s_cbranch_vccnz .LBB106_146
; %bb.142:
	s_add_i32 s9, s49, 1
	s_cmp_eq_u32 s44, 2
	s_cbranch_scc1 .LBB106_163
; %bb.143:
	v_mov_b32_e32 v4, 0
	v_mov_b32_e32 v19, 0
	;; [unrolled: 1-line block ×3, first 2 shown]
	s_and_b32 s8, s9, 28
	s_mov_b32 s10, 0
	s_mov_b64 s[4:5], s[28:29]
	s_mov_b64 s[6:7], s[42:43]
.LBB106_144:                            ; =>This Inner Loop Header: Depth=1
	s_clause 0x1
	s_load_dwordx8 s[12:19], s[4:5], 0x4
	s_load_dwordx4 s[60:63], s[4:5], 0x24
	s_load_dwordx8 s[52:59], s[6:7], 0x0
	s_add_u32 s4, s4, 48
	s_addc_u32 s5, s5, 0
	s_add_i32 s10, s10, 4
	s_add_u32 s6, s6, 32
	s_addc_u32 s7, s7, 0
	s_cmp_eq_u32 s8, s10
	s_waitcnt lgkmcnt(0)
	v_mul_hi_u32 v1, s13, v0
	v_add_nc_u32_e32 v1, v0, v1
	v_lshrrev_b32_e32 v1, s14, v1
	v_mul_hi_u32 v2, s16, v1
	v_mul_lo_u32 v5, v1, s12
	v_add_nc_u32_e32 v2, v1, v2
	v_sub_nc_u32_e32 v0, v0, v5
	v_lshrrev_b32_e32 v2, s17, v2
	v_mul_lo_u32 v5, v0, s52
	v_mul_lo_u32 v7, v0, s53
	v_mul_hi_u32 v3, s19, v2
	v_add_nc_u32_e32 v3, v2, v3
	v_lshrrev_b32_e32 v3, s60, v3
	v_mul_hi_u32 v6, s62, v3
	v_mul_lo_u32 v8, v3, s18
	v_add_nc_u32_e32 v0, v3, v6
	v_mul_lo_u32 v6, v2, s15
	v_sub_nc_u32_e32 v2, v2, v8
	v_lshrrev_b32_e32 v0, s63, v0
	v_mul_lo_u32 v8, v2, s56
	v_mul_lo_u32 v2, v2, s57
	v_sub_nc_u32_e32 v1, v1, v6
	v_mul_lo_u32 v9, v0, s61
	v_mul_lo_u32 v6, v1, s54
	;; [unrolled: 1-line block ×3, first 2 shown]
	v_sub_nc_u32_e32 v3, v3, v9
	v_add3_u32 v5, v5, v19, v6
	v_mul_lo_u32 v9, v3, s58
	v_mul_lo_u32 v3, v3, s59
	v_add3_u32 v1, v7, v4, v1
	v_add3_u32 v19, v8, v5, v9
	;; [unrolled: 1-line block ×3, first 2 shown]
	s_cbranch_scc0 .LBB106_144
	s_branch .LBB106_164
.LBB106_145:
                                        ; implicit-def: $vgpr19
                                        ; implicit-def: $vgpr4
	s_branch .LBB106_168
.LBB106_146:
	v_mov_b32_e32 v19, 0
	v_mov_b32_e32 v4, 0
	s_branch .LBB106_167
.LBB106_147:
	v_mov_b32_e32 v19, 0
	v_mov_b32_e32 v4, 0
	;; [unrolled: 1-line block ×3, first 2 shown]
	s_mov_b32 s8, 0
.LBB106_148:
	s_and_b32 s9, s9, 3
	s_cmp_eq_u32 s9, 0
	s_cbranch_scc1 .LBB106_151
; %bb.149:
	s_lshl_b32 s4, s8, 3
	s_mul_i32 s6, s8, 12
	s_add_u32 s4, s28, s4
	s_addc_u32 s5, s29, 0
	s_add_u32 s4, s4, 0xc4
	s_addc_u32 s5, s5, 0
	s_add_u32 s6, s28, s6
	s_addc_u32 s7, s29, 0
	.p2align	6
.LBB106_150:                            ; =>This Inner Loop Header: Depth=1
	s_clause 0x1
	s_load_dwordx2 s[10:11], s[6:7], 0x4
	s_load_dword s8, s[6:7], 0xc
	s_load_dwordx2 s[12:13], s[4:5], 0x0
	s_add_u32 s6, s6, 12
	s_addc_u32 s7, s7, 0
	s_add_u32 s4, s4, 8
	s_addc_u32 s5, s5, 0
	s_add_i32 s9, s9, -1
	s_cmp_lg_u32 s9, 0
	s_waitcnt lgkmcnt(0)
	v_mul_hi_u32 v1, s11, v0
	v_add_nc_u32_e32 v1, v0, v1
	v_lshrrev_b32_e32 v1, s8, v1
	v_mul_lo_u32 v2, v1, s10
	v_sub_nc_u32_e32 v0, v0, v2
	v_mad_u64_u32 v[19:20], null, v0, s12, v[19:20]
	v_mad_u64_u32 v[4:5], null, v0, s13, v[4:5]
	v_mov_b32_e32 v0, v1
	s_cbranch_scc1 .LBB106_150
.LBB106_151:
	s_cbranch_execnz .LBB106_154
.LBB106_152:
	s_waitcnt lgkmcnt(0)
	v_mul_hi_u32 v0, s25, v25
	s_andn2_b32 vcc_lo, exec_lo, s47
	v_add_nc_u32_e32 v0, v25, v0
	v_lshrrev_b32_e32 v0, s26, v0
	v_mul_lo_u32 v1, v0, s24
	v_sub_nc_u32_e32 v1, v25, v1
	v_mul_lo_u32 v19, v1, s36
	v_mul_lo_u32 v4, v1, s37
	s_cbranch_vccnz .LBB106_154
; %bb.153:
	v_mul_hi_u32 v1, s40, v0
	v_add_nc_u32_e32 v1, v0, v1
	v_lshrrev_b32_e32 v1, s41, v1
	v_mul_lo_u32 v1, v1, s27
	v_sub_nc_u32_e32 v0, v0, v1
	v_mad_u64_u32 v[19:20], null, v0, s38, v[19:20]
	v_mad_u64_u32 v[4:5], null, v0, s39, v[4:5]
.LBB106_154:
	s_waitcnt lgkmcnt(0)
	v_mov_b32_e32 v0, s34
	v_mov_b32_e32 v1, s35
	;; [unrolled: 1-line block ×4, first 2 shown]
	s_getpc_b64 s[4:5]
	s_add_u32 s4, s4, _ZN2at6native6invokeIZZZNS0_21polygamma_kernel_cudaERNS_18TensorIteratorBaseElENKUlvE_clEvENKUlvE1_clEvEUlN3c104HalfEE_j15function_traitsIS8_EEENT1_11result_typeERKT_PrKPcPKT0_i@rel32@lo+4
	s_addc_u32 s5, s5, _ZN2at6native6invokeIZZZNS0_21polygamma_kernel_cudaERNS_18TensorIteratorBaseElENKUlvE_clEvENKUlvE1_clEvEUlN3c104HalfEE_j15function_traitsIS8_EEENT1_11result_typeERKT_PrKPcPKT0_i@rel32@hi+12
	s_swappc_b64 s[30:31], s[4:5]
	v_add_nc_u32_e32 v25, 0x80, v25
	global_store_short v19, v0, s[20:21]
	s_or_b32 exec_lo, exec_lo, s51
	s_mov_b32 s51, exec_lo
	v_cmpx_gt_i32_e64 s48, v25
	s_cbranch_execnz .LBB106_140
.LBB106_155:
	s_or_b32 exec_lo, exec_lo, s51
	s_mov_b32 s51, exec_lo
	v_cmpx_gt_i32_e64 s48, v25
	s_cbranch_execz .LBB106_171
.LBB106_156:
	s_andn2_b32 vcc_lo, exec_lo, s45
	s_cbranch_vccnz .LBB106_161
; %bb.157:
	s_andn2_b32 vcc_lo, exec_lo, s50
	s_cbranch_vccnz .LBB106_162
; %bb.158:
	s_add_i32 s9, s49, 1
	s_cmp_eq_u32 s44, 2
	s_cbranch_scc1 .LBB106_179
; %bb.159:
	v_mov_b32_e32 v4, 0
	v_mov_b32_e32 v19, 0
	;; [unrolled: 1-line block ×3, first 2 shown]
	s_and_b32 s8, s9, 28
	s_mov_b32 s10, 0
	s_mov_b64 s[4:5], s[28:29]
	s_mov_b64 s[6:7], s[42:43]
.LBB106_160:                            ; =>This Inner Loop Header: Depth=1
	s_clause 0x1
	s_load_dwordx8 s[12:19], s[4:5], 0x4
	s_load_dwordx4 s[60:63], s[4:5], 0x24
	s_load_dwordx8 s[52:59], s[6:7], 0x0
	s_add_u32 s4, s4, 48
	s_addc_u32 s5, s5, 0
	s_add_i32 s10, s10, 4
	s_add_u32 s6, s6, 32
	s_addc_u32 s7, s7, 0
	s_cmp_eq_u32 s8, s10
	s_waitcnt lgkmcnt(0)
	v_mul_hi_u32 v1, s13, v0
	v_add_nc_u32_e32 v1, v0, v1
	v_lshrrev_b32_e32 v1, s14, v1
	v_mul_hi_u32 v2, s16, v1
	v_mul_lo_u32 v5, v1, s12
	v_add_nc_u32_e32 v2, v1, v2
	v_sub_nc_u32_e32 v0, v0, v5
	v_lshrrev_b32_e32 v2, s17, v2
	v_mul_lo_u32 v5, v0, s52
	v_mul_lo_u32 v7, v0, s53
	v_mul_hi_u32 v3, s19, v2
	v_add_nc_u32_e32 v3, v2, v3
	v_lshrrev_b32_e32 v3, s60, v3
	v_mul_hi_u32 v6, s62, v3
	v_mul_lo_u32 v8, v3, s18
	v_add_nc_u32_e32 v0, v3, v6
	v_mul_lo_u32 v6, v2, s15
	v_sub_nc_u32_e32 v2, v2, v8
	v_lshrrev_b32_e32 v0, s63, v0
	v_mul_lo_u32 v8, v2, s56
	v_mul_lo_u32 v2, v2, s57
	v_sub_nc_u32_e32 v1, v1, v6
	v_mul_lo_u32 v9, v0, s61
	v_mul_lo_u32 v6, v1, s54
	;; [unrolled: 1-line block ×3, first 2 shown]
	v_sub_nc_u32_e32 v3, v3, v9
	v_add3_u32 v5, v5, v19, v6
	v_mul_lo_u32 v9, v3, s58
	v_mul_lo_u32 v3, v3, s59
	v_add3_u32 v1, v7, v4, v1
	v_add3_u32 v19, v8, v5, v9
	;; [unrolled: 1-line block ×3, first 2 shown]
	s_cbranch_scc0 .LBB106_160
	s_branch .LBB106_180
.LBB106_161:
                                        ; implicit-def: $vgpr19
                                        ; implicit-def: $vgpr4
	s_branch .LBB106_184
.LBB106_162:
	v_mov_b32_e32 v19, 0
	v_mov_b32_e32 v4, 0
	s_branch .LBB106_183
.LBB106_163:
	v_mov_b32_e32 v19, 0
	v_mov_b32_e32 v4, 0
	v_mov_b32_e32 v0, v25
	s_mov_b32 s8, 0
.LBB106_164:
	s_and_b32 s9, s9, 3
	s_cmp_eq_u32 s9, 0
	s_cbranch_scc1 .LBB106_167
; %bb.165:
	s_lshl_b32 s4, s8, 3
	s_mul_i32 s6, s8, 12
	s_add_u32 s4, s28, s4
	s_addc_u32 s5, s29, 0
	s_add_u32 s4, s4, 0xc4
	s_addc_u32 s5, s5, 0
	;; [unrolled: 2-line block ×3, first 2 shown]
	.p2align	6
.LBB106_166:                            ; =>This Inner Loop Header: Depth=1
	s_clause 0x1
	s_load_dwordx2 s[10:11], s[6:7], 0x4
	s_load_dword s8, s[6:7], 0xc
	s_load_dwordx2 s[12:13], s[4:5], 0x0
	s_add_u32 s6, s6, 12
	s_addc_u32 s7, s7, 0
	s_add_u32 s4, s4, 8
	s_addc_u32 s5, s5, 0
	s_add_i32 s9, s9, -1
	s_cmp_lg_u32 s9, 0
	s_waitcnt lgkmcnt(0)
	v_mul_hi_u32 v1, s11, v0
	v_add_nc_u32_e32 v1, v0, v1
	v_lshrrev_b32_e32 v1, s8, v1
	v_mul_lo_u32 v2, v1, s10
	v_sub_nc_u32_e32 v0, v0, v2
	v_mad_u64_u32 v[19:20], null, v0, s12, v[19:20]
	v_mad_u64_u32 v[4:5], null, v0, s13, v[4:5]
	v_mov_b32_e32 v0, v1
	s_cbranch_scc1 .LBB106_166
.LBB106_167:
	s_cbranch_execnz .LBB106_170
.LBB106_168:
	s_waitcnt lgkmcnt(0)
	v_mul_hi_u32 v0, s25, v25
	s_andn2_b32 vcc_lo, exec_lo, s47
	v_add_nc_u32_e32 v0, v25, v0
	v_lshrrev_b32_e32 v0, s26, v0
	v_mul_lo_u32 v1, v0, s24
	v_sub_nc_u32_e32 v1, v25, v1
	v_mul_lo_u32 v19, v1, s36
	v_mul_lo_u32 v4, v1, s37
	s_cbranch_vccnz .LBB106_170
; %bb.169:
	v_mul_hi_u32 v1, s40, v0
	v_add_nc_u32_e32 v1, v0, v1
	v_lshrrev_b32_e32 v1, s41, v1
	v_mul_lo_u32 v1, v1, s27
	v_sub_nc_u32_e32 v0, v0, v1
	v_mad_u64_u32 v[19:20], null, v0, s38, v[19:20]
	v_mad_u64_u32 v[4:5], null, v0, s39, v[4:5]
.LBB106_170:
	s_waitcnt lgkmcnt(0)
	v_mov_b32_e32 v0, s34
	v_mov_b32_e32 v1, s35
	;; [unrolled: 1-line block ×4, first 2 shown]
	s_getpc_b64 s[4:5]
	s_add_u32 s4, s4, _ZN2at6native6invokeIZZZNS0_21polygamma_kernel_cudaERNS_18TensorIteratorBaseElENKUlvE_clEvENKUlvE1_clEvEUlN3c104HalfEE_j15function_traitsIS8_EEENT1_11result_typeERKT_PrKPcPKT0_i@rel32@lo+4
	s_addc_u32 s5, s5, _ZN2at6native6invokeIZZZNS0_21polygamma_kernel_cudaERNS_18TensorIteratorBaseElENKUlvE_clEvENKUlvE1_clEvEUlN3c104HalfEE_j15function_traitsIS8_EEENT1_11result_typeERKT_PrKPcPKT0_i@rel32@hi+12
	s_swappc_b64 s[30:31], s[4:5]
	v_add_nc_u32_e32 v25, 0x80, v25
	global_store_short v19, v0, s[20:21]
	s_or_b32 exec_lo, exec_lo, s51
	s_mov_b32 s51, exec_lo
	v_cmpx_gt_i32_e64 s48, v25
	s_cbranch_execnz .LBB106_156
.LBB106_171:
	s_or_b32 exec_lo, exec_lo, s51
	s_mov_b32 s51, exec_lo
	v_cmpx_gt_i32_e64 s48, v25
	s_cbranch_execz .LBB106_187
.LBB106_172:
	s_andn2_b32 vcc_lo, exec_lo, s45
	s_cbranch_vccnz .LBB106_177
; %bb.173:
	s_andn2_b32 vcc_lo, exec_lo, s50
	s_cbranch_vccnz .LBB106_178
; %bb.174:
	s_add_i32 s9, s49, 1
	s_cmp_eq_u32 s44, 2
	s_cbranch_scc1 .LBB106_195
; %bb.175:
	v_mov_b32_e32 v4, 0
	v_mov_b32_e32 v19, 0
	;; [unrolled: 1-line block ×3, first 2 shown]
	s_and_b32 s8, s9, 28
	s_mov_b32 s10, 0
	s_mov_b64 s[4:5], s[28:29]
	s_mov_b64 s[6:7], s[42:43]
.LBB106_176:                            ; =>This Inner Loop Header: Depth=1
	s_clause 0x1
	s_load_dwordx8 s[12:19], s[4:5], 0x4
	s_load_dwordx4 s[60:63], s[4:5], 0x24
	s_load_dwordx8 s[52:59], s[6:7], 0x0
	s_add_u32 s4, s4, 48
	s_addc_u32 s5, s5, 0
	s_add_i32 s10, s10, 4
	s_add_u32 s6, s6, 32
	s_addc_u32 s7, s7, 0
	s_cmp_eq_u32 s8, s10
	s_waitcnt lgkmcnt(0)
	v_mul_hi_u32 v1, s13, v0
	v_add_nc_u32_e32 v1, v0, v1
	v_lshrrev_b32_e32 v1, s14, v1
	v_mul_hi_u32 v2, s16, v1
	v_mul_lo_u32 v5, v1, s12
	v_add_nc_u32_e32 v2, v1, v2
	v_sub_nc_u32_e32 v0, v0, v5
	v_lshrrev_b32_e32 v2, s17, v2
	v_mul_lo_u32 v5, v0, s52
	v_mul_lo_u32 v7, v0, s53
	v_mul_hi_u32 v3, s19, v2
	v_add_nc_u32_e32 v3, v2, v3
	v_lshrrev_b32_e32 v3, s60, v3
	v_mul_hi_u32 v6, s62, v3
	v_mul_lo_u32 v8, v3, s18
	v_add_nc_u32_e32 v0, v3, v6
	v_mul_lo_u32 v6, v2, s15
	v_sub_nc_u32_e32 v2, v2, v8
	v_lshrrev_b32_e32 v0, s63, v0
	v_mul_lo_u32 v8, v2, s56
	v_mul_lo_u32 v2, v2, s57
	v_sub_nc_u32_e32 v1, v1, v6
	v_mul_lo_u32 v9, v0, s61
	v_mul_lo_u32 v6, v1, s54
	;; [unrolled: 1-line block ×3, first 2 shown]
	v_sub_nc_u32_e32 v3, v3, v9
	v_add3_u32 v5, v5, v19, v6
	v_mul_lo_u32 v9, v3, s58
	v_mul_lo_u32 v3, v3, s59
	v_add3_u32 v1, v7, v4, v1
	v_add3_u32 v19, v8, v5, v9
	;; [unrolled: 1-line block ×3, first 2 shown]
	s_cbranch_scc0 .LBB106_176
	s_branch .LBB106_196
.LBB106_177:
                                        ; implicit-def: $vgpr19
                                        ; implicit-def: $vgpr4
	s_branch .LBB106_200
.LBB106_178:
	v_mov_b32_e32 v19, 0
	v_mov_b32_e32 v4, 0
	s_branch .LBB106_199
.LBB106_179:
	v_mov_b32_e32 v19, 0
	v_mov_b32_e32 v4, 0
	;; [unrolled: 1-line block ×3, first 2 shown]
	s_mov_b32 s8, 0
.LBB106_180:
	s_and_b32 s9, s9, 3
	s_cmp_eq_u32 s9, 0
	s_cbranch_scc1 .LBB106_183
; %bb.181:
	s_lshl_b32 s4, s8, 3
	s_mul_i32 s6, s8, 12
	s_add_u32 s4, s28, s4
	s_addc_u32 s5, s29, 0
	s_add_u32 s4, s4, 0xc4
	s_addc_u32 s5, s5, 0
	;; [unrolled: 2-line block ×3, first 2 shown]
	.p2align	6
.LBB106_182:                            ; =>This Inner Loop Header: Depth=1
	s_clause 0x1
	s_load_dwordx2 s[10:11], s[6:7], 0x4
	s_load_dword s8, s[6:7], 0xc
	s_load_dwordx2 s[12:13], s[4:5], 0x0
	s_add_u32 s6, s6, 12
	s_addc_u32 s7, s7, 0
	s_add_u32 s4, s4, 8
	s_addc_u32 s5, s5, 0
	s_add_i32 s9, s9, -1
	s_cmp_lg_u32 s9, 0
	s_waitcnt lgkmcnt(0)
	v_mul_hi_u32 v1, s11, v0
	v_add_nc_u32_e32 v1, v0, v1
	v_lshrrev_b32_e32 v1, s8, v1
	v_mul_lo_u32 v2, v1, s10
	v_sub_nc_u32_e32 v0, v0, v2
	v_mad_u64_u32 v[19:20], null, v0, s12, v[19:20]
	v_mad_u64_u32 v[4:5], null, v0, s13, v[4:5]
	v_mov_b32_e32 v0, v1
	s_cbranch_scc1 .LBB106_182
.LBB106_183:
	s_cbranch_execnz .LBB106_186
.LBB106_184:
	s_waitcnt lgkmcnt(0)
	v_mul_hi_u32 v0, s25, v25
	s_andn2_b32 vcc_lo, exec_lo, s47
	v_add_nc_u32_e32 v0, v25, v0
	v_lshrrev_b32_e32 v0, s26, v0
	v_mul_lo_u32 v1, v0, s24
	v_sub_nc_u32_e32 v1, v25, v1
	v_mul_lo_u32 v19, v1, s36
	v_mul_lo_u32 v4, v1, s37
	s_cbranch_vccnz .LBB106_186
; %bb.185:
	v_mul_hi_u32 v1, s40, v0
	v_add_nc_u32_e32 v1, v0, v1
	v_lshrrev_b32_e32 v1, s41, v1
	v_mul_lo_u32 v1, v1, s27
	v_sub_nc_u32_e32 v0, v0, v1
	v_mad_u64_u32 v[19:20], null, v0, s38, v[19:20]
	v_mad_u64_u32 v[4:5], null, v0, s39, v[4:5]
.LBB106_186:
	s_waitcnt lgkmcnt(0)
	v_mov_b32_e32 v0, s34
	v_mov_b32_e32 v1, s35
	;; [unrolled: 1-line block ×4, first 2 shown]
	s_getpc_b64 s[4:5]
	s_add_u32 s4, s4, _ZN2at6native6invokeIZZZNS0_21polygamma_kernel_cudaERNS_18TensorIteratorBaseElENKUlvE_clEvENKUlvE1_clEvEUlN3c104HalfEE_j15function_traitsIS8_EEENT1_11result_typeERKT_PrKPcPKT0_i@rel32@lo+4
	s_addc_u32 s5, s5, _ZN2at6native6invokeIZZZNS0_21polygamma_kernel_cudaERNS_18TensorIteratorBaseElENKUlvE_clEvENKUlvE1_clEvEUlN3c104HalfEE_j15function_traitsIS8_EEENT1_11result_typeERKT_PrKPcPKT0_i@rel32@hi+12
	s_swappc_b64 s[30:31], s[4:5]
	v_add_nc_u32_e32 v25, 0x80, v25
	global_store_short v19, v0, s[20:21]
	s_or_b32 exec_lo, exec_lo, s51
	s_mov_b32 s51, exec_lo
	v_cmpx_gt_i32_e64 s48, v25
	s_cbranch_execnz .LBB106_172
.LBB106_187:
	s_or_b32 exec_lo, exec_lo, s51
	s_mov_b32 s51, exec_lo
	v_cmpx_gt_i32_e64 s48, v25
	s_cbranch_execz .LBB106_203
.LBB106_188:
	s_andn2_b32 vcc_lo, exec_lo, s45
	s_cbranch_vccnz .LBB106_193
; %bb.189:
	s_andn2_b32 vcc_lo, exec_lo, s50
	s_cbranch_vccnz .LBB106_194
; %bb.190:
	s_add_i32 s9, s49, 1
	s_cmp_eq_u32 s44, 2
	s_cbranch_scc1 .LBB106_211
; %bb.191:
	v_mov_b32_e32 v4, 0
	v_mov_b32_e32 v19, 0
	;; [unrolled: 1-line block ×3, first 2 shown]
	s_and_b32 s8, s9, 28
	s_mov_b32 s10, 0
	s_mov_b64 s[4:5], s[28:29]
	s_mov_b64 s[6:7], s[42:43]
.LBB106_192:                            ; =>This Inner Loop Header: Depth=1
	s_clause 0x1
	s_load_dwordx8 s[12:19], s[4:5], 0x4
	s_load_dwordx4 s[60:63], s[4:5], 0x24
	s_load_dwordx8 s[52:59], s[6:7], 0x0
	s_add_u32 s4, s4, 48
	s_addc_u32 s5, s5, 0
	s_add_i32 s10, s10, 4
	s_add_u32 s6, s6, 32
	s_addc_u32 s7, s7, 0
	s_cmp_eq_u32 s8, s10
	s_waitcnt lgkmcnt(0)
	v_mul_hi_u32 v1, s13, v0
	v_add_nc_u32_e32 v1, v0, v1
	v_lshrrev_b32_e32 v1, s14, v1
	v_mul_hi_u32 v2, s16, v1
	v_mul_lo_u32 v5, v1, s12
	v_add_nc_u32_e32 v2, v1, v2
	v_sub_nc_u32_e32 v0, v0, v5
	v_lshrrev_b32_e32 v2, s17, v2
	v_mul_lo_u32 v5, v0, s52
	v_mul_lo_u32 v7, v0, s53
	v_mul_hi_u32 v3, s19, v2
	v_add_nc_u32_e32 v3, v2, v3
	v_lshrrev_b32_e32 v3, s60, v3
	v_mul_hi_u32 v6, s62, v3
	v_mul_lo_u32 v8, v3, s18
	v_add_nc_u32_e32 v0, v3, v6
	v_mul_lo_u32 v6, v2, s15
	v_sub_nc_u32_e32 v2, v2, v8
	v_lshrrev_b32_e32 v0, s63, v0
	v_mul_lo_u32 v8, v2, s56
	v_mul_lo_u32 v2, v2, s57
	v_sub_nc_u32_e32 v1, v1, v6
	v_mul_lo_u32 v9, v0, s61
	v_mul_lo_u32 v6, v1, s54
	;; [unrolled: 1-line block ×3, first 2 shown]
	v_sub_nc_u32_e32 v3, v3, v9
	v_add3_u32 v5, v5, v19, v6
	v_mul_lo_u32 v9, v3, s58
	v_mul_lo_u32 v3, v3, s59
	v_add3_u32 v1, v7, v4, v1
	v_add3_u32 v19, v8, v5, v9
	;; [unrolled: 1-line block ×3, first 2 shown]
	s_cbranch_scc0 .LBB106_192
	s_branch .LBB106_212
.LBB106_193:
                                        ; implicit-def: $vgpr19
                                        ; implicit-def: $vgpr4
	s_branch .LBB106_216
.LBB106_194:
	v_mov_b32_e32 v19, 0
	v_mov_b32_e32 v4, 0
	s_branch .LBB106_215
.LBB106_195:
	v_mov_b32_e32 v19, 0
	v_mov_b32_e32 v4, 0
	;; [unrolled: 1-line block ×3, first 2 shown]
	s_mov_b32 s8, 0
.LBB106_196:
	s_and_b32 s9, s9, 3
	s_cmp_eq_u32 s9, 0
	s_cbranch_scc1 .LBB106_199
; %bb.197:
	s_lshl_b32 s4, s8, 3
	s_mul_i32 s6, s8, 12
	s_add_u32 s4, s28, s4
	s_addc_u32 s5, s29, 0
	s_add_u32 s4, s4, 0xc4
	s_addc_u32 s5, s5, 0
	;; [unrolled: 2-line block ×3, first 2 shown]
	.p2align	6
.LBB106_198:                            ; =>This Inner Loop Header: Depth=1
	s_clause 0x1
	s_load_dwordx2 s[10:11], s[6:7], 0x4
	s_load_dword s8, s[6:7], 0xc
	s_load_dwordx2 s[12:13], s[4:5], 0x0
	s_add_u32 s6, s6, 12
	s_addc_u32 s7, s7, 0
	s_add_u32 s4, s4, 8
	s_addc_u32 s5, s5, 0
	s_add_i32 s9, s9, -1
	s_cmp_lg_u32 s9, 0
	s_waitcnt lgkmcnt(0)
	v_mul_hi_u32 v1, s11, v0
	v_add_nc_u32_e32 v1, v0, v1
	v_lshrrev_b32_e32 v1, s8, v1
	v_mul_lo_u32 v2, v1, s10
	v_sub_nc_u32_e32 v0, v0, v2
	v_mad_u64_u32 v[19:20], null, v0, s12, v[19:20]
	v_mad_u64_u32 v[4:5], null, v0, s13, v[4:5]
	v_mov_b32_e32 v0, v1
	s_cbranch_scc1 .LBB106_198
.LBB106_199:
	s_cbranch_execnz .LBB106_202
.LBB106_200:
	s_waitcnt lgkmcnt(0)
	v_mul_hi_u32 v0, s25, v25
	s_andn2_b32 vcc_lo, exec_lo, s47
	v_add_nc_u32_e32 v0, v25, v0
	v_lshrrev_b32_e32 v0, s26, v0
	v_mul_lo_u32 v1, v0, s24
	v_sub_nc_u32_e32 v1, v25, v1
	v_mul_lo_u32 v19, v1, s36
	v_mul_lo_u32 v4, v1, s37
	s_cbranch_vccnz .LBB106_202
; %bb.201:
	v_mul_hi_u32 v1, s40, v0
	v_add_nc_u32_e32 v1, v0, v1
	v_lshrrev_b32_e32 v1, s41, v1
	v_mul_lo_u32 v1, v1, s27
	v_sub_nc_u32_e32 v0, v0, v1
	v_mad_u64_u32 v[19:20], null, v0, s38, v[19:20]
	v_mad_u64_u32 v[4:5], null, v0, s39, v[4:5]
.LBB106_202:
	s_waitcnt lgkmcnt(0)
	v_mov_b32_e32 v0, s34
	v_mov_b32_e32 v1, s35
	;; [unrolled: 1-line block ×4, first 2 shown]
	s_getpc_b64 s[4:5]
	s_add_u32 s4, s4, _ZN2at6native6invokeIZZZNS0_21polygamma_kernel_cudaERNS_18TensorIteratorBaseElENKUlvE_clEvENKUlvE1_clEvEUlN3c104HalfEE_j15function_traitsIS8_EEENT1_11result_typeERKT_PrKPcPKT0_i@rel32@lo+4
	s_addc_u32 s5, s5, _ZN2at6native6invokeIZZZNS0_21polygamma_kernel_cudaERNS_18TensorIteratorBaseElENKUlvE_clEvENKUlvE1_clEvEUlN3c104HalfEE_j15function_traitsIS8_EEENT1_11result_typeERKT_PrKPcPKT0_i@rel32@hi+12
	s_swappc_b64 s[30:31], s[4:5]
	v_add_nc_u32_e32 v25, 0x80, v25
	global_store_short v19, v0, s[20:21]
	s_or_b32 exec_lo, exec_lo, s51
	s_mov_b32 s51, exec_lo
	v_cmpx_gt_i32_e64 s48, v25
	s_cbranch_execnz .LBB106_188
.LBB106_203:
	s_or_b32 exec_lo, exec_lo, s51
	s_mov_b32 s51, exec_lo
	v_cmpx_gt_i32_e64 s48, v25
	s_cbranch_execz .LBB106_219
.LBB106_204:
	s_andn2_b32 vcc_lo, exec_lo, s45
	s_cbranch_vccnz .LBB106_209
; %bb.205:
	s_andn2_b32 vcc_lo, exec_lo, s50
	s_cbranch_vccnz .LBB106_210
; %bb.206:
	s_add_i32 s9, s49, 1
	s_cmp_eq_u32 s44, 2
	s_cbranch_scc1 .LBB106_222
; %bb.207:
	v_mov_b32_e32 v4, 0
	v_mov_b32_e32 v19, 0
	;; [unrolled: 1-line block ×3, first 2 shown]
	s_and_b32 s8, s9, 28
	s_mov_b32 s10, 0
	s_mov_b64 s[4:5], s[28:29]
	s_mov_b64 s[6:7], s[42:43]
.LBB106_208:                            ; =>This Inner Loop Header: Depth=1
	s_clause 0x1
	s_load_dwordx8 s[12:19], s[4:5], 0x4
	s_load_dwordx4 s[60:63], s[4:5], 0x24
	s_load_dwordx8 s[52:59], s[6:7], 0x0
	s_add_u32 s4, s4, 48
	s_addc_u32 s5, s5, 0
	s_add_i32 s10, s10, 4
	s_add_u32 s6, s6, 32
	s_addc_u32 s7, s7, 0
	s_cmp_eq_u32 s8, s10
	s_waitcnt lgkmcnt(0)
	v_mul_hi_u32 v1, s13, v0
	v_add_nc_u32_e32 v1, v0, v1
	v_lshrrev_b32_e32 v1, s14, v1
	v_mul_hi_u32 v2, s16, v1
	v_mul_lo_u32 v5, v1, s12
	v_add_nc_u32_e32 v2, v1, v2
	v_sub_nc_u32_e32 v0, v0, v5
	v_lshrrev_b32_e32 v2, s17, v2
	v_mul_lo_u32 v5, v0, s52
	v_mul_lo_u32 v7, v0, s53
	v_mul_hi_u32 v3, s19, v2
	v_add_nc_u32_e32 v3, v2, v3
	v_lshrrev_b32_e32 v3, s60, v3
	v_mul_hi_u32 v6, s62, v3
	v_mul_lo_u32 v8, v3, s18
	v_add_nc_u32_e32 v0, v3, v6
	v_mul_lo_u32 v6, v2, s15
	v_sub_nc_u32_e32 v2, v2, v8
	v_lshrrev_b32_e32 v0, s63, v0
	v_mul_lo_u32 v8, v2, s56
	v_mul_lo_u32 v2, v2, s57
	v_sub_nc_u32_e32 v1, v1, v6
	v_mul_lo_u32 v9, v0, s61
	v_mul_lo_u32 v6, v1, s54
	;; [unrolled: 1-line block ×3, first 2 shown]
	v_sub_nc_u32_e32 v3, v3, v9
	v_add3_u32 v5, v5, v19, v6
	v_mul_lo_u32 v9, v3, s58
	v_mul_lo_u32 v3, v3, s59
	v_add3_u32 v1, v7, v4, v1
	v_add3_u32 v19, v8, v5, v9
	;; [unrolled: 1-line block ×3, first 2 shown]
	s_cbranch_scc0 .LBB106_208
	s_branch .LBB106_223
.LBB106_209:
                                        ; implicit-def: $vgpr19
                                        ; implicit-def: $vgpr4
	s_branch .LBB106_227
.LBB106_210:
	v_mov_b32_e32 v19, 0
	v_mov_b32_e32 v4, 0
	s_branch .LBB106_226
.LBB106_211:
	v_mov_b32_e32 v19, 0
	v_mov_b32_e32 v4, 0
	;; [unrolled: 1-line block ×3, first 2 shown]
	s_mov_b32 s8, 0
.LBB106_212:
	s_and_b32 s9, s9, 3
	s_cmp_eq_u32 s9, 0
	s_cbranch_scc1 .LBB106_215
; %bb.213:
	s_lshl_b32 s4, s8, 3
	s_mul_i32 s6, s8, 12
	s_add_u32 s4, s28, s4
	s_addc_u32 s5, s29, 0
	s_add_u32 s4, s4, 0xc4
	s_addc_u32 s5, s5, 0
	;; [unrolled: 2-line block ×3, first 2 shown]
	.p2align	6
.LBB106_214:                            ; =>This Inner Loop Header: Depth=1
	s_clause 0x1
	s_load_dwordx2 s[10:11], s[6:7], 0x4
	s_load_dword s8, s[6:7], 0xc
	s_load_dwordx2 s[12:13], s[4:5], 0x0
	s_add_u32 s6, s6, 12
	s_addc_u32 s7, s7, 0
	s_add_u32 s4, s4, 8
	s_addc_u32 s5, s5, 0
	s_add_i32 s9, s9, -1
	s_cmp_lg_u32 s9, 0
	s_waitcnt lgkmcnt(0)
	v_mul_hi_u32 v1, s11, v0
	v_add_nc_u32_e32 v1, v0, v1
	v_lshrrev_b32_e32 v1, s8, v1
	v_mul_lo_u32 v2, v1, s10
	v_sub_nc_u32_e32 v0, v0, v2
	v_mad_u64_u32 v[19:20], null, v0, s12, v[19:20]
	v_mad_u64_u32 v[4:5], null, v0, s13, v[4:5]
	v_mov_b32_e32 v0, v1
	s_cbranch_scc1 .LBB106_214
.LBB106_215:
	s_cbranch_execnz .LBB106_218
.LBB106_216:
	s_waitcnt lgkmcnt(0)
	v_mul_hi_u32 v0, s25, v25
	s_andn2_b32 vcc_lo, exec_lo, s47
	v_add_nc_u32_e32 v0, v25, v0
	v_lshrrev_b32_e32 v0, s26, v0
	v_mul_lo_u32 v1, v0, s24
	v_sub_nc_u32_e32 v1, v25, v1
	v_mul_lo_u32 v19, v1, s36
	v_mul_lo_u32 v4, v1, s37
	s_cbranch_vccnz .LBB106_218
; %bb.217:
	v_mul_hi_u32 v1, s40, v0
	v_add_nc_u32_e32 v1, v0, v1
	v_lshrrev_b32_e32 v1, s41, v1
	v_mul_lo_u32 v1, v1, s27
	v_sub_nc_u32_e32 v0, v0, v1
	v_mad_u64_u32 v[19:20], null, v0, s38, v[19:20]
	v_mad_u64_u32 v[4:5], null, v0, s39, v[4:5]
.LBB106_218:
	s_waitcnt lgkmcnt(0)
	v_mov_b32_e32 v0, s34
	v_mov_b32_e32 v1, s35
	;; [unrolled: 1-line block ×4, first 2 shown]
	s_getpc_b64 s[4:5]
	s_add_u32 s4, s4, _ZN2at6native6invokeIZZZNS0_21polygamma_kernel_cudaERNS_18TensorIteratorBaseElENKUlvE_clEvENKUlvE1_clEvEUlN3c104HalfEE_j15function_traitsIS8_EEENT1_11result_typeERKT_PrKPcPKT0_i@rel32@lo+4
	s_addc_u32 s5, s5, _ZN2at6native6invokeIZZZNS0_21polygamma_kernel_cudaERNS_18TensorIteratorBaseElENKUlvE_clEvENKUlvE1_clEvEUlN3c104HalfEE_j15function_traitsIS8_EEENT1_11result_typeERKT_PrKPcPKT0_i@rel32@hi+12
	s_swappc_b64 s[30:31], s[4:5]
	v_add_nc_u32_e32 v25, 0x80, v25
	global_store_short v19, v0, s[20:21]
	s_or_b32 exec_lo, exec_lo, s51
	s_mov_b32 s51, exec_lo
	v_cmpx_gt_i32_e64 s48, v25
	s_cbranch_execnz .LBB106_204
.LBB106_219:
	s_or_b32 exec_lo, exec_lo, s51
	v_cmp_gt_i32_e32 vcc_lo, s48, v25
	s_and_saveexec_b32 s48, vcc_lo
	s_cbranch_execnz .LBB106_230
.LBB106_220:
	s_or_b32 exec_lo, exec_lo, s48
                                        ; implicit-def: $vgpr0
                                        ; implicit-def: $vgpr25
	s_andn2_saveexec_b32 s4, s46
	s_cbranch_execnz .LBB106_8
.LBB106_221:
	s_endpgm
.LBB106_222:
	v_mov_b32_e32 v19, 0
	v_mov_b32_e32 v4, 0
	;; [unrolled: 1-line block ×3, first 2 shown]
	s_mov_b32 s8, 0
.LBB106_223:
	s_and_b32 s9, s9, 3
	s_cmp_eq_u32 s9, 0
	s_cbranch_scc1 .LBB106_226
; %bb.224:
	s_lshl_b32 s4, s8, 3
	s_mul_i32 s6, s8, 12
	s_add_u32 s4, s28, s4
	s_addc_u32 s5, s29, 0
	s_add_u32 s4, s4, 0xc4
	s_addc_u32 s5, s5, 0
	;; [unrolled: 2-line block ×3, first 2 shown]
	.p2align	6
.LBB106_225:                            ; =>This Inner Loop Header: Depth=1
	s_clause 0x1
	s_load_dwordx2 s[10:11], s[6:7], 0x4
	s_load_dword s8, s[6:7], 0xc
	s_load_dwordx2 s[12:13], s[4:5], 0x0
	s_add_u32 s6, s6, 12
	s_addc_u32 s7, s7, 0
	s_add_u32 s4, s4, 8
	s_addc_u32 s5, s5, 0
	s_add_i32 s9, s9, -1
	s_cmp_lg_u32 s9, 0
	s_waitcnt lgkmcnt(0)
	v_mul_hi_u32 v1, s11, v0
	v_add_nc_u32_e32 v1, v0, v1
	v_lshrrev_b32_e32 v1, s8, v1
	v_mul_lo_u32 v2, v1, s10
	v_sub_nc_u32_e32 v0, v0, v2
	v_mad_u64_u32 v[19:20], null, v0, s12, v[19:20]
	v_mad_u64_u32 v[4:5], null, v0, s13, v[4:5]
	v_mov_b32_e32 v0, v1
	s_cbranch_scc1 .LBB106_225
.LBB106_226:
	s_cbranch_execnz .LBB106_229
.LBB106_227:
	s_waitcnt lgkmcnt(0)
	v_mul_hi_u32 v0, s25, v25
	s_andn2_b32 vcc_lo, exec_lo, s47
	v_add_nc_u32_e32 v0, v25, v0
	v_lshrrev_b32_e32 v0, s26, v0
	v_mul_lo_u32 v1, v0, s24
	v_sub_nc_u32_e32 v1, v25, v1
	v_mul_lo_u32 v19, v1, s36
	v_mul_lo_u32 v4, v1, s37
	s_cbranch_vccnz .LBB106_229
; %bb.228:
	v_mul_hi_u32 v1, s40, v0
	v_add_nc_u32_e32 v1, v0, v1
	v_lshrrev_b32_e32 v1, s41, v1
	v_mul_lo_u32 v1, v1, s27
	v_sub_nc_u32_e32 v0, v0, v1
	v_mad_u64_u32 v[19:20], null, v0, s38, v[19:20]
	v_mad_u64_u32 v[4:5], null, v0, s39, v[4:5]
.LBB106_229:
	s_waitcnt lgkmcnt(0)
	v_mov_b32_e32 v0, s34
	v_mov_b32_e32 v1, s35
	;; [unrolled: 1-line block ×4, first 2 shown]
	s_getpc_b64 s[4:5]
	s_add_u32 s4, s4, _ZN2at6native6invokeIZZZNS0_21polygamma_kernel_cudaERNS_18TensorIteratorBaseElENKUlvE_clEvENKUlvE1_clEvEUlN3c104HalfEE_j15function_traitsIS8_EEENT1_11result_typeERKT_PrKPcPKT0_i@rel32@lo+4
	s_addc_u32 s5, s5, _ZN2at6native6invokeIZZZNS0_21polygamma_kernel_cudaERNS_18TensorIteratorBaseElENKUlvE_clEvENKUlvE1_clEvEUlN3c104HalfEE_j15function_traitsIS8_EEENT1_11result_typeERKT_PrKPcPKT0_i@rel32@hi+12
	s_swappc_b64 s[30:31], s[4:5]
	v_add_nc_u32_e32 v25, 0x80, v25
	global_store_short v19, v0, s[20:21]
	s_or_b32 exec_lo, exec_lo, s51
	v_cmp_gt_i32_e32 vcc_lo, s48, v25
	s_and_saveexec_b32 s48, vcc_lo
	s_cbranch_execz .LBB106_220
.LBB106_230:
	s_andn2_b32 vcc_lo, exec_lo, s45
	s_cbranch_vccnz .LBB106_235
; %bb.231:
	s_andn2_b32 vcc_lo, exec_lo, s50
	s_cbranch_vccnz .LBB106_236
; %bb.232:
	s_add_i32 s49, s49, 1
	s_cmp_eq_u32 s44, 2
	s_cbranch_scc1 .LBB106_237
; %bb.233:
	v_mov_b32_e32 v4, 0
	v_mov_b32_e32 v19, 0
	;; [unrolled: 1-line block ×3, first 2 shown]
	s_and_b32 s6, s49, 28
	s_mov_b32 s7, 0
	s_mov_b64 s[4:5], s[28:29]
.LBB106_234:                            ; =>This Inner Loop Header: Depth=1
	s_clause 0x1
	s_load_dwordx8 s[8:15], s[4:5], 0x4
	s_load_dwordx4 s[16:19], s[4:5], 0x24
	s_load_dwordx8 s[52:59], s[42:43], 0x0
	s_add_u32 s4, s4, 48
	s_addc_u32 s5, s5, 0
	s_add_i32 s7, s7, 4
	s_add_u32 s42, s42, 32
	s_addc_u32 s43, s43, 0
	s_cmp_eq_u32 s6, s7
	s_waitcnt lgkmcnt(0)
	v_mul_hi_u32 v1, s9, v0
	v_add_nc_u32_e32 v1, v0, v1
	v_lshrrev_b32_e32 v1, s10, v1
	v_mul_hi_u32 v2, s12, v1
	v_mul_lo_u32 v5, v1, s8
	v_add_nc_u32_e32 v2, v1, v2
	v_sub_nc_u32_e32 v0, v0, v5
	v_lshrrev_b32_e32 v2, s13, v2
	v_mul_lo_u32 v5, v0, s52
	v_mul_lo_u32 v7, v0, s53
	v_mul_hi_u32 v3, s15, v2
	v_add_nc_u32_e32 v3, v2, v3
	v_lshrrev_b32_e32 v3, s16, v3
	v_mul_hi_u32 v6, s18, v3
	v_mul_lo_u32 v8, v3, s14
	v_add_nc_u32_e32 v0, v3, v6
	v_mul_lo_u32 v6, v2, s11
	v_sub_nc_u32_e32 v2, v2, v8
	v_lshrrev_b32_e32 v0, s19, v0
	v_mul_lo_u32 v8, v2, s56
	v_mul_lo_u32 v2, v2, s57
	v_sub_nc_u32_e32 v1, v1, v6
	v_mul_lo_u32 v9, v0, s17
	v_mul_lo_u32 v6, v1, s54
	v_mul_lo_u32 v1, v1, s55
	v_sub_nc_u32_e32 v3, v3, v9
	v_add3_u32 v5, v5, v19, v6
	v_mul_lo_u32 v9, v3, s58
	v_mul_lo_u32 v3, v3, s59
	v_add3_u32 v1, v7, v4, v1
	v_add3_u32 v19, v8, v5, v9
	;; [unrolled: 1-line block ×3, first 2 shown]
	s_cbranch_scc0 .LBB106_234
	s_branch .LBB106_238
.LBB106_235:
                                        ; implicit-def: $vgpr19
                                        ; implicit-def: $vgpr4
	s_branch .LBB106_242
.LBB106_236:
	v_mov_b32_e32 v19, 0
	v_mov_b32_e32 v4, 0
	s_branch .LBB106_241
.LBB106_237:
	v_mov_b32_e32 v19, 0
	v_mov_b32_e32 v4, 0
	;; [unrolled: 1-line block ×3, first 2 shown]
	s_mov_b32 s6, 0
.LBB106_238:
	s_and_b32 s8, s49, 3
	s_cmp_eq_u32 s8, 0
	s_cbranch_scc1 .LBB106_241
; %bb.239:
	s_lshl_b32 s4, s6, 3
	s_mul_i32 s6, s6, 12
	s_add_u32 s4, s28, s4
	s_addc_u32 s5, s29, 0
	s_add_u32 s4, s4, 0xc4
	s_addc_u32 s5, s5, 0
	;; [unrolled: 2-line block ×3, first 2 shown]
	.p2align	6
.LBB106_240:                            ; =>This Inner Loop Header: Depth=1
	s_clause 0x1
	s_load_dwordx2 s[10:11], s[6:7], 0x4
	s_load_dword s9, s[6:7], 0xc
	s_load_dwordx2 s[12:13], s[4:5], 0x0
	s_add_u32 s6, s6, 12
	s_addc_u32 s7, s7, 0
	s_add_u32 s4, s4, 8
	s_addc_u32 s5, s5, 0
	s_add_i32 s8, s8, -1
	s_cmp_lg_u32 s8, 0
	s_waitcnt lgkmcnt(0)
	v_mul_hi_u32 v1, s11, v0
	v_add_nc_u32_e32 v1, v0, v1
	v_lshrrev_b32_e32 v1, s9, v1
	v_mul_lo_u32 v2, v1, s10
	v_sub_nc_u32_e32 v0, v0, v2
	v_mad_u64_u32 v[19:20], null, v0, s12, v[19:20]
	v_mad_u64_u32 v[4:5], null, v0, s13, v[4:5]
	v_mov_b32_e32 v0, v1
	s_cbranch_scc1 .LBB106_240
.LBB106_241:
	s_cbranch_execnz .LBB106_244
.LBB106_242:
	s_waitcnt lgkmcnt(0)
	v_mul_hi_u32 v0, s25, v25
	s_andn2_b32 vcc_lo, exec_lo, s47
	v_add_nc_u32_e32 v0, v25, v0
	v_lshrrev_b32_e32 v0, s26, v0
	v_mul_lo_u32 v1, v0, s24
	v_sub_nc_u32_e32 v1, v25, v1
	v_mul_lo_u32 v19, v1, s36
	v_mul_lo_u32 v4, v1, s37
	s_cbranch_vccnz .LBB106_244
; %bb.243:
	v_mul_hi_u32 v1, s40, v0
	v_add_nc_u32_e32 v1, v0, v1
	v_lshrrev_b32_e32 v1, s41, v1
	v_mul_lo_u32 v1, v1, s27
	v_sub_nc_u32_e32 v0, v0, v1
	v_mad_u64_u32 v[19:20], null, v0, s38, v[19:20]
	v_mad_u64_u32 v[4:5], null, v0, s39, v[4:5]
.LBB106_244:
	s_waitcnt lgkmcnt(0)
	v_mov_b32_e32 v0, s34
	v_mov_b32_e32 v1, s35
	;; [unrolled: 1-line block ×4, first 2 shown]
	s_getpc_b64 s[4:5]
	s_add_u32 s4, s4, _ZN2at6native6invokeIZZZNS0_21polygamma_kernel_cudaERNS_18TensorIteratorBaseElENKUlvE_clEvENKUlvE1_clEvEUlN3c104HalfEE_j15function_traitsIS8_EEENT1_11result_typeERKT_PrKPcPKT0_i@rel32@lo+4
	s_addc_u32 s5, s5, _ZN2at6native6invokeIZZZNS0_21polygamma_kernel_cudaERNS_18TensorIteratorBaseElENKUlvE_clEvENKUlvE1_clEvEUlN3c104HalfEE_j15function_traitsIS8_EEENT1_11result_typeERKT_PrKPcPKT0_i@rel32@hi+12
	s_swappc_b64 s[30:31], s[4:5]
	global_store_short v19, v0, s[20:21]
	s_or_b32 exec_lo, exec_lo, s48
                                        ; implicit-def: $vgpr0
                                        ; implicit-def: $vgpr25
	s_andn2_saveexec_b32 s4, s46
	s_cbranch_execz .LBB106_221
	s_branch .LBB106_8
	.section	.rodata,"a",@progbits
	.p2align	6, 0x0
	.amdhsa_kernel _ZN2at6native32elementwise_kernel_manual_unrollILi128ELi8EZNS0_22gpu_kernel_impl_nocastIZZZNS0_21polygamma_kernel_cudaERNS_18TensorIteratorBaseElENKUlvE_clEvENKUlvE1_clEvEUlN3c104HalfEE_EEvS4_RKT_EUlibE_EEviT1_
		.amdhsa_group_segment_fixed_size 0
		.amdhsa_private_segment_fixed_size 0
		.amdhsa_kernarg_size 360
		.amdhsa_user_sgpr_count 6
		.amdhsa_user_sgpr_private_segment_buffer 1
		.amdhsa_user_sgpr_dispatch_ptr 0
		.amdhsa_user_sgpr_queue_ptr 0
		.amdhsa_user_sgpr_kernarg_segment_ptr 1
		.amdhsa_user_sgpr_dispatch_id 0
		.amdhsa_user_sgpr_flat_scratch_init 0
		.amdhsa_user_sgpr_private_segment_size 0
		.amdhsa_wavefront_size32 1
		.amdhsa_uses_dynamic_stack 0
		.amdhsa_system_sgpr_private_segment_wavefront_offset 0
		.amdhsa_system_sgpr_workgroup_id_x 1
		.amdhsa_system_sgpr_workgroup_id_y 0
		.amdhsa_system_sgpr_workgroup_id_z 0
		.amdhsa_system_sgpr_workgroup_info 0
		.amdhsa_system_vgpr_workitem_id 0
		.amdhsa_next_free_vgpr 36
		.amdhsa_next_free_sgpr 64
		.amdhsa_reserve_vcc 1
		.amdhsa_reserve_flat_scratch 0
		.amdhsa_float_round_mode_32 0
		.amdhsa_float_round_mode_16_64 0
		.amdhsa_float_denorm_mode_32 3
		.amdhsa_float_denorm_mode_16_64 3
		.amdhsa_dx10_clamp 1
		.amdhsa_ieee_mode 1
		.amdhsa_fp16_overflow 0
		.amdhsa_workgroup_processor_mode 1
		.amdhsa_memory_ordered 1
		.amdhsa_forward_progress 1
		.amdhsa_shared_vgpr_count 0
		.amdhsa_exception_fp_ieee_invalid_op 0
		.amdhsa_exception_fp_denorm_src 0
		.amdhsa_exception_fp_ieee_div_zero 0
		.amdhsa_exception_fp_ieee_overflow 0
		.amdhsa_exception_fp_ieee_underflow 0
		.amdhsa_exception_fp_ieee_inexact 0
		.amdhsa_exception_int_div_zero 0
	.end_amdhsa_kernel
	.section	.text._ZN2at6native32elementwise_kernel_manual_unrollILi128ELi8EZNS0_22gpu_kernel_impl_nocastIZZZNS0_21polygamma_kernel_cudaERNS_18TensorIteratorBaseElENKUlvE_clEvENKUlvE1_clEvEUlN3c104HalfEE_EEvS4_RKT_EUlibE_EEviT1_,"axG",@progbits,_ZN2at6native32elementwise_kernel_manual_unrollILi128ELi8EZNS0_22gpu_kernel_impl_nocastIZZZNS0_21polygamma_kernel_cudaERNS_18TensorIteratorBaseElENKUlvE_clEvENKUlvE1_clEvEUlN3c104HalfEE_EEvS4_RKT_EUlibE_EEviT1_,comdat
.Lfunc_end106:
	.size	_ZN2at6native32elementwise_kernel_manual_unrollILi128ELi8EZNS0_22gpu_kernel_impl_nocastIZZZNS0_21polygamma_kernel_cudaERNS_18TensorIteratorBaseElENKUlvE_clEvENKUlvE1_clEvEUlN3c104HalfEE_EEvS4_RKT_EUlibE_EEviT1_, .Lfunc_end106-_ZN2at6native32elementwise_kernel_manual_unrollILi128ELi8EZNS0_22gpu_kernel_impl_nocastIZZZNS0_21polygamma_kernel_cudaERNS_18TensorIteratorBaseElENKUlvE_clEvENKUlvE1_clEvEUlN3c104HalfEE_EEvS4_RKT_EUlibE_EEviT1_
                                        ; -- End function
	.set _ZN2at6native32elementwise_kernel_manual_unrollILi128ELi8EZNS0_22gpu_kernel_impl_nocastIZZZNS0_21polygamma_kernel_cudaERNS_18TensorIteratorBaseElENKUlvE_clEvENKUlvE1_clEvEUlN3c104HalfEE_EEvS4_RKT_EUlibE_EEviT1_.num_vgpr, max(36, .L_ZN2at6native6invokeIZZZNS0_21polygamma_kernel_cudaERNS_18TensorIteratorBaseElENKUlvE_clEvENKUlvE1_clEvEUlN3c104HalfEE_j15function_traitsIS8_EEENT1_11result_typeERKT_PrKPcPKT0_i.num_vgpr)
	.set _ZN2at6native32elementwise_kernel_manual_unrollILi128ELi8EZNS0_22gpu_kernel_impl_nocastIZZZNS0_21polygamma_kernel_cudaERNS_18TensorIteratorBaseElENKUlvE_clEvENKUlvE1_clEvEUlN3c104HalfEE_EEvS4_RKT_EUlibE_EEviT1_.num_agpr, max(0, .L_ZN2at6native6invokeIZZZNS0_21polygamma_kernel_cudaERNS_18TensorIteratorBaseElENKUlvE_clEvENKUlvE1_clEvEUlN3c104HalfEE_j15function_traitsIS8_EEENT1_11result_typeERKT_PrKPcPKT0_i.num_agpr)
	.set _ZN2at6native32elementwise_kernel_manual_unrollILi128ELi8EZNS0_22gpu_kernel_impl_nocastIZZZNS0_21polygamma_kernel_cudaERNS_18TensorIteratorBaseElENKUlvE_clEvENKUlvE1_clEvEUlN3c104HalfEE_EEvS4_RKT_EUlibE_EEviT1_.numbered_sgpr, max(64, .L_ZN2at6native6invokeIZZZNS0_21polygamma_kernel_cudaERNS_18TensorIteratorBaseElENKUlvE_clEvENKUlvE1_clEvEUlN3c104HalfEE_j15function_traitsIS8_EEENT1_11result_typeERKT_PrKPcPKT0_i.numbered_sgpr)
	.set _ZN2at6native32elementwise_kernel_manual_unrollILi128ELi8EZNS0_22gpu_kernel_impl_nocastIZZZNS0_21polygamma_kernel_cudaERNS_18TensorIteratorBaseElENKUlvE_clEvENKUlvE1_clEvEUlN3c104HalfEE_EEvS4_RKT_EUlibE_EEviT1_.num_named_barrier, max(0, .L_ZN2at6native6invokeIZZZNS0_21polygamma_kernel_cudaERNS_18TensorIteratorBaseElENKUlvE_clEvENKUlvE1_clEvEUlN3c104HalfEE_j15function_traitsIS8_EEENT1_11result_typeERKT_PrKPcPKT0_i.num_named_barrier)
	.set _ZN2at6native32elementwise_kernel_manual_unrollILi128ELi8EZNS0_22gpu_kernel_impl_nocastIZZZNS0_21polygamma_kernel_cudaERNS_18TensorIteratorBaseElENKUlvE_clEvENKUlvE1_clEvEUlN3c104HalfEE_EEvS4_RKT_EUlibE_EEviT1_.private_seg_size, 0+max(.L_ZN2at6native6invokeIZZZNS0_21polygamma_kernel_cudaERNS_18TensorIteratorBaseElENKUlvE_clEvENKUlvE1_clEvEUlN3c104HalfEE_j15function_traitsIS8_EEENT1_11result_typeERKT_PrKPcPKT0_i.private_seg_size)
	.set _ZN2at6native32elementwise_kernel_manual_unrollILi128ELi8EZNS0_22gpu_kernel_impl_nocastIZZZNS0_21polygamma_kernel_cudaERNS_18TensorIteratorBaseElENKUlvE_clEvENKUlvE1_clEvEUlN3c104HalfEE_EEvS4_RKT_EUlibE_EEviT1_.uses_vcc, or(1, .L_ZN2at6native6invokeIZZZNS0_21polygamma_kernel_cudaERNS_18TensorIteratorBaseElENKUlvE_clEvENKUlvE1_clEvEUlN3c104HalfEE_j15function_traitsIS8_EEENT1_11result_typeERKT_PrKPcPKT0_i.uses_vcc)
	.set _ZN2at6native32elementwise_kernel_manual_unrollILi128ELi8EZNS0_22gpu_kernel_impl_nocastIZZZNS0_21polygamma_kernel_cudaERNS_18TensorIteratorBaseElENKUlvE_clEvENKUlvE1_clEvEUlN3c104HalfEE_EEvS4_RKT_EUlibE_EEviT1_.uses_flat_scratch, or(0, .L_ZN2at6native6invokeIZZZNS0_21polygamma_kernel_cudaERNS_18TensorIteratorBaseElENKUlvE_clEvENKUlvE1_clEvEUlN3c104HalfEE_j15function_traitsIS8_EEENT1_11result_typeERKT_PrKPcPKT0_i.uses_flat_scratch)
	.set _ZN2at6native32elementwise_kernel_manual_unrollILi128ELi8EZNS0_22gpu_kernel_impl_nocastIZZZNS0_21polygamma_kernel_cudaERNS_18TensorIteratorBaseElENKUlvE_clEvENKUlvE1_clEvEUlN3c104HalfEE_EEvS4_RKT_EUlibE_EEviT1_.has_dyn_sized_stack, or(0, .L_ZN2at6native6invokeIZZZNS0_21polygamma_kernel_cudaERNS_18TensorIteratorBaseElENKUlvE_clEvENKUlvE1_clEvEUlN3c104HalfEE_j15function_traitsIS8_EEENT1_11result_typeERKT_PrKPcPKT0_i.has_dyn_sized_stack)
	.set _ZN2at6native32elementwise_kernel_manual_unrollILi128ELi8EZNS0_22gpu_kernel_impl_nocastIZZZNS0_21polygamma_kernel_cudaERNS_18TensorIteratorBaseElENKUlvE_clEvENKUlvE1_clEvEUlN3c104HalfEE_EEvS4_RKT_EUlibE_EEviT1_.has_recursion, or(0, .L_ZN2at6native6invokeIZZZNS0_21polygamma_kernel_cudaERNS_18TensorIteratorBaseElENKUlvE_clEvENKUlvE1_clEvEUlN3c104HalfEE_j15function_traitsIS8_EEENT1_11result_typeERKT_PrKPcPKT0_i.has_recursion)
	.set _ZN2at6native32elementwise_kernel_manual_unrollILi128ELi8EZNS0_22gpu_kernel_impl_nocastIZZZNS0_21polygamma_kernel_cudaERNS_18TensorIteratorBaseElENKUlvE_clEvENKUlvE1_clEvEUlN3c104HalfEE_EEvS4_RKT_EUlibE_EEviT1_.has_indirect_call, or(0, .L_ZN2at6native6invokeIZZZNS0_21polygamma_kernel_cudaERNS_18TensorIteratorBaseElENKUlvE_clEvENKUlvE1_clEvEUlN3c104HalfEE_j15function_traitsIS8_EEENT1_11result_typeERKT_PrKPcPKT0_i.has_indirect_call)
	.section	.AMDGPU.csdata,"",@progbits
; Kernel info:
; codeLenInByte = 12632
; TotalNumSgprs: 66
; NumVgprs: 36
; ScratchSize: 0
; MemoryBound: 0
; FloatMode: 240
; IeeeMode: 1
; LDSByteSize: 0 bytes/workgroup (compile time only)
; SGPRBlocks: 0
; VGPRBlocks: 4
; NumSGPRsForWavesPerEU: 66
; NumVGPRsForWavesPerEU: 36
; Occupancy: 16
; WaveLimiterHint : 1
; COMPUTE_PGM_RSRC2:SCRATCH_EN: 0
; COMPUTE_PGM_RSRC2:USER_SGPR: 6
; COMPUTE_PGM_RSRC2:TRAP_HANDLER: 0
; COMPUTE_PGM_RSRC2:TGID_X_EN: 1
; COMPUTE_PGM_RSRC2:TGID_Y_EN: 0
; COMPUTE_PGM_RSRC2:TGID_Z_EN: 0
; COMPUTE_PGM_RSRC2:TIDIG_COMP_CNT: 0
	.text
	.p2align	2                               ; -- Begin function _ZN2at6native6invokeIZZZNS0_21polygamma_kernel_cudaERNS_18TensorIteratorBaseElENKUlvE_clEvENKUlvE1_clEvEUlN3c104HalfEE_i15function_traitsIS8_EEENT1_11result_typeERKT_PrKPcPKT0_PKNS6_10ScalarTypeEi
	.type	_ZN2at6native6invokeIZZZNS0_21polygamma_kernel_cudaERNS_18TensorIteratorBaseElENKUlvE_clEvENKUlvE1_clEvEUlN3c104HalfEE_i15function_traitsIS8_EEENT1_11result_typeERKT_PrKPcPKT0_PKNS6_10ScalarTypeEi,@function
_ZN2at6native6invokeIZZZNS0_21polygamma_kernel_cudaERNS_18TensorIteratorBaseElENKUlvE_clEvENKUlvE1_clEvEUlN3c104HalfEE_i15function_traitsIS8_EEENT1_11result_typeERKT_PrKPcPKT0_PKNS6_10ScalarTypeEi: ; @_ZN2at6native6invokeIZZZNS0_21polygamma_kernel_cudaERNS_18TensorIteratorBaseElENKUlvE_clEvENKUlvE1_clEvEUlN3c104HalfEE_i15function_traitsIS8_EEENT1_11result_typeERKT_PrKPcPKT0_PKNS6_10ScalarTypeEi
; %bb.0:
	s_waitcnt vmcnt(0) expcnt(0) lgkmcnt(0)
	v_mul_lo_u32 v1, v6, v4
	v_mov_b32_e32 v6, 10
	s_mov_b32 s5, 0
	v_cmp_gt_i16_sdwa s4, v5, v6 src0_sel:BYTE_0 src1_sel:DWORD
	v_ashrrev_i32_e32 v4, 31, v1
	v_add_co_u32 v1, vcc_lo, v2, v1
	v_add_co_ci_u32_e64 v2, null, v3, v4, vcc_lo
                                        ; implicit-def: $vgpr3
	s_and_saveexec_b32 s6, s4
	s_xor_b32 s4, exec_lo, s6
	s_cbranch_execnz .LBB107_4
; %bb.1:
	s_andn2_saveexec_b32 s4, s4
	s_cbranch_execnz .LBB107_10
.LBB107_2:
	s_or_b32 exec_lo, exec_lo, s4
                                        ; implicit-def: $vgpr1
	s_and_saveexec_b32 s8, s5
	s_cbranch_execnz .LBB107_51
.LBB107_3:
	s_or_b32 exec_lo, exec_lo, s8
	v_mov_b32_e32 v0, v1
	s_waitcnt vmcnt(0) lgkmcnt(0)
	s_setpc_b64 s[30:31]
.LBB107_4:
	v_mov_b32_e32 v3, 25
	s_mov_b32 s8, 0
	s_mov_b32 s7, 0
	v_cmp_gt_i16_sdwa s6, v5, v3 src0_sel:BYTE_0 src1_sel:DWORD
                                        ; implicit-def: $vgpr3
	s_and_saveexec_b32 s9, s6
	s_xor_b32 s6, exec_lo, s9
	s_cbranch_execnz .LBB107_100
; %bb.5:
	s_andn2_saveexec_b32 s6, s6
	s_cbranch_execnz .LBB107_131
.LBB107_6:
	s_or_b32 exec_lo, exec_lo, s6
	s_and_saveexec_b32 s6, s8
	s_cbranch_execnz .LBB107_154
.LBB107_7:
	s_or_b32 exec_lo, exec_lo, s6
	s_and_saveexec_b32 s6, s5
	s_xor_b32 s5, exec_lo, s6
	s_cbranch_execz .LBB107_9
.LBB107_8:
	flat_load_ubyte v1, v[1:2]
	s_or_b32 s7, s7, exec_lo
	s_waitcnt vmcnt(0) lgkmcnt(0)
	v_cmp_ne_u16_e32 vcc_lo, 0, v1
	v_cndmask_b32_e64 v3, 0, 0x3c00, vcc_lo
.LBB107_9:
	s_or_b32 exec_lo, exec_lo, s5
	s_and_b32 s5, s7, exec_lo
                                        ; implicit-def: $vgpr5
                                        ; implicit-def: $vgpr1_vgpr2
	s_andn2_saveexec_b32 s4, s4
	s_cbranch_execz .LBB107_2
.LBB107_10:
	v_mov_b32_e32 v3, 4
	v_cmp_gt_i16_sdwa s6, v5, v3 src0_sel:BYTE_0 src1_sel:DWORD
                                        ; implicit-def: $vgpr3
	s_and_saveexec_b32 s7, s6
	s_xor_b32 s6, exec_lo, s7
	s_cbranch_execz .LBB107_32
; %bb.11:
	v_mov_b32_e32 v3, 7
	v_cmp_gt_i16_sdwa s7, v5, v3 src0_sel:BYTE_0 src1_sel:DWORD
                                        ; implicit-def: $vgpr3
	s_and_saveexec_b32 s8, s7
	s_xor_b32 s7, exec_lo, s8
	s_cbranch_execz .LBB107_21
; %bb.12:
	;; [unrolled: 7-line block ×4, first 2 shown]
	flat_load_dwordx2 v[1:2], v[1:2]
	s_waitcnt vmcnt(0) lgkmcnt(0)
	v_and_or_b32 v1, 0x1ff, v2, v1
	v_lshrrev_b32_e32 v3, 8, v2
	v_bfe_u32 v4, v2, 20, 11
	v_lshrrev_b32_e32 v2, 16, v2
	v_cmp_ne_u32_e32 vcc_lo, 0, v1
	v_sub_nc_u32_e32 v5, 0x3f1, v4
	v_add_nc_u32_e32 v4, 0xfffffc10, v4
	v_cndmask_b32_e64 v1, 0, 1, vcc_lo
	v_and_or_b32 v1, 0xffe, v3, v1
	v_med3_i32 v3, v5, 0, 13
	v_or_b32_e32 v5, 0x1000, v1
	v_lshrrev_b32_e32 v6, v3, v5
	v_lshlrev_b32_e32 v3, v3, v6
	v_cmp_ne_u32_e32 vcc_lo, v3, v5
	v_lshl_or_b32 v5, v4, 12, v1
	v_cndmask_b32_e64 v3, 0, 1, vcc_lo
	v_cmp_gt_i32_e32 vcc_lo, 1, v4
	v_or_b32_e32 v3, v6, v3
	v_cndmask_b32_e32 v3, v5, v3, vcc_lo
	v_and_b32_e32 v5, 7, v3
	v_lshrrev_b32_e32 v3, 2, v3
	v_cmp_lt_i32_e32 vcc_lo, 5, v5
	v_cndmask_b32_e64 v6, 0, 1, vcc_lo
	v_cmp_eq_u32_e32 vcc_lo, 3, v5
	v_cndmask_b32_e64 v5, 0, 1, vcc_lo
	v_cmp_ne_u32_e32 vcc_lo, 0, v1
	v_or_b32_e32 v5, v5, v6
	v_mov_b32_e32 v6, 0x7e00
	v_add_nc_u32_e32 v3, v3, v5
	v_cndmask_b32_e32 v1, 0x7c00, v6, vcc_lo
	v_cmp_gt_i32_e32 vcc_lo, 31, v4
	v_cndmask_b32_e32 v3, 0x7c00, v3, vcc_lo
	v_cmp_eq_u32_e32 vcc_lo, 0x40f, v4
	v_cndmask_b32_e32 v1, v3, v1, vcc_lo
	v_and_or_b32 v3, 0x8000, v2, v1
                                        ; implicit-def: $vgpr1_vgpr2
.LBB107_15:
	s_andn2_saveexec_b32 s9, s9
	s_cbranch_execz .LBB107_17
; %bb.16:
	flat_load_dword v1, v[1:2]
	s_waitcnt vmcnt(0) lgkmcnt(0)
	v_cvt_f16_f32_e32 v3, v1
.LBB107_17:
	s_or_b32 exec_lo, exec_lo, s9
                                        ; implicit-def: $vgpr1_vgpr2
.LBB107_18:
	s_andn2_saveexec_b32 s8, s8
	s_cbranch_execz .LBB107_20
; %bb.19:
	flat_load_dword v3, v[1:2]
.LBB107_20:
	s_or_b32 exec_lo, exec_lo, s8
                                        ; implicit-def: $vgpr1_vgpr2
                                        ; implicit-def: $vgpr5
.LBB107_21:
	s_andn2_saveexec_b32 s7, s7
	s_cbranch_execz .LBB107_31
; %bb.22:
	s_waitcnt vmcnt(0) lgkmcnt(0)
	v_mov_b32_e32 v3, 5
	v_cmp_gt_i16_sdwa s8, v5, v3 src0_sel:BYTE_0 src1_sel:DWORD
                                        ; implicit-def: $vgpr3
	s_and_saveexec_b32 s9, s8
	s_xor_b32 s8, exec_lo, s9
	s_cbranch_execz .LBB107_28
; %bb.23:
	v_mov_b32_e32 v3, 6
	v_cmp_gt_i16_sdwa s9, v5, v3 src0_sel:BYTE_0 src1_sel:DWORD
                                        ; implicit-def: $vgpr3
	s_and_saveexec_b32 s10, s9
	s_xor_b32 s9, exec_lo, s10
	s_cbranch_execz .LBB107_25
; %bb.24:
	flat_load_dwordx2 v[1:2], v[1:2]
	s_waitcnt vmcnt(0) lgkmcnt(0)
	v_and_or_b32 v1, 0x1ff, v2, v1
	v_lshrrev_b32_e32 v3, 8, v2
	v_bfe_u32 v4, v2, 20, 11
	v_lshrrev_b32_e32 v2, 16, v2
	v_cmp_ne_u32_e32 vcc_lo, 0, v1
	v_sub_nc_u32_e32 v5, 0x3f1, v4
	v_add_nc_u32_e32 v4, 0xfffffc10, v4
	v_cndmask_b32_e64 v1, 0, 1, vcc_lo
	v_and_or_b32 v1, 0xffe, v3, v1
	v_med3_i32 v3, v5, 0, 13
	v_or_b32_e32 v5, 0x1000, v1
	v_lshrrev_b32_e32 v6, v3, v5
	v_lshlrev_b32_e32 v3, v3, v6
	v_cmp_ne_u32_e32 vcc_lo, v3, v5
	v_lshl_or_b32 v5, v4, 12, v1
	v_cndmask_b32_e64 v3, 0, 1, vcc_lo
	v_cmp_gt_i32_e32 vcc_lo, 1, v4
	v_or_b32_e32 v3, v6, v3
	v_cndmask_b32_e32 v3, v5, v3, vcc_lo
	v_and_b32_e32 v5, 7, v3
	v_lshrrev_b32_e32 v3, 2, v3
	v_cmp_lt_i32_e32 vcc_lo, 5, v5
	v_cndmask_b32_e64 v6, 0, 1, vcc_lo
	v_cmp_eq_u32_e32 vcc_lo, 3, v5
	v_cndmask_b32_e64 v5, 0, 1, vcc_lo
	v_cmp_ne_u32_e32 vcc_lo, 0, v1
	v_or_b32_e32 v5, v5, v6
	v_mov_b32_e32 v6, 0x7e00
	v_add_nc_u32_e32 v3, v3, v5
	v_cndmask_b32_e32 v1, 0x7c00, v6, vcc_lo
	v_cmp_gt_i32_e32 vcc_lo, 31, v4
	v_cndmask_b32_e32 v3, 0x7c00, v3, vcc_lo
	v_cmp_eq_u32_e32 vcc_lo, 0x40f, v4
	v_cndmask_b32_e32 v1, v3, v1, vcc_lo
	v_and_or_b32 v3, 0x8000, v2, v1
                                        ; implicit-def: $vgpr1_vgpr2
.LBB107_25:
	s_andn2_saveexec_b32 s9, s9
	s_cbranch_execz .LBB107_27
; %bb.26:
	flat_load_dword v1, v[1:2]
	s_waitcnt vmcnt(0) lgkmcnt(0)
	v_cvt_f16_f32_e32 v3, v1
.LBB107_27:
	s_or_b32 exec_lo, exec_lo, s9
                                        ; implicit-def: $vgpr1_vgpr2
.LBB107_28:
	s_andn2_saveexec_b32 s8, s8
	s_cbranch_execz .LBB107_30
; %bb.29:
	flat_load_ushort v3, v[1:2]
.LBB107_30:
	s_or_b32 exec_lo, exec_lo, s8
.LBB107_31:
	s_or_b32 exec_lo, exec_lo, s7
                                        ; implicit-def: $vgpr5
                                        ; implicit-def: $vgpr1_vgpr2
.LBB107_32:
	s_andn2_saveexec_b32 s6, s6
	s_cbranch_execz .LBB107_50
; %bb.33:
	s_waitcnt vmcnt(0) lgkmcnt(0)
	v_mov_b32_e32 v3, 1
	v_cmp_gt_i16_sdwa s7, v5, v3 src0_sel:BYTE_0 src1_sel:DWORD
                                        ; implicit-def: $vgpr3
	s_and_saveexec_b32 s8, s7
	s_xor_b32 s7, exec_lo, s8
	s_cbranch_execz .LBB107_43
; %bb.34:
	v_mov_b32_e32 v3, 2
	v_cmp_gt_i16_sdwa s8, v5, v3 src0_sel:BYTE_0 src1_sel:DWORD
                                        ; implicit-def: $vgpr3
	s_and_saveexec_b32 s9, s8
	s_xor_b32 s8, exec_lo, s9
	s_cbranch_execz .LBB107_40
; %bb.35:
	;; [unrolled: 7-line block ×3, first 2 shown]
	flat_load_dwordx2 v[1:2], v[1:2]
	s_waitcnt vmcnt(0) lgkmcnt(0)
	v_xor_b32_e32 v3, v1, v2
	v_ffbh_i32_e32 v4, v2
	v_ashrrev_i32_e32 v3, 31, v3
	v_add_nc_u32_e32 v4, -1, v4
	v_add_nc_u32_e32 v3, 32, v3
	v_min_u32_e32 v3, v4, v3
	v_lshlrev_b64 v[1:2], v3, v[1:2]
	v_min_u32_e32 v1, 1, v1
	v_or_b32_e32 v1, v2, v1
	v_sub_nc_u32_e32 v2, 32, v3
	v_cvt_f32_i32_e32 v1, v1
	v_ldexp_f32 v1, v1, v2
	v_cvt_f16_f32_e32 v3, v1
                                        ; implicit-def: $vgpr1_vgpr2
.LBB107_37:
	s_andn2_saveexec_b32 s9, s9
	s_cbranch_execz .LBB107_39
; %bb.38:
	flat_load_dword v1, v[1:2]
	s_waitcnt vmcnt(0) lgkmcnt(0)
	v_cvt_f32_i32_e32 v1, v1
	v_cvt_f16_f32_e32 v3, v1
.LBB107_39:
	s_or_b32 exec_lo, exec_lo, s9
                                        ; implicit-def: $vgpr1_vgpr2
.LBB107_40:
	s_andn2_saveexec_b32 s8, s8
	s_cbranch_execz .LBB107_42
; %bb.41:
	flat_load_ushort v1, v[1:2]
	s_waitcnt vmcnt(0) lgkmcnt(0)
	v_cvt_f16_i16_e32 v3, v1
.LBB107_42:
	s_or_b32 exec_lo, exec_lo, s8
                                        ; implicit-def: $vgpr1_vgpr2
                                        ; implicit-def: $vgpr5
.LBB107_43:
	s_andn2_saveexec_b32 s7, s7
	s_cbranch_execz .LBB107_49
; %bb.44:
	v_mov_b32_e32 v3, 0
	v_cmp_gt_i16_sdwa s8, v5, v3 src0_sel:BYTE_0 src1_sel:DWORD
                                        ; implicit-def: $vgpr3
	s_and_saveexec_b32 s9, s8
	s_xor_b32 s8, exec_lo, s9
	s_cbranch_execz .LBB107_46
; %bb.45:
	flat_load_sbyte v1, v[1:2]
	s_waitcnt vmcnt(0) lgkmcnt(0)
	v_cvt_f16_i16_e32 v3, v1
                                        ; implicit-def: $vgpr1_vgpr2
.LBB107_46:
	s_andn2_saveexec_b32 s8, s8
	s_cbranch_execz .LBB107_48
; %bb.47:
	flat_load_ubyte v1, v[1:2]
	s_waitcnt vmcnt(0) lgkmcnt(0)
	v_cvt_f16_u16_e32 v3, v1
.LBB107_48:
	s_or_b32 exec_lo, exec_lo, s8
.LBB107_49:
	s_or_b32 exec_lo, exec_lo, s7
.LBB107_50:
	s_or_b32 exec_lo, exec_lo, s6
	s_or_b32 s5, s5, exec_lo
	s_or_b32 exec_lo, exec_lo, s4
                                        ; implicit-def: $vgpr1
	s_and_saveexec_b32 s8, s5
	s_cbranch_execz .LBB107_3
.LBB107_51:
	v_cvt_f32_i32_e32 v1, v0
	s_mov_b32 s5, exec_lo
                                        ; implicit-def: $vgpr2
	v_cvt_f16_f32_e32 v1, v1
	v_add_f16_e32 v5, 1.0, v1
	v_cvt_f32_f16_e32 v1, v5
	v_and_b32_e32 v4, 0x7fffffff, v1
	v_cmpx_ngt_f32_e64 0x3c800000, |v1|
	s_xor_b32 s5, exec_lo, s5
	s_cbranch_execz .LBB107_81
; %bb.52:
	s_mov_b32 s6, exec_lo
                                        ; implicit-def: $vgpr2
	v_cmpx_nlt_f32_e64 |v1|, 2.0
	s_xor_b32 s6, exec_lo, s6
	s_cbranch_execz .LBB107_62
; %bb.53:
	v_cmp_ngt_f32_e64 s4, 0x41000000, |v1|
                                        ; implicit-def: $vgpr2
	s_and_saveexec_b32 s7, s4
	s_xor_b32 s4, exec_lo, s7
	s_cbranch_execz .LBB107_59
; %bb.54:
	v_cmp_ngt_f32_e64 s7, 0x5c800000, |v1|
                                        ; implicit-def: $vgpr2
	s_and_saveexec_b32 s9, s7
	s_xor_b32 s7, exec_lo, s9
	s_cbranch_execz .LBB107_56
; %bb.55:
	v_cmp_gt_f32_e64 s9, 0x800000, |v1|
	v_cndmask_b32_e64 v2, 0, 32, s9
	v_ldexp_f32 v2, |v1|, v2
	v_log_f32_e32 v2, v2
	v_mul_f32_e32 v6, 0x3f317217, v2
	v_cmp_gt_f32_e64 vcc_lo, 0x7f800000, |v2|
	v_fma_f32 v7, 0x3f317217, v2, -v6
	v_fmamk_f32 v7, v2, 0x3377d1cf, v7
	v_add_f32_e32 v6, v6, v7
	v_cndmask_b32_e32 v2, v2, v6, vcc_lo
	v_cndmask_b32_e64 v6, 0, 0x41b17218, s9
	v_sub_f32_e32 v2, v2, v6
	v_fma_f32 v2, |v1|, v2, -|v1|
.LBB107_56:
	s_andn2_saveexec_b32 s7, s7
	s_cbranch_execz .LBB107_58
; %bb.57:
	v_cmp_gt_f32_e64 s9, 0x800000, |v1|
	v_rcp_f32_e64 v6, |v1|
	s_mov_b32 s10, 0xbad5c4e8
	v_cndmask_b32_e64 v2, 0, 32, s9
	v_ldexp_f32 v2, |v1|, v2
	v_mul_f32_e32 v7, v6, v6
	v_log_f32_e32 v2, v2
	v_fmaak_f32 v9, s10, v7, 0x3a5b3dd2
	v_fmaak_f32 v9, v7, v9, 0xba1c065c
	v_mul_f32_e32 v8, 0x3f317217, v2
	v_fmaak_f32 v9, v7, v9, 0x3a500cfd
	v_cmp_gt_f32_e64 vcc_lo, 0x7f800000, |v2|
	v_fma_f32 v10, 0x3f317217, v2, -v8
	v_fmaak_f32 v9, v7, v9, 0xbb360b61
	v_fmamk_f32 v10, v2, 0x3377d1cf, v10
	v_fmaak_f32 v7, v7, v9, 0x3daaaaab
	v_add_f32_e32 v8, v8, v10
	v_cndmask_b32_e32 v2, v2, v8, vcc_lo
	v_cndmask_b32_e64 v8, 0, 0x41b17218, s9
	v_sub_f32_e32 v8, v2, v8
	v_fmaak_f32 v2, v6, v7, 0x3ed67f1d
	v_add_f32_e64 v6, |v1|, -0.5
	v_add_f32_e32 v7, -1.0, v8
	v_fmac_f32_e32 v2, v6, v7
.LBB107_58:
	s_or_b32 exec_lo, exec_lo, s7
.LBB107_59:
	s_andn2_saveexec_b32 s7, s4
	s_cbranch_execz .LBB107_61
; %bb.60:
	v_cvt_i32_f32_e32 v2, v4
	s_mov_b32 s4, 0x36f5d7bd
	s_mov_b32 s9, 0x3805ff67
	v_cvt_f32_i32_e32 v6, v2
	v_cmp_lt_i32_e32 vcc_lo, 2, v2
	v_sub_f32_e64 v6, |v1|, v6
	v_add_f32_e32 v7, 2.0, v6
	v_add_f32_e32 v8, 0x40400000, v6
	v_add_f32_e32 v9, 4.0, v6
	v_add_f32_e32 v10, 0x40a00000, v6
	v_cndmask_b32_e32 v7, 1.0, v7, vcc_lo
	v_cmp_lt_i32_e32 vcc_lo, 3, v2
	v_cndmask_b32_e32 v8, 1.0, v8, vcc_lo
	v_cmp_lt_i32_e32 vcc_lo, 4, v2
	v_mul_f32_e32 v7, v7, v8
	v_cndmask_b32_e32 v9, 1.0, v9, vcc_lo
	v_cmp_lt_i32_e32 vcc_lo, 5, v2
	v_add_f32_e32 v8, 0x40c00000, v6
	v_mul_f32_e32 v7, v9, v7
	v_cndmask_b32_e32 v10, 1.0, v10, vcc_lo
	v_cmp_lt_i32_e32 vcc_lo, 6, v2
	v_fmaak_f32 v9, s9, v6, 0x3af135b4
	v_mul_f32_e32 v7, v10, v7
	v_cndmask_b32_e32 v2, 1.0, v8, vcc_lo
	v_mul_f32_e32 v2, v2, v7
	v_fmaak_f32 v7, s4, v6, 0x3a4beed6
	v_cmp_gt_f32_e32 vcc_lo, 0x800000, v2
	v_fmaak_f32 v7, v6, v7, 0x3c98bf54
	v_cndmask_b32_e64 v8, 0, 32, vcc_lo
	v_fmaak_f32 v7, v6, v7, 0x3e300f6e
	v_ldexp_f32 v2, v2, v8
	v_fmaak_f32 v8, v6, v9, 0x3cda40e4
	v_fmaak_f32 v7, v6, v7, 0x3f38d0c5
	v_log_f32_e32 v2, v2
	v_fmaak_f32 v8, v6, v8, 0x3e15dce6
	v_fmaak_f32 v7, v6, v7, 0x3fb22d3b
	;; [unrolled: 1-line block ×3, first 2 shown]
	v_fma_f32 v7, v6, v7, 1.0
	v_mul_f32_e32 v9, 0x3f317217, v2
	v_fmaak_f32 v8, v6, v8, 0x3e5c245a
	v_rcp_f32_e32 v7, v7
	v_cmp_gt_f32_e64 s4, 0x7f800000, |v2|
	v_fma_f32 v10, 0x3f317217, v2, -v9
	v_fmaak_f32 v8, v6, v8, 0xbd9e233f
	v_fmamk_f32 v10, v2, 0x3377d1cf, v10
	v_mul_f32_e32 v8, v6, v8
	v_add_f32_e32 v9, v9, v10
	v_mul_f32_e32 v7, v8, v7
	v_cndmask_b32_e64 v8, 0, 0x41b17218, vcc_lo
	v_cndmask_b32_e64 v2, v2, v9, s4
	v_fmac_f32_e32 v7, 0.5, v6
	v_sub_f32_e32 v2, v2, v8
	v_add_f32_e32 v2, v2, v7
.LBB107_61:
	s_or_b32 exec_lo, exec_lo, s7
.LBB107_62:
	s_andn2_saveexec_b32 s6, s6
	s_cbranch_execz .LBB107_80
; %bb.63:
	s_mov_b32 s7, exec_lo
                                        ; implicit-def: $vgpr2
                                        ; implicit-def: $vgpr7
                                        ; implicit-def: $vgpr6
	v_cmpx_ge_f32_e64 0x3f666666, |v1|
	s_xor_b32 s7, exec_lo, s7
	s_cbranch_execz .LBB107_65
; %bb.64:
	v_cmp_gt_f32_e64 s4, 0x800000, |v1|
	v_sub_f32_e64 v8, 1.0, |v1|
	v_cmp_gt_f32_e64 vcc_lo, 0x3f3b4a23, |v1|
	v_cndmask_b32_e64 v2, 0, 32, s4
	v_cndmask_b32_e64 v9, 0, 0x41b17218, s4
	v_ldexp_f32 v2, |v1|, v2
	v_log_f32_e32 v2, v2
	v_mul_f32_e32 v6, 0x3f317217, v2
	v_cmp_gt_f32_e64 s4, 0x7f800000, |v2|
	v_fma_f32 v7, 0x3f317217, v2, -v6
	v_fmamk_f32 v7, v2, 0x3377d1cf, v7
	v_add_f32_e32 v6, v6, v7
	v_add_f32_e64 v7, 0xbeec5b0c, |v1|
	v_cndmask_b32_e64 v2, v2, v6, s4
	v_cndmask_b32_e32 v6, v8, v7, vcc_lo
	v_cndmask_b32_e64 v7, 0, 1, vcc_lo
	v_cmp_gt_f32_e64 s4, 0x3e6d3309, |v1|
	v_sub_f32_e32 v2, v2, v9
	v_cndmask_b32_e64 v6, v6, |v1|, s4
	v_cndmask_b32_e64 v7, v7, 2, s4
	v_xor_b32_e32 v2, 0x80000000, v2
.LBB107_65:
	s_andn2_saveexec_b32 s4, s7
	s_cbranch_execz .LBB107_67
; %bb.66:
	v_sub_f32_e64 v2, 2.0, |v1|
	v_add_f32_e64 v6, 0xbfbb16c3, |v1|
	v_cmp_gt_f32_e64 vcc_lo, 0x3fdda512, |v1|
	v_add_f32_e64 v7, |v1|, -1.0
	v_cndmask_b32_e32 v6, v2, v6, vcc_lo
	v_cndmask_b32_e64 v2, v2, 1.0, vcc_lo
	v_cmp_gt_f32_e64 vcc_lo, 0x3f9d70a4, |v1|
	v_cvt_i32_f32_e32 v2, v2
	v_cndmask_b32_e32 v6, v6, v7, vcc_lo
	v_cndmask_b32_e64 v7, v2, 2, vcc_lo
	v_mov_b32_e32 v2, 0
.LBB107_67:
	s_or_b32 exec_lo, exec_lo, s4
	s_mov_b32 s4, exec_lo
	v_cmpx_lt_i32_e32 0, v7
	s_xor_b32 s4, exec_lo, s4
	s_cbranch_execz .LBB107_75
; %bb.68:
	s_mov_b32 s7, exec_lo
	v_cmpx_lt_i32_e32 1, v7
	s_xor_b32 s7, exec_lo, s7
	s_cbranch_execz .LBB107_72
; %bb.69:
	s_mov_b32 s9, exec_lo
	v_cmpx_eq_u32_e32 2, v7
	s_cbranch_execz .LBB107_71
; %bb.70:
	s_mov_b32 s10, 0x3b52d5db
	v_fmaak_f32 v7, s10, v6, 0x3dd572af
	s_mov_b32 s10, 0x3c5b3c5e
	v_fmaak_f32 v8, s10, v6, 0x3e6a7578
	v_fmaak_f32 v7, v6, v7, 0x3f44efdf
	;; [unrolled: 1-line block ×7, first 2 shown]
	v_fma_f32 v7, v6, v7, 1.0
	v_fmaak_f32 v8, v6, v8, 0xbd9e233f
	v_rcp_f32_e32 v7, v7
	v_mul_f32_e32 v8, v6, v8
	v_mul_f32_e32 v7, v8, v7
	v_fmac_f32_e32 v7, -0.5, v6
	v_add_f32_e32 v2, v2, v7
.LBB107_71:
	s_or_b32 exec_lo, exec_lo, s9
                                        ; implicit-def: $vgpr6
.LBB107_72:
	s_andn2_saveexec_b32 s7, s7
	s_cbranch_execz .LBB107_74
; %bb.73:
	v_mul_f32_e32 v7, v6, v6
	s_mov_b32 s9, 0xb9a3f927
	s_mov_b32 s10, 0x39afe9f7
	v_mul_f32_e32 v8, v6, v7
	v_fmaak_f32 v9, s9, v8, 0x3a66f867
	v_fmaak_f32 v10, s10, v8, 0xba0d3085
	s_mov_b32 s9, 0x39a57b6b
	v_fmaak_f32 v11, s9, v8, 0xbab7f476
	v_fmaak_f32 v9, v8, v9, 0xbb7177fe
	;; [unrolled: 1-line block ×9, first 2 shown]
	v_fmac_f32_e32 v9, v6, v10
	v_fmaak_f32 v6, v8, v11, 0x3ef7b95e
	v_fma_f32 v8, v8, -v9, 0xa2863e55
	v_fma_f32 v6, v7, v6, -v8
	v_add_f32_e32 v6, 0xbdf8cdce, v6
	v_add_f32_e32 v2, v2, v6
.LBB107_74:
	s_or_b32 exec_lo, exec_lo, s7
                                        ; implicit-def: $vgpr7
                                        ; implicit-def: $vgpr6
.LBB107_75:
	s_andn2_saveexec_b32 s4, s4
	s_cbranch_execz .LBB107_79
; %bb.76:
	s_mov_b32 s7, exec_lo
	v_cmpx_eq_u32_e32 0, v7
	s_cbranch_execz .LBB107_78
; %bb.77:
	v_mul_f32_e32 v7, v6, v6
	s_mov_b32 s9, 0x383c2c75
	v_fmaak_f32 v8, s9, v7, 0x38e28445
	s_mov_b32 s9, 0x37d383a2
	v_fmaak_f32 v9, s9, v7, 0x39679767
	v_fmaak_f32 v8, v7, v8, 0x3a05b634
	;; [unrolled: 1-line block ×9, first 2 shown]
	v_mul_f32_e32 v7, v7, v8
	v_fmac_f32_e32 v7, v6, v9
	v_fmac_f32_e32 v7, -0.5, v6
	v_add_f32_e32 v2, v2, v7
.LBB107_78:
	s_or_b32 exec_lo, exec_lo, s7
.LBB107_79:
	s_or_b32 exec_lo, exec_lo, s4
.LBB107_80:
	s_or_b32 exec_lo, exec_lo, s6
.LBB107_81:
	s_andn2_saveexec_b32 s4, s5
	s_cbranch_execz .LBB107_83
; %bb.82:
	v_cmp_gt_f32_e64 s5, 0x800000, |v1|
	s_mov_b32 s6, 0x3e8a8991
	v_fma_f32 v8, |v1|, s6, 0xbecd26ab
	v_cndmask_b32_e64 v2, 0, 32, s5
	v_ldexp_f32 v2, |v1|, v2
	v_log_f32_e32 v2, v2
	v_mul_f32_e32 v6, 0x3f317217, v2
	v_cmp_gt_f32_e64 vcc_lo, 0x7f800000, |v2|
	v_fma_f32 v7, 0x3f317217, v2, -v6
	v_fmamk_f32 v7, v2, 0x3377d1cf, v7
	v_add_f32_e32 v6, v6, v7
	v_fma_f32 v7, |v1|, v8, 0x3f528d33
	v_cndmask_b32_e32 v2, v2, v6, vcc_lo
	v_cndmask_b32_e64 v6, 0, 0x41b17218, s5
	v_fma_f32 v7, |v1|, v7, 0xbf13c468
	v_sub_f32_e32 v2, v2, v6
	v_fma_f32 v2, |v1|, v7, -v2
.LBB107_83:
	s_or_b32 exec_lo, exec_lo, s4
	v_cmp_le_f16_e64 s4, 0, v5
	s_mov_b32 s5, exec_lo
	v_cmpx_nle_f16_e32 0, v5
	s_xor_b32 s6, exec_lo, s5
	s_cbranch_execz .LBB107_87
; %bb.84:
	v_cmp_gt_f32_e64 s5, 0x4b000000, |v1|
	v_cmp_lt_f32_e64 s7, 0x35000000, |v1|
	s_and_b32 s5, s5, s7
	s_and_saveexec_b32 s7, s5
	s_cbranch_execz .LBB107_86
; %bb.85:
	v_mul_f32_e64 v5, |v1|, 0.5
	v_cmp_gt_f32_e64 s5, |v1|, 1.0
	s_mov_b32 s9, 0x3d4be544
	v_xor_b32_e32 v4, v4, v1
	v_fract_f32_e32 v6, v5
	v_cmp_neq_f32_e32 vcc_lo, 0x7f800000, v5
	v_add_f32_e32 v6, v6, v6
	v_cndmask_b32_e32 v5, 0, v6, vcc_lo
	v_cndmask_b32_e64 v5, |v1|, v5, s5
	s_mov_b32 s5, 0x3e75aa41
	v_add_f32_e32 v6, v5, v5
	v_rndne_f32_e32 v6, v6
	v_fmac_f32_e32 v5, -0.5, v6
	v_cvt_i32_f32_e32 v6, v6
	v_mul_f32_e32 v7, v5, v5
	v_fmaak_f32 v8, s5, v7, 0xbf1f24be
	v_fmaak_f32 v9, s9, v7, 0x3e642e9d
	v_mul_f32_e32 v10, v5, v7
	v_fmaak_f32 v8, v7, v8, 0x40234736
	v_fmaak_f32 v9, v7, v9, 0xbfaad1da
	;; [unrolled: 1-line block ×4, first 2 shown]
	v_mul_f32_e32 v8, v10, v8
	v_fmaak_f32 v9, v7, v9, 0xc09de9e6
	v_and_b32_e32 v10, 1, v6
	v_lshlrev_b32_e32 v6, 30, v6
	v_fmamk_f32 v5, v5, 0x40490fdb, v8
	v_fma_f32 v7, v7, v9, 1.0
	v_cmp_eq_u32_e32 vcc_lo, 0, v10
	v_and_b32_e32 v6, 0x80000000, v6
	v_cndmask_b32_e32 v5, v7, v5, vcc_lo
	v_xor3_b32 v4, v4, v6, v5
	v_mul_f32_e32 v4, v1, v4
	v_frexp_mant_f32_e64 v5, |v4|
	v_frexp_exp_i32_f32_e32 v4, v4
	v_rcp_f32_e32 v5, v5
	v_sub_nc_u32_e32 v4, 2, v4
	v_mul_f32_e32 v5, 0x3f490fdb, v5
	v_ldexp_f32 v4, v5, v4
	v_cmp_gt_f32_e32 vcc_lo, 0x800000, v4
	v_cndmask_b32_e64 v5, 0, 32, vcc_lo
	v_ldexp_f32 v4, v4, v5
	v_log_f32_e32 v4, v4
	v_mul_f32_e32 v5, 0x3f317217, v4
	v_cmp_gt_f32_e64 s5, 0x7f800000, |v4|
	v_fma_f32 v6, 0x3f317217, v4, -v5
	v_fmamk_f32 v6, v4, 0x3377d1cf, v6
	v_add_f32_e32 v5, v5, v6
	v_cndmask_b32_e64 v4, v4, v5, s5
	v_cndmask_b32_e64 v5, 0, 0x41b17218, vcc_lo
	v_sub_f32_e32 v4, v4, v5
	v_fract_f32_e32 v5, v1
	v_sub_f32_e32 v2, v4, v2
	v_cmp_neq_f32_e32 vcc_lo, 0, v5
	v_cndmask_b32_e32 v2, 0x7f800000, v2, vcc_lo
.LBB107_86:
	s_or_b32 exec_lo, exec_lo, s7
                                        ; implicit-def: $vgpr5
.LBB107_87:
	s_andn2_saveexec_b32 s6, s6
; %bb.88:
	v_cmp_eq_f16_e32 vcc_lo, 1.0, v5
	v_cmp_eq_f16_e64 s5, 2.0, v5
	s_or_b32 s5, vcc_lo, s5
	v_cndmask_b32_e64 v2, v2, 0, s5
; %bb.89:
	s_or_b32 exec_lo, exec_lo, s6
	v_add_nc_u32_e32 v4, 1, v0
	v_mov_b32_e32 v8, 0x7c00
	s_mov_b32 s9, exec_lo
	v_cvt_f32_i32_e32 v4, v4
	v_cvt_f16_f32_e32 v6, v4
	v_cmpx_neq_f16_e32 1.0, v6
	s_cbranch_execz .LBB107_176
; %bb.90:
	v_mov_b32_e32 v8, 0x7e00
	s_mov_b32 s6, -1
	s_mov_b32 s10, exec_lo
	v_cmpx_lt_i32_e32 -1, v0
	s_cbranch_execz .LBB107_175
; %bb.91:
	v_cvt_f32_f16_e32 v4, v6
	s_waitcnt vmcnt(0) lgkmcnt(0)
	v_cvt_f32_f16_e32 v5, v3
	s_mov_b32 s7, 0
	s_mov_b32 s5, exec_lo
                                        ; implicit-def: $vgpr8
	v_cmpx_ge_f16_e32 0, v3
	s_cbranch_execz .LBB107_95
; %bb.92:
	v_floor_f32_e32 v7, v5
	v_mov_b32_e32 v8, 0x7c00
	s_mov_b32 s6, exec_lo
	v_cmpx_neq_f32_e32 v7, v5
; %bb.93:
	v_floor_f32_e32 v7, v4
	v_mov_b32_e32 v8, 0x7e00
	v_cmp_eq_f32_e32 vcc_lo, v7, v4
	s_and_b32 s7, vcc_lo, exec_lo
; %bb.94:
	s_or_b32 exec_lo, exec_lo, s6
	s_orn2_b32 s6, s7, exec_lo
.LBB107_95:
	s_or_b32 exec_lo, exec_lo, s5
	s_and_saveexec_b32 s11, s6
	s_cbranch_execz .LBB107_174
; %bb.96:
	v_frexp_mant_f32_e64 v7, |v5|
	s_mov_b32 s12, 0x3e76c4e1
	v_cvt_f32_f16_e64 v6, -v6
	v_cmp_lt_f32_e64 s13, |v5|, 1.0
	s_mov_b32 s17, 0
	v_cmp_gt_f32_e32 vcc_lo, 0x3f2aaaab, v7
                                        ; implicit-def: $sgpr16
                                        ; implicit-def: $sgpr15
	v_cndmask_b32_e64 v8, 1.0, 2.0, vcc_lo
	v_mul_f32_e32 v7, v7, v8
	v_add_f32_e32 v8, 1.0, v7
	v_add_f32_e32 v10, -1.0, v7
	v_rcp_f32_e32 v9, v8
	v_add_f32_e32 v12, -1.0, v8
	v_sub_f32_e32 v7, v7, v12
	v_mul_f32_e32 v11, v10, v9
	v_mul_f32_e32 v13, v8, v11
	v_fma_f32 v8, v11, v8, -v13
	v_fmac_f32_e32 v8, v11, v7
	v_add_f32_e32 v7, v13, v8
	v_sub_f32_e32 v12, v10, v7
	v_sub_f32_e32 v13, v7, v13
	;; [unrolled: 1-line block ×5, first 2 shown]
	v_add_f32_e32 v7, v8, v7
	v_add_f32_e32 v7, v12, v7
	v_mul_f32_e32 v7, v9, v7
	v_add_f32_e32 v9, v11, v7
	v_sub_f32_e32 v8, v9, v11
	v_mul_f32_e32 v10, v9, v9
	v_sub_f32_e32 v11, v7, v8
	v_fma_f32 v7, v9, v9, -v10
	v_add_f32_e32 v8, v11, v11
	v_fmac_f32_e32 v7, v9, v8
	v_add_f32_e32 v12, v10, v7
	v_fmaak_f32 v8, s12, v12, 0x3e91f4c4
	v_sub_f32_e32 v10, v12, v10
	v_mul_f32_e32 v17, v9, v12
	v_fmaak_f32 v8, v12, v8, 0x3ecccdef
	v_sub_f32_e32 v10, v7, v10
	v_fma_f32 v18, v12, v9, -v17
	v_mul_f32_e32 v13, v12, v8
	v_fmac_f32_e32 v18, v12, v11
	v_ldexp_f32 v11, v11, 1
	v_fma_f32 v14, v12, v8, -v13
	v_fmac_f32_e32 v18, v10, v9
	v_fmac_f32_e32 v14, v10, v8
	v_cvt_f64_f32_e64 v[7:8], |v5|
	v_add_f32_e32 v15, v13, v14
	v_sub_f32_e32 v13, v15, v13
	v_add_f32_e32 v16, 0x3f2aaaaa, v15
	v_sub_f32_e32 v13, v14, v13
	v_add_f32_e32 v14, 0xbf2aaaaa, v16
	v_add_f32_e32 v13, 0x31739010, v13
	v_sub_f32_e32 v14, v15, v14
	v_frexp_exp_i32_f64_e32 v7, v[7:8]
	v_add_f32_e32 v12, v13, v14
	v_add_f32_e32 v13, v17, v18
	;; [unrolled: 1-line block ×3, first 2 shown]
	v_sub_f32_e32 v15, v13, v17
	v_sub_f32_e32 v8, v16, v10
	v_mul_f32_e32 v14, v13, v10
	v_sub_f32_e32 v15, v18, v15
	v_add_f32_e32 v8, v12, v8
	v_fma_f32 v12, v13, v10, -v14
	v_subrev_co_ci_u32_e64 v7, null, 0, v7, vcc_lo
	v_fmac_f32_e32 v12, v13, v8
	v_ldexp_f32 v8, v9, 1
	v_cmp_neq_f16_e32 vcc_lo, 1.0, v3
	v_cvt_f32_i32_e32 v7, v7
	v_fmac_f32_e32 v12, v15, v10
	v_add_f32_e32 v9, v14, v12
	v_add_f32_e32 v10, v8, v9
	v_sub_f32_e32 v13, v9, v14
	v_mul_f32_e32 v14, 0x3f317218, v7
	v_sub_f32_e32 v8, v10, v8
	v_sub_f32_e32 v12, v12, v13
	v_fma_f32 v13, 0x3f317218, v7, -v14
	v_sub_f32_e32 v8, v9, v8
	v_add_f32_e32 v9, v11, v12
	v_fmac_f32_e32 v13, 0xb102e308, v7
	v_add_f32_e32 v7, v9, v8
	v_add_f32_e32 v8, v14, v13
	;; [unrolled: 1-line block ×3, first 2 shown]
	v_sub_f32_e32 v14, v8, v14
	v_add_f32_e32 v11, v8, v9
	v_sub_f32_e32 v10, v9, v10
	v_sub_f32_e32 v13, v13, v14
	;; [unrolled: 1-line block ×6, first 2 shown]
	v_add_f32_e32 v10, v13, v7
	v_sub_f32_e32 v8, v8, v15
	v_add_f32_e32 v8, v9, v8
	v_sub_f32_e32 v9, v10, v13
	;; [unrolled: 2-line block ×3, first 2 shown]
	v_sub_f32_e32 v7, v7, v9
	v_add_f32_e32 v12, v11, v8
	v_sub_f32_e32 v9, v13, v10
	v_sub_f32_e32 v10, v12, v11
	v_add_f32_e32 v7, v7, v9
	v_cndmask_b32_e32 v9, 1.0, v6, vcc_lo
	v_sub_f32_e32 v8, v8, v10
	v_cmp_neq_f32_e64 s14, v9, |v9|
	v_cmp_gt_f32_e64 s7, 0, v9
	v_add_f32_e32 v7, v7, v8
	s_xor_b32 s13, s13, s14
                                        ; implicit-def: $sgpr14
	v_add_f32_e32 v8, v12, v7
	v_sub_f32_e32 v10, v8, v12
	v_mul_f32_e32 v11, v9, v8
	v_sub_f32_e32 v7, v7, v10
	v_fma_f32 v8, v9, v8, -v11
	v_cmp_class_f32_e64 vcc_lo, v11, 0x204
	v_fmac_f32_e32 v8, v9, v7
	v_add_f32_e32 v7, v11, v8
	v_cndmask_b32_e32 v10, v7, v11, vcc_lo
	v_sub_f32_e32 v7, v7, v11
	v_cmp_eq_f32_e32 vcc_lo, 0x42b17218, v10
	v_sub_f32_e32 v7, v8, v7
	v_cndmask_b32_e64 v12, 0, 0x37000000, vcc_lo
	v_cmp_neq_f32_e64 vcc_lo, 0x7f800000, |v10|
	v_sub_f32_e32 v13, v10, v12
	v_cndmask_b32_e32 v7, 0, v7, vcc_lo
	v_trunc_f32_e32 v10, v9
	v_mul_f32_e32 v14, 0x3fb8aa3b, v13
	v_cmp_ngt_f32_e32 vcc_lo, 0xc2ce8ed0, v13
	v_add_f32_e32 v7, v12, v7
	v_fma_f32 v15, 0x3fb8aa3b, v13, -v14
	v_rndne_f32_e32 v16, v14
	v_fmac_f32_e32 v15, 0x32a5705f, v13
	v_sub_f32_e32 v14, v14, v16
	v_cvt_i32_f32_e32 v11, v16
	v_add_f32_e32 v14, v14, v15
	v_exp_f32_e32 v14, v14
	v_ldexp_f32 v8, v14, v11
	v_mul_f32_e32 v11, 0.5, v9
	v_cndmask_b32_e32 v8, 0, v8, vcc_lo
	v_cmp_nlt_f32_e32 vcc_lo, 0x42b17218, v13
	v_trunc_f32_e32 v14, v11
	v_cndmask_b32_e32 v8, 0x7f800000, v8, vcc_lo
	v_cmp_eq_f32_e32 vcc_lo, v10, v9
	v_cmp_neq_f32_e64 s5, v14, v11
	v_fma_f32 v7, v8, v7, v8
	v_cmp_class_f32_e64 s6, v8, 0x204
	s_and_b32 s5, vcc_lo, s5
	v_cndmask_b32_e64 v10, 1.0, v5, s5
	v_cndmask_b32_e64 v7, v7, v8, s6
	v_cndmask_b32_e64 v8, 0x7f800000, 0, s13
	v_cmp_eq_f16_e64 s6, 0, v3
	s_mov_b32 s13, 0
	v_bfi_b32 v7, 0x7fffffff, v7, v10
	s_xor_b32 s7, s6, s7
	v_cndmask_b32_e64 v11, 0x7f800000, 0, s7
	v_cndmask_b32_e32 v10, 0x7fc00000, v7, vcc_lo
	v_cmp_neq_f32_e64 vcc_lo, |v5|, 1.0
	v_cndmask_b32_e32 v8, 1.0, v8, vcc_lo
	v_cmp_gt_f16_e32 vcc_lo, 0, v3
	v_cndmask_b32_e32 v7, v7, v10, vcc_lo
	v_cndmask_b32_e64 v10, 0, v5, s5
	v_cmp_class_f32_e64 vcc_lo, v9, 0x204
	v_cmp_class_f32_e64 s5, v5, 0x204
	v_cndmask_b32_e32 v7, v7, v8, vcc_lo
	v_bfi_b32 v8, 0x7fffffff, v11, v10
	s_or_b32 vcc_lo, s6, s5
	v_cndmask_b32_e32 v7, v7, v8, vcc_lo
	v_cmp_o_f16_e32 vcc_lo, v3, v3
	v_cndmask_b32_e32 v3, 0x7fc00000, v7, vcc_lo
	s_branch .LBB107_98
.LBB107_97:                             ;   in Loop: Header=BB107_98 Depth=1
	s_or_b32 exec_lo, exec_lo, s5
	s_and_b32 s5, exec_lo, s16
	s_or_b32 s13, s5, s13
	s_andn2_b32 s5, s14, exec_lo
	s_and_b32 s6, s15, exec_lo
	s_or_b32 s14, s5, s6
	s_andn2_b32 exec_lo, exec_lo, s13
	s_cbranch_execz .LBB107_155
.LBB107_98:                             ; =>This Inner Loop Header: Depth=1
	v_add_f32_e32 v5, 1.0, v5
	s_or_b32 s15, s15, exec_lo
	s_or_b32 s16, s16, exec_lo
	v_frexp_mant_f32_e64 v7, |v5|
	v_cmp_lt_f32_e64 s18, |v5|, 1.0
	v_cmp_gt_f32_e32 vcc_lo, 0x3f2aaaab, v7
	v_cndmask_b32_e64 v8, 1.0, 2.0, vcc_lo
	v_mul_f32_e32 v7, v7, v8
	v_add_f32_e32 v8, 1.0, v7
	v_add_f32_e32 v10, -1.0, v7
	v_rcp_f32_e32 v9, v8
	v_add_f32_e32 v12, -1.0, v8
	v_sub_f32_e32 v7, v7, v12
	v_mul_f32_e32 v11, v10, v9
	v_mul_f32_e32 v13, v8, v11
	v_fma_f32 v8, v11, v8, -v13
	v_fmac_f32_e32 v8, v11, v7
	v_add_f32_e32 v7, v13, v8
	v_sub_f32_e32 v12, v10, v7
	v_sub_f32_e32 v13, v7, v13
	;; [unrolled: 1-line block ×5, first 2 shown]
	v_add_f32_e32 v7, v8, v7
	v_add_f32_e32 v7, v12, v7
	v_mul_f32_e32 v7, v9, v7
	v_add_f32_e32 v9, v11, v7
	v_sub_f32_e32 v8, v9, v11
	v_mul_f32_e32 v10, v9, v9
	v_sub_f32_e32 v11, v7, v8
	v_fma_f32 v7, v9, v9, -v10
	v_add_f32_e32 v8, v11, v11
	v_fmac_f32_e32 v7, v9, v8
	v_add_f32_e32 v12, v10, v7
	v_fmaak_f32 v8, s12, v12, 0x3e91f4c4
	v_sub_f32_e32 v10, v12, v10
	v_mul_f32_e32 v17, v9, v12
	v_fmaak_f32 v8, v12, v8, 0x3ecccdef
	v_sub_f32_e32 v10, v7, v10
	v_fma_f32 v18, v12, v9, -v17
	v_mul_f32_e32 v13, v12, v8
	v_fmac_f32_e32 v18, v12, v11
	v_ldexp_f32 v11, v11, 1
	v_fma_f32 v14, v12, v8, -v13
	v_fmac_f32_e32 v18, v10, v9
	v_fmac_f32_e32 v14, v10, v8
	v_cvt_f64_f32_e64 v[7:8], |v5|
	v_add_f32_e32 v15, v13, v14
	v_sub_f32_e32 v13, v15, v13
	v_add_f32_e32 v16, 0x3f2aaaaa, v15
	v_sub_f32_e32 v13, v14, v13
	v_add_f32_e32 v14, 0xbf2aaaaa, v16
	v_add_f32_e32 v13, 0x31739010, v13
	v_sub_f32_e32 v14, v15, v14
	v_frexp_exp_i32_f64_e32 v7, v[7:8]
	v_add_f32_e32 v12, v13, v14
	v_add_f32_e32 v13, v17, v18
	;; [unrolled: 1-line block ×3, first 2 shown]
	v_sub_f32_e32 v15, v13, v17
	v_sub_f32_e32 v8, v16, v10
	v_mul_f32_e32 v14, v13, v10
	v_sub_f32_e32 v15, v18, v15
	v_add_f32_e32 v8, v12, v8
	v_fma_f32 v12, v13, v10, -v14
	v_subrev_co_ci_u32_e64 v7, null, 0, v7, vcc_lo
	v_fmac_f32_e32 v12, v13, v8
	v_ldexp_f32 v8, v9, 1
	v_cmp_neq_f32_e32 vcc_lo, 1.0, v5
	v_cvt_f32_i32_e32 v7, v7
	v_fmac_f32_e32 v12, v15, v10
	v_add_f32_e32 v9, v14, v12
	v_add_f32_e32 v10, v8, v9
	v_sub_f32_e32 v13, v9, v14
	v_mul_f32_e32 v14, 0x3f317218, v7
	v_sub_f32_e32 v8, v10, v8
	v_sub_f32_e32 v12, v12, v13
	v_fma_f32 v13, 0x3f317218, v7, -v14
	v_sub_f32_e32 v8, v9, v8
	v_add_f32_e32 v9, v11, v12
	v_fmac_f32_e32 v13, 0xb102e308, v7
	v_add_f32_e32 v7, v9, v8
	v_add_f32_e32 v8, v14, v13
	v_add_f32_e32 v9, v10, v7
	v_sub_f32_e32 v14, v8, v14
	v_add_f32_e32 v11, v8, v9
	v_sub_f32_e32 v10, v9, v10
	v_sub_f32_e32 v13, v13, v14
	;; [unrolled: 1-line block ×6, first 2 shown]
	v_add_f32_e32 v10, v13, v7
	v_sub_f32_e32 v8, v8, v15
	v_add_f32_e32 v8, v9, v8
	v_sub_f32_e32 v9, v10, v13
	;; [unrolled: 2-line block ×3, first 2 shown]
	v_sub_f32_e32 v7, v7, v9
	v_add_f32_e32 v12, v11, v8
	v_sub_f32_e32 v9, v13, v10
	v_sub_f32_e32 v10, v12, v11
	v_add_f32_e32 v7, v7, v9
	v_cndmask_b32_e32 v9, 1.0, v6, vcc_lo
	v_sub_f32_e32 v8, v8, v10
	v_cmp_neq_f32_e64 s19, v9, |v9|
	v_cmp_gt_f32_e64 s7, 0, v9
	v_add_f32_e32 v7, v7, v8
	s_xor_b32 s18, s18, s19
	v_add_f32_e32 v8, v12, v7
	v_sub_f32_e32 v10, v8, v12
	v_mul_f32_e32 v11, v9, v8
	v_sub_f32_e32 v7, v7, v10
	v_fma_f32 v8, v9, v8, -v11
	v_cmp_class_f32_e64 vcc_lo, v11, 0x204
	v_fmac_f32_e32 v8, v9, v7
	v_add_f32_e32 v7, v11, v8
	v_cndmask_b32_e32 v10, v7, v11, vcc_lo
	v_sub_f32_e32 v7, v7, v11
	v_cmp_eq_f32_e32 vcc_lo, 0x42b17218, v10
	v_sub_f32_e32 v7, v8, v7
	v_cndmask_b32_e64 v12, 0, 0x37000000, vcc_lo
	v_cmp_neq_f32_e64 vcc_lo, 0x7f800000, |v10|
	v_sub_f32_e32 v13, v10, v12
	v_cndmask_b32_e32 v7, 0, v7, vcc_lo
	v_trunc_f32_e32 v10, v9
	v_mul_f32_e32 v14, 0x3fb8aa3b, v13
	v_cmp_ngt_f32_e32 vcc_lo, 0xc2ce8ed0, v13
	v_add_f32_e32 v7, v12, v7
	v_fma_f32 v15, 0x3fb8aa3b, v13, -v14
	v_rndne_f32_e32 v16, v14
	v_fmac_f32_e32 v15, 0x32a5705f, v13
	v_sub_f32_e32 v14, v14, v16
	v_cvt_i32_f32_e32 v11, v16
	v_add_f32_e32 v14, v14, v15
	v_exp_f32_e32 v14, v14
	v_ldexp_f32 v8, v14, v11
	v_mul_f32_e32 v11, 0.5, v9
	v_cndmask_b32_e32 v8, 0, v8, vcc_lo
	v_cmp_nlt_f32_e32 vcc_lo, 0x42b17218, v13
	v_trunc_f32_e32 v14, v11
	v_cndmask_b32_e32 v8, 0x7f800000, v8, vcc_lo
	v_cmp_eq_f32_e32 vcc_lo, v10, v9
	v_cmp_neq_f32_e64 s5, v14, v11
	v_fma_f32 v7, v8, v7, v8
	v_cmp_class_f32_e64 s6, v8, 0x204
	s_and_b32 s5, vcc_lo, s5
	v_cndmask_b32_e64 v10, 1.0, v5, s5
	v_cndmask_b32_e64 v12, 0, v5, s5
	v_cndmask_b32_e64 v7, v7, v8, s6
	;; [unrolled: 1-line block ×3, first 2 shown]
	v_cmp_eq_f32_e64 s6, 0, v5
	v_cmp_class_f32_e64 s5, v5, 0x204
	v_bfi_b32 v7, 0x7fffffff, v7, v10
	s_xor_b32 s7, s6, s7
	v_cndmask_b32_e64 v10, 0x7f800000, 0, s7
	v_cndmask_b32_e32 v11, 0x7fc00000, v7, vcc_lo
	v_cmp_neq_f32_e64 vcc_lo, |v5|, 1.0
	v_bfi_b32 v10, 0x7fffffff, v10, v12
	v_cndmask_b32_e32 v8, 1.0, v8, vcc_lo
	v_cmp_gt_f32_e32 vcc_lo, 0, v5
	v_cndmask_b32_e32 v7, v7, v11, vcc_lo
	v_cmp_class_f32_e64 vcc_lo, v9, 0x204
	v_cndmask_b32_e32 v7, v7, v8, vcc_lo
	s_or_b32 vcc_lo, s6, s5
	v_cndmask_b32_e32 v7, v7, v10, vcc_lo
	v_cmp_o_f32_e32 vcc_lo, v5, v5
	v_cndmask_b32_e32 v7, 0x7fc00000, v7, vcc_lo
	v_add_f32_e32 v3, v3, v7
	v_mul_f32_e32 v8, 0xa5000000, v3
	v_mul_f32_e32 v9, 0x25000000, v3
	v_cmp_nlt_f32_e32 vcc_lo, v8, v7
	v_cmp_nlt_f32_e64 s5, v7, v9
	s_or_b32 s6, vcc_lo, s5
	s_and_saveexec_b32 s5, s6
	s_cbranch_execz .LBB107_97
; %bb.99:                               ;   in Loop: Header=BB107_98 Depth=1
	s_add_i32 s6, s17, 1
	v_cmp_nge_f32_e32 vcc_lo, 0x41100000, v5
	s_cmp_gt_u32 s17, 7
	s_mov_b32 s17, s6
	s_cselect_b32 s7, -1, 0
	s_andn2_b32 s16, s16, exec_lo
	s_and_b32 s7, s7, vcc_lo
	s_andn2_b32 s15, s15, exec_lo
	s_and_b32 s7, s7, exec_lo
	s_or_b32 s16, s16, s7
	s_branch .LBB107_97
.LBB107_100:
	v_mov_b32_e32 v3, 28
	s_mov_b32 s9, 0
	v_cmp_gt_i16_sdwa s7, v5, v3 src0_sel:BYTE_0 src1_sel:DWORD
                                        ; implicit-def: $vgpr3
	s_and_saveexec_b32 s10, s7
	s_xor_b32 s7, exec_lo, s10
	s_cbranch_execz .LBB107_116
; %bb.101:
	v_mov_b32_e32 v3, 43
	s_mov_b32 s10, 0
	s_mov_b32 s11, 0
	v_cmp_gt_i16_sdwa s8, v5, v3 src0_sel:BYTE_0 src1_sel:DWORD
                                        ; implicit-def: $vgpr3
	s_and_saveexec_b32 s9, s8
	s_xor_b32 s8, exec_lo, s9
	s_cbranch_execz .LBB107_111
; %bb.102:
	v_mov_b32_e32 v3, 45
	s_mov_b32 s9, 0
	v_cmp_gt_i16_sdwa s11, v5, v3 src0_sel:BYTE_0 src1_sel:DWORD
                                        ; implicit-def: $vgpr3
	s_and_saveexec_b32 s12, s11
	s_xor_b32 s11, exec_lo, s12
	s_cbranch_execz .LBB107_106
; %bb.103:
	v_mov_b32_e32 v3, 46
	s_mov_b32 s12, -1
	v_cmp_eq_u16_sdwa s13, v5, v3 src0_sel:BYTE_0 src1_sel:DWORD
                                        ; implicit-def: $vgpr3
	s_and_saveexec_b32 s10, s13
	s_cbranch_execz .LBB107_105
; %bb.104:
	flat_load_dword v3, v[1:2]
	s_mov_b32 s9, exec_lo
	s_xor_b32 s12, exec_lo, -1
	s_waitcnt vmcnt(0) lgkmcnt(0)
	v_lshlrev_b32_e32 v3, 16, v3
	v_cvt_f16_f32_e32 v3, v3
.LBB107_105:
	s_or_b32 exec_lo, exec_lo, s10
	s_and_b32 s10, s9, exec_lo
	s_and_b32 s9, s12, exec_lo
                                        ; implicit-def: $vgpr5
.LBB107_106:
	s_andn2_saveexec_b32 s11, s11
	s_cbranch_execz .LBB107_110
; %bb.107:
	v_mov_b32_e32 v3, 44
	s_mov_b32 s12, -1
	s_mov_b32 s14, s10
	v_cmp_eq_u16_sdwa s15, v5, v3 src0_sel:BYTE_0 src1_sel:DWORD
                                        ; implicit-def: $vgpr3
	s_and_saveexec_b32 s13, s15
	s_cbranch_execz .LBB107_109
; %bb.108:
	flat_load_ubyte v3, v[1:2]
	s_or_b32 s14, s10, exec_lo
	s_xor_b32 s12, exec_lo, -1
	s_waitcnt vmcnt(0) lgkmcnt(0)
	v_lshlrev_b32_e32 v4, 23, v3
	v_cmp_ne_u32_e32 vcc_lo, 0xff, v3
	v_cvt_f16_f32_e32 v4, v4
	v_cndmask_b32_e32 v4, 0x7e00, v4, vcc_lo
	v_cmp_ne_u32_e32 vcc_lo, 0, v3
	v_cndmask_b32_e32 v3, 0, v4, vcc_lo
.LBB107_109:
	s_or_b32 exec_lo, exec_lo, s13
	s_andn2_b32 s10, s10, exec_lo
	s_and_b32 s13, s14, exec_lo
	s_andn2_b32 s9, s9, exec_lo
	s_and_b32 s12, s12, exec_lo
	s_or_b32 s10, s10, s13
	s_or_b32 s9, s9, s12
.LBB107_110:
	s_or_b32 exec_lo, exec_lo, s11
	s_and_b32 s11, s10, exec_lo
	s_and_b32 s10, s9, exec_lo
                                        ; implicit-def: $vgpr5
.LBB107_111:
	s_andn2_saveexec_b32 s8, s8
	s_cbranch_execz .LBB107_115
; %bb.112:
	v_mov_b32_e32 v3, 29
	s_mov_b32 s12, -1
	s_mov_b32 s13, s11
	v_cmp_eq_u16_sdwa s14, v5, v3 src0_sel:BYTE_0 src1_sel:DWORD
                                        ; implicit-def: $vgpr3
	s_and_saveexec_b32 s9, s14
	s_cbranch_execz .LBB107_114
; %bb.113:
	flat_load_dwordx2 v[3:4], v[1:2]
	s_or_b32 s13, s11, exec_lo
	s_xor_b32 s12, exec_lo, -1
	s_waitcnt vmcnt(0) lgkmcnt(0)
	v_ffbh_u32_e32 v5, v4
	v_min_u32_e32 v5, 32, v5
	v_lshlrev_b64 v[3:4], v5, v[3:4]
	v_min_u32_e32 v3, 1, v3
	v_or_b32_e32 v3, v4, v3
	v_sub_nc_u32_e32 v4, 32, v5
	v_cvt_f32_u32_e32 v3, v3
	v_ldexp_f32 v3, v3, v4
	v_cvt_f16_f32_e32 v3, v3
.LBB107_114:
	s_or_b32 exec_lo, exec_lo, s9
	s_andn2_b32 s9, s11, exec_lo
	s_and_b32 s11, s13, exec_lo
	s_andn2_b32 s10, s10, exec_lo
	s_and_b32 s12, s12, exec_lo
	s_or_b32 s11, s9, s11
	s_or_b32 s10, s10, s12
.LBB107_115:
	s_or_b32 exec_lo, exec_lo, s8
	s_and_b32 s9, s11, exec_lo
	s_and_b32 s8, s10, exec_lo
                                        ; implicit-def: $vgpr5
.LBB107_116:
	s_andn2_saveexec_b32 s7, s7
	s_cbranch_execz .LBB107_130
; %bb.117:
	v_mov_b32_e32 v3, 26
	v_cmp_gt_i16_sdwa s10, v5, v3 src0_sel:BYTE_0 src1_sel:DWORD
                                        ; implicit-def: $vgpr3
	s_and_saveexec_b32 s11, s10
	s_xor_b32 s10, exec_lo, s11
	s_cbranch_execz .LBB107_123
; %bb.118:
	v_mov_b32_e32 v3, 27
	v_cmp_gt_i16_sdwa s11, v5, v3 src0_sel:BYTE_0 src1_sel:DWORD
                                        ; implicit-def: $vgpr3
	s_and_saveexec_b32 s12, s11
	s_xor_b32 s11, exec_lo, s12
	s_cbranch_execz .LBB107_120
; %bb.119:
	flat_load_dword v3, v[1:2]
	s_waitcnt vmcnt(0) lgkmcnt(0)
	v_cvt_f32_u32_e32 v3, v3
	v_cvt_f16_f32_e32 v3, v3
.LBB107_120:
	s_andn2_saveexec_b32 s11, s11
	s_cbranch_execz .LBB107_122
; %bb.121:
	flat_load_ushort v3, v[1:2]
	s_waitcnt vmcnt(0) lgkmcnt(0)
	v_cvt_f16_u16_e32 v3, v3
.LBB107_122:
	s_or_b32 exec_lo, exec_lo, s11
.LBB107_123:
	s_andn2_saveexec_b32 s10, s10
	s_cbranch_execz .LBB107_129
; %bb.124:
	flat_load_ubyte v4, v[1:2]
	s_mov_b32 s11, 0
	s_mov_b32 s12, exec_lo
	s_waitcnt vmcnt(0) lgkmcnt(0)
	v_cmpx_lt_i16_e32 0x7f, v4
	s_xor_b32 s12, exec_lo, s12
	s_cbranch_execnz .LBB107_162
; %bb.125:
	s_or_saveexec_b32 s12, s12
	v_mov_b32_e32 v3, 0x7e00
	s_xor_b32 exec_lo, exec_lo, s12
	s_cbranch_execnz .LBB107_165
.LBB107_126:
	s_or_b32 exec_lo, exec_lo, s12
	s_and_saveexec_b32 s12, s11
	s_cbranch_execz .LBB107_128
.LBB107_127:
	v_and_b32_e32 v3, 0xffff, v4
	v_lshlrev_b32_e32 v4, 24, v4
	v_and_b32_e32 v5, 7, v3
	v_bfe_u32 v8, v3, 3, 4
	v_and_b32_e32 v4, 0x80000000, v4
	v_ffbh_u32_e32 v6, v5
	v_cmp_eq_u32_e32 vcc_lo, 0, v8
	v_min_u32_e32 v6, 32, v6
	v_subrev_nc_u32_e32 v7, 28, v6
	v_sub_nc_u32_e32 v6, 29, v6
	v_lshlrev_b32_e32 v3, v7, v3
	v_cndmask_b32_e32 v6, v8, v6, vcc_lo
	v_and_b32_e32 v3, 7, v3
	v_cndmask_b32_e32 v3, v5, v3, vcc_lo
	v_lshl_add_u32 v5, v6, 23, 0x3b800000
	v_lshlrev_b32_e32 v3, 20, v3
	v_or3_b32 v3, v4, v5, v3
	v_cvt_f16_f32_e32 v3, v3
.LBB107_128:
	s_or_b32 exec_lo, exec_lo, s12
.LBB107_129:
	s_or_b32 exec_lo, exec_lo, s10
	s_or_b32 s9, s9, exec_lo
.LBB107_130:
	s_or_b32 exec_lo, exec_lo, s7
	s_and_b32 s7, s9, exec_lo
	s_and_b32 s8, s8, exec_lo
                                        ; implicit-def: $vgpr5
	s_andn2_saveexec_b32 s6, s6
	s_cbranch_execz .LBB107_6
.LBB107_131:
	v_mov_b32_e32 v3, 22
	s_mov_b32 s9, s7
	v_cmp_gt_i16_sdwa s5, v5, v3 src0_sel:BYTE_0 src1_sel:DWORD
                                        ; implicit-def: $vgpr3
	s_and_saveexec_b32 s10, s5
	s_xor_b32 s5, exec_lo, s10
	s_cbranch_execz .LBB107_145
; %bb.132:
	v_mov_b32_e32 v3, 23
	v_cmp_gt_i16_sdwa s9, v5, v3 src0_sel:BYTE_0 src1_sel:DWORD
                                        ; implicit-def: $vgpr3
	s_and_saveexec_b32 s10, s9
	s_xor_b32 s9, exec_lo, s10
	s_cbranch_execz .LBB107_142
; %bb.133:
	v_mov_b32_e32 v3, 24
	v_cmp_gt_i16_sdwa s10, v5, v3 src0_sel:BYTE_0 src1_sel:DWORD
                                        ; implicit-def: $vgpr3
	s_and_saveexec_b32 s11, s10
	s_xor_b32 s10, exec_lo, s11
	s_cbranch_execz .LBB107_139
; %bb.134:
	flat_load_ubyte v4, v[1:2]
	s_mov_b32 s11, 0
	s_mov_b32 s12, exec_lo
	s_waitcnt vmcnt(0) lgkmcnt(0)
	v_cmpx_lt_i16_e32 0x7f, v4
	s_xor_b32 s12, exec_lo, s12
	s_cbranch_execnz .LBB107_177
; %bb.135:
	s_or_saveexec_b32 s12, s12
	v_mov_b32_e32 v3, 0x7e00
	s_xor_b32 exec_lo, exec_lo, s12
	s_cbranch_execnz .LBB107_180
.LBB107_136:
	s_or_b32 exec_lo, exec_lo, s12
	s_and_saveexec_b32 s12, s11
	s_cbranch_execz .LBB107_138
.LBB107_137:
	v_and_b32_e32 v3, 0xffff, v4
	v_lshlrev_b32_e32 v4, 24, v4
	v_and_b32_e32 v5, 3, v3
	v_bfe_u32 v8, v3, 2, 5
	v_and_b32_e32 v4, 0x80000000, v4
	v_ffbh_u32_e32 v6, v5
	v_cmp_eq_u32_e32 vcc_lo, 0, v8
	v_min_u32_e32 v6, 32, v6
	v_subrev_nc_u32_e32 v7, 29, v6
	v_sub_nc_u32_e32 v6, 30, v6
	v_lshlrev_b32_e32 v3, v7, v3
	v_cndmask_b32_e32 v6, v8, v6, vcc_lo
	v_and_b32_e32 v3, 3, v3
	v_cndmask_b32_e32 v3, v5, v3, vcc_lo
	v_lshl_add_u32 v5, v6, 23, 0x37800000
	v_lshlrev_b32_e32 v3, 21, v3
	v_or3_b32 v3, v4, v5, v3
	v_cvt_f16_f32_e32 v3, v3
.LBB107_138:
	s_or_b32 exec_lo, exec_lo, s12
.LBB107_139:
	s_andn2_saveexec_b32 s10, s10
	s_cbranch_execz .LBB107_141
; %bb.140:
	flat_load_ubyte v3, v[1:2]
	s_waitcnt vmcnt(0) lgkmcnt(0)
	v_lshlrev_b32_e32 v3, 24, v3
	v_and_b32_e32 v4, 0x7f000000, v3
	v_ffbh_u32_e32 v5, v4
	v_add_nc_u32_e32 v7, 0x1000000, v4
	v_cmp_ne_u32_e32 vcc_lo, 0, v4
	v_min_u32_e32 v5, 32, v5
	v_sub_nc_u32_e64 v5, v5, 4 clamp
	v_lshlrev_b32_e32 v6, v5, v4
	v_lshlrev_b32_e32 v5, 23, v5
	v_lshrrev_b32_e32 v6, 4, v6
	v_sub_nc_u32_e32 v5, v6, v5
	v_ashrrev_i32_e32 v6, 8, v7
	v_add_nc_u32_e32 v5, 0x3c000000, v5
	v_and_or_b32 v5, 0x7f800000, v6, v5
	v_cndmask_b32_e32 v4, 0, v5, vcc_lo
	v_and_or_b32 v3, 0x80000000, v3, v4
	v_cvt_f16_f32_e32 v3, v3
.LBB107_141:
	s_or_b32 exec_lo, exec_lo, s10
.LBB107_142:
	s_andn2_saveexec_b32 s9, s9
	s_cbranch_execz .LBB107_144
; %bb.143:
	flat_load_ubyte v3, v[1:2]
	s_waitcnt vmcnt(0) lgkmcnt(0)
	v_lshlrev_b32_e32 v4, 25, v3
	v_lshlrev_b16 v3, 8, v3
	v_lshrrev_b32_e32 v5, 4, v4
	v_and_or_b32 v6, 0x7f00, v3, 0.5
	v_cmp_gt_u32_e32 vcc_lo, 0x8000000, v4
	v_bfe_i32 v3, v3, 0, 16
	v_or_b32_e32 v5, 0x70000000, v5
	v_add_f32_e32 v6, -0.5, v6
	v_mul_f32_e32 v5, 0x7800000, v5
	v_cndmask_b32_e32 v4, v5, v6, vcc_lo
	v_and_or_b32 v3, 0x80000000, v3, v4
	v_cvt_f16_f32_e32 v3, v3
.LBB107_144:
	s_or_b32 exec_lo, exec_lo, s9
	s_or_b32 s9, s7, exec_lo
                                        ; implicit-def: $vgpr5
.LBB107_145:
	s_or_saveexec_b32 s5, s5
	s_mov_b32 s10, 0
	s_mov_b32 s11, s8
	s_xor_b32 exec_lo, exec_lo, s5
	s_cbranch_execz .LBB107_153
; %bb.146:
	v_mov_b32_e32 v3, 14
	s_mov_b32 s10, s8
	s_mov_b32 s11, s9
	v_cmp_gt_i16_sdwa s12, v5, v3 src0_sel:BYTE_0 src1_sel:DWORD
                                        ; implicit-def: $vgpr3
	s_and_saveexec_b32 s13, s12
	s_xor_b32 s12, exec_lo, s13
	s_cbranch_execz .LBB107_150
; %bb.147:
	v_mov_b32_e32 v3, 15
	s_mov_b32 s10, -1
	s_mov_b32 s11, s9
	v_cmp_eq_u16_sdwa s14, v5, v3 src0_sel:BYTE_0 src1_sel:DWORD
                                        ; implicit-def: $vgpr3
	s_and_saveexec_b32 s13, s14
	s_cbranch_execz .LBB107_149
; %bb.148:
	flat_load_ushort v3, v[1:2]
	s_or_b32 s11, s9, exec_lo
	s_xor_b32 s10, exec_lo, -1
	s_waitcnt vmcnt(0) lgkmcnt(0)
	v_lshlrev_b32_e32 v3, 16, v3
	v_cvt_f16_f32_e32 v3, v3
.LBB107_149:
	s_or_b32 exec_lo, exec_lo, s13
	s_andn2_b32 s13, s9, exec_lo
	s_and_b32 s11, s11, exec_lo
	s_andn2_b32 s14, s8, exec_lo
	s_and_b32 s10, s10, exec_lo
	s_or_b32 s11, s13, s11
	s_or_b32 s10, s14, s10
                                        ; implicit-def: $vgpr5
.LBB107_150:
	s_or_saveexec_b32 s12, s12
	s_mov_b32 s13, 0
	s_xor_b32 exec_lo, exec_lo, s12
; %bb.151:
	v_mov_b32_e32 v4, 11
	s_andn2_b32 s10, s10, exec_lo
	s_mov_b32 s13, exec_lo
	v_cmp_ne_u16_sdwa s14, v5, v4 src0_sel:BYTE_0 src1_sel:DWORD
	s_and_b32 s14, s14, exec_lo
	s_or_b32 s10, s10, s14
; %bb.152:
	s_or_b32 exec_lo, exec_lo, s12
	s_andn2_b32 s9, s9, exec_lo
	s_and_b32 s11, s11, exec_lo
	s_and_b32 s12, s10, exec_lo
	s_or_b32 s9, s9, s11
	s_andn2_b32 s11, s8, exec_lo
	s_and_b32 s10, s13, exec_lo
	s_or_b32 s11, s11, s12
.LBB107_153:
	s_or_b32 exec_lo, exec_lo, s5
	s_andn2_b32 s5, s7, exec_lo
	s_and_b32 s7, s9, exec_lo
	s_andn2_b32 s8, s8, exec_lo
	s_and_b32 s9, s11, exec_lo
	s_or_b32 s7, s5, s7
	s_and_b32 s5, s10, exec_lo
	s_or_b32 s8, s8, s9
	s_or_b32 exec_lo, exec_lo, s6
	s_and_saveexec_b32 s6, s8
	s_cbranch_execz .LBB107_7
.LBB107_154:
	s_trap 2
	; divergent unreachable
	s_andn2_b32 s5, s5, exec_lo
	s_or_b32 exec_lo, exec_lo, s6
	s_and_saveexec_b32 s6, s5
	s_xor_b32 s5, exec_lo, s6
	s_cbranch_execnz .LBB107_8
	s_branch .LBB107_9
.LBB107_155:
	s_or_b32 exec_lo, exec_lo, s13
	s_xor_b32 s5, s14, -1
                                        ; implicit-def: $vgpr8
	s_and_saveexec_b32 s6, s5
	s_xor_b32 s5, exec_lo, s6
	s_cbranch_execz .LBB107_171
; %bb.156:
	v_mul_f32_e32 v6, v5, v7
	v_add_f32_e32 v8, -1.0, v4
	s_mov_b64 s[6:7], 0
	s_mov_b32 s12, 0
                                        ; implicit-def: $sgpr13
                                        ; implicit-def: $sgpr14
                                        ; implicit-def: $sgpr15
	v_div_scale_f32 v9, null, v8, v8, v6
	v_div_scale_f32 v12, vcc_lo, v6, v8, v6
	v_rcp_f32_e32 v10, v9
	v_fma_f32 v11, -v9, v10, 1.0
	v_fmac_f32_e32 v10, v11, v10
	v_mul_f32_e32 v11, v12, v10
	v_fma_f32 v13, -v9, v11, v12
	v_fmac_f32_e32 v11, v13, v10
	v_fma_f32 v9, -v9, v11, v12
	v_div_fmas_f32 v9, v9, v10, v11
	v_div_fixup_f32 v6, v9, v8, v6
	v_mov_b32_e32 v9, 1.0
	v_mov_b32_e32 v8, 0
	v_add_f32_e32 v6, v3, v6
	v_fmac_f32_e32 v6, -0.5, v7
	s_branch .LBB107_159
.LBB107_157:                            ;   in Loop: Header=BB107_159 Depth=1
	s_or_b32 exec_lo, exec_lo, s17
	s_andn2_b32 s15, s15, exec_lo
	s_and_b32 s17, s19, exec_lo
	s_andn2_b32 s14, s14, exec_lo
	s_and_b32 s18, s18, exec_lo
	s_or_b32 s15, s15, s17
	s_or_b32 s14, s14, s18
.LBB107_158:                            ;   in Loop: Header=BB107_159 Depth=1
	s_or_b32 exec_lo, exec_lo, s16
	s_and_b32 s16, exec_lo, s14
	s_or_b32 s12, s16, s12
	s_andn2_b32 s13, s13, exec_lo
	s_and_b32 s16, s15, exec_lo
	s_or_b32 s13, s13, s16
	s_andn2_b32 exec_lo, exec_lo, s12
	s_cbranch_execz .LBB107_166
.LBB107_159:                            ; =>This Inner Loop Header: Depth=1
	v_div_scale_f32 v10, null, v5, v5, v7
	v_div_scale_f32 v13, vcc_lo, v7, v5, v7
	s_getpc_b64 s[16:17]
	s_add_u32 s16, s16, _ZZ4zetaIN3c104HalfELb1EET_S2_S2_E1A@rel32@lo+4
	s_addc_u32 s17, s17, _ZZ4zetaIN3c104HalfELb1EET_S2_S2_E1A@rel32@hi+12
	v_rcp_f32_e32 v11, v10
	s_add_u32 s16, s16, s6
	s_addc_u32 s17, s17, s7
	s_or_b32 s15, s15, exec_lo
	s_load_dword s16, s[16:17], 0x0
	s_or_b32 s14, s14, exec_lo
	v_fma_f32 v12, -v10, v11, 1.0
	v_fmac_f32_e32 v11, v12, v11
	v_mul_f32_e32 v12, v13, v11
	v_fma_f32 v14, -v10, v12, v13
	v_fmac_f32_e32 v12, v14, v11
	v_fma_f32 v10, -v10, v12, v13
	v_add_f32_e32 v13, v8, v4
	v_div_fmas_f32 v11, v10, v11, v12
	v_mul_f32_e32 v10, v9, v13
	v_div_fixup_f32 v11, v11, v5, v7
	v_mul_f32_e32 v7, v11, v10
	s_waitcnt lgkmcnt(0)
	v_div_scale_f32 v9, null, s16, s16, v7
	v_div_scale_f32 v14, vcc_lo, v7, s16, v7
	v_rcp_f32_e32 v12, v9
	v_fma_f32 v13, -v9, v12, 1.0
	v_fmac_f32_e32 v12, v13, v12
	v_mul_f32_e32 v13, v14, v12
	v_fma_f32 v15, -v9, v13, v14
	v_fmac_f32_e32 v13, v15, v12
	v_fma_f32 v9, -v9, v13, v14
	v_div_fmas_f32 v9, v9, v12, v13
	v_div_fixup_f32 v7, v9, s16, v7
	v_add_f32_e32 v6, v6, v7
	v_div_scale_f32 v9, null, v6, v6, v7
	v_rcp_f32_e32 v12, v9
	v_fma_f32 v13, -v9, v12, 1.0
	v_fmac_f32_e32 v12, v13, v12
	v_div_scale_f32 v13, vcc_lo, v7, v6, v7
	v_mul_f32_e32 v14, v13, v12
	v_fma_f32 v15, -v9, v14, v13
	v_fmac_f32_e32 v14, v15, v12
	v_fma_f32 v9, -v9, v14, v13
	v_div_fmas_f32 v9, v9, v12, v14
	v_div_fixup_f32 v7, v9, v6, v7
                                        ; implicit-def: $vgpr9
	v_cmp_ngt_f32_e64 s17, 0x25000000, |v7|
                                        ; implicit-def: $vgpr7
	s_and_saveexec_b32 s16, s17
	s_cbranch_execz .LBB107_158
; %bb.160:                              ;   in Loop: Header=BB107_159 Depth=1
	v_div_scale_f32 v7, null, v5, v5, v11
	v_div_scale_f32 v13, vcc_lo, v11, v5, v11
	v_add_f32_e32 v8, 1.0, v8
	v_rcp_f32_e32 v9, v7
	s_getpc_b64 s[18:19]
	s_add_u32 s18, s18, _ZZ4zetaIN3c104HalfELb1EET_S2_S2_E1A@rel32@lo+8
	s_addc_u32 s19, s19, _ZZ4zetaIN3c104HalfELb1EET_S2_S2_E1A@rel32@hi+16
	s_add_u32 s18, s18, s6
	s_addc_u32 s19, s19, s7
	v_add_f32_e32 v16, v8, v4
	s_load_dword s17, s[18:19], 0x0
	s_mov_b32 s18, -1
	s_mov_b32 s19, -1
	v_fma_f32 v12, -v7, v9, 1.0
	v_fmac_f32_e32 v9, v12, v9
	v_mul_f32_e32 v12, v13, v9
	v_fma_f32 v14, -v7, v12, v13
	v_fmac_f32_e32 v12, v14, v9
	v_fma_f32 v7, -v7, v12, v13
	v_div_fmas_f32 v7, v7, v9, v12
	v_div_fixup_f32 v7, v7, v5, v11
	v_div_scale_f32 v9, null, v5, v5, v7
	v_div_scale_f32 v13, vcc_lo, v7, v5, v7
	v_rcp_f32_e32 v11, v9
	v_fma_f32 v12, -v9, v11, 1.0
	v_fmac_f32_e32 v11, v12, v11
	v_add_f32_e32 v12, 1.0, v8
	v_mul_f32_e32 v14, v13, v11
	v_fma_f32 v15, -v9, v14, v13
	v_fmac_f32_e32 v14, v15, v11
	v_fma_f32 v8, -v9, v14, v13
	v_mul_f32_e32 v9, v16, v10
	v_add_f32_e32 v10, v12, v4
	v_div_fmas_f32 v8, v8, v11, v14
	v_mul_f32_e32 v10, v9, v10
	v_div_fixup_f32 v11, v8, v5, v7
	v_mul_f32_e32 v7, v11, v10
	s_waitcnt lgkmcnt(0)
	v_div_scale_f32 v8, null, s17, s17, v7
	v_div_scale_f32 v14, vcc_lo, v7, s17, v7
	v_rcp_f32_e32 v9, v8
	v_fma_f32 v13, -v8, v9, 1.0
	v_fmac_f32_e32 v9, v13, v9
	v_mul_f32_e32 v13, v14, v9
	v_fma_f32 v15, -v8, v13, v14
	v_fmac_f32_e32 v13, v15, v9
	v_fma_f32 v8, -v8, v13, v14
	v_div_fmas_f32 v8, v8, v9, v13
	v_div_fixup_f32 v7, v8, s17, v7
	v_add_f32_e32 v6, v6, v7
	v_div_scale_f32 v8, null, v6, v6, v7
	v_rcp_f32_e32 v9, v8
	v_fma_f32 v13, -v8, v9, 1.0
	v_fmac_f32_e32 v9, v13, v9
	v_div_scale_f32 v13, vcc_lo, v7, v6, v7
	v_mul_f32_e32 v14, v13, v9
	v_fma_f32 v15, -v8, v14, v13
	v_fmac_f32_e32 v14, v15, v9
	v_fma_f32 v8, -v8, v14, v13
	v_div_fmas_f32 v8, v8, v9, v14
                                        ; implicit-def: $vgpr9
	v_div_fixup_f32 v7, v8, v6, v7
                                        ; implicit-def: $vgpr8
	v_cmp_ngt_f32_e64 s20, 0x25000000, |v7|
                                        ; implicit-def: $vgpr7
	s_and_saveexec_b32 s17, s20
	s_cbranch_execz .LBB107_157
; %bb.161:                              ;   in Loop: Header=BB107_159 Depth=1
	v_div_scale_f32 v7, null, v5, v5, v11
	v_div_scale_f32 v13, vcc_lo, v11, v5, v11
	v_add_f32_e32 v12, 1.0, v12
	v_rcp_f32_e32 v8, v7
	s_add_u32 s6, s6, 8
	s_addc_u32 s7, s7, 0
	s_cmp_eq_u32 s6, 48
	s_cselect_b32 s18, -1, 0
	s_xor_b32 s19, exec_lo, -1
	s_orn2_b32 s18, s18, exec_lo
	v_fma_f32 v9, -v7, v8, 1.0
	v_fmac_f32_e32 v8, v9, v8
	v_mul_f32_e32 v9, v13, v8
	v_fma_f32 v14, -v7, v9, v13
	v_fmac_f32_e32 v9, v14, v8
	v_fma_f32 v7, -v7, v9, v13
	v_add_f32_e32 v13, v12, v4
	v_div_fmas_f32 v7, v7, v8, v9
	v_mul_f32_e32 v9, v13, v10
	v_add_f32_e32 v8, 1.0, v12
	v_div_fixup_f32 v7, v7, v5, v11
	s_branch .LBB107_157
.LBB107_162:
	s_mov_b32 s11, -1
	s_mov_b32 s13, exec_lo
	v_cmpx_eq_u16_e32 0x80, v4
; %bb.163:
	s_xor_b32 s11, exec_lo, -1
; %bb.164:
	s_or_b32 exec_lo, exec_lo, s13
	s_and_b32 s11, s11, exec_lo
	s_or_saveexec_b32 s12, s12
	v_mov_b32_e32 v3, 0x7e00
	s_xor_b32 exec_lo, exec_lo, s12
	s_cbranch_execz .LBB107_126
.LBB107_165:
	v_cmp_ne_u16_e32 vcc_lo, 0, v4
	v_mov_b32_e32 v3, v4
	s_andn2_b32 s11, s11, exec_lo
	s_and_b32 s13, vcc_lo, exec_lo
	s_or_b32 s11, s11, s13
	s_or_b32 exec_lo, exec_lo, s12
	s_and_saveexec_b32 s12, s11
	s_cbranch_execnz .LBB107_127
	s_branch .LBB107_128
.LBB107_166:
	s_or_b32 exec_lo, exec_lo, s12
	s_xor_b32 s6, s13, -1
                                        ; implicit-def: $vgpr8
	s_and_saveexec_b32 s7, s6
	s_xor_b32 s6, exec_lo, s7
; %bb.167:
	v_cvt_f16_f32_e32 v8, v6
; %bb.168:
	s_andn2_saveexec_b32 s6, s6
; %bb.169:
	v_cvt_f16_f32_e32 v8, v6
; %bb.170:
	s_or_b32 exec_lo, exec_lo, s6
.LBB107_171:
	s_andn2_saveexec_b32 s5, s5
; %bb.172:
	v_cvt_f16_f32_e32 v8, v3
; %bb.173:
	s_or_b32 exec_lo, exec_lo, s5
.LBB107_174:
	s_or_b32 exec_lo, exec_lo, s11
.LBB107_175:
	s_or_b32 exec_lo, exec_lo, s10
.LBB107_176:
	s_or_b32 exec_lo, exec_lo, s9
	v_cmp_gt_f32_e64 s5, 0x4b000000, |v1|
	v_and_b32_e32 v0, 1, v0
	s_or_b32 vcc_lo, s4, s5
	v_cmp_class_f32_e64 s4, v1, 0x244
	v_cndmask_b32_e32 v2, 0x7f800000, v2, vcc_lo
	v_cndmask_b32_e64 v1, v2, 0x7f800000, s4
	v_mul_f32_e32 v2, 0x3fb8aa3b, v1
	v_cmp_ngt_f32_e32 vcc_lo, 0xc2ce8ed0, v1
	s_waitcnt vmcnt(0) lgkmcnt(0)
	v_fma_f32 v3, 0x3fb8aa3b, v1, -v2
	v_rndne_f32_e32 v4, v2
	v_fmamk_f32 v3, v1, 0x32a5705f, v3
	v_sub_f32_e32 v2, v2, v4
	v_add_f32_e32 v2, v2, v3
	v_cvt_i32_f32_e32 v3, v4
	v_exp_f32_e32 v2, v2
	v_ldexp_f32 v2, v2, v3
	v_cndmask_b32_e32 v2, 0, v2, vcc_lo
	v_cmp_nlt_f32_e32 vcc_lo, 0x42b17218, v1
	v_cndmask_b32_e32 v1, 0x7f800000, v2, vcc_lo
	v_cmp_eq_u32_e32 vcc_lo, 0, v0
	v_cndmask_b32_e64 v0, v1, -v1, vcc_lo
	v_fma_mixlo_f16 v1, v0, v8, 0 op_sel_hi:[0,1,0]
	s_or_b32 exec_lo, exec_lo, s8
	v_mov_b32_e32 v0, v1
	s_setpc_b64 s[30:31]
.LBB107_177:
	s_mov_b32 s11, -1
	s_mov_b32 s13, exec_lo
	v_cmpx_eq_u16_e32 0x80, v4
; %bb.178:
	s_xor_b32 s11, exec_lo, -1
; %bb.179:
	s_or_b32 exec_lo, exec_lo, s13
	s_and_b32 s11, s11, exec_lo
	s_or_saveexec_b32 s12, s12
	v_mov_b32_e32 v3, 0x7e00
	s_xor_b32 exec_lo, exec_lo, s12
	s_cbranch_execz .LBB107_136
.LBB107_180:
	v_cmp_ne_u16_e32 vcc_lo, 0, v4
	v_mov_b32_e32 v3, v4
	s_andn2_b32 s11, s11, exec_lo
	s_and_b32 s13, vcc_lo, exec_lo
	s_or_b32 s11, s11, s13
	s_or_b32 exec_lo, exec_lo, s12
	s_and_saveexec_b32 s12, s11
	s_cbranch_execnz .LBB107_137
	s_branch .LBB107_138
.Lfunc_end107:
	.size	_ZN2at6native6invokeIZZZNS0_21polygamma_kernel_cudaERNS_18TensorIteratorBaseElENKUlvE_clEvENKUlvE1_clEvEUlN3c104HalfEE_i15function_traitsIS8_EEENT1_11result_typeERKT_PrKPcPKT0_PKNS6_10ScalarTypeEi, .Lfunc_end107-_ZN2at6native6invokeIZZZNS0_21polygamma_kernel_cudaERNS_18TensorIteratorBaseElENKUlvE_clEvENKUlvE1_clEvEUlN3c104HalfEE_i15function_traitsIS8_EEENT1_11result_typeERKT_PrKPcPKT0_PKNS6_10ScalarTypeEi
                                        ; -- End function
	.set .L_ZN2at6native6invokeIZZZNS0_21polygamma_kernel_cudaERNS_18TensorIteratorBaseElENKUlvE_clEvENKUlvE1_clEvEUlN3c104HalfEE_i15function_traitsIS8_EEENT1_11result_typeERKT_PrKPcPKT0_PKNS6_10ScalarTypeEi.num_vgpr, 19
	.set .L_ZN2at6native6invokeIZZZNS0_21polygamma_kernel_cudaERNS_18TensorIteratorBaseElENKUlvE_clEvENKUlvE1_clEvEUlN3c104HalfEE_i15function_traitsIS8_EEENT1_11result_typeERKT_PrKPcPKT0_PKNS6_10ScalarTypeEi.num_agpr, 0
	.set .L_ZN2at6native6invokeIZZZNS0_21polygamma_kernel_cudaERNS_18TensorIteratorBaseElENKUlvE_clEvENKUlvE1_clEvEUlN3c104HalfEE_i15function_traitsIS8_EEENT1_11result_typeERKT_PrKPcPKT0_PKNS6_10ScalarTypeEi.numbered_sgpr, 32
	.set .L_ZN2at6native6invokeIZZZNS0_21polygamma_kernel_cudaERNS_18TensorIteratorBaseElENKUlvE_clEvENKUlvE1_clEvEUlN3c104HalfEE_i15function_traitsIS8_EEENT1_11result_typeERKT_PrKPcPKT0_PKNS6_10ScalarTypeEi.num_named_barrier, 0
	.set .L_ZN2at6native6invokeIZZZNS0_21polygamma_kernel_cudaERNS_18TensorIteratorBaseElENKUlvE_clEvENKUlvE1_clEvEUlN3c104HalfEE_i15function_traitsIS8_EEENT1_11result_typeERKT_PrKPcPKT0_PKNS6_10ScalarTypeEi.private_seg_size, 0
	.set .L_ZN2at6native6invokeIZZZNS0_21polygamma_kernel_cudaERNS_18TensorIteratorBaseElENKUlvE_clEvENKUlvE1_clEvEUlN3c104HalfEE_i15function_traitsIS8_EEENT1_11result_typeERKT_PrKPcPKT0_PKNS6_10ScalarTypeEi.uses_vcc, 1
	.set .L_ZN2at6native6invokeIZZZNS0_21polygamma_kernel_cudaERNS_18TensorIteratorBaseElENKUlvE_clEvENKUlvE1_clEvEUlN3c104HalfEE_i15function_traitsIS8_EEENT1_11result_typeERKT_PrKPcPKT0_PKNS6_10ScalarTypeEi.uses_flat_scratch, 0
	.set .L_ZN2at6native6invokeIZZZNS0_21polygamma_kernel_cudaERNS_18TensorIteratorBaseElENKUlvE_clEvENKUlvE1_clEvEUlN3c104HalfEE_i15function_traitsIS8_EEENT1_11result_typeERKT_PrKPcPKT0_PKNS6_10ScalarTypeEi.has_dyn_sized_stack, 0
	.set .L_ZN2at6native6invokeIZZZNS0_21polygamma_kernel_cudaERNS_18TensorIteratorBaseElENKUlvE_clEvENKUlvE1_clEvEUlN3c104HalfEE_i15function_traitsIS8_EEENT1_11result_typeERKT_PrKPcPKT0_PKNS6_10ScalarTypeEi.has_recursion, 0
	.set .L_ZN2at6native6invokeIZZZNS0_21polygamma_kernel_cudaERNS_18TensorIteratorBaseElENKUlvE_clEvENKUlvE1_clEvEUlN3c104HalfEE_i15function_traitsIS8_EEENT1_11result_typeERKT_PrKPcPKT0_PKNS6_10ScalarTypeEi.has_indirect_call, 0
	.section	.AMDGPU.csdata,"",@progbits
; Function info:
; codeLenInByte = 8408
; TotalNumSgprs: 34
; NumVgprs: 19
; ScratchSize: 0
; MemoryBound: 0
	.section	.text._ZN2at6native32elementwise_kernel_manual_unrollILi128ELi4EZNS0_15gpu_kernel_implIZZZNS0_21polygamma_kernel_cudaERNS_18TensorIteratorBaseElENKUlvE_clEvENKUlvE1_clEvEUlN3c104HalfEE_EEvS4_RKT_EUlibE_EEviT1_,"axG",@progbits,_ZN2at6native32elementwise_kernel_manual_unrollILi128ELi4EZNS0_15gpu_kernel_implIZZZNS0_21polygamma_kernel_cudaERNS_18TensorIteratorBaseElENKUlvE_clEvENKUlvE1_clEvEUlN3c104HalfEE_EEvS4_RKT_EUlibE_EEviT1_,comdat
	.globl	_ZN2at6native32elementwise_kernel_manual_unrollILi128ELi4EZNS0_15gpu_kernel_implIZZZNS0_21polygamma_kernel_cudaERNS_18TensorIteratorBaseElENKUlvE_clEvENKUlvE1_clEvEUlN3c104HalfEE_EEvS4_RKT_EUlibE_EEviT1_ ; -- Begin function _ZN2at6native32elementwise_kernel_manual_unrollILi128ELi4EZNS0_15gpu_kernel_implIZZZNS0_21polygamma_kernel_cudaERNS_18TensorIteratorBaseElENKUlvE_clEvENKUlvE1_clEvEUlN3c104HalfEE_EEvS4_RKT_EUlibE_EEviT1_
	.p2align	8
	.type	_ZN2at6native32elementwise_kernel_manual_unrollILi128ELi4EZNS0_15gpu_kernel_implIZZZNS0_21polygamma_kernel_cudaERNS_18TensorIteratorBaseElENKUlvE_clEvENKUlvE1_clEvEUlN3c104HalfEE_EEvS4_RKT_EUlibE_EEviT1_,@function
_ZN2at6native32elementwise_kernel_manual_unrollILi128ELi4EZNS0_15gpu_kernel_implIZZZNS0_21polygamma_kernel_cudaERNS_18TensorIteratorBaseElENKUlvE_clEvENKUlvE1_clEvEUlN3c104HalfEE_EEvS4_RKT_EUlibE_EEviT1_: ; @_ZN2at6native32elementwise_kernel_manual_unrollILi128ELi4EZNS0_15gpu_kernel_implIZZZNS0_21polygamma_kernel_cudaERNS_18TensorIteratorBaseElENKUlvE_clEvENKUlvE1_clEvEUlN3c104HalfEE_EEvS4_RKT_EUlibE_EEviT1_
; %bb.0:
	s_clause 0x2
	s_load_dword s26, s[4:5], 0x0
	s_load_dword s21, s[4:5], 0x28
	s_load_dwordx8 s[36:43], s[4:5], 0x8
	v_lshl_or_b32 v19, s6, 9, v0
	s_add_u32 s0, s0, s7
	s_addc_u32 s1, s1, 0
	s_mov_b32 s23, 0
	s_mov_b32 s25, 0
	v_or_b32_e32 v23, 0x180, v19
	s_mov_b32 s32, 0
	s_mov_b32 s4, exec_lo
	s_waitcnt lgkmcnt(0)
	s_bfe_u32 s22, s21, 0x80008
	v_cmpx_le_i32_e64 s26, v23
	s_xor_b32 s24, exec_lo, s4
	s_cbranch_execz .LBB108_512
; %bb.1:
	s_mov_b32 s4, -1
	s_mov_b32 s28, 0
	s_mov_b32 s27, exec_lo
	v_cmpx_gt_i32_e64 s26, v19
	s_cbranch_execz .LBB108_124
; %bb.2:
	v_mov_b32_e32 v0, s42
	v_mov_b32_e32 v1, s43
	;; [unrolled: 1-line block ×7, first 2 shown]
	s_getpc_b64 s[4:5]
	s_add_u32 s4, s4, _ZN2at6native6invokeIZZZNS0_21polygamma_kernel_cudaERNS_18TensorIteratorBaseElENKUlvE_clEvENKUlvE1_clEvEUlN3c104HalfEE_i15function_traitsIS8_EEENT1_11result_typeERKT_PrKPcPKT0_PKNS6_10ScalarTypeEi@rel32@lo+4
	s_addc_u32 s5, s5, _ZN2at6native6invokeIZZZNS0_21polygamma_kernel_cudaERNS_18TensorIteratorBaseElENKUlvE_clEvENKUlvE1_clEvEUlN3c104HalfEE_i15function_traitsIS8_EEENT1_11result_typeERKT_PrKPcPKT0_PKNS6_10ScalarTypeEi@rel32@hi+12
	s_swappc_b64 s[30:31], s[4:5]
	v_mul_lo_u32 v1, v19, s40
	s_and_b32 s5, s21, 0xff
	s_cmp_lt_i32 s5, 11
	v_ashrrev_i32_e32 v2, 31, v1
	v_add_co_u32 v1, vcc_lo, s36, v1
	v_add_co_ci_u32_e64 v2, null, s37, v2, vcc_lo
	s_cbranch_scc1 .LBB108_9
; %bb.3:
	s_and_b32 s6, 0xffff, s5
	s_cmp_gt_i32 s6, 25
	s_cbranch_scc0 .LBB108_12
; %bb.4:
	s_cmp_gt_i32 s6, 28
	s_cbranch_scc0 .LBB108_13
; %bb.5:
	;; [unrolled: 3-line block ×4, first 2 shown]
	s_mov_b32 s8, 0
	s_mov_b32 s4, -1
	s_cmp_eq_u32 s6, 46
	s_mov_b32 s7, 0
	s_cbranch_scc0 .LBB108_16
; %bb.8:
	v_cvt_f32_f16_e32 v3, v0
	v_cmp_o_f16_e32 vcc_lo, v0, v0
	s_mov_b32 s7, -1
	s_mov_b32 s4, 0
	v_bfe_u32 v4, v3, 16, 1
	v_add3_u32 v3, v3, v4, 0x7fff
	v_mov_b32_e32 v4, 0x7fc0
	v_cndmask_b32_sdwa v3, v4, v3, vcc_lo dst_sel:DWORD dst_unused:UNUSED_PAD src0_sel:DWORD src1_sel:WORD_1
	global_store_dword v[1:2], v3, off
	s_branch .LBB108_16
.LBB108_9:
	s_mov_b32 s4, 0
	s_mov_b32 s7, 0
	s_cbranch_execnz .LBB108_84
.LBB108_10:
	s_andn2_b32 vcc_lo, exec_lo, s7
	s_cbranch_vccnz .LBB108_122
.LBB108_11:
	v_add_nc_u32_e32 v19, 0x80, v19
	s_mov_b32 s5, -1
	s_branch .LBB108_123
.LBB108_12:
	s_mov_b32 s4, 0
	s_mov_b32 s7, 0
	s_cbranch_execnz .LBB108_43
	s_branch .LBB108_83
.LBB108_13:
	s_mov_b32 s8, -1
	s_mov_b32 s4, 0
	s_mov_b32 s7, 0
	s_branch .LBB108_26
.LBB108_14:
	s_mov_b32 s8, -1
	s_mov_b32 s4, 0
	s_mov_b32 s7, 0
	s_branch .LBB108_22
.LBB108_15:
	s_mov_b32 s8, -1
	s_mov_b32 s4, 0
	s_mov_b32 s7, 0
.LBB108_16:
	s_and_b32 vcc_lo, exec_lo, s8
	s_cbranch_vccz .LBB108_21
; %bb.17:
	s_cmp_eq_u32 s6, 44
	s_mov_b32 s4, -1
	s_cbranch_scc0 .LBB108_21
; %bb.18:
	v_cvt_f32_f16_e32 v3, v0
	v_mov_b32_e32 v4, 0xff
	s_mov_b32 s7, exec_lo
	v_bfe_u32 v5, v3, 23, 8
	v_cmpx_ne_u32_e32 0xff, v5
	s_cbranch_execz .LBB108_20
; %bb.19:
	v_and_b32_e32 v4, 0x400000, v3
	v_and_or_b32 v5, 0x3fffff, v3, v5
	v_lshrrev_b32_e32 v3, 23, v3
	v_cmp_ne_u32_e32 vcc_lo, 0, v4
	v_cmp_ne_u32_e64 s4, 0, v5
	s_and_b32 s4, vcc_lo, s4
	v_cndmask_b32_e64 v4, 0, 1, s4
	v_add_nc_u32_e32 v4, v3, v4
.LBB108_20:
	s_or_b32 exec_lo, exec_lo, s7
	s_mov_b32 s7, -1
	s_mov_b32 s4, 0
	global_store_byte v[1:2], v4, off
.LBB108_21:
	s_mov_b32 s8, 0
.LBB108_22:
	s_and_b32 vcc_lo, exec_lo, s8
	s_cbranch_vccz .LBB108_25
; %bb.23:
	s_cmp_eq_u32 s6, 29
	s_mov_b32 s4, -1
	s_cbranch_scc0 .LBB108_25
; %bb.24:
	v_cvt_f32_f16_e32 v3, v0
	v_mov_b32_e32 v4, 0
	s_mov_b32 s7, -1
	s_mov_b32 s4, 0
	s_mov_b32 s8, 0
	v_cvt_u32_f32_e32 v3, v3
	global_store_dwordx2 v[1:2], v[3:4], off
	s_branch .LBB108_26
.LBB108_25:
	s_mov_b32 s8, 0
.LBB108_26:
	s_and_b32 vcc_lo, exec_lo, s8
	s_cbranch_vccz .LBB108_42
; %bb.27:
	s_cmp_lt_i32 s6, 27
	s_mov_b32 s7, -1
	s_cbranch_scc1 .LBB108_33
; %bb.28:
	s_cmp_gt_i32 s6, 27
	s_cbranch_scc0 .LBB108_30
; %bb.29:
	v_cvt_f32_f16_e32 v3, v0
	s_mov_b32 s7, 0
	v_cvt_u32_f32_e32 v3, v3
	global_store_dword v[1:2], v3, off
.LBB108_30:
	s_andn2_b32 vcc_lo, exec_lo, s7
	s_cbranch_vccnz .LBB108_32
; %bb.31:
	v_cvt_u16_f16_e32 v3, v0
	global_store_short v[1:2], v3, off
.LBB108_32:
	s_mov_b32 s7, 0
.LBB108_33:
	s_andn2_b32 vcc_lo, exec_lo, s7
	s_cbranch_vccnz .LBB108_41
; %bb.34:
	v_cvt_f32_f16_e32 v3, v0
	v_mov_b32_e32 v5, 0x80
	s_mov_b32 s7, exec_lo
	v_and_b32_e32 v4, 0x7fffffff, v3
	v_cmpx_gt_u32_e32 0x43800000, v4
	s_cbranch_execz .LBB108_40
; %bb.35:
	v_cmp_lt_u32_e32 vcc_lo, 0x3bffffff, v4
	s_mov_b32 s8, 0
                                        ; implicit-def: $vgpr4
	s_and_saveexec_b32 s9, vcc_lo
	s_xor_b32 s9, exec_lo, s9
	s_cbranch_execz .LBB108_141
; %bb.36:
	v_bfe_u32 v4, v3, 20, 1
	s_mov_b32 s8, exec_lo
	v_add3_u32 v4, v3, v4, 0x487ffff
	v_lshrrev_b32_e32 v4, 20, v4
	s_andn2_saveexec_b32 s9, s9
	s_cbranch_execnz .LBB108_142
.LBB108_37:
	s_or_b32 exec_lo, exec_lo, s9
	v_mov_b32_e32 v5, 0
	s_and_saveexec_b32 s9, s8
.LBB108_38:
	v_lshrrev_b32_e32 v3, 24, v3
	v_and_or_b32 v5, 0x80, v3, v4
.LBB108_39:
	s_or_b32 exec_lo, exec_lo, s9
.LBB108_40:
	s_or_b32 exec_lo, exec_lo, s7
	global_store_byte v[1:2], v5, off
.LBB108_41:
	s_mov_b32 s7, -1
.LBB108_42:
	s_branch .LBB108_83
.LBB108_43:
	s_cmp_gt_i32 s6, 22
	s_mov_b32 s8, -1
	s_cbranch_scc0 .LBB108_75
; %bb.44:
	s_cmp_lt_i32 s6, 24
	s_mov_b32 s7, -1
	s_cbranch_scc1 .LBB108_64
; %bb.45:
	s_cmp_gt_i32 s6, 24
	s_cbranch_scc0 .LBB108_53
; %bb.46:
	v_cvt_f32_f16_e32 v3, v0
	v_mov_b32_e32 v5, 0x80
	s_mov_b32 s7, exec_lo
	v_and_b32_e32 v4, 0x7fffffff, v3
	v_cmpx_gt_u32_e32 0x47800000, v4
	s_cbranch_execz .LBB108_52
; %bb.47:
	v_cmp_lt_u32_e32 vcc_lo, 0x37ffffff, v4
	s_mov_b32 s8, 0
                                        ; implicit-def: $vgpr4
	s_and_saveexec_b32 s9, vcc_lo
	s_xor_b32 s9, exec_lo, s9
	s_cbranch_execz .LBB108_144
; %bb.48:
	v_bfe_u32 v4, v3, 21, 1
	s_mov_b32 s8, exec_lo
	v_add3_u32 v4, v3, v4, 0x88fffff
	v_lshrrev_b32_e32 v4, 21, v4
	s_andn2_saveexec_b32 s9, s9
	s_cbranch_execnz .LBB108_145
.LBB108_49:
	s_or_b32 exec_lo, exec_lo, s9
	v_mov_b32_e32 v5, 0
	s_and_saveexec_b32 s9, s8
.LBB108_50:
	v_lshrrev_b32_e32 v3, 24, v3
	v_and_or_b32 v5, 0x80, v3, v4
.LBB108_51:
	s_or_b32 exec_lo, exec_lo, s9
.LBB108_52:
	s_or_b32 exec_lo, exec_lo, s7
	s_mov_b32 s7, 0
	global_store_byte v[1:2], v5, off
.LBB108_53:
	s_and_b32 vcc_lo, exec_lo, s7
	s_cbranch_vccz .LBB108_63
; %bb.54:
	v_cvt_f32_f16_e32 v3, v0
	s_mov_b32 s7, exec_lo
                                        ; implicit-def: $vgpr4
	v_and_b32_e32 v5, 0x7fffffff, v3
	v_cmpx_gt_u32_e32 0x43f00000, v5
	s_xor_b32 s7, exec_lo, s7
	s_cbranch_execz .LBB108_60
; %bb.55:
	s_mov_b32 s8, exec_lo
                                        ; implicit-def: $vgpr4
	v_cmpx_lt_u32_e32 0x3c7fffff, v5
	s_xor_b32 s8, exec_lo, s8
; %bb.56:
	v_bfe_u32 v4, v3, 20, 1
	v_add3_u32 v4, v3, v4, 0x407ffff
	v_and_b32_e32 v5, 0xff00000, v4
	v_lshrrev_b32_e32 v4, 20, v4
	v_cmp_ne_u32_e32 vcc_lo, 0x7f00000, v5
	v_cndmask_b32_e32 v4, 0x7e, v4, vcc_lo
; %bb.57:
	s_andn2_saveexec_b32 s8, s8
; %bb.58:
	v_add_f32_e64 v4, 0x46800000, |v3|
; %bb.59:
	s_or_b32 exec_lo, exec_lo, s8
                                        ; implicit-def: $vgpr5
.LBB108_60:
	s_andn2_saveexec_b32 s7, s7
; %bb.61:
	v_mov_b32_e32 v4, 0x7f
	v_cmp_lt_u32_e32 vcc_lo, 0x7f800000, v5
	v_cndmask_b32_e32 v4, 0x7e, v4, vcc_lo
; %bb.62:
	s_or_b32 exec_lo, exec_lo, s7
	v_lshrrev_b32_e32 v3, 24, v3
	v_and_or_b32 v3, 0x80, v3, v4
	global_store_byte v[1:2], v3, off
.LBB108_63:
	s_mov_b32 s7, 0
.LBB108_64:
	s_andn2_b32 vcc_lo, exec_lo, s7
	s_cbranch_vccnz .LBB108_74
; %bb.65:
	v_cvt_f32_f16_e32 v3, v0
	s_mov_b32 s7, exec_lo
                                        ; implicit-def: $vgpr4
	v_and_b32_e32 v5, 0x7fffffff, v3
	v_cmpx_gt_u32_e32 0x47800000, v5
	s_xor_b32 s7, exec_lo, s7
	s_cbranch_execz .LBB108_71
; %bb.66:
	s_mov_b32 s8, exec_lo
                                        ; implicit-def: $vgpr4
	v_cmpx_lt_u32_e32 0x387fffff, v5
	s_xor_b32 s8, exec_lo, s8
; %bb.67:
	v_bfe_u32 v4, v3, 21, 1
	v_add3_u32 v4, v3, v4, 0x80fffff
	v_lshrrev_b32_e32 v4, 21, v4
; %bb.68:
	s_andn2_saveexec_b32 s8, s8
; %bb.69:
	v_add_f32_e64 v4, 0x43000000, |v3|
; %bb.70:
	s_or_b32 exec_lo, exec_lo, s8
                                        ; implicit-def: $vgpr5
.LBB108_71:
	s_andn2_saveexec_b32 s7, s7
; %bb.72:
	v_mov_b32_e32 v4, 0x7f
	v_cmp_lt_u32_e32 vcc_lo, 0x7f800000, v5
	v_cndmask_b32_e32 v4, 0x7c, v4, vcc_lo
; %bb.73:
	s_or_b32 exec_lo, exec_lo, s7
	v_lshrrev_b32_e32 v3, 24, v3
	v_and_or_b32 v3, 0x80, v3, v4
	global_store_byte v[1:2], v3, off
.LBB108_74:
	s_mov_b32 s8, 0
	s_mov_b32 s7, -1
.LBB108_75:
	s_andn2_b32 vcc_lo, exec_lo, s8
	s_cbranch_vccnz .LBB108_83
; %bb.76:
	s_cmp_gt_i32 s6, 14
	s_mov_b32 s8, -1
	s_cbranch_scc0 .LBB108_80
; %bb.77:
	s_cmp_eq_u32 s6, 15
	s_mov_b32 s4, -1
	s_cbranch_scc0 .LBB108_79
; %bb.78:
	v_cvt_f32_f16_e32 v3, v0
	v_cmp_o_f16_e32 vcc_lo, v0, v0
	s_mov_b32 s7, -1
	s_mov_b32 s4, 0
	v_bfe_u32 v4, v3, 16, 1
	v_add3_u32 v3, v3, v4, 0x7fff
	v_mov_b32_e32 v4, 0x7fc0
	v_cndmask_b32_sdwa v3, v4, v3, vcc_lo dst_sel:DWORD dst_unused:UNUSED_PAD src0_sel:DWORD src1_sel:WORD_1
	global_store_short v[1:2], v3, off
.LBB108_79:
	s_mov_b32 s8, 0
.LBB108_80:
	s_and_b32 vcc_lo, exec_lo, s8
	s_cbranch_vccz .LBB108_83
; %bb.81:
	s_cmp_eq_u32 s6, 11
	s_mov_b32 s4, -1
	s_cbranch_scc0 .LBB108_83
; %bb.82:
	v_and_b32_e32 v3, 0x7fff, v0
	s_mov_b32 s4, 0
	s_mov_b32 s7, -1
	v_cmp_ne_u16_e32 vcc_lo, 0, v3
	v_cndmask_b32_e64 v3, 0, 1, vcc_lo
	global_store_byte v[1:2], v3, off
.LBB108_83:
	s_branch .LBB108_10
.LBB108_84:
	s_and_b32 s5, 0xffff, s5
	s_mov_b32 s6, -1
	s_cmp_lt_i32 s5, 5
	s_cbranch_scc1 .LBB108_105
; %bb.85:
	s_cmp_lt_i32 s5, 8
	s_cbranch_scc1 .LBB108_95
; %bb.86:
	;; [unrolled: 3-line block ×3, first 2 shown]
	s_cmp_gt_i32 s5, 9
	s_cbranch_scc0 .LBB108_89
; %bb.88:
	v_cvt_f32_f16_e32 v3, v0
	v_mov_b32_e32 v5, 0
	s_mov_b32 s6, 0
	v_cvt_f64_f32_e32 v[3:4], v3
	v_mov_b32_e32 v6, v5
	global_store_dwordx4 v[1:2], v[3:6], off
.LBB108_89:
	s_andn2_b32 vcc_lo, exec_lo, s6
	s_cbranch_vccnz .LBB108_91
; %bb.90:
	v_cvt_f32_f16_e32 v3, v0
	v_mov_b32_e32 v4, 0
	global_store_dwordx2 v[1:2], v[3:4], off
.LBB108_91:
	s_mov_b32 s6, 0
.LBB108_92:
	s_andn2_b32 vcc_lo, exec_lo, s6
	s_cbranch_vccnz .LBB108_94
; %bb.93:
	v_and_b32_e32 v3, 0xffff, v0
	global_store_dword v[1:2], v3, off
.LBB108_94:
	s_mov_b32 s6, 0
.LBB108_95:
	s_andn2_b32 vcc_lo, exec_lo, s6
	s_cbranch_vccnz .LBB108_104
; %bb.96:
	s_cmp_lt_i32 s5, 6
	s_mov_b32 s6, -1
	s_cbranch_scc1 .LBB108_102
; %bb.97:
	s_cmp_gt_i32 s5, 6
	s_cbranch_scc0 .LBB108_99
; %bb.98:
	v_cvt_f32_f16_e32 v3, v0
	s_mov_b32 s6, 0
	v_cvt_f64_f32_e32 v[3:4], v3
	global_store_dwordx2 v[1:2], v[3:4], off
.LBB108_99:
	s_andn2_b32 vcc_lo, exec_lo, s6
	s_cbranch_vccnz .LBB108_101
; %bb.100:
	v_cvt_f32_f16_e32 v3, v0
	global_store_dword v[1:2], v3, off
.LBB108_101:
	s_mov_b32 s6, 0
.LBB108_102:
	s_andn2_b32 vcc_lo, exec_lo, s6
	s_cbranch_vccnz .LBB108_104
; %bb.103:
	global_store_short v[1:2], v0, off
.LBB108_104:
	s_mov_b32 s6, 0
.LBB108_105:
	s_andn2_b32 vcc_lo, exec_lo, s6
	s_cbranch_vccnz .LBB108_121
; %bb.106:
	s_cmp_lt_i32 s5, 2
	s_mov_b32 s6, -1
	s_cbranch_scc1 .LBB108_116
; %bb.107:
	s_cmp_lt_i32 s5, 3
	s_cbranch_scc1 .LBB108_113
; %bb.108:
	s_cmp_gt_i32 s5, 3
	s_cbranch_scc0 .LBB108_110
; %bb.109:
	v_cvt_f32_f16_e32 v3, v0
	s_mov_b32 s6, 0
	v_cvt_i32_f32_e32 v3, v3
	v_ashrrev_i32_e32 v4, 31, v3
	global_store_dwordx2 v[1:2], v[3:4], off
.LBB108_110:
	s_andn2_b32 vcc_lo, exec_lo, s6
	s_cbranch_vccnz .LBB108_112
; %bb.111:
	v_cvt_f32_f16_e32 v3, v0
	v_cvt_i32_f32_e32 v3, v3
	global_store_dword v[1:2], v3, off
.LBB108_112:
	s_mov_b32 s6, 0
.LBB108_113:
	s_andn2_b32 vcc_lo, exec_lo, s6
	s_cbranch_vccnz .LBB108_115
; %bb.114:
	v_cvt_i16_f16_e32 v3, v0
	global_store_short v[1:2], v3, off
.LBB108_115:
	s_mov_b32 s6, 0
.LBB108_116:
	s_andn2_b32 vcc_lo, exec_lo, s6
	s_cbranch_vccnz .LBB108_121
; %bb.117:
	s_cmp_gt_i32 s5, 0
	s_mov_b32 s5, -1
	s_cbranch_scc0 .LBB108_119
; %bb.118:
	v_cvt_i16_f16_e32 v3, v0
	s_mov_b32 s5, 0
	global_store_byte v[1:2], v3, off
.LBB108_119:
	s_andn2_b32 vcc_lo, exec_lo, s5
	s_cbranch_vccnz .LBB108_121
; %bb.120:
	v_cvt_f32_f16_e32 v0, v0
	v_cvt_i32_f32_e32 v0, v0
	global_store_byte v[1:2], v0, off
.LBB108_121:
	s_branch .LBB108_11
.LBB108_122:
	s_mov_b32 s5, 0
                                        ; implicit-def: $vgpr19
.LBB108_123:
	s_and_b32 s25, s4, exec_lo
	s_orn2_b32 s4, s5, exec_lo
.LBB108_124:
	s_or_b32 exec_lo, exec_lo, s27
	s_mov_b32 s6, 0
                                        ; implicit-def: $sgpr5
                                        ; implicit-def: $vgpr1_vgpr2
                                        ; implicit-def: $vgpr0
	s_and_saveexec_b32 s27, s4
	s_cbranch_execz .LBB108_133
; %bb.125:
	s_mov_b32 s7, -1
	s_mov_b32 s28, s25
	s_mov_b32 s29, exec_lo
	v_cmpx_gt_i32_e64 s26, v19
	s_cbranch_execz .LBB108_256
; %bb.126:
	v_mov_b32_e32 v0, s42
	v_mov_b32_e32 v1, s43
	v_mov_b32_e32 v2, s38
	v_mov_b32_e32 v3, s39
	v_mov_b32_e32 v4, s41
	v_mov_b32_e32 v5, s22
	v_mov_b32_e32 v6, v19
	s_getpc_b64 s[4:5]
	s_add_u32 s4, s4, _ZN2at6native6invokeIZZZNS0_21polygamma_kernel_cudaERNS_18TensorIteratorBaseElENKUlvE_clEvENKUlvE1_clEvEUlN3c104HalfEE_i15function_traitsIS8_EEENT1_11result_typeERKT_PrKPcPKT0_PKNS6_10ScalarTypeEi@rel32@lo+4
	s_addc_u32 s5, s5, _ZN2at6native6invokeIZZZNS0_21polygamma_kernel_cudaERNS_18TensorIteratorBaseElENKUlvE_clEvENKUlvE1_clEvEUlN3c104HalfEE_i15function_traitsIS8_EEENT1_11result_typeERKT_PrKPcPKT0_PKNS6_10ScalarTypeEi@rel32@hi+12
	s_swappc_b64 s[30:31], s[4:5]
	v_mul_lo_u32 v1, v19, s40
	s_and_b32 s5, s21, 0xff
	s_cmp_lt_i32 s5, 11
	v_ashrrev_i32_e32 v2, 31, v1
	v_add_co_u32 v1, vcc_lo, s36, v1
	v_add_co_ci_u32_e64 v2, null, s37, v2, vcc_lo
	s_cbranch_scc1 .LBB108_136
; %bb.127:
	s_and_b32 s6, 0xffff, s5
	s_cmp_gt_i32 s6, 25
	s_cbranch_scc0 .LBB108_139
; %bb.128:
	s_cmp_gt_i32 s6, 28
	s_cbranch_scc0 .LBB108_140
; %bb.129:
	;; [unrolled: 3-line block ×4, first 2 shown]
	s_mov_b32 s8, 0
	s_mov_b32 s4, -1
	s_cmp_eq_u32 s6, 46
	s_mov_b32 s7, 0
	s_cbranch_scc0 .LBB108_147
; %bb.132:
	v_cvt_f32_f16_e32 v3, v0
	v_cmp_o_f16_e32 vcc_lo, v0, v0
	s_mov_b32 s7, -1
	s_mov_b32 s4, 0
	v_bfe_u32 v4, v3, 16, 1
	v_add3_u32 v3, v3, v4, 0x7fff
	v_mov_b32_e32 v4, 0x7fc0
	v_cndmask_b32_sdwa v3, v4, v3, vcc_lo dst_sel:DWORD dst_unused:UNUSED_PAD src0_sel:DWORD src1_sel:WORD_1
	global_store_dword v[1:2], v3, off
	s_branch .LBB108_147
.LBB108_133:
	s_or_b32 exec_lo, exec_lo, s27
	s_mov_b32 s4, 0
	s_and_saveexec_b32 s7, s25
	s_cbranch_execnz .LBB108_472
.LBB108_134:
	s_or_b32 exec_lo, exec_lo, s7
	s_and_saveexec_b32 s7, s28
	s_xor_b32 s7, exec_lo, s7
	s_cbranch_execz .LBB108_473
.LBB108_135:
	v_and_b32_e32 v3, 0x7fff, v0
	v_cmp_ne_u16_e32 vcc_lo, 0, v3
	v_cndmask_b32_e64 v3, 0, 1, vcc_lo
	global_store_byte v[1:2], v3, off
	s_or_b32 exec_lo, exec_lo, s7
	s_and_saveexec_b32 s7, s6
	s_xor_b32 s6, exec_lo, s7
	s_cbranch_execz .LBB108_511
	s_branch .LBB108_474
.LBB108_136:
	s_mov_b32 s7, 0
	s_mov_b32 s4, s25
	s_cbranch_execnz .LBB108_216
.LBB108_137:
	s_andn2_b32 vcc_lo, exec_lo, s7
	s_cbranch_vccnz .LBB108_254
.LBB108_138:
	v_add_nc_u32_e32 v19, 0x80, v19
	s_mov_b32 s5, -1
	s_branch .LBB108_255
.LBB108_139:
	s_mov_b32 s8, -1
	s_mov_b32 s7, 0
	s_mov_b32 s4, s25
	s_branch .LBB108_174
.LBB108_140:
	s_mov_b32 s8, -1
	s_mov_b32 s7, 0
	s_mov_b32 s4, s25
	s_branch .LBB108_157
.LBB108_141:
	s_andn2_saveexec_b32 s9, s9
	s_cbranch_execz .LBB108_37
.LBB108_142:
	v_add_f32_e64 v4, 0x46000000, |v3|
	s_andn2_b32 s8, s8, exec_lo
	v_and_b32_e32 v4, 0xff, v4
	v_cmp_ne_u32_e32 vcc_lo, 0, v4
	s_and_b32 s10, vcc_lo, exec_lo
	s_or_b32 s8, s8, s10
	s_or_b32 exec_lo, exec_lo, s9
	v_mov_b32_e32 v5, 0
	s_and_saveexec_b32 s9, s8
	s_cbranch_execnz .LBB108_38
	s_branch .LBB108_39
.LBB108_143:
	s_mov_b32 s8, -1
	s_mov_b32 s7, 0
	s_mov_b32 s4, s25
	s_branch .LBB108_153
.LBB108_144:
	s_andn2_saveexec_b32 s9, s9
	s_cbranch_execz .LBB108_49
.LBB108_145:
	v_add_f32_e64 v4, 0x42800000, |v3|
	s_andn2_b32 s8, s8, exec_lo
	v_and_b32_e32 v4, 0xff, v4
	v_cmp_ne_u32_e32 vcc_lo, 0, v4
	s_and_b32 s10, vcc_lo, exec_lo
	s_or_b32 s8, s8, s10
	s_or_b32 exec_lo, exec_lo, s9
	v_mov_b32_e32 v5, 0
	s_and_saveexec_b32 s9, s8
	s_cbranch_execnz .LBB108_50
	s_branch .LBB108_51
.LBB108_146:
	s_mov_b32 s8, -1
	s_mov_b32 s7, 0
	s_mov_b32 s4, s25
.LBB108_147:
	s_and_b32 vcc_lo, exec_lo, s8
	s_cbranch_vccz .LBB108_152
; %bb.148:
	s_cmp_eq_u32 s6, 44
	s_mov_b32 s4, -1
	s_cbranch_scc0 .LBB108_152
; %bb.149:
	v_cvt_f32_f16_e32 v3, v0
	v_mov_b32_e32 v4, 0xff
	s_mov_b32 s7, exec_lo
	v_bfe_u32 v5, v3, 23, 8
	v_cmpx_ne_u32_e32 0xff, v5
	s_cbranch_execz .LBB108_151
; %bb.150:
	v_and_b32_e32 v4, 0x400000, v3
	v_and_or_b32 v5, 0x3fffff, v3, v5
	v_lshrrev_b32_e32 v3, 23, v3
	v_cmp_ne_u32_e32 vcc_lo, 0, v4
	v_cmp_ne_u32_e64 s4, 0, v5
	s_and_b32 s4, vcc_lo, s4
	v_cndmask_b32_e64 v4, 0, 1, s4
	v_add_nc_u32_e32 v4, v3, v4
.LBB108_151:
	s_or_b32 exec_lo, exec_lo, s7
	s_mov_b32 s7, -1
	s_mov_b32 s4, 0
	global_store_byte v[1:2], v4, off
.LBB108_152:
	s_mov_b32 s8, 0
.LBB108_153:
	s_and_b32 vcc_lo, exec_lo, s8
	s_cbranch_vccz .LBB108_156
; %bb.154:
	s_cmp_eq_u32 s6, 29
	s_mov_b32 s4, -1
	s_cbranch_scc0 .LBB108_156
; %bb.155:
	v_cvt_f32_f16_e32 v3, v0
	v_mov_b32_e32 v4, 0
	s_mov_b32 s7, -1
	s_mov_b32 s4, 0
	s_mov_b32 s8, 0
	v_cvt_u32_f32_e32 v3, v3
	global_store_dwordx2 v[1:2], v[3:4], off
	s_branch .LBB108_157
.LBB108_156:
	s_mov_b32 s8, 0
.LBB108_157:
	s_and_b32 vcc_lo, exec_lo, s8
	s_cbranch_vccz .LBB108_173
; %bb.158:
	s_cmp_lt_i32 s6, 27
	s_mov_b32 s7, -1
	s_cbranch_scc1 .LBB108_164
; %bb.159:
	s_cmp_gt_i32 s6, 27
	s_cbranch_scc0 .LBB108_161
; %bb.160:
	v_cvt_f32_f16_e32 v3, v0
	s_mov_b32 s7, 0
	v_cvt_u32_f32_e32 v3, v3
	global_store_dword v[1:2], v3, off
.LBB108_161:
	s_andn2_b32 vcc_lo, exec_lo, s7
	s_cbranch_vccnz .LBB108_163
; %bb.162:
	v_cvt_u16_f16_e32 v3, v0
	global_store_short v[1:2], v3, off
.LBB108_163:
	s_mov_b32 s7, 0
.LBB108_164:
	s_andn2_b32 vcc_lo, exec_lo, s7
	s_cbranch_vccnz .LBB108_172
; %bb.165:
	v_cvt_f32_f16_e32 v3, v0
	v_mov_b32_e32 v5, 0x80
	s_mov_b32 s7, exec_lo
	v_and_b32_e32 v4, 0x7fffffff, v3
	v_cmpx_gt_u32_e32 0x43800000, v4
	s_cbranch_execz .LBB108_171
; %bb.166:
	v_cmp_lt_u32_e32 vcc_lo, 0x3bffffff, v4
	s_mov_b32 s8, 0
                                        ; implicit-def: $vgpr4
	s_and_saveexec_b32 s9, vcc_lo
	s_xor_b32 s9, exec_lo, s9
	s_cbranch_execz .LBB108_268
; %bb.167:
	v_bfe_u32 v4, v3, 20, 1
	s_mov_b32 s8, exec_lo
	v_add3_u32 v4, v3, v4, 0x487ffff
	v_lshrrev_b32_e32 v4, 20, v4
	s_andn2_saveexec_b32 s9, s9
	s_cbranch_execnz .LBB108_269
.LBB108_168:
	s_or_b32 exec_lo, exec_lo, s9
	v_mov_b32_e32 v5, 0
	s_and_saveexec_b32 s9, s8
.LBB108_169:
	v_lshrrev_b32_e32 v3, 24, v3
	v_and_or_b32 v5, 0x80, v3, v4
.LBB108_170:
	s_or_b32 exec_lo, exec_lo, s9
.LBB108_171:
	s_or_b32 exec_lo, exec_lo, s7
	global_store_byte v[1:2], v5, off
.LBB108_172:
	s_mov_b32 s7, -1
.LBB108_173:
	s_mov_b32 s8, 0
.LBB108_174:
	s_and_b32 vcc_lo, exec_lo, s8
	s_cbranch_vccz .LBB108_215
; %bb.175:
	s_cmp_gt_i32 s6, 22
	s_mov_b32 s8, -1
	s_cbranch_scc0 .LBB108_207
; %bb.176:
	s_cmp_lt_i32 s6, 24
	s_mov_b32 s7, -1
	s_cbranch_scc1 .LBB108_196
; %bb.177:
	s_cmp_gt_i32 s6, 24
	s_cbranch_scc0 .LBB108_185
; %bb.178:
	v_cvt_f32_f16_e32 v3, v0
	v_mov_b32_e32 v5, 0x80
	s_mov_b32 s7, exec_lo
	v_and_b32_e32 v4, 0x7fffffff, v3
	v_cmpx_gt_u32_e32 0x47800000, v4
	s_cbranch_execz .LBB108_184
; %bb.179:
	v_cmp_lt_u32_e32 vcc_lo, 0x37ffffff, v4
	s_mov_b32 s8, 0
                                        ; implicit-def: $vgpr4
	s_and_saveexec_b32 s9, vcc_lo
	s_xor_b32 s9, exec_lo, s9
	s_cbranch_execz .LBB108_271
; %bb.180:
	v_bfe_u32 v4, v3, 21, 1
	s_mov_b32 s8, exec_lo
	v_add3_u32 v4, v3, v4, 0x88fffff
	v_lshrrev_b32_e32 v4, 21, v4
	s_andn2_saveexec_b32 s9, s9
	s_cbranch_execnz .LBB108_272
.LBB108_181:
	s_or_b32 exec_lo, exec_lo, s9
	v_mov_b32_e32 v5, 0
	s_and_saveexec_b32 s9, s8
.LBB108_182:
	v_lshrrev_b32_e32 v3, 24, v3
	v_and_or_b32 v5, 0x80, v3, v4
.LBB108_183:
	s_or_b32 exec_lo, exec_lo, s9
.LBB108_184:
	s_or_b32 exec_lo, exec_lo, s7
	s_mov_b32 s7, 0
	global_store_byte v[1:2], v5, off
.LBB108_185:
	s_and_b32 vcc_lo, exec_lo, s7
	s_cbranch_vccz .LBB108_195
; %bb.186:
	v_cvt_f32_f16_e32 v3, v0
	s_mov_b32 s7, exec_lo
                                        ; implicit-def: $vgpr4
	v_and_b32_e32 v5, 0x7fffffff, v3
	v_cmpx_gt_u32_e32 0x43f00000, v5
	s_xor_b32 s7, exec_lo, s7
	s_cbranch_execz .LBB108_192
; %bb.187:
	s_mov_b32 s8, exec_lo
                                        ; implicit-def: $vgpr4
	v_cmpx_lt_u32_e32 0x3c7fffff, v5
	s_xor_b32 s8, exec_lo, s8
; %bb.188:
	v_bfe_u32 v4, v3, 20, 1
	v_add3_u32 v4, v3, v4, 0x407ffff
	v_and_b32_e32 v5, 0xff00000, v4
	v_lshrrev_b32_e32 v4, 20, v4
	v_cmp_ne_u32_e32 vcc_lo, 0x7f00000, v5
	v_cndmask_b32_e32 v4, 0x7e, v4, vcc_lo
; %bb.189:
	s_andn2_saveexec_b32 s8, s8
; %bb.190:
	v_add_f32_e64 v4, 0x46800000, |v3|
; %bb.191:
	s_or_b32 exec_lo, exec_lo, s8
                                        ; implicit-def: $vgpr5
.LBB108_192:
	s_andn2_saveexec_b32 s7, s7
; %bb.193:
	v_mov_b32_e32 v4, 0x7f
	v_cmp_lt_u32_e32 vcc_lo, 0x7f800000, v5
	v_cndmask_b32_e32 v4, 0x7e, v4, vcc_lo
; %bb.194:
	s_or_b32 exec_lo, exec_lo, s7
	v_lshrrev_b32_e32 v3, 24, v3
	v_and_or_b32 v3, 0x80, v3, v4
	global_store_byte v[1:2], v3, off
.LBB108_195:
	s_mov_b32 s7, 0
.LBB108_196:
	s_andn2_b32 vcc_lo, exec_lo, s7
	s_cbranch_vccnz .LBB108_206
; %bb.197:
	v_cvt_f32_f16_e32 v3, v0
	s_mov_b32 s7, exec_lo
                                        ; implicit-def: $vgpr4
	v_and_b32_e32 v5, 0x7fffffff, v3
	v_cmpx_gt_u32_e32 0x47800000, v5
	s_xor_b32 s7, exec_lo, s7
	s_cbranch_execz .LBB108_203
; %bb.198:
	s_mov_b32 s8, exec_lo
                                        ; implicit-def: $vgpr4
	v_cmpx_lt_u32_e32 0x387fffff, v5
	s_xor_b32 s8, exec_lo, s8
; %bb.199:
	v_bfe_u32 v4, v3, 21, 1
	v_add3_u32 v4, v3, v4, 0x80fffff
	v_lshrrev_b32_e32 v4, 21, v4
; %bb.200:
	s_andn2_saveexec_b32 s8, s8
; %bb.201:
	v_add_f32_e64 v4, 0x43000000, |v3|
; %bb.202:
	s_or_b32 exec_lo, exec_lo, s8
                                        ; implicit-def: $vgpr5
.LBB108_203:
	s_andn2_saveexec_b32 s7, s7
; %bb.204:
	v_mov_b32_e32 v4, 0x7f
	v_cmp_lt_u32_e32 vcc_lo, 0x7f800000, v5
	v_cndmask_b32_e32 v4, 0x7c, v4, vcc_lo
; %bb.205:
	s_or_b32 exec_lo, exec_lo, s7
	v_lshrrev_b32_e32 v3, 24, v3
	v_and_or_b32 v3, 0x80, v3, v4
	global_store_byte v[1:2], v3, off
.LBB108_206:
	s_mov_b32 s8, 0
	s_mov_b32 s7, -1
.LBB108_207:
	s_andn2_b32 vcc_lo, exec_lo, s8
	s_cbranch_vccnz .LBB108_215
; %bb.208:
	s_cmp_gt_i32 s6, 14
	s_mov_b32 s8, -1
	s_cbranch_scc0 .LBB108_212
; %bb.209:
	s_cmp_eq_u32 s6, 15
	s_mov_b32 s4, -1
	s_cbranch_scc0 .LBB108_211
; %bb.210:
	v_cvt_f32_f16_e32 v3, v0
	v_cmp_o_f16_e32 vcc_lo, v0, v0
	s_mov_b32 s7, -1
	s_mov_b32 s4, 0
	v_bfe_u32 v4, v3, 16, 1
	v_add3_u32 v3, v3, v4, 0x7fff
	v_mov_b32_e32 v4, 0x7fc0
	v_cndmask_b32_sdwa v3, v4, v3, vcc_lo dst_sel:DWORD dst_unused:UNUSED_PAD src0_sel:DWORD src1_sel:WORD_1
	global_store_short v[1:2], v3, off
.LBB108_211:
	s_mov_b32 s8, 0
.LBB108_212:
	s_and_b32 vcc_lo, exec_lo, s8
	s_cbranch_vccz .LBB108_215
; %bb.213:
	s_cmp_eq_u32 s6, 11
	s_mov_b32 s4, -1
	s_cbranch_scc0 .LBB108_215
; %bb.214:
	v_and_b32_e32 v3, 0x7fff, v0
	s_mov_b32 s4, 0
	s_mov_b32 s7, -1
	v_cmp_ne_u16_e32 vcc_lo, 0, v3
	v_cndmask_b32_e64 v3, 0, 1, vcc_lo
	global_store_byte v[1:2], v3, off
.LBB108_215:
	s_branch .LBB108_137
.LBB108_216:
	s_and_b32 s5, 0xffff, s5
	s_mov_b32 s6, -1
	s_cmp_lt_i32 s5, 5
	s_cbranch_scc1 .LBB108_237
; %bb.217:
	s_cmp_lt_i32 s5, 8
	s_cbranch_scc1 .LBB108_227
; %bb.218:
	;; [unrolled: 3-line block ×3, first 2 shown]
	s_cmp_gt_i32 s5, 9
	s_cbranch_scc0 .LBB108_221
; %bb.220:
	v_cvt_f32_f16_e32 v3, v0
	v_mov_b32_e32 v5, 0
	s_mov_b32 s6, 0
	v_cvt_f64_f32_e32 v[3:4], v3
	v_mov_b32_e32 v6, v5
	global_store_dwordx4 v[1:2], v[3:6], off
.LBB108_221:
	s_andn2_b32 vcc_lo, exec_lo, s6
	s_cbranch_vccnz .LBB108_223
; %bb.222:
	v_cvt_f32_f16_e32 v3, v0
	v_mov_b32_e32 v4, 0
	global_store_dwordx2 v[1:2], v[3:4], off
.LBB108_223:
	s_mov_b32 s6, 0
.LBB108_224:
	s_andn2_b32 vcc_lo, exec_lo, s6
	s_cbranch_vccnz .LBB108_226
; %bb.225:
	v_and_b32_e32 v3, 0xffff, v0
	global_store_dword v[1:2], v3, off
.LBB108_226:
	s_mov_b32 s6, 0
.LBB108_227:
	s_andn2_b32 vcc_lo, exec_lo, s6
	s_cbranch_vccnz .LBB108_236
; %bb.228:
	s_cmp_lt_i32 s5, 6
	s_mov_b32 s6, -1
	s_cbranch_scc1 .LBB108_234
; %bb.229:
	s_cmp_gt_i32 s5, 6
	s_cbranch_scc0 .LBB108_231
; %bb.230:
	v_cvt_f32_f16_e32 v3, v0
	s_mov_b32 s6, 0
	v_cvt_f64_f32_e32 v[3:4], v3
	global_store_dwordx2 v[1:2], v[3:4], off
.LBB108_231:
	s_andn2_b32 vcc_lo, exec_lo, s6
	s_cbranch_vccnz .LBB108_233
; %bb.232:
	v_cvt_f32_f16_e32 v3, v0
	global_store_dword v[1:2], v3, off
.LBB108_233:
	s_mov_b32 s6, 0
.LBB108_234:
	s_andn2_b32 vcc_lo, exec_lo, s6
	s_cbranch_vccnz .LBB108_236
; %bb.235:
	global_store_short v[1:2], v0, off
.LBB108_236:
	s_mov_b32 s6, 0
.LBB108_237:
	s_andn2_b32 vcc_lo, exec_lo, s6
	s_cbranch_vccnz .LBB108_253
; %bb.238:
	s_cmp_lt_i32 s5, 2
	s_mov_b32 s6, -1
	s_cbranch_scc1 .LBB108_248
; %bb.239:
	s_cmp_lt_i32 s5, 3
	s_cbranch_scc1 .LBB108_245
; %bb.240:
	s_cmp_gt_i32 s5, 3
	s_cbranch_scc0 .LBB108_242
; %bb.241:
	v_cvt_f32_f16_e32 v3, v0
	s_mov_b32 s6, 0
	v_cvt_i32_f32_e32 v3, v3
	v_ashrrev_i32_e32 v4, 31, v3
	global_store_dwordx2 v[1:2], v[3:4], off
.LBB108_242:
	s_andn2_b32 vcc_lo, exec_lo, s6
	s_cbranch_vccnz .LBB108_244
; %bb.243:
	v_cvt_f32_f16_e32 v3, v0
	v_cvt_i32_f32_e32 v3, v3
	global_store_dword v[1:2], v3, off
.LBB108_244:
	s_mov_b32 s6, 0
.LBB108_245:
	s_andn2_b32 vcc_lo, exec_lo, s6
	s_cbranch_vccnz .LBB108_247
; %bb.246:
	v_cvt_i16_f16_e32 v3, v0
	global_store_short v[1:2], v3, off
.LBB108_247:
	s_mov_b32 s6, 0
.LBB108_248:
	s_andn2_b32 vcc_lo, exec_lo, s6
	s_cbranch_vccnz .LBB108_253
; %bb.249:
	s_cmp_gt_i32 s5, 0
	s_mov_b32 s5, -1
	s_cbranch_scc0 .LBB108_251
; %bb.250:
	v_cvt_i16_f16_e32 v3, v0
	s_mov_b32 s5, 0
	global_store_byte v[1:2], v3, off
.LBB108_251:
	s_andn2_b32 vcc_lo, exec_lo, s5
	s_cbranch_vccnz .LBB108_253
; %bb.252:
	v_cvt_f32_f16_e32 v0, v0
	v_cvt_i32_f32_e32 v0, v0
	global_store_byte v[1:2], v0, off
.LBB108_253:
	s_branch .LBB108_138
.LBB108_254:
	s_mov_b32 s5, 0
                                        ; implicit-def: $vgpr19
.LBB108_255:
	s_andn2_b32 s6, s25, exec_lo
	s_and_b32 s4, s4, exec_lo
	s_orn2_b32 s7, s5, exec_lo
	s_or_b32 s28, s6, s4
.LBB108_256:
	s_or_b32 exec_lo, exec_lo, s29
	s_mov_b32 s4, 0
	s_mov_b32 s6, 0
                                        ; implicit-def: $sgpr5
                                        ; implicit-def: $vgpr1_vgpr2
                                        ; implicit-def: $vgpr0
	s_and_saveexec_b32 s29, s7
	s_cbranch_execz .LBB108_471
; %bb.257:
	s_mov_b32 s7, -1
	s_mov_b32 s34, s28
	s_mov_b32 s33, exec_lo
	v_cmpx_gt_i32_e64 s26, v19
	s_cbranch_execz .LBB108_386
; %bb.258:
	v_mov_b32_e32 v0, s42
	v_mov_b32_e32 v1, s43
	;; [unrolled: 1-line block ×7, first 2 shown]
	s_getpc_b64 s[4:5]
	s_add_u32 s4, s4, _ZN2at6native6invokeIZZZNS0_21polygamma_kernel_cudaERNS_18TensorIteratorBaseElENKUlvE_clEvENKUlvE1_clEvEUlN3c104HalfEE_i15function_traitsIS8_EEENT1_11result_typeERKT_PrKPcPKT0_PKNS6_10ScalarTypeEi@rel32@lo+4
	s_addc_u32 s5, s5, _ZN2at6native6invokeIZZZNS0_21polygamma_kernel_cudaERNS_18TensorIteratorBaseElENKUlvE_clEvENKUlvE1_clEvEUlN3c104HalfEE_i15function_traitsIS8_EEENT1_11result_typeERKT_PrKPcPKT0_PKNS6_10ScalarTypeEi@rel32@hi+12
	s_swappc_b64 s[30:31], s[4:5]
	v_mul_lo_u32 v1, v19, s40
	s_and_b32 s5, s21, 0xff
	s_cmp_lt_i32 s5, 11
	v_ashrrev_i32_e32 v2, 31, v1
	v_add_co_u32 v1, vcc_lo, s36, v1
	v_add_co_ci_u32_e64 v2, null, s37, v2, vcc_lo
	s_cbranch_scc1 .LBB108_265
; %bb.259:
	s_and_b32 s6, 0xffff, s5
	s_cmp_gt_i32 s6, 25
	s_cbranch_scc0 .LBB108_266
; %bb.260:
	s_cmp_gt_i32 s6, 28
	s_cbranch_scc0 .LBB108_267
; %bb.261:
	;; [unrolled: 3-line block ×4, first 2 shown]
	s_mov_b32 s8, 0
	s_mov_b32 s4, -1
	s_cmp_eq_u32 s6, 46
	s_mov_b32 s7, 0
	s_cbranch_scc0 .LBB108_274
; %bb.264:
	v_cvt_f32_f16_e32 v3, v0
	v_cmp_o_f16_e32 vcc_lo, v0, v0
	s_mov_b32 s7, -1
	s_mov_b32 s4, 0
	v_bfe_u32 v4, v3, 16, 1
	v_add3_u32 v3, v3, v4, 0x7fff
	v_mov_b32_e32 v4, 0x7fc0
	v_cndmask_b32_sdwa v3, v4, v3, vcc_lo dst_sel:DWORD dst_unused:UNUSED_PAD src0_sel:DWORD src1_sel:WORD_1
	global_store_dword v[1:2], v3, off
	s_branch .LBB108_274
.LBB108_265:
	s_mov_b32 s6, -1
	s_mov_b32 s7, 0
	s_mov_b32 s4, s28
	s_branch .LBB108_343
.LBB108_266:
	s_mov_b32 s8, -1
	s_mov_b32 s7, 0
	s_mov_b32 s4, s28
	s_branch .LBB108_301
.LBB108_267:
	s_mov_b32 s8, -1
	s_mov_b32 s7, 0
	s_mov_b32 s4, s28
	s_branch .LBB108_284
.LBB108_268:
	s_andn2_saveexec_b32 s9, s9
	s_cbranch_execz .LBB108_168
.LBB108_269:
	v_add_f32_e64 v4, 0x46000000, |v3|
	s_andn2_b32 s8, s8, exec_lo
	v_and_b32_e32 v4, 0xff, v4
	v_cmp_ne_u32_e32 vcc_lo, 0, v4
	s_and_b32 s10, vcc_lo, exec_lo
	s_or_b32 s8, s8, s10
	s_or_b32 exec_lo, exec_lo, s9
	v_mov_b32_e32 v5, 0
	s_and_saveexec_b32 s9, s8
	s_cbranch_execnz .LBB108_169
	s_branch .LBB108_170
.LBB108_270:
	s_mov_b32 s8, -1
	s_mov_b32 s7, 0
	s_mov_b32 s4, s28
	s_branch .LBB108_280
.LBB108_271:
	s_andn2_saveexec_b32 s9, s9
	s_cbranch_execz .LBB108_181
.LBB108_272:
	v_add_f32_e64 v4, 0x42800000, |v3|
	s_andn2_b32 s8, s8, exec_lo
	v_and_b32_e32 v4, 0xff, v4
	v_cmp_ne_u32_e32 vcc_lo, 0, v4
	s_and_b32 s10, vcc_lo, exec_lo
	s_or_b32 s8, s8, s10
	s_or_b32 exec_lo, exec_lo, s9
	v_mov_b32_e32 v5, 0
	s_and_saveexec_b32 s9, s8
	s_cbranch_execnz .LBB108_182
	s_branch .LBB108_183
.LBB108_273:
	s_mov_b32 s8, -1
	s_mov_b32 s7, 0
	s_mov_b32 s4, s28
.LBB108_274:
	s_and_b32 vcc_lo, exec_lo, s8
	s_cbranch_vccz .LBB108_279
; %bb.275:
	s_cmp_eq_u32 s6, 44
	s_mov_b32 s4, -1
	s_cbranch_scc0 .LBB108_279
; %bb.276:
	v_cvt_f32_f16_e32 v3, v0
	v_mov_b32_e32 v4, 0xff
	s_mov_b32 s7, exec_lo
	v_bfe_u32 v5, v3, 23, 8
	v_cmpx_ne_u32_e32 0xff, v5
	s_cbranch_execz .LBB108_278
; %bb.277:
	v_and_b32_e32 v4, 0x400000, v3
	v_and_or_b32 v5, 0x3fffff, v3, v5
	v_lshrrev_b32_e32 v3, 23, v3
	v_cmp_ne_u32_e32 vcc_lo, 0, v4
	v_cmp_ne_u32_e64 s4, 0, v5
	s_and_b32 s4, vcc_lo, s4
	v_cndmask_b32_e64 v4, 0, 1, s4
	v_add_nc_u32_e32 v4, v3, v4
.LBB108_278:
	s_or_b32 exec_lo, exec_lo, s7
	s_mov_b32 s7, -1
	s_mov_b32 s4, 0
	global_store_byte v[1:2], v4, off
.LBB108_279:
	s_mov_b32 s8, 0
.LBB108_280:
	s_and_b32 vcc_lo, exec_lo, s8
	s_cbranch_vccz .LBB108_283
; %bb.281:
	s_cmp_eq_u32 s6, 29
	s_mov_b32 s4, -1
	s_cbranch_scc0 .LBB108_283
; %bb.282:
	v_cvt_f32_f16_e32 v3, v0
	v_mov_b32_e32 v4, 0
	s_mov_b32 s7, -1
	s_mov_b32 s4, 0
	s_mov_b32 s8, 0
	v_cvt_u32_f32_e32 v3, v3
	global_store_dwordx2 v[1:2], v[3:4], off
	s_branch .LBB108_284
.LBB108_283:
	s_mov_b32 s8, 0
.LBB108_284:
	s_and_b32 vcc_lo, exec_lo, s8
	s_cbranch_vccz .LBB108_300
; %bb.285:
	s_cmp_lt_i32 s6, 27
	s_mov_b32 s7, -1
	s_cbranch_scc1 .LBB108_291
; %bb.286:
	s_cmp_gt_i32 s6, 27
	s_cbranch_scc0 .LBB108_288
; %bb.287:
	v_cvt_f32_f16_e32 v3, v0
	s_mov_b32 s7, 0
	v_cvt_u32_f32_e32 v3, v3
	global_store_dword v[1:2], v3, off
.LBB108_288:
	s_andn2_b32 vcc_lo, exec_lo, s7
	s_cbranch_vccnz .LBB108_290
; %bb.289:
	v_cvt_u16_f16_e32 v3, v0
	global_store_short v[1:2], v3, off
.LBB108_290:
	s_mov_b32 s7, 0
.LBB108_291:
	s_andn2_b32 vcc_lo, exec_lo, s7
	s_cbranch_vccnz .LBB108_299
; %bb.292:
	v_cvt_f32_f16_e32 v3, v0
	v_mov_b32_e32 v5, 0x80
	s_mov_b32 s7, exec_lo
	v_and_b32_e32 v4, 0x7fffffff, v3
	v_cmpx_gt_u32_e32 0x43800000, v4
	s_cbranch_execz .LBB108_298
; %bb.293:
	v_cmp_lt_u32_e32 vcc_lo, 0x3bffffff, v4
	s_mov_b32 s8, 0
                                        ; implicit-def: $vgpr4
	s_and_saveexec_b32 s9, vcc_lo
	s_xor_b32 s9, exec_lo, s9
	s_cbranch_execz .LBB108_396
; %bb.294:
	v_bfe_u32 v4, v3, 20, 1
	s_mov_b32 s8, exec_lo
	v_add3_u32 v4, v3, v4, 0x487ffff
	v_lshrrev_b32_e32 v4, 20, v4
	s_andn2_saveexec_b32 s9, s9
	s_cbranch_execnz .LBB108_397
.LBB108_295:
	s_or_b32 exec_lo, exec_lo, s9
	v_mov_b32_e32 v5, 0
	s_and_saveexec_b32 s9, s8
.LBB108_296:
	v_lshrrev_b32_e32 v3, 24, v3
	v_and_or_b32 v5, 0x80, v3, v4
.LBB108_297:
	s_or_b32 exec_lo, exec_lo, s9
.LBB108_298:
	s_or_b32 exec_lo, exec_lo, s7
	global_store_byte v[1:2], v5, off
.LBB108_299:
	s_mov_b32 s7, -1
.LBB108_300:
	s_mov_b32 s8, 0
.LBB108_301:
	s_and_b32 vcc_lo, exec_lo, s8
	s_cbranch_vccz .LBB108_342
; %bb.302:
	s_cmp_gt_i32 s6, 22
	s_mov_b32 s8, -1
	s_cbranch_scc0 .LBB108_334
; %bb.303:
	s_cmp_lt_i32 s6, 24
	s_mov_b32 s7, -1
	s_cbranch_scc1 .LBB108_323
; %bb.304:
	s_cmp_gt_i32 s6, 24
	s_cbranch_scc0 .LBB108_312
; %bb.305:
	v_cvt_f32_f16_e32 v3, v0
	v_mov_b32_e32 v5, 0x80
	s_mov_b32 s7, exec_lo
	v_and_b32_e32 v4, 0x7fffffff, v3
	v_cmpx_gt_u32_e32 0x47800000, v4
	s_cbranch_execz .LBB108_311
; %bb.306:
	v_cmp_lt_u32_e32 vcc_lo, 0x37ffffff, v4
	s_mov_b32 s8, 0
                                        ; implicit-def: $vgpr4
	s_and_saveexec_b32 s9, vcc_lo
	s_xor_b32 s9, exec_lo, s9
	s_cbranch_execz .LBB108_398
; %bb.307:
	v_bfe_u32 v4, v3, 21, 1
	s_mov_b32 s8, exec_lo
	v_add3_u32 v4, v3, v4, 0x88fffff
	v_lshrrev_b32_e32 v4, 21, v4
	s_andn2_saveexec_b32 s9, s9
	s_cbranch_execnz .LBB108_399
.LBB108_308:
	s_or_b32 exec_lo, exec_lo, s9
	v_mov_b32_e32 v5, 0
	s_and_saveexec_b32 s9, s8
.LBB108_309:
	v_lshrrev_b32_e32 v3, 24, v3
	v_and_or_b32 v5, 0x80, v3, v4
.LBB108_310:
	s_or_b32 exec_lo, exec_lo, s9
.LBB108_311:
	s_or_b32 exec_lo, exec_lo, s7
	s_mov_b32 s7, 0
	global_store_byte v[1:2], v5, off
.LBB108_312:
	s_and_b32 vcc_lo, exec_lo, s7
	s_cbranch_vccz .LBB108_322
; %bb.313:
	v_cvt_f32_f16_e32 v3, v0
	s_mov_b32 s7, exec_lo
                                        ; implicit-def: $vgpr4
	v_and_b32_e32 v5, 0x7fffffff, v3
	v_cmpx_gt_u32_e32 0x43f00000, v5
	s_xor_b32 s7, exec_lo, s7
	s_cbranch_execz .LBB108_319
; %bb.314:
	s_mov_b32 s8, exec_lo
                                        ; implicit-def: $vgpr4
	v_cmpx_lt_u32_e32 0x3c7fffff, v5
	s_xor_b32 s8, exec_lo, s8
; %bb.315:
	v_bfe_u32 v4, v3, 20, 1
	v_add3_u32 v4, v3, v4, 0x407ffff
	v_and_b32_e32 v5, 0xff00000, v4
	v_lshrrev_b32_e32 v4, 20, v4
	v_cmp_ne_u32_e32 vcc_lo, 0x7f00000, v5
	v_cndmask_b32_e32 v4, 0x7e, v4, vcc_lo
; %bb.316:
	s_andn2_saveexec_b32 s8, s8
; %bb.317:
	v_add_f32_e64 v4, 0x46800000, |v3|
; %bb.318:
	s_or_b32 exec_lo, exec_lo, s8
                                        ; implicit-def: $vgpr5
.LBB108_319:
	s_andn2_saveexec_b32 s7, s7
; %bb.320:
	v_mov_b32_e32 v4, 0x7f
	v_cmp_lt_u32_e32 vcc_lo, 0x7f800000, v5
	v_cndmask_b32_e32 v4, 0x7e, v4, vcc_lo
; %bb.321:
	s_or_b32 exec_lo, exec_lo, s7
	v_lshrrev_b32_e32 v3, 24, v3
	v_and_or_b32 v3, 0x80, v3, v4
	global_store_byte v[1:2], v3, off
.LBB108_322:
	s_mov_b32 s7, 0
.LBB108_323:
	s_andn2_b32 vcc_lo, exec_lo, s7
	s_cbranch_vccnz .LBB108_333
; %bb.324:
	v_cvt_f32_f16_e32 v3, v0
	s_mov_b32 s7, exec_lo
                                        ; implicit-def: $vgpr4
	v_and_b32_e32 v5, 0x7fffffff, v3
	v_cmpx_gt_u32_e32 0x47800000, v5
	s_xor_b32 s7, exec_lo, s7
	s_cbranch_execz .LBB108_330
; %bb.325:
	s_mov_b32 s8, exec_lo
                                        ; implicit-def: $vgpr4
	v_cmpx_lt_u32_e32 0x387fffff, v5
	s_xor_b32 s8, exec_lo, s8
; %bb.326:
	v_bfe_u32 v4, v3, 21, 1
	v_add3_u32 v4, v3, v4, 0x80fffff
	v_lshrrev_b32_e32 v4, 21, v4
; %bb.327:
	s_andn2_saveexec_b32 s8, s8
; %bb.328:
	v_add_f32_e64 v4, 0x43000000, |v3|
; %bb.329:
	s_or_b32 exec_lo, exec_lo, s8
                                        ; implicit-def: $vgpr5
.LBB108_330:
	s_andn2_saveexec_b32 s7, s7
; %bb.331:
	v_mov_b32_e32 v4, 0x7f
	v_cmp_lt_u32_e32 vcc_lo, 0x7f800000, v5
	v_cndmask_b32_e32 v4, 0x7c, v4, vcc_lo
; %bb.332:
	s_or_b32 exec_lo, exec_lo, s7
	v_lshrrev_b32_e32 v3, 24, v3
	v_and_or_b32 v3, 0x80, v3, v4
	global_store_byte v[1:2], v3, off
.LBB108_333:
	s_mov_b32 s8, 0
	s_mov_b32 s7, -1
.LBB108_334:
	s_andn2_b32 vcc_lo, exec_lo, s8
	s_cbranch_vccnz .LBB108_342
; %bb.335:
	s_cmp_gt_i32 s6, 14
	s_mov_b32 s8, -1
	s_cbranch_scc0 .LBB108_339
; %bb.336:
	s_cmp_eq_u32 s6, 15
	s_mov_b32 s4, -1
	s_cbranch_scc0 .LBB108_338
; %bb.337:
	v_cvt_f32_f16_e32 v3, v0
	v_cmp_o_f16_e32 vcc_lo, v0, v0
	s_mov_b32 s7, -1
	s_mov_b32 s4, 0
	v_bfe_u32 v4, v3, 16, 1
	v_add3_u32 v3, v3, v4, 0x7fff
	v_mov_b32_e32 v4, 0x7fc0
	v_cndmask_b32_sdwa v3, v4, v3, vcc_lo dst_sel:DWORD dst_unused:UNUSED_PAD src0_sel:DWORD src1_sel:WORD_1
	global_store_short v[1:2], v3, off
.LBB108_338:
	s_mov_b32 s8, 0
.LBB108_339:
	s_and_b32 vcc_lo, exec_lo, s8
	s_cbranch_vccz .LBB108_342
; %bb.340:
	s_cmp_eq_u32 s6, 11
	s_mov_b32 s4, -1
	s_cbranch_scc0 .LBB108_342
; %bb.341:
	v_and_b32_e32 v3, 0x7fff, v0
	s_mov_b32 s4, 0
	s_mov_b32 s7, -1
	v_cmp_ne_u16_e32 vcc_lo, 0, v3
	v_cndmask_b32_e64 v3, 0, 1, vcc_lo
	global_store_byte v[1:2], v3, off
.LBB108_342:
	s_mov_b32 s6, 0
.LBB108_343:
	s_and_b32 vcc_lo, exec_lo, s6
	s_cbranch_vccz .LBB108_382
; %bb.344:
	s_and_b32 s5, 0xffff, s5
	s_mov_b32 s6, -1
	s_cmp_lt_i32 s5, 5
	s_cbranch_scc1 .LBB108_365
; %bb.345:
	s_cmp_lt_i32 s5, 8
	s_cbranch_scc1 .LBB108_355
; %bb.346:
	;; [unrolled: 3-line block ×3, first 2 shown]
	s_cmp_gt_i32 s5, 9
	s_cbranch_scc0 .LBB108_349
; %bb.348:
	v_cvt_f32_f16_e32 v3, v0
	v_mov_b32_e32 v5, 0
	s_mov_b32 s6, 0
	v_cvt_f64_f32_e32 v[3:4], v3
	v_mov_b32_e32 v6, v5
	global_store_dwordx4 v[1:2], v[3:6], off
.LBB108_349:
	s_andn2_b32 vcc_lo, exec_lo, s6
	s_cbranch_vccnz .LBB108_351
; %bb.350:
	v_cvt_f32_f16_e32 v3, v0
	v_mov_b32_e32 v4, 0
	global_store_dwordx2 v[1:2], v[3:4], off
.LBB108_351:
	s_mov_b32 s6, 0
.LBB108_352:
	s_andn2_b32 vcc_lo, exec_lo, s6
	s_cbranch_vccnz .LBB108_354
; %bb.353:
	v_and_b32_e32 v3, 0xffff, v0
	global_store_dword v[1:2], v3, off
.LBB108_354:
	s_mov_b32 s6, 0
.LBB108_355:
	s_andn2_b32 vcc_lo, exec_lo, s6
	s_cbranch_vccnz .LBB108_364
; %bb.356:
	s_cmp_lt_i32 s5, 6
	s_mov_b32 s6, -1
	s_cbranch_scc1 .LBB108_362
; %bb.357:
	s_cmp_gt_i32 s5, 6
	s_cbranch_scc0 .LBB108_359
; %bb.358:
	v_cvt_f32_f16_e32 v3, v0
	s_mov_b32 s6, 0
	v_cvt_f64_f32_e32 v[3:4], v3
	global_store_dwordx2 v[1:2], v[3:4], off
.LBB108_359:
	s_andn2_b32 vcc_lo, exec_lo, s6
	s_cbranch_vccnz .LBB108_361
; %bb.360:
	v_cvt_f32_f16_e32 v3, v0
	global_store_dword v[1:2], v3, off
.LBB108_361:
	s_mov_b32 s6, 0
.LBB108_362:
	s_andn2_b32 vcc_lo, exec_lo, s6
	s_cbranch_vccnz .LBB108_364
; %bb.363:
	global_store_short v[1:2], v0, off
.LBB108_364:
	s_mov_b32 s6, 0
.LBB108_365:
	s_andn2_b32 vcc_lo, exec_lo, s6
	s_cbranch_vccnz .LBB108_381
; %bb.366:
	s_cmp_lt_i32 s5, 2
	s_mov_b32 s6, -1
	s_cbranch_scc1 .LBB108_376
; %bb.367:
	s_cmp_lt_i32 s5, 3
	s_cbranch_scc1 .LBB108_373
; %bb.368:
	s_cmp_gt_i32 s5, 3
	s_cbranch_scc0 .LBB108_370
; %bb.369:
	v_cvt_f32_f16_e32 v3, v0
	s_mov_b32 s6, 0
	v_cvt_i32_f32_e32 v3, v3
	v_ashrrev_i32_e32 v4, 31, v3
	global_store_dwordx2 v[1:2], v[3:4], off
.LBB108_370:
	s_andn2_b32 vcc_lo, exec_lo, s6
	s_cbranch_vccnz .LBB108_372
; %bb.371:
	v_cvt_f32_f16_e32 v3, v0
	v_cvt_i32_f32_e32 v3, v3
	global_store_dword v[1:2], v3, off
.LBB108_372:
	s_mov_b32 s6, 0
.LBB108_373:
	s_andn2_b32 vcc_lo, exec_lo, s6
	s_cbranch_vccnz .LBB108_375
; %bb.374:
	v_cvt_i16_f16_e32 v3, v0
	global_store_short v[1:2], v3, off
.LBB108_375:
	s_mov_b32 s6, 0
.LBB108_376:
	s_andn2_b32 vcc_lo, exec_lo, s6
	s_cbranch_vccnz .LBB108_381
; %bb.377:
	s_cmp_gt_i32 s5, 0
	s_mov_b32 s5, -1
	s_cbranch_scc0 .LBB108_379
; %bb.378:
	v_cvt_i16_f16_e32 v3, v0
	s_mov_b32 s5, 0
	global_store_byte v[1:2], v3, off
.LBB108_379:
	s_andn2_b32 vcc_lo, exec_lo, s5
	s_cbranch_vccnz .LBB108_381
; %bb.380:
	v_cvt_f32_f16_e32 v0, v0
	v_cvt_i32_f32_e32 v0, v0
	global_store_byte v[1:2], v0, off
.LBB108_381:
	s_mov_b32 s7, -1
.LBB108_382:
	s_andn2_b32 vcc_lo, exec_lo, s7
	s_cbranch_vccnz .LBB108_384
; %bb.383:
	v_add_nc_u32_e32 v19, 0x80, v19
	s_mov_b32 s5, -1
	s_branch .LBB108_385
.LBB108_384:
	s_mov_b32 s5, 0
                                        ; implicit-def: $vgpr19
.LBB108_385:
	s_andn2_b32 s6, s28, exec_lo
	s_and_b32 s4, s4, exec_lo
	s_orn2_b32 s7, s5, exec_lo
	s_or_b32 s34, s6, s4
.LBB108_386:
	s_or_b32 exec_lo, exec_lo, s33
	s_mov_b32 s4, 0
	s_mov_b32 s6, 0
                                        ; implicit-def: $sgpr5
                                        ; implicit-def: $vgpr1_vgpr2
                                        ; implicit-def: $vgpr0
	s_and_saveexec_b32 s33, s7
	s_cbranch_execz .LBB108_470
; %bb.387:
	v_cmp_gt_i32_e32 vcc_lo, s26, v19
	s_mov_b32 s7, s34
                                        ; implicit-def: $sgpr5
                                        ; implicit-def: $vgpr1_vgpr2
                                        ; implicit-def: $vgpr0
	s_and_saveexec_b32 s26, vcc_lo
	s_cbranch_execz .LBB108_469
; %bb.388:
	v_mov_b32_e32 v0, s42
	v_mov_b32_e32 v1, s43
	;; [unrolled: 1-line block ×7, first 2 shown]
	s_getpc_b64 s[4:5]
	s_add_u32 s4, s4, _ZN2at6native6invokeIZZZNS0_21polygamma_kernel_cudaERNS_18TensorIteratorBaseElENKUlvE_clEvENKUlvE1_clEvEUlN3c104HalfEE_i15function_traitsIS8_EEENT1_11result_typeERKT_PrKPcPKT0_PKNS6_10ScalarTypeEi@rel32@lo+4
	s_addc_u32 s5, s5, _ZN2at6native6invokeIZZZNS0_21polygamma_kernel_cudaERNS_18TensorIteratorBaseElENKUlvE_clEvENKUlvE1_clEvEUlN3c104HalfEE_i15function_traitsIS8_EEENT1_11result_typeERKT_PrKPcPKT0_PKNS6_10ScalarTypeEi@rel32@hi+12
	s_swappc_b64 s[30:31], s[4:5]
	v_mul_lo_u32 v1, v19, s40
	s_and_b32 s5, s21, 0xff
	s_cmp_lt_i32 s5, 11
	v_ashrrev_i32_e32 v2, 31, v1
	v_add_co_u32 v1, vcc_lo, s36, v1
	v_add_co_ci_u32_e64 v2, null, s37, v2, vcc_lo
	s_cbranch_scc1 .LBB108_395
; %bb.389:
	s_and_b32 s6, 0xffff, s5
	s_mov_b32 s7, -1
	s_cmp_gt_i32 s6, 25
	s_mov_b32 s4, s34
	s_cbranch_scc0 .LBB108_427
; %bb.390:
	s_cmp_gt_i32 s6, 28
	s_mov_b32 s4, s34
	s_cbranch_scc0 .LBB108_411
; %bb.391:
	;; [unrolled: 4-line block ×4, first 2 shown]
	s_cmp_eq_u32 s6, 46
	s_mov_b32 s4, -1
	s_cbranch_scc0 .LBB108_400
; %bb.394:
	v_cvt_f32_f16_e32 v3, v0
	v_cmp_o_f16_e32 vcc_lo, v0, v0
	s_mov_b32 s4, 0
	s_mov_b32 s7, 0
	v_bfe_u32 v4, v3, 16, 1
	v_add3_u32 v3, v3, v4, 0x7fff
	v_mov_b32_e32 v4, 0x7fc0
	v_cndmask_b32_sdwa v3, v4, v3, vcc_lo dst_sel:DWORD dst_unused:UNUSED_PAD src0_sel:DWORD src1_sel:WORD_1
	global_store_dword v[1:2], v3, off
	s_branch .LBB108_401
.LBB108_395:
	s_mov_b32 s8, 0
	s_mov_b32 s7, -1
	s_mov_b32 s4, s34
	s_branch .LBB108_468
.LBB108_396:
	s_andn2_saveexec_b32 s9, s9
	s_cbranch_execz .LBB108_295
.LBB108_397:
	v_add_f32_e64 v4, 0x46000000, |v3|
	s_andn2_b32 s8, s8, exec_lo
	v_and_b32_e32 v4, 0xff, v4
	v_cmp_ne_u32_e32 vcc_lo, 0, v4
	s_and_b32 s10, vcc_lo, exec_lo
	s_or_b32 s8, s8, s10
	s_or_b32 exec_lo, exec_lo, s9
	v_mov_b32_e32 v5, 0
	s_and_saveexec_b32 s9, s8
	s_cbranch_execnz .LBB108_296
	s_branch .LBB108_297
.LBB108_398:
	s_andn2_saveexec_b32 s9, s9
	s_cbranch_execz .LBB108_308
.LBB108_399:
	v_add_f32_e64 v4, 0x42800000, |v3|
	s_andn2_b32 s8, s8, exec_lo
	v_and_b32_e32 v4, 0xff, v4
	v_cmp_ne_u32_e32 vcc_lo, 0, v4
	s_and_b32 s10, vcc_lo, exec_lo
	s_or_b32 s8, s8, s10
	s_or_b32 exec_lo, exec_lo, s9
	v_mov_b32_e32 v5, 0
	s_and_saveexec_b32 s9, s8
	s_cbranch_execnz .LBB108_309
	s_branch .LBB108_310
.LBB108_400:
	s_mov_b32 s7, 0
.LBB108_401:
	s_and_b32 vcc_lo, exec_lo, s7
	s_cbranch_vccz .LBB108_406
; %bb.402:
	s_cmp_eq_u32 s6, 44
	s_mov_b32 s4, -1
	s_cbranch_scc0 .LBB108_406
; %bb.403:
	v_cvt_f32_f16_e32 v3, v0
	v_mov_b32_e32 v4, 0xff
	s_mov_b32 s7, exec_lo
	v_bfe_u32 v5, v3, 23, 8
	v_cmpx_ne_u32_e32 0xff, v5
	s_cbranch_execz .LBB108_405
; %bb.404:
	v_and_b32_e32 v4, 0x400000, v3
	v_and_or_b32 v5, 0x3fffff, v3, v5
	v_lshrrev_b32_e32 v3, 23, v3
	v_cmp_ne_u32_e32 vcc_lo, 0, v4
	v_cmp_ne_u32_e64 s4, 0, v5
	s_and_b32 s4, vcc_lo, s4
	v_cndmask_b32_e64 v4, 0, 1, s4
	v_add_nc_u32_e32 v4, v3, v4
.LBB108_405:
	s_or_b32 exec_lo, exec_lo, s7
	s_mov_b32 s4, 0
	global_store_byte v[1:2], v4, off
.LBB108_406:
	s_mov_b32 s7, 0
.LBB108_407:
	s_and_b32 vcc_lo, exec_lo, s7
	s_cbranch_vccz .LBB108_410
; %bb.408:
	s_cmp_eq_u32 s6, 29
	s_mov_b32 s4, -1
	s_cbranch_scc0 .LBB108_410
; %bb.409:
	v_cvt_f32_f16_e32 v3, v0
	v_mov_b32_e32 v4, 0
	s_mov_b32 s4, 0
	s_mov_b32 s7, 0
	v_cvt_u32_f32_e32 v3, v3
	global_store_dwordx2 v[1:2], v[3:4], off
	s_branch .LBB108_411
.LBB108_410:
	s_mov_b32 s7, 0
.LBB108_411:
	s_and_b32 vcc_lo, exec_lo, s7
	s_cbranch_vccz .LBB108_426
; %bb.412:
	s_cmp_lt_i32 s6, 27
	s_mov_b32 s7, -1
	s_cbranch_scc1 .LBB108_418
; %bb.413:
	s_cmp_gt_i32 s6, 27
	s_cbranch_scc0 .LBB108_415
; %bb.414:
	v_cvt_f32_f16_e32 v3, v0
	s_mov_b32 s7, 0
	v_cvt_u32_f32_e32 v3, v3
	global_store_dword v[1:2], v3, off
.LBB108_415:
	s_andn2_b32 vcc_lo, exec_lo, s7
	s_cbranch_vccnz .LBB108_417
; %bb.416:
	v_cvt_u16_f16_e32 v3, v0
	global_store_short v[1:2], v3, off
.LBB108_417:
	s_mov_b32 s7, 0
.LBB108_418:
	s_andn2_b32 vcc_lo, exec_lo, s7
	s_cbranch_vccnz .LBB108_426
; %bb.419:
	v_cvt_f32_f16_e32 v3, v0
	v_mov_b32_e32 v5, 0x80
	s_mov_b32 s7, exec_lo
	v_and_b32_e32 v4, 0x7fffffff, v3
	v_cmpx_gt_u32_e32 0x43800000, v4
	s_cbranch_execz .LBB108_425
; %bb.420:
	v_cmp_lt_u32_e32 vcc_lo, 0x3bffffff, v4
	s_mov_b32 s8, 0
                                        ; implicit-def: $vgpr4
	s_and_saveexec_b32 s9, vcc_lo
	s_xor_b32 s9, exec_lo, s9
	s_cbranch_execz .LBB108_1007
; %bb.421:
	v_bfe_u32 v4, v3, 20, 1
	s_mov_b32 s8, exec_lo
	v_add3_u32 v4, v3, v4, 0x487ffff
	v_lshrrev_b32_e32 v4, 20, v4
	s_andn2_saveexec_b32 s9, s9
	s_cbranch_execnz .LBB108_1008
.LBB108_422:
	s_or_b32 exec_lo, exec_lo, s9
	v_mov_b32_e32 v5, 0
	s_and_saveexec_b32 s9, s8
.LBB108_423:
	v_lshrrev_b32_e32 v3, 24, v3
	v_and_or_b32 v5, 0x80, v3, v4
.LBB108_424:
	s_or_b32 exec_lo, exec_lo, s9
.LBB108_425:
	s_or_b32 exec_lo, exec_lo, s7
	global_store_byte v[1:2], v5, off
.LBB108_426:
	s_mov_b32 s7, 0
.LBB108_427:
	s_and_b32 vcc_lo, exec_lo, s7
	s_mov_b32 s7, 0
	s_cbranch_vccz .LBB108_467
; %bb.428:
	s_cmp_gt_i32 s6, 22
	s_mov_b32 s8, -1
	s_cbranch_scc0 .LBB108_460
; %bb.429:
	s_cmp_lt_i32 s6, 24
	s_cbranch_scc1 .LBB108_449
; %bb.430:
	s_cmp_gt_i32 s6, 24
	s_cbranch_scc0 .LBB108_438
; %bb.431:
	v_cvt_f32_f16_e32 v3, v0
	v_mov_b32_e32 v5, 0x80
	s_mov_b32 s8, exec_lo
	v_and_b32_e32 v4, 0x7fffffff, v3
	v_cmpx_gt_u32_e32 0x47800000, v4
	s_cbranch_execz .LBB108_437
; %bb.432:
	v_cmp_lt_u32_e32 vcc_lo, 0x37ffffff, v4
	s_mov_b32 s9, 0
                                        ; implicit-def: $vgpr4
	s_and_saveexec_b32 s10, vcc_lo
	s_xor_b32 s10, exec_lo, s10
	s_cbranch_execz .LBB108_1011
; %bb.433:
	v_bfe_u32 v4, v3, 21, 1
	s_mov_b32 s9, exec_lo
	v_add3_u32 v4, v3, v4, 0x88fffff
	v_lshrrev_b32_e32 v4, 21, v4
	s_andn2_saveexec_b32 s10, s10
	s_cbranch_execnz .LBB108_1012
.LBB108_434:
	s_or_b32 exec_lo, exec_lo, s10
	v_mov_b32_e32 v5, 0
	s_and_saveexec_b32 s10, s9
.LBB108_435:
	v_lshrrev_b32_e32 v3, 24, v3
	v_and_or_b32 v5, 0x80, v3, v4
.LBB108_436:
	s_or_b32 exec_lo, exec_lo, s10
.LBB108_437:
	s_or_b32 exec_lo, exec_lo, s8
	s_mov_b32 s8, 0
	global_store_byte v[1:2], v5, off
.LBB108_438:
	s_and_b32 vcc_lo, exec_lo, s8
	s_cbranch_vccz .LBB108_448
; %bb.439:
	v_cvt_f32_f16_e32 v3, v0
	s_mov_b32 s8, exec_lo
                                        ; implicit-def: $vgpr4
	v_and_b32_e32 v5, 0x7fffffff, v3
	v_cmpx_gt_u32_e32 0x43f00000, v5
	s_xor_b32 s8, exec_lo, s8
	s_cbranch_execz .LBB108_445
; %bb.440:
	s_mov_b32 s9, exec_lo
                                        ; implicit-def: $vgpr4
	v_cmpx_lt_u32_e32 0x3c7fffff, v5
	s_xor_b32 s9, exec_lo, s9
; %bb.441:
	v_bfe_u32 v4, v3, 20, 1
	v_add3_u32 v4, v3, v4, 0x407ffff
	v_and_b32_e32 v5, 0xff00000, v4
	v_lshrrev_b32_e32 v4, 20, v4
	v_cmp_ne_u32_e32 vcc_lo, 0x7f00000, v5
	v_cndmask_b32_e32 v4, 0x7e, v4, vcc_lo
; %bb.442:
	s_andn2_saveexec_b32 s9, s9
; %bb.443:
	v_add_f32_e64 v4, 0x46800000, |v3|
; %bb.444:
	s_or_b32 exec_lo, exec_lo, s9
                                        ; implicit-def: $vgpr5
.LBB108_445:
	s_andn2_saveexec_b32 s8, s8
; %bb.446:
	v_mov_b32_e32 v4, 0x7f
	v_cmp_lt_u32_e32 vcc_lo, 0x7f800000, v5
	v_cndmask_b32_e32 v4, 0x7e, v4, vcc_lo
; %bb.447:
	s_or_b32 exec_lo, exec_lo, s8
	v_lshrrev_b32_e32 v3, 24, v3
	v_and_or_b32 v3, 0x80, v3, v4
	global_store_byte v[1:2], v3, off
.LBB108_448:
	s_mov_b32 s8, 0
.LBB108_449:
	s_andn2_b32 vcc_lo, exec_lo, s8
	s_cbranch_vccnz .LBB108_459
; %bb.450:
	v_cvt_f32_f16_e32 v3, v0
	s_mov_b32 s8, exec_lo
                                        ; implicit-def: $vgpr4
	v_and_b32_e32 v5, 0x7fffffff, v3
	v_cmpx_gt_u32_e32 0x47800000, v5
	s_xor_b32 s8, exec_lo, s8
	s_cbranch_execz .LBB108_456
; %bb.451:
	s_mov_b32 s9, exec_lo
                                        ; implicit-def: $vgpr4
	v_cmpx_lt_u32_e32 0x387fffff, v5
	s_xor_b32 s9, exec_lo, s9
; %bb.452:
	v_bfe_u32 v4, v3, 21, 1
	v_add3_u32 v4, v3, v4, 0x80fffff
	v_lshrrev_b32_e32 v4, 21, v4
; %bb.453:
	s_andn2_saveexec_b32 s9, s9
; %bb.454:
	v_add_f32_e64 v4, 0x43000000, |v3|
; %bb.455:
	s_or_b32 exec_lo, exec_lo, s9
                                        ; implicit-def: $vgpr5
.LBB108_456:
	s_andn2_saveexec_b32 s8, s8
; %bb.457:
	v_mov_b32_e32 v4, 0x7f
	v_cmp_lt_u32_e32 vcc_lo, 0x7f800000, v5
	v_cndmask_b32_e32 v4, 0x7c, v4, vcc_lo
; %bb.458:
	s_or_b32 exec_lo, exec_lo, s8
	v_lshrrev_b32_e32 v3, 24, v3
	v_and_or_b32 v3, 0x80, v3, v4
	global_store_byte v[1:2], v3, off
.LBB108_459:
	s_mov_b32 s8, 0
.LBB108_460:
	s_andn2_b32 vcc_lo, exec_lo, s8
	s_mov_b32 s8, 0
	s_cbranch_vccnz .LBB108_468
; %bb.461:
	s_cmp_gt_i32 s6, 14
	s_mov_b32 s8, -1
	s_cbranch_scc0 .LBB108_465
; %bb.462:
	s_cmp_eq_u32 s6, 15
	s_mov_b32 s4, -1
	s_cbranch_scc0 .LBB108_464
; %bb.463:
	v_cvt_f32_f16_e32 v3, v0
	v_cmp_o_f16_e32 vcc_lo, v0, v0
	s_mov_b32 s4, 0
	v_bfe_u32 v4, v3, 16, 1
	v_add3_u32 v3, v3, v4, 0x7fff
	v_mov_b32_e32 v4, 0x7fc0
	v_cndmask_b32_sdwa v3, v4, v3, vcc_lo dst_sel:DWORD dst_unused:UNUSED_PAD src0_sel:DWORD src1_sel:WORD_1
	global_store_short v[1:2], v3, off
.LBB108_464:
	s_mov_b32 s8, 0
.LBB108_465:
	s_and_b32 vcc_lo, exec_lo, s8
	s_mov_b32 s8, 0
	s_cbranch_vccz .LBB108_468
; %bb.466:
	s_cmp_lg_u32 s6, 11
	s_mov_b32 s8, -1
	s_cselect_b32 s6, -1, 0
	s_andn2_b32 s4, s4, exec_lo
	s_and_b32 s6, s6, exec_lo
	s_or_b32 s4, s4, s6
	s_branch .LBB108_468
.LBB108_467:
	s_mov_b32 s8, 0
.LBB108_468:
	s_and_b32 s6, s7, exec_lo
	s_andn2_b32 s7, s34, exec_lo
	s_and_b32 s9, s4, exec_lo
	s_and_b32 s4, s8, exec_lo
	s_or_b32 s7, s7, s9
.LBB108_469:
	s_or_b32 exec_lo, exec_lo, s26
	s_andn2_b32 s8, s34, exec_lo
	s_and_b32 s7, s7, exec_lo
	s_and_b32 s6, s6, exec_lo
	;; [unrolled: 1-line block ×3, first 2 shown]
	s_or_b32 s34, s8, s7
.LBB108_470:
	s_or_b32 exec_lo, exec_lo, s33
	s_andn2_b32 s7, s28, exec_lo
	s_and_b32 s8, s34, exec_lo
	s_and_b32 s6, s6, exec_lo
	;; [unrolled: 1-line block ×3, first 2 shown]
	s_or_b32 s28, s7, s8
.LBB108_471:
	s_or_b32 exec_lo, exec_lo, s29
	s_andn2_b32 s7, s25, exec_lo
	s_and_b32 s8, s28, exec_lo
	s_and_b32 s6, s6, exec_lo
	;; [unrolled: 1-line block ×3, first 2 shown]
	s_or_b32 s25, s7, s8
	s_or_b32 exec_lo, exec_lo, s27
	s_mov_b32 s4, 0
	s_and_saveexec_b32 s7, s25
	s_cbranch_execz .LBB108_134
.LBB108_472:
	s_mov_b32 s4, exec_lo
	s_andn2_b32 s28, s28, exec_lo
	s_trap 2
	s_or_b32 exec_lo, exec_lo, s7
	s_and_saveexec_b32 s7, s28
	s_xor_b32 s7, exec_lo, s7
	s_cbranch_execnz .LBB108_135
.LBB108_473:
	s_or_b32 exec_lo, exec_lo, s7
	s_and_saveexec_b32 s7, s6
	s_xor_b32 s6, exec_lo, s7
	s_cbranch_execz .LBB108_511
.LBB108_474:
	s_sext_i32_i16 s8, s5
	s_mov_b32 s7, -1
	s_cmp_lt_i32 s8, 5
	s_cbranch_scc1 .LBB108_495
; %bb.475:
	s_cmp_lt_i32 s8, 8
	s_cbranch_scc1 .LBB108_485
; %bb.476:
	;; [unrolled: 3-line block ×3, first 2 shown]
	s_cmp_gt_i32 s8, 9
	s_cbranch_scc0 .LBB108_479
; %bb.478:
	v_cvt_f32_f16_e32 v3, v0
	v_mov_b32_e32 v5, 0
	s_mov_b32 s7, 0
	v_cvt_f64_f32_e32 v[3:4], v3
	v_mov_b32_e32 v6, v5
	global_store_dwordx4 v[1:2], v[3:6], off
.LBB108_479:
	s_andn2_b32 vcc_lo, exec_lo, s7
	s_cbranch_vccnz .LBB108_481
; %bb.480:
	v_cvt_f32_f16_e32 v3, v0
	v_mov_b32_e32 v4, 0
	global_store_dwordx2 v[1:2], v[3:4], off
.LBB108_481:
	s_mov_b32 s7, 0
.LBB108_482:
	s_andn2_b32 vcc_lo, exec_lo, s7
	s_cbranch_vccnz .LBB108_484
; %bb.483:
	v_and_b32_e32 v3, 0xffff, v0
	global_store_dword v[1:2], v3, off
.LBB108_484:
	s_mov_b32 s7, 0
.LBB108_485:
	s_andn2_b32 vcc_lo, exec_lo, s7
	s_cbranch_vccnz .LBB108_494
; %bb.486:
	s_sext_i32_i16 s8, s5
	s_mov_b32 s7, -1
	s_cmp_lt_i32 s8, 6
	s_cbranch_scc1 .LBB108_492
; %bb.487:
	s_cmp_gt_i32 s8, 6
	s_cbranch_scc0 .LBB108_489
; %bb.488:
	v_cvt_f32_f16_e32 v3, v0
	s_mov_b32 s7, 0
	v_cvt_f64_f32_e32 v[3:4], v3
	global_store_dwordx2 v[1:2], v[3:4], off
.LBB108_489:
	s_andn2_b32 vcc_lo, exec_lo, s7
	s_cbranch_vccnz .LBB108_491
; %bb.490:
	v_cvt_f32_f16_e32 v3, v0
	global_store_dword v[1:2], v3, off
.LBB108_491:
	s_mov_b32 s7, 0
.LBB108_492:
	s_andn2_b32 vcc_lo, exec_lo, s7
	s_cbranch_vccnz .LBB108_494
; %bb.493:
	global_store_short v[1:2], v0, off
.LBB108_494:
	s_mov_b32 s7, 0
.LBB108_495:
	s_andn2_b32 vcc_lo, exec_lo, s7
	s_cbranch_vccnz .LBB108_511
; %bb.496:
	s_sext_i32_i16 s8, s5
	s_mov_b32 s7, -1
	s_cmp_lt_i32 s8, 2
	s_cbranch_scc1 .LBB108_506
; %bb.497:
	s_cmp_lt_i32 s8, 3
	s_cbranch_scc1 .LBB108_503
; %bb.498:
	s_cmp_gt_i32 s8, 3
	s_cbranch_scc0 .LBB108_500
; %bb.499:
	v_cvt_f32_f16_e32 v3, v0
	s_mov_b32 s7, 0
	v_cvt_i32_f32_e32 v3, v3
	v_ashrrev_i32_e32 v4, 31, v3
	global_store_dwordx2 v[1:2], v[3:4], off
.LBB108_500:
	s_andn2_b32 vcc_lo, exec_lo, s7
	s_cbranch_vccnz .LBB108_502
; %bb.501:
	v_cvt_f32_f16_e32 v3, v0
	v_cvt_i32_f32_e32 v3, v3
	global_store_dword v[1:2], v3, off
.LBB108_502:
	s_mov_b32 s7, 0
.LBB108_503:
	s_andn2_b32 vcc_lo, exec_lo, s7
	s_cbranch_vccnz .LBB108_505
; %bb.504:
	v_cvt_i16_f16_e32 v3, v0
	global_store_short v[1:2], v3, off
.LBB108_505:
	s_mov_b32 s7, 0
.LBB108_506:
	s_andn2_b32 vcc_lo, exec_lo, s7
	s_cbranch_vccnz .LBB108_511
; %bb.507:
	s_sext_i32_i16 s5, s5
	s_cmp_gt_i32 s5, 0
	s_mov_b32 s5, -1
	s_cbranch_scc0 .LBB108_509
; %bb.508:
	v_cvt_i16_f16_e32 v3, v0
	s_mov_b32 s5, 0
	global_store_byte v[1:2], v3, off
.LBB108_509:
	s_andn2_b32 vcc_lo, exec_lo, s5
	s_cbranch_vccnz .LBB108_511
; %bb.510:
	v_cvt_f32_f16_e32 v0, v0
	v_cvt_i32_f32_e32 v0, v0
	global_store_byte v[1:2], v0, off
.LBB108_511:
	s_or_b32 exec_lo, exec_lo, s6
	s_and_b32 s25, s4, exec_lo
                                        ; implicit-def: $vgpr19
                                        ; implicit-def: $vgpr23
.LBB108_512:
	s_or_saveexec_b32 s24, s24
	s_mov_b32 s4, 0
                                        ; implicit-def: $sgpr5
                                        ; implicit-def: $vgpr1_vgpr2
                                        ; implicit-def: $vgpr0
	s_xor_b32 exec_lo, exec_lo, s24
	s_cbranch_execz .LBB108_945
; %bb.513:
	v_mov_b32_e32 v0, s42
	v_mov_b32_e32 v1, s43
	;; [unrolled: 1-line block ×7, first 2 shown]
	s_getpc_b64 s[26:27]
	s_add_u32 s26, s26, _ZN2at6native6invokeIZZZNS0_21polygamma_kernel_cudaERNS_18TensorIteratorBaseElENKUlvE_clEvENKUlvE1_clEvEUlN3c104HalfEE_i15function_traitsIS8_EEENT1_11result_typeERKT_PrKPcPKT0_PKNS6_10ScalarTypeEi@rel32@lo+4
	s_addc_u32 s27, s27, _ZN2at6native6invokeIZZZNS0_21polygamma_kernel_cudaERNS_18TensorIteratorBaseElENKUlvE_clEvENKUlvE1_clEvEUlN3c104HalfEE_i15function_traitsIS8_EEENT1_11result_typeERKT_PrKPcPKT0_PKNS6_10ScalarTypeEi@rel32@hi+12
	v_add_nc_u32_e32 v20, 0x80, v19
	v_add_nc_u32_e32 v24, 0x100, v19
	s_swappc_b64 s[30:31], s[26:27]
	v_mov_b32_e32 v22, v0
	v_mov_b32_e32 v0, s42
	v_mov_b32_e32 v1, s43
	v_mov_b32_e32 v2, s38
	v_mov_b32_e32 v3, s39
	v_mov_b32_e32 v4, s41
	v_mov_b32_e32 v5, s22
	v_mov_b32_e32 v6, v20
	s_swappc_b64 s[30:31], s[26:27]
	v_mov_b32_e32 v21, v0
	v_mov_b32_e32 v0, s42
	v_mov_b32_e32 v1, s43
	v_mov_b32_e32 v2, s38
	v_mov_b32_e32 v3, s39
	v_mov_b32_e32 v4, s41
	v_mov_b32_e32 v5, s22
	v_mov_b32_e32 v6, v24
	;; [unrolled: 9-line block ×3, first 2 shown]
	s_swappc_b64 s[30:31], s[26:27]
	v_mul_lo_u32 v3, s40, v19
	s_and_b32 s5, s21, 0xff
	s_cmp_lt_i32 s5, 11
	v_ashrrev_i32_e32 v2, 31, v3
	v_add_co_u32 v1, vcc_lo, s36, v3
	v_add_co_ci_u32_e64 v2, null, s37, v2, vcc_lo
	s_cbranch_scc1 .LBB108_592
; %bb.514:
	s_and_b32 s6, 0xffff, s5
	s_mov_b32 s9, -1
	s_mov_b32 s7, 0
	s_cmp_gt_i32 s6, 25
	s_mov_b32 s8, 0
	s_mov_b32 s4, 0
	s_cbranch_scc0 .LBB108_547
; %bb.515:
	s_cmp_gt_i32 s6, 28
	s_cbranch_scc0 .LBB108_530
; %bb.516:
	s_cmp_gt_i32 s6, 43
	;; [unrolled: 3-line block ×3, first 2 shown]
	s_cbranch_scc0 .LBB108_520
; %bb.518:
	s_mov_b32 s4, -1
	s_mov_b32 s9, 0
	s_cmp_eq_u32 s6, 46
	s_cbranch_scc0 .LBB108_520
; %bb.519:
	v_cvt_f32_f16_e32 v4, v22
	v_cmp_o_f16_e32 vcc_lo, v22, v22
	s_mov_b32 s4, 0
	s_mov_b32 s8, -1
	v_bfe_u32 v5, v4, 16, 1
	v_add3_u32 v4, v4, v5, 0x7fff
	v_mov_b32_e32 v5, 0x7fc0
	v_cndmask_b32_sdwa v4, v5, v4, vcc_lo dst_sel:DWORD dst_unused:UNUSED_PAD src0_sel:DWORD src1_sel:WORD_1
	global_store_dword v[1:2], v4, off
.LBB108_520:
	s_and_b32 vcc_lo, exec_lo, s9
	s_cbranch_vccz .LBB108_525
; %bb.521:
	s_cmp_eq_u32 s6, 44
	s_mov_b32 s4, -1
	s_cbranch_scc0 .LBB108_525
; %bb.522:
	v_cvt_f32_f16_e32 v4, v22
	v_mov_b32_e32 v5, 0xff
	s_mov_b32 s8, exec_lo
	v_bfe_u32 v6, v4, 23, 8
	v_cmpx_ne_u32_e32 0xff, v6
	s_cbranch_execz .LBB108_524
; %bb.523:
	v_and_b32_e32 v5, 0x400000, v4
	v_and_or_b32 v6, 0x3fffff, v4, v6
	v_lshrrev_b32_e32 v4, 23, v4
	v_cmp_ne_u32_e32 vcc_lo, 0, v5
	v_cmp_ne_u32_e64 s4, 0, v6
	s_and_b32 s4, vcc_lo, s4
	v_cndmask_b32_e64 v5, 0, 1, s4
	v_add_nc_u32_e32 v5, v4, v5
.LBB108_524:
	s_or_b32 exec_lo, exec_lo, s8
	s_mov_b32 s4, 0
	s_mov_b32 s8, -1
	global_store_byte v[1:2], v5, off
.LBB108_525:
	s_mov_b32 s9, 0
.LBB108_526:
	s_and_b32 vcc_lo, exec_lo, s9
	s_cbranch_vccz .LBB108_529
; %bb.527:
	s_cmp_eq_u32 s6, 29
	s_mov_b32 s4, -1
	s_cbranch_scc0 .LBB108_529
; %bb.528:
	v_cvt_f32_f16_e32 v4, v22
	v_mov_b32_e32 v5, 0
	s_mov_b32 s4, 0
	s_mov_b32 s8, -1
	v_cvt_u32_f32_e32 v4, v4
	global_store_dwordx2 v[1:2], v[4:5], off
.LBB108_529:
	s_mov_b32 s9, 0
.LBB108_530:
	s_and_b32 vcc_lo, exec_lo, s9
	s_cbranch_vccz .LBB108_546
; %bb.531:
	s_cmp_lt_i32 s6, 27
	s_mov_b32 s8, -1
	s_cbranch_scc1 .LBB108_537
; %bb.532:
	s_cmp_gt_i32 s6, 27
	s_cbranch_scc0 .LBB108_534
; %bb.533:
	v_cvt_f32_f16_e32 v4, v22
	s_mov_b32 s8, 0
	v_cvt_u32_f32_e32 v4, v4
	global_store_dword v[1:2], v4, off
.LBB108_534:
	s_andn2_b32 vcc_lo, exec_lo, s8
	s_cbranch_vccnz .LBB108_536
; %bb.535:
	v_cvt_u16_f16_e32 v4, v22
	global_store_short v[1:2], v4, off
.LBB108_536:
	s_mov_b32 s8, 0
.LBB108_537:
	s_andn2_b32 vcc_lo, exec_lo, s8
	s_cbranch_vccnz .LBB108_545
; %bb.538:
	v_cvt_f32_f16_e32 v4, v22
	v_mov_b32_e32 v6, 0x80
	s_mov_b32 s8, exec_lo
	v_and_b32_e32 v5, 0x7fffffff, v4
	v_cmpx_gt_u32_e32 0x43800000, v5
	s_cbranch_execz .LBB108_544
; %bb.539:
	v_cmp_lt_u32_e32 vcc_lo, 0x3bffffff, v5
	s_mov_b32 s9, 0
                                        ; implicit-def: $vgpr5
	s_and_saveexec_b32 s10, vcc_lo
	s_xor_b32 s10, exec_lo, s10
	s_cbranch_execz .LBB108_989
; %bb.540:
	v_bfe_u32 v5, v4, 20, 1
	s_mov_b32 s9, exec_lo
	v_add3_u32 v5, v4, v5, 0x487ffff
	v_lshrrev_b32_e32 v5, 20, v5
	s_andn2_saveexec_b32 s10, s10
	s_cbranch_execnz .LBB108_990
.LBB108_541:
	s_or_b32 exec_lo, exec_lo, s10
	v_mov_b32_e32 v6, 0
	s_and_saveexec_b32 s10, s9
.LBB108_542:
	v_lshrrev_b32_e32 v4, 24, v4
	v_and_or_b32 v6, 0x80, v4, v5
.LBB108_543:
	s_or_b32 exec_lo, exec_lo, s10
.LBB108_544:
	s_or_b32 exec_lo, exec_lo, s8
	global_store_byte v[1:2], v6, off
.LBB108_545:
	s_mov_b32 s8, -1
.LBB108_546:
	s_mov_b32 s9, 0
.LBB108_547:
	s_and_b32 vcc_lo, exec_lo, s9
	s_cbranch_vccz .LBB108_587
; %bb.548:
	s_cmp_gt_i32 s6, 22
	s_mov_b32 s7, -1
	s_cbranch_scc0 .LBB108_580
; %bb.549:
	s_cmp_lt_i32 s6, 24
	s_cbranch_scc1 .LBB108_569
; %bb.550:
	s_cmp_gt_i32 s6, 24
	s_cbranch_scc0 .LBB108_558
; %bb.551:
	v_cvt_f32_f16_e32 v4, v22
	v_mov_b32_e32 v6, 0x80
	s_mov_b32 s7, exec_lo
	v_and_b32_e32 v5, 0x7fffffff, v4
	v_cmpx_gt_u32_e32 0x47800000, v5
	s_cbranch_execz .LBB108_557
; %bb.552:
	v_cmp_lt_u32_e32 vcc_lo, 0x37ffffff, v5
	s_mov_b32 s8, 0
                                        ; implicit-def: $vgpr5
	s_and_saveexec_b32 s9, vcc_lo
	s_xor_b32 s9, exec_lo, s9
	s_cbranch_execz .LBB108_992
; %bb.553:
	v_bfe_u32 v5, v4, 21, 1
	s_mov_b32 s8, exec_lo
	v_add3_u32 v5, v4, v5, 0x88fffff
	v_lshrrev_b32_e32 v5, 21, v5
	s_andn2_saveexec_b32 s9, s9
	s_cbranch_execnz .LBB108_993
.LBB108_554:
	s_or_b32 exec_lo, exec_lo, s9
	v_mov_b32_e32 v6, 0
	s_and_saveexec_b32 s9, s8
.LBB108_555:
	v_lshrrev_b32_e32 v4, 24, v4
	v_and_or_b32 v6, 0x80, v4, v5
.LBB108_556:
	s_or_b32 exec_lo, exec_lo, s9
.LBB108_557:
	s_or_b32 exec_lo, exec_lo, s7
	s_mov_b32 s7, 0
	global_store_byte v[1:2], v6, off
.LBB108_558:
	s_and_b32 vcc_lo, exec_lo, s7
	s_cbranch_vccz .LBB108_568
; %bb.559:
	v_cvt_f32_f16_e32 v4, v22
	s_mov_b32 s7, exec_lo
                                        ; implicit-def: $vgpr5
	v_and_b32_e32 v6, 0x7fffffff, v4
	v_cmpx_gt_u32_e32 0x43f00000, v6
	s_xor_b32 s7, exec_lo, s7
	s_cbranch_execz .LBB108_565
; %bb.560:
	s_mov_b32 s8, exec_lo
                                        ; implicit-def: $vgpr5
	v_cmpx_lt_u32_e32 0x3c7fffff, v6
	s_xor_b32 s8, exec_lo, s8
; %bb.561:
	v_bfe_u32 v5, v4, 20, 1
	v_add3_u32 v5, v4, v5, 0x407ffff
	v_and_b32_e32 v6, 0xff00000, v5
	v_lshrrev_b32_e32 v5, 20, v5
	v_cmp_ne_u32_e32 vcc_lo, 0x7f00000, v6
	v_cndmask_b32_e32 v5, 0x7e, v5, vcc_lo
; %bb.562:
	s_andn2_saveexec_b32 s8, s8
; %bb.563:
	v_add_f32_e64 v5, 0x46800000, |v4|
; %bb.564:
	s_or_b32 exec_lo, exec_lo, s8
                                        ; implicit-def: $vgpr6
.LBB108_565:
	s_andn2_saveexec_b32 s7, s7
; %bb.566:
	v_mov_b32_e32 v5, 0x7f
	v_cmp_lt_u32_e32 vcc_lo, 0x7f800000, v6
	v_cndmask_b32_e32 v5, 0x7e, v5, vcc_lo
; %bb.567:
	s_or_b32 exec_lo, exec_lo, s7
	v_lshrrev_b32_e32 v4, 24, v4
	v_and_or_b32 v4, 0x80, v4, v5
	global_store_byte v[1:2], v4, off
.LBB108_568:
	s_mov_b32 s7, 0
.LBB108_569:
	s_andn2_b32 vcc_lo, exec_lo, s7
	s_cbranch_vccnz .LBB108_579
; %bb.570:
	v_cvt_f32_f16_e32 v4, v22
	s_mov_b32 s7, exec_lo
                                        ; implicit-def: $vgpr5
	v_and_b32_e32 v6, 0x7fffffff, v4
	v_cmpx_gt_u32_e32 0x47800000, v6
	s_xor_b32 s7, exec_lo, s7
	s_cbranch_execz .LBB108_576
; %bb.571:
	s_mov_b32 s8, exec_lo
                                        ; implicit-def: $vgpr5
	v_cmpx_lt_u32_e32 0x387fffff, v6
	s_xor_b32 s8, exec_lo, s8
; %bb.572:
	v_bfe_u32 v5, v4, 21, 1
	v_add3_u32 v5, v4, v5, 0x80fffff
	v_lshrrev_b32_e32 v5, 21, v5
; %bb.573:
	s_andn2_saveexec_b32 s8, s8
; %bb.574:
	v_add_f32_e64 v5, 0x43000000, |v4|
; %bb.575:
	s_or_b32 exec_lo, exec_lo, s8
                                        ; implicit-def: $vgpr6
.LBB108_576:
	s_andn2_saveexec_b32 s7, s7
; %bb.577:
	v_mov_b32_e32 v5, 0x7f
	v_cmp_lt_u32_e32 vcc_lo, 0x7f800000, v6
	v_cndmask_b32_e32 v5, 0x7c, v5, vcc_lo
; %bb.578:
	s_or_b32 exec_lo, exec_lo, s7
	v_lshrrev_b32_e32 v4, 24, v4
	v_and_or_b32 v4, 0x80, v4, v5
	global_store_byte v[1:2], v4, off
.LBB108_579:
	s_mov_b32 s7, 0
	s_mov_b32 s8, -1
.LBB108_580:
	s_andn2_b32 vcc_lo, exec_lo, s7
	s_mov_b32 s7, 0
	s_cbranch_vccnz .LBB108_587
; %bb.581:
	s_cmp_gt_i32 s6, 14
	s_mov_b32 s7, -1
	s_cbranch_scc0 .LBB108_585
; %bb.582:
	s_cmp_eq_u32 s6, 15
	s_mov_b32 s4, -1
	s_cbranch_scc0 .LBB108_584
; %bb.583:
	v_cvt_f32_f16_e32 v4, v22
	v_cmp_o_f16_e32 vcc_lo, v22, v22
	s_mov_b32 s4, 0
	s_mov_b32 s8, -1
	v_bfe_u32 v5, v4, 16, 1
	v_add3_u32 v4, v4, v5, 0x7fff
	v_mov_b32_e32 v5, 0x7fc0
	v_cndmask_b32_sdwa v4, v5, v4, vcc_lo dst_sel:DWORD dst_unused:UNUSED_PAD src0_sel:DWORD src1_sel:WORD_1
	global_store_short v[1:2], v4, off
.LBB108_584:
	s_mov_b32 s7, 0
.LBB108_585:
	s_and_b32 vcc_lo, exec_lo, s7
	s_mov_b32 s7, 0
	s_cbranch_vccz .LBB108_587
; %bb.586:
	s_cmp_lg_u32 s6, 11
	s_mov_b32 s7, -1
	s_cselect_b32 s4, -1, 0
.LBB108_587:
	s_and_b32 vcc_lo, exec_lo, s4
	s_mov_b32 s6, s25
	s_cbranch_vccnz .LBB108_991
; %bb.588:
	s_andn2_b32 vcc_lo, exec_lo, s7
	s_cbranch_vccnz .LBB108_590
.LBB108_589:
	v_and_b32_e32 v4, 0x7fff, v22
	s_mov_b32 s8, -1
	v_cmp_ne_u16_e32 vcc_lo, 0, v4
	v_cndmask_b32_e64 v4, 0, 1, vcc_lo
	global_store_byte v[1:2], v4, off
.LBB108_590:
.LBB108_591:
	s_andn2_b32 vcc_lo, exec_lo, s8
	s_cbranch_vccz .LBB108_631
	s_branch .LBB108_943
.LBB108_592:
	s_mov_b32 s8, 0
	s_mov_b32 s6, s25
	s_cbranch_execz .LBB108_591
; %bb.593:
	s_and_b32 s4, 0xffff, s5
	s_mov_b32 s7, -1
	s_cmp_lt_i32 s4, 5
	s_cbranch_scc1 .LBB108_614
; %bb.594:
	s_cmp_lt_i32 s4, 8
	s_cbranch_scc1 .LBB108_604
; %bb.595:
	;; [unrolled: 3-line block ×3, first 2 shown]
	s_cmp_gt_i32 s4, 9
	s_cbranch_scc0 .LBB108_598
; %bb.597:
	v_cvt_f32_f16_e32 v4, v22
	v_mov_b32_e32 v6, 0
	s_mov_b32 s7, 0
	v_cvt_f64_f32_e32 v[4:5], v4
	v_mov_b32_e32 v7, v6
	global_store_dwordx4 v[1:2], v[4:7], off
.LBB108_598:
	s_andn2_b32 vcc_lo, exec_lo, s7
	s_cbranch_vccnz .LBB108_600
; %bb.599:
	v_cvt_f32_f16_e32 v4, v22
	v_mov_b32_e32 v5, 0
	global_store_dwordx2 v[1:2], v[4:5], off
.LBB108_600:
	s_mov_b32 s7, 0
.LBB108_601:
	s_andn2_b32 vcc_lo, exec_lo, s7
	s_cbranch_vccnz .LBB108_603
; %bb.602:
	v_and_b32_e32 v4, 0xffff, v22
	global_store_dword v[1:2], v4, off
.LBB108_603:
	s_mov_b32 s7, 0
.LBB108_604:
	s_andn2_b32 vcc_lo, exec_lo, s7
	s_cbranch_vccnz .LBB108_613
; %bb.605:
	s_cmp_lt_i32 s4, 6
	s_mov_b32 s7, -1
	s_cbranch_scc1 .LBB108_611
; %bb.606:
	s_cmp_gt_i32 s4, 6
	s_cbranch_scc0 .LBB108_608
; %bb.607:
	v_cvt_f32_f16_e32 v4, v22
	s_mov_b32 s7, 0
	v_cvt_f64_f32_e32 v[4:5], v4
	global_store_dwordx2 v[1:2], v[4:5], off
.LBB108_608:
	s_andn2_b32 vcc_lo, exec_lo, s7
	s_cbranch_vccnz .LBB108_610
; %bb.609:
	v_cvt_f32_f16_e32 v4, v22
	global_store_dword v[1:2], v4, off
.LBB108_610:
	s_mov_b32 s7, 0
.LBB108_611:
	s_andn2_b32 vcc_lo, exec_lo, s7
	s_cbranch_vccnz .LBB108_613
; %bb.612:
	global_store_short v[1:2], v22, off
.LBB108_613:
	s_mov_b32 s7, 0
.LBB108_614:
	s_andn2_b32 vcc_lo, exec_lo, s7
	s_cbranch_vccnz .LBB108_630
; %bb.615:
	s_cmp_lt_i32 s4, 2
	s_mov_b32 s7, -1
	s_cbranch_scc1 .LBB108_625
; %bb.616:
	s_cmp_lt_i32 s4, 3
	s_cbranch_scc1 .LBB108_622
; %bb.617:
	s_cmp_gt_i32 s4, 3
	s_cbranch_scc0 .LBB108_619
; %bb.618:
	v_cvt_f32_f16_e32 v4, v22
	s_mov_b32 s7, 0
	v_cvt_i32_f32_e32 v4, v4
	v_ashrrev_i32_e32 v5, 31, v4
	global_store_dwordx2 v[1:2], v[4:5], off
.LBB108_619:
	s_andn2_b32 vcc_lo, exec_lo, s7
	s_cbranch_vccnz .LBB108_621
; %bb.620:
	v_cvt_f32_f16_e32 v4, v22
	v_cvt_i32_f32_e32 v4, v4
	global_store_dword v[1:2], v4, off
.LBB108_621:
	s_mov_b32 s7, 0
.LBB108_622:
	s_andn2_b32 vcc_lo, exec_lo, s7
	s_cbranch_vccnz .LBB108_624
; %bb.623:
	v_cvt_i16_f16_e32 v4, v22
	global_store_short v[1:2], v4, off
.LBB108_624:
	s_mov_b32 s7, 0
.LBB108_625:
	s_andn2_b32 vcc_lo, exec_lo, s7
	s_cbranch_vccnz .LBB108_630
; %bb.626:
	s_cmp_gt_i32 s4, 0
	s_mov_b32 s4, -1
	s_cbranch_scc0 .LBB108_628
; %bb.627:
	v_cvt_i16_f16_e32 v4, v22
	s_mov_b32 s4, 0
	global_store_byte v[1:2], v4, off
.LBB108_628:
	s_andn2_b32 vcc_lo, exec_lo, s4
	s_cbranch_vccnz .LBB108_630
; %bb.629:
	v_cvt_f32_f16_e32 v4, v22
	v_cvt_i32_f32_e32 v4, v4
	global_store_byte v[1:2], v4, off
.LBB108_630:
.LBB108_631:
	s_lshl_b32 s7, s40, 7
	s_cmp_lt_i32 s5, 11
	v_add_nc_u32_e32 v3, s7, v3
	v_ashrrev_i32_e32 v2, 31, v3
	v_add_co_u32 v1, vcc_lo, s36, v3
	v_add_co_ci_u32_e64 v2, null, s37, v2, vcc_lo
	s_cbranch_scc1 .LBB108_710
; %bb.632:
	s_and_b32 s8, 0xffff, s5
	s_mov_b32 s11, -1
	s_mov_b32 s9, 0
	s_cmp_gt_i32 s8, 25
	s_mov_b32 s10, 0
	s_mov_b32 s4, 0
	s_cbranch_scc0 .LBB108_665
; %bb.633:
	s_cmp_gt_i32 s8, 28
	s_cbranch_scc0 .LBB108_648
; %bb.634:
	s_cmp_gt_i32 s8, 43
	s_cbranch_scc0 .LBB108_644
; %bb.635:
	s_cmp_gt_i32 s8, 45
	s_cbranch_scc0 .LBB108_638
; %bb.636:
	s_mov_b32 s4, -1
	s_mov_b32 s11, 0
	s_cmp_eq_u32 s8, 46
	s_cbranch_scc0 .LBB108_638
; %bb.637:
	v_cvt_f32_f16_e32 v4, v21
	v_cmp_o_f16_e32 vcc_lo, v21, v21
	s_mov_b32 s4, 0
	s_mov_b32 s10, -1
	v_bfe_u32 v5, v4, 16, 1
	v_add3_u32 v4, v4, v5, 0x7fff
	v_mov_b32_e32 v5, 0x7fc0
	v_cndmask_b32_sdwa v4, v5, v4, vcc_lo dst_sel:DWORD dst_unused:UNUSED_PAD src0_sel:DWORD src1_sel:WORD_1
	global_store_dword v[1:2], v4, off
.LBB108_638:
	s_and_b32 vcc_lo, exec_lo, s11
	s_cbranch_vccz .LBB108_643
; %bb.639:
	s_cmp_eq_u32 s8, 44
	s_mov_b32 s4, -1
	s_cbranch_scc0 .LBB108_643
; %bb.640:
	v_cvt_f32_f16_e32 v4, v21
	v_mov_b32_e32 v5, 0xff
	s_mov_b32 s10, exec_lo
	v_bfe_u32 v6, v4, 23, 8
	v_cmpx_ne_u32_e32 0xff, v6
	s_cbranch_execz .LBB108_642
; %bb.641:
	v_and_b32_e32 v5, 0x400000, v4
	v_and_or_b32 v6, 0x3fffff, v4, v6
	v_lshrrev_b32_e32 v4, 23, v4
	v_cmp_ne_u32_e32 vcc_lo, 0, v5
	v_cmp_ne_u32_e64 s4, 0, v6
	s_and_b32 s4, vcc_lo, s4
	v_cndmask_b32_e64 v5, 0, 1, s4
	v_add_nc_u32_e32 v5, v4, v5
.LBB108_642:
	s_or_b32 exec_lo, exec_lo, s10
	s_mov_b32 s4, 0
	s_mov_b32 s10, -1
	global_store_byte v[1:2], v5, off
.LBB108_643:
	s_mov_b32 s11, 0
.LBB108_644:
	s_and_b32 vcc_lo, exec_lo, s11
	s_cbranch_vccz .LBB108_647
; %bb.645:
	s_cmp_eq_u32 s8, 29
	s_mov_b32 s4, -1
	s_cbranch_scc0 .LBB108_647
; %bb.646:
	v_cvt_f32_f16_e32 v4, v21
	v_mov_b32_e32 v5, 0
	s_mov_b32 s4, 0
	s_mov_b32 s10, -1
	v_cvt_u32_f32_e32 v4, v4
	global_store_dwordx2 v[1:2], v[4:5], off
.LBB108_647:
	s_mov_b32 s11, 0
.LBB108_648:
	s_and_b32 vcc_lo, exec_lo, s11
	s_cbranch_vccz .LBB108_664
; %bb.649:
	s_cmp_lt_i32 s8, 27
	s_mov_b32 s10, -1
	s_cbranch_scc1 .LBB108_655
; %bb.650:
	s_cmp_gt_i32 s8, 27
	s_cbranch_scc0 .LBB108_652
; %bb.651:
	v_cvt_f32_f16_e32 v4, v21
	s_mov_b32 s10, 0
	v_cvt_u32_f32_e32 v4, v4
	global_store_dword v[1:2], v4, off
.LBB108_652:
	s_andn2_b32 vcc_lo, exec_lo, s10
	s_cbranch_vccnz .LBB108_654
; %bb.653:
	v_cvt_u16_f16_e32 v4, v21
	global_store_short v[1:2], v4, off
.LBB108_654:
	s_mov_b32 s10, 0
.LBB108_655:
	s_andn2_b32 vcc_lo, exec_lo, s10
	s_cbranch_vccnz .LBB108_663
; %bb.656:
	v_cvt_f32_f16_e32 v4, v21
	v_mov_b32_e32 v6, 0x80
	s_mov_b32 s10, exec_lo
	v_and_b32_e32 v5, 0x7fffffff, v4
	v_cmpx_gt_u32_e32 0x43800000, v5
	s_cbranch_execz .LBB108_662
; %bb.657:
	v_cmp_lt_u32_e32 vcc_lo, 0x3bffffff, v5
	s_mov_b32 s11, 0
                                        ; implicit-def: $vgpr5
	s_and_saveexec_b32 s12, vcc_lo
	s_xor_b32 s12, exec_lo, s12
	s_cbranch_execz .LBB108_994
; %bb.658:
	v_bfe_u32 v5, v4, 20, 1
	s_mov_b32 s11, exec_lo
	v_add3_u32 v5, v4, v5, 0x487ffff
	v_lshrrev_b32_e32 v5, 20, v5
	s_andn2_saveexec_b32 s12, s12
	s_cbranch_execnz .LBB108_995
.LBB108_659:
	s_or_b32 exec_lo, exec_lo, s12
	v_mov_b32_e32 v6, 0
	s_and_saveexec_b32 s12, s11
.LBB108_660:
	v_lshrrev_b32_e32 v4, 24, v4
	v_and_or_b32 v6, 0x80, v4, v5
.LBB108_661:
	s_or_b32 exec_lo, exec_lo, s12
.LBB108_662:
	s_or_b32 exec_lo, exec_lo, s10
	global_store_byte v[1:2], v6, off
.LBB108_663:
	s_mov_b32 s10, -1
.LBB108_664:
	s_mov_b32 s11, 0
.LBB108_665:
	s_and_b32 vcc_lo, exec_lo, s11
	s_cbranch_vccz .LBB108_705
; %bb.666:
	s_cmp_gt_i32 s8, 22
	s_mov_b32 s9, -1
	s_cbranch_scc0 .LBB108_698
; %bb.667:
	s_cmp_lt_i32 s8, 24
	s_cbranch_scc1 .LBB108_687
; %bb.668:
	s_cmp_gt_i32 s8, 24
	s_cbranch_scc0 .LBB108_676
; %bb.669:
	v_cvt_f32_f16_e32 v4, v21
	v_mov_b32_e32 v6, 0x80
	s_mov_b32 s9, exec_lo
	v_and_b32_e32 v5, 0x7fffffff, v4
	v_cmpx_gt_u32_e32 0x47800000, v5
	s_cbranch_execz .LBB108_675
; %bb.670:
	v_cmp_lt_u32_e32 vcc_lo, 0x37ffffff, v5
	s_mov_b32 s10, 0
                                        ; implicit-def: $vgpr5
	s_and_saveexec_b32 s11, vcc_lo
	s_xor_b32 s11, exec_lo, s11
	s_cbranch_execz .LBB108_997
; %bb.671:
	v_bfe_u32 v5, v4, 21, 1
	s_mov_b32 s10, exec_lo
	v_add3_u32 v5, v4, v5, 0x88fffff
	v_lshrrev_b32_e32 v5, 21, v5
	s_andn2_saveexec_b32 s11, s11
	s_cbranch_execnz .LBB108_998
.LBB108_672:
	s_or_b32 exec_lo, exec_lo, s11
	v_mov_b32_e32 v6, 0
	s_and_saveexec_b32 s11, s10
.LBB108_673:
	v_lshrrev_b32_e32 v4, 24, v4
	v_and_or_b32 v6, 0x80, v4, v5
.LBB108_674:
	s_or_b32 exec_lo, exec_lo, s11
.LBB108_675:
	s_or_b32 exec_lo, exec_lo, s9
	s_mov_b32 s9, 0
	global_store_byte v[1:2], v6, off
.LBB108_676:
	s_and_b32 vcc_lo, exec_lo, s9
	s_cbranch_vccz .LBB108_686
; %bb.677:
	v_cvt_f32_f16_e32 v4, v21
	s_mov_b32 s9, exec_lo
                                        ; implicit-def: $vgpr5
	v_and_b32_e32 v6, 0x7fffffff, v4
	v_cmpx_gt_u32_e32 0x43f00000, v6
	s_xor_b32 s9, exec_lo, s9
	s_cbranch_execz .LBB108_683
; %bb.678:
	s_mov_b32 s10, exec_lo
                                        ; implicit-def: $vgpr5
	v_cmpx_lt_u32_e32 0x3c7fffff, v6
	s_xor_b32 s10, exec_lo, s10
; %bb.679:
	v_bfe_u32 v5, v4, 20, 1
	v_add3_u32 v5, v4, v5, 0x407ffff
	v_and_b32_e32 v6, 0xff00000, v5
	v_lshrrev_b32_e32 v5, 20, v5
	v_cmp_ne_u32_e32 vcc_lo, 0x7f00000, v6
	v_cndmask_b32_e32 v5, 0x7e, v5, vcc_lo
; %bb.680:
	s_andn2_saveexec_b32 s10, s10
; %bb.681:
	v_add_f32_e64 v5, 0x46800000, |v4|
; %bb.682:
	s_or_b32 exec_lo, exec_lo, s10
                                        ; implicit-def: $vgpr6
.LBB108_683:
	s_andn2_saveexec_b32 s9, s9
; %bb.684:
	v_mov_b32_e32 v5, 0x7f
	v_cmp_lt_u32_e32 vcc_lo, 0x7f800000, v6
	v_cndmask_b32_e32 v5, 0x7e, v5, vcc_lo
; %bb.685:
	s_or_b32 exec_lo, exec_lo, s9
	v_lshrrev_b32_e32 v4, 24, v4
	v_and_or_b32 v4, 0x80, v4, v5
	global_store_byte v[1:2], v4, off
.LBB108_686:
	s_mov_b32 s9, 0
.LBB108_687:
	s_andn2_b32 vcc_lo, exec_lo, s9
	s_cbranch_vccnz .LBB108_697
; %bb.688:
	v_cvt_f32_f16_e32 v4, v21
	s_mov_b32 s9, exec_lo
                                        ; implicit-def: $vgpr5
	v_and_b32_e32 v6, 0x7fffffff, v4
	v_cmpx_gt_u32_e32 0x47800000, v6
	s_xor_b32 s9, exec_lo, s9
	s_cbranch_execz .LBB108_694
; %bb.689:
	s_mov_b32 s10, exec_lo
                                        ; implicit-def: $vgpr5
	v_cmpx_lt_u32_e32 0x387fffff, v6
	s_xor_b32 s10, exec_lo, s10
; %bb.690:
	v_bfe_u32 v5, v4, 21, 1
	v_add3_u32 v5, v4, v5, 0x80fffff
	v_lshrrev_b32_e32 v5, 21, v5
; %bb.691:
	s_andn2_saveexec_b32 s10, s10
; %bb.692:
	v_add_f32_e64 v5, 0x43000000, |v4|
; %bb.693:
	s_or_b32 exec_lo, exec_lo, s10
                                        ; implicit-def: $vgpr6
.LBB108_694:
	s_andn2_saveexec_b32 s9, s9
; %bb.695:
	v_mov_b32_e32 v5, 0x7f
	v_cmp_lt_u32_e32 vcc_lo, 0x7f800000, v6
	v_cndmask_b32_e32 v5, 0x7c, v5, vcc_lo
; %bb.696:
	s_or_b32 exec_lo, exec_lo, s9
	v_lshrrev_b32_e32 v4, 24, v4
	v_and_or_b32 v4, 0x80, v4, v5
	global_store_byte v[1:2], v4, off
.LBB108_697:
	s_mov_b32 s9, 0
	s_mov_b32 s10, -1
.LBB108_698:
	s_andn2_b32 vcc_lo, exec_lo, s9
	s_mov_b32 s9, 0
	s_cbranch_vccnz .LBB108_705
; %bb.699:
	s_cmp_gt_i32 s8, 14
	s_mov_b32 s9, -1
	s_cbranch_scc0 .LBB108_703
; %bb.700:
	s_cmp_eq_u32 s8, 15
	s_mov_b32 s4, -1
	s_cbranch_scc0 .LBB108_702
; %bb.701:
	v_cvt_f32_f16_e32 v4, v21
	v_cmp_o_f16_e32 vcc_lo, v21, v21
	s_mov_b32 s4, 0
	s_mov_b32 s10, -1
	v_bfe_u32 v5, v4, 16, 1
	v_add3_u32 v4, v4, v5, 0x7fff
	v_mov_b32_e32 v5, 0x7fc0
	v_cndmask_b32_sdwa v4, v5, v4, vcc_lo dst_sel:DWORD dst_unused:UNUSED_PAD src0_sel:DWORD src1_sel:WORD_1
	global_store_short v[1:2], v4, off
.LBB108_702:
	s_mov_b32 s9, 0
.LBB108_703:
	s_and_b32 vcc_lo, exec_lo, s9
	s_mov_b32 s9, 0
	s_cbranch_vccz .LBB108_705
; %bb.704:
	s_cmp_lg_u32 s8, 11
	s_mov_b32 s9, -1
	s_cselect_b32 s4, -1, 0
.LBB108_705:
	s_and_b32 vcc_lo, exec_lo, s4
	s_cbranch_vccnz .LBB108_996
; %bb.706:
	s_andn2_b32 vcc_lo, exec_lo, s9
	s_cbranch_vccnz .LBB108_708
.LBB108_707:
	v_and_b32_e32 v4, 0x7fff, v21
	s_mov_b32 s10, -1
	v_cmp_ne_u16_e32 vcc_lo, 0, v4
	v_cndmask_b32_e64 v4, 0, 1, vcc_lo
	global_store_byte v[1:2], v4, off
.LBB108_708:
.LBB108_709:
	s_andn2_b32 vcc_lo, exec_lo, s10
	s_cbranch_vccz .LBB108_749
	s_branch .LBB108_943
.LBB108_710:
	s_mov_b32 s10, 0
	s_cbranch_execz .LBB108_709
; %bb.711:
	s_and_b32 s4, 0xffff, s5
	s_mov_b32 s8, -1
	s_cmp_lt_i32 s4, 5
	s_cbranch_scc1 .LBB108_732
; %bb.712:
	s_cmp_lt_i32 s4, 8
	s_cbranch_scc1 .LBB108_722
; %bb.713:
	s_cmp_lt_i32 s4, 9
	s_cbranch_scc1 .LBB108_719
; %bb.714:
	s_cmp_gt_i32 s4, 9
	s_cbranch_scc0 .LBB108_716
; %bb.715:
	v_cvt_f32_f16_e32 v4, v21
	v_mov_b32_e32 v6, 0
	s_mov_b32 s8, 0
	v_cvt_f64_f32_e32 v[4:5], v4
	v_mov_b32_e32 v7, v6
	global_store_dwordx4 v[1:2], v[4:7], off
.LBB108_716:
	s_andn2_b32 vcc_lo, exec_lo, s8
	s_cbranch_vccnz .LBB108_718
; %bb.717:
	v_cvt_f32_f16_e32 v4, v21
	v_mov_b32_e32 v5, 0
	global_store_dwordx2 v[1:2], v[4:5], off
.LBB108_718:
	s_mov_b32 s8, 0
.LBB108_719:
	s_andn2_b32 vcc_lo, exec_lo, s8
	s_cbranch_vccnz .LBB108_721
; %bb.720:
	v_and_b32_e32 v4, 0xffff, v21
	global_store_dword v[1:2], v4, off
.LBB108_721:
	s_mov_b32 s8, 0
.LBB108_722:
	s_andn2_b32 vcc_lo, exec_lo, s8
	s_cbranch_vccnz .LBB108_731
; %bb.723:
	s_cmp_lt_i32 s4, 6
	s_mov_b32 s8, -1
	s_cbranch_scc1 .LBB108_729
; %bb.724:
	s_cmp_gt_i32 s4, 6
	s_cbranch_scc0 .LBB108_726
; %bb.725:
	v_cvt_f32_f16_e32 v4, v21
	s_mov_b32 s8, 0
	v_cvt_f64_f32_e32 v[4:5], v4
	global_store_dwordx2 v[1:2], v[4:5], off
.LBB108_726:
	s_andn2_b32 vcc_lo, exec_lo, s8
	s_cbranch_vccnz .LBB108_728
; %bb.727:
	v_cvt_f32_f16_e32 v4, v21
	global_store_dword v[1:2], v4, off
.LBB108_728:
	s_mov_b32 s8, 0
.LBB108_729:
	s_andn2_b32 vcc_lo, exec_lo, s8
	s_cbranch_vccnz .LBB108_731
; %bb.730:
	global_store_short v[1:2], v21, off
.LBB108_731:
	s_mov_b32 s8, 0
.LBB108_732:
	s_andn2_b32 vcc_lo, exec_lo, s8
	s_cbranch_vccnz .LBB108_748
; %bb.733:
	s_cmp_lt_i32 s4, 2
	s_mov_b32 s8, -1
	s_cbranch_scc1 .LBB108_743
; %bb.734:
	s_cmp_lt_i32 s4, 3
	s_cbranch_scc1 .LBB108_740
; %bb.735:
	s_cmp_gt_i32 s4, 3
	s_cbranch_scc0 .LBB108_737
; %bb.736:
	v_cvt_f32_f16_e32 v4, v21
	s_mov_b32 s8, 0
	v_cvt_i32_f32_e32 v4, v4
	v_ashrrev_i32_e32 v5, 31, v4
	global_store_dwordx2 v[1:2], v[4:5], off
.LBB108_737:
	s_andn2_b32 vcc_lo, exec_lo, s8
	s_cbranch_vccnz .LBB108_739
; %bb.738:
	v_cvt_f32_f16_e32 v4, v21
	v_cvt_i32_f32_e32 v4, v4
	global_store_dword v[1:2], v4, off
.LBB108_739:
	s_mov_b32 s8, 0
.LBB108_740:
	s_andn2_b32 vcc_lo, exec_lo, s8
	s_cbranch_vccnz .LBB108_742
; %bb.741:
	v_cvt_i16_f16_e32 v4, v21
	global_store_short v[1:2], v4, off
.LBB108_742:
	s_mov_b32 s8, 0
.LBB108_743:
	s_andn2_b32 vcc_lo, exec_lo, s8
	s_cbranch_vccnz .LBB108_748
; %bb.744:
	s_cmp_gt_i32 s4, 0
	s_mov_b32 s4, -1
	s_cbranch_scc0 .LBB108_746
; %bb.745:
	v_cvt_i16_f16_e32 v4, v21
	s_mov_b32 s4, 0
	global_store_byte v[1:2], v4, off
.LBB108_746:
	s_andn2_b32 vcc_lo, exec_lo, s4
	s_cbranch_vccnz .LBB108_748
; %bb.747:
	v_cvt_f32_f16_e32 v4, v21
	v_cvt_i32_f32_e32 v4, v4
	global_store_byte v[1:2], v4, off
.LBB108_748:
.LBB108_749:
	v_add_nc_u32_e32 v3, s7, v3
	s_cmp_lt_i32 s5, 11
	v_ashrrev_i32_e32 v2, 31, v3
	v_add_co_u32 v1, vcc_lo, s36, v3
	v_add_co_ci_u32_e64 v2, null, s37, v2, vcc_lo
	s_cbranch_scc1 .LBB108_904
; %bb.750:
	s_and_b32 s8, 0xffff, s5
	s_mov_b32 s11, -1
	s_mov_b32 s9, 0
	s_cmp_gt_i32 s8, 25
	s_mov_b32 s10, 0
	s_mov_b32 s4, 0
	s_cbranch_scc0 .LBB108_783
; %bb.751:
	s_cmp_gt_i32 s8, 28
	s_cbranch_scc0 .LBB108_766
; %bb.752:
	s_cmp_gt_i32 s8, 43
	;; [unrolled: 3-line block ×3, first 2 shown]
	s_cbranch_scc0 .LBB108_756
; %bb.754:
	s_mov_b32 s4, -1
	s_mov_b32 s11, 0
	s_cmp_eq_u32 s8, 46
	s_cbranch_scc0 .LBB108_756
; %bb.755:
	v_cvt_f32_f16_e32 v4, v20
	v_cmp_o_f16_e32 vcc_lo, v20, v20
	s_mov_b32 s4, 0
	s_mov_b32 s10, -1
	v_bfe_u32 v5, v4, 16, 1
	v_add3_u32 v4, v4, v5, 0x7fff
	v_mov_b32_e32 v5, 0x7fc0
	v_cndmask_b32_sdwa v4, v5, v4, vcc_lo dst_sel:DWORD dst_unused:UNUSED_PAD src0_sel:DWORD src1_sel:WORD_1
	global_store_dword v[1:2], v4, off
.LBB108_756:
	s_and_b32 vcc_lo, exec_lo, s11
	s_cbranch_vccz .LBB108_761
; %bb.757:
	s_cmp_eq_u32 s8, 44
	s_mov_b32 s4, -1
	s_cbranch_scc0 .LBB108_761
; %bb.758:
	v_cvt_f32_f16_e32 v4, v20
	v_mov_b32_e32 v5, 0xff
	s_mov_b32 s10, exec_lo
	v_bfe_u32 v6, v4, 23, 8
	v_cmpx_ne_u32_e32 0xff, v6
	s_cbranch_execz .LBB108_760
; %bb.759:
	v_and_b32_e32 v5, 0x400000, v4
	v_and_or_b32 v6, 0x3fffff, v4, v6
	v_lshrrev_b32_e32 v4, 23, v4
	v_cmp_ne_u32_e32 vcc_lo, 0, v5
	v_cmp_ne_u32_e64 s4, 0, v6
	s_and_b32 s4, vcc_lo, s4
	v_cndmask_b32_e64 v5, 0, 1, s4
	v_add_nc_u32_e32 v5, v4, v5
.LBB108_760:
	s_or_b32 exec_lo, exec_lo, s10
	s_mov_b32 s4, 0
	s_mov_b32 s10, -1
	global_store_byte v[1:2], v5, off
.LBB108_761:
	s_mov_b32 s11, 0
.LBB108_762:
	s_and_b32 vcc_lo, exec_lo, s11
	s_cbranch_vccz .LBB108_765
; %bb.763:
	s_cmp_eq_u32 s8, 29
	s_mov_b32 s4, -1
	s_cbranch_scc0 .LBB108_765
; %bb.764:
	v_cvt_f32_f16_e32 v4, v20
	v_mov_b32_e32 v5, 0
	s_mov_b32 s4, 0
	s_mov_b32 s10, -1
	v_cvt_u32_f32_e32 v4, v4
	global_store_dwordx2 v[1:2], v[4:5], off
.LBB108_765:
	s_mov_b32 s11, 0
.LBB108_766:
	s_and_b32 vcc_lo, exec_lo, s11
	s_cbranch_vccz .LBB108_782
; %bb.767:
	s_cmp_lt_i32 s8, 27
	s_mov_b32 s10, -1
	s_cbranch_scc1 .LBB108_773
; %bb.768:
	s_cmp_gt_i32 s8, 27
	s_cbranch_scc0 .LBB108_770
; %bb.769:
	v_cvt_f32_f16_e32 v4, v20
	s_mov_b32 s10, 0
	v_cvt_u32_f32_e32 v4, v4
	global_store_dword v[1:2], v4, off
.LBB108_770:
	s_andn2_b32 vcc_lo, exec_lo, s10
	s_cbranch_vccnz .LBB108_772
; %bb.771:
	v_cvt_u16_f16_e32 v4, v20
	global_store_short v[1:2], v4, off
.LBB108_772:
	s_mov_b32 s10, 0
.LBB108_773:
	s_andn2_b32 vcc_lo, exec_lo, s10
	s_cbranch_vccnz .LBB108_781
; %bb.774:
	v_cvt_f32_f16_e32 v4, v20
	v_mov_b32_e32 v6, 0x80
	s_mov_b32 s10, exec_lo
	v_and_b32_e32 v5, 0x7fffffff, v4
	v_cmpx_gt_u32_e32 0x43800000, v5
	s_cbranch_execz .LBB108_780
; %bb.775:
	v_cmp_lt_u32_e32 vcc_lo, 0x3bffffff, v5
	s_mov_b32 s11, 0
                                        ; implicit-def: $vgpr5
	s_and_saveexec_b32 s12, vcc_lo
	s_xor_b32 s12, exec_lo, s12
	s_cbranch_execz .LBB108_999
; %bb.776:
	v_bfe_u32 v5, v4, 20, 1
	s_mov_b32 s11, exec_lo
	v_add3_u32 v5, v4, v5, 0x487ffff
	v_lshrrev_b32_e32 v5, 20, v5
	s_andn2_saveexec_b32 s12, s12
	s_cbranch_execnz .LBB108_1000
.LBB108_777:
	s_or_b32 exec_lo, exec_lo, s12
	v_mov_b32_e32 v6, 0
	s_and_saveexec_b32 s12, s11
.LBB108_778:
	v_lshrrev_b32_e32 v4, 24, v4
	v_and_or_b32 v6, 0x80, v4, v5
.LBB108_779:
	s_or_b32 exec_lo, exec_lo, s12
.LBB108_780:
	s_or_b32 exec_lo, exec_lo, s10
	global_store_byte v[1:2], v6, off
.LBB108_781:
	s_mov_b32 s10, -1
.LBB108_782:
	s_mov_b32 s11, 0
.LBB108_783:
	s_and_b32 vcc_lo, exec_lo, s11
	s_cbranch_vccz .LBB108_823
; %bb.784:
	s_cmp_gt_i32 s8, 22
	s_mov_b32 s9, -1
	s_cbranch_scc0 .LBB108_816
; %bb.785:
	s_cmp_lt_i32 s8, 24
	s_cbranch_scc1 .LBB108_805
; %bb.786:
	s_cmp_gt_i32 s8, 24
	s_cbranch_scc0 .LBB108_794
; %bb.787:
	v_cvt_f32_f16_e32 v4, v20
	v_mov_b32_e32 v6, 0x80
	s_mov_b32 s9, exec_lo
	v_and_b32_e32 v5, 0x7fffffff, v4
	v_cmpx_gt_u32_e32 0x47800000, v5
	s_cbranch_execz .LBB108_793
; %bb.788:
	v_cmp_lt_u32_e32 vcc_lo, 0x37ffffff, v5
	s_mov_b32 s10, 0
                                        ; implicit-def: $vgpr5
	s_and_saveexec_b32 s11, vcc_lo
	s_xor_b32 s11, exec_lo, s11
	s_cbranch_execz .LBB108_1002
; %bb.789:
	v_bfe_u32 v5, v4, 21, 1
	s_mov_b32 s10, exec_lo
	v_add3_u32 v5, v4, v5, 0x88fffff
	v_lshrrev_b32_e32 v5, 21, v5
	s_andn2_saveexec_b32 s11, s11
	s_cbranch_execnz .LBB108_1003
.LBB108_790:
	s_or_b32 exec_lo, exec_lo, s11
	v_mov_b32_e32 v6, 0
	s_and_saveexec_b32 s11, s10
.LBB108_791:
	v_lshrrev_b32_e32 v4, 24, v4
	v_and_or_b32 v6, 0x80, v4, v5
.LBB108_792:
	s_or_b32 exec_lo, exec_lo, s11
.LBB108_793:
	s_or_b32 exec_lo, exec_lo, s9
	s_mov_b32 s9, 0
	global_store_byte v[1:2], v6, off
.LBB108_794:
	s_and_b32 vcc_lo, exec_lo, s9
	s_cbranch_vccz .LBB108_804
; %bb.795:
	v_cvt_f32_f16_e32 v4, v20
	s_mov_b32 s9, exec_lo
                                        ; implicit-def: $vgpr5
	v_and_b32_e32 v6, 0x7fffffff, v4
	v_cmpx_gt_u32_e32 0x43f00000, v6
	s_xor_b32 s9, exec_lo, s9
	s_cbranch_execz .LBB108_801
; %bb.796:
	s_mov_b32 s10, exec_lo
                                        ; implicit-def: $vgpr5
	v_cmpx_lt_u32_e32 0x3c7fffff, v6
	s_xor_b32 s10, exec_lo, s10
; %bb.797:
	v_bfe_u32 v5, v4, 20, 1
	v_add3_u32 v5, v4, v5, 0x407ffff
	v_and_b32_e32 v6, 0xff00000, v5
	v_lshrrev_b32_e32 v5, 20, v5
	v_cmp_ne_u32_e32 vcc_lo, 0x7f00000, v6
	v_cndmask_b32_e32 v5, 0x7e, v5, vcc_lo
; %bb.798:
	s_andn2_saveexec_b32 s10, s10
; %bb.799:
	v_add_f32_e64 v5, 0x46800000, |v4|
; %bb.800:
	s_or_b32 exec_lo, exec_lo, s10
                                        ; implicit-def: $vgpr6
.LBB108_801:
	s_andn2_saveexec_b32 s9, s9
; %bb.802:
	v_mov_b32_e32 v5, 0x7f
	v_cmp_lt_u32_e32 vcc_lo, 0x7f800000, v6
	v_cndmask_b32_e32 v5, 0x7e, v5, vcc_lo
; %bb.803:
	s_or_b32 exec_lo, exec_lo, s9
	v_lshrrev_b32_e32 v4, 24, v4
	v_and_or_b32 v4, 0x80, v4, v5
	global_store_byte v[1:2], v4, off
.LBB108_804:
	s_mov_b32 s9, 0
.LBB108_805:
	s_andn2_b32 vcc_lo, exec_lo, s9
	s_cbranch_vccnz .LBB108_815
; %bb.806:
	v_cvt_f32_f16_e32 v4, v20
	s_mov_b32 s9, exec_lo
                                        ; implicit-def: $vgpr5
	v_and_b32_e32 v6, 0x7fffffff, v4
	v_cmpx_gt_u32_e32 0x47800000, v6
	s_xor_b32 s9, exec_lo, s9
	s_cbranch_execz .LBB108_812
; %bb.807:
	s_mov_b32 s10, exec_lo
                                        ; implicit-def: $vgpr5
	v_cmpx_lt_u32_e32 0x387fffff, v6
	s_xor_b32 s10, exec_lo, s10
; %bb.808:
	v_bfe_u32 v5, v4, 21, 1
	v_add3_u32 v5, v4, v5, 0x80fffff
	v_lshrrev_b32_e32 v5, 21, v5
; %bb.809:
	s_andn2_saveexec_b32 s10, s10
; %bb.810:
	v_add_f32_e64 v5, 0x43000000, |v4|
; %bb.811:
	s_or_b32 exec_lo, exec_lo, s10
                                        ; implicit-def: $vgpr6
.LBB108_812:
	s_andn2_saveexec_b32 s9, s9
; %bb.813:
	v_mov_b32_e32 v5, 0x7f
	v_cmp_lt_u32_e32 vcc_lo, 0x7f800000, v6
	v_cndmask_b32_e32 v5, 0x7c, v5, vcc_lo
; %bb.814:
	s_or_b32 exec_lo, exec_lo, s9
	v_lshrrev_b32_e32 v4, 24, v4
	v_and_or_b32 v4, 0x80, v4, v5
	global_store_byte v[1:2], v4, off
.LBB108_815:
	s_mov_b32 s9, 0
	s_mov_b32 s10, -1
.LBB108_816:
	s_andn2_b32 vcc_lo, exec_lo, s9
	s_mov_b32 s9, 0
	s_cbranch_vccnz .LBB108_823
; %bb.817:
	s_cmp_gt_i32 s8, 14
	s_mov_b32 s9, -1
	s_cbranch_scc0 .LBB108_821
; %bb.818:
	s_cmp_eq_u32 s8, 15
	s_mov_b32 s4, -1
	s_cbranch_scc0 .LBB108_820
; %bb.819:
	v_cvt_f32_f16_e32 v4, v20
	v_cmp_o_f16_e32 vcc_lo, v20, v20
	s_mov_b32 s4, 0
	s_mov_b32 s10, -1
	v_bfe_u32 v5, v4, 16, 1
	v_add3_u32 v4, v4, v5, 0x7fff
	v_mov_b32_e32 v5, 0x7fc0
	v_cndmask_b32_sdwa v4, v5, v4, vcc_lo dst_sel:DWORD dst_unused:UNUSED_PAD src0_sel:DWORD src1_sel:WORD_1
	global_store_short v[1:2], v4, off
.LBB108_820:
	s_mov_b32 s9, 0
.LBB108_821:
	s_and_b32 vcc_lo, exec_lo, s9
	s_mov_b32 s9, 0
	s_cbranch_vccz .LBB108_823
; %bb.822:
	s_cmp_lg_u32 s8, 11
	s_mov_b32 s9, -1
	s_cselect_b32 s4, -1, 0
.LBB108_823:
	s_and_b32 vcc_lo, exec_lo, s4
	s_cbranch_vccnz .LBB108_1001
; %bb.824:
	s_andn2_b32 vcc_lo, exec_lo, s9
	s_cbranch_vccnz .LBB108_826
.LBB108_825:
	v_and_b32_e32 v4, 0x7fff, v20
	s_mov_b32 s10, -1
	v_cmp_ne_u16_e32 vcc_lo, 0, v4
	v_cndmask_b32_e64 v4, 0, 1, vcc_lo
	global_store_byte v[1:2], v4, off
.LBB108_826:
.LBB108_827:
	s_andn2_b32 vcc_lo, exec_lo, s10
	s_cbranch_vccnz .LBB108_943
.LBB108_828:
	v_add_nc_u32_e32 v1, s7, v3
	s_cmp_lt_i32 s5, 11
	v_ashrrev_i32_e32 v2, 31, v1
	v_add_co_u32 v1, vcc_lo, s36, v1
	v_add_co_ci_u32_e64 v2, null, s37, v2, vcc_lo
	s_cbranch_scc1 .LBB108_988
; %bb.829:
	s_and_b32 s7, 0xffff, s5
	s_mov_b32 s9, -1
	s_mov_b32 s8, 0
	s_cmp_gt_i32 s7, 25
	s_mov_b32 s4, 0
	s_cbranch_scc0 .LBB108_862
; %bb.830:
	s_cmp_gt_i32 s7, 28
	s_cbranch_scc0 .LBB108_846
; %bb.831:
	s_cmp_gt_i32 s7, 43
	;; [unrolled: 3-line block ×3, first 2 shown]
	s_cbranch_scc0 .LBB108_836
; %bb.833:
	s_cmp_eq_u32 s7, 46
	s_mov_b32 s4, -1
	s_cbranch_scc0 .LBB108_835
; %bb.834:
	v_cvt_f32_f16_e32 v3, v0
	v_cmp_o_f16_e32 vcc_lo, v0, v0
	s_mov_b32 s4, 0
	v_bfe_u32 v4, v3, 16, 1
	v_add3_u32 v3, v3, v4, 0x7fff
	v_mov_b32_e32 v4, 0x7fc0
	v_cndmask_b32_sdwa v3, v4, v3, vcc_lo dst_sel:DWORD dst_unused:UNUSED_PAD src0_sel:DWORD src1_sel:WORD_1
	global_store_dword v[1:2], v3, off
.LBB108_835:
	s_mov_b32 s9, 0
.LBB108_836:
	s_and_b32 vcc_lo, exec_lo, s9
	s_cbranch_vccz .LBB108_841
; %bb.837:
	s_cmp_eq_u32 s7, 44
	s_mov_b32 s4, -1
	s_cbranch_scc0 .LBB108_841
; %bb.838:
	v_cvt_f32_f16_e32 v3, v0
	v_mov_b32_e32 v4, 0xff
	s_mov_b32 s9, exec_lo
	v_bfe_u32 v5, v3, 23, 8
	v_cmpx_ne_u32_e32 0xff, v5
	s_cbranch_execz .LBB108_840
; %bb.839:
	v_and_b32_e32 v4, 0x400000, v3
	v_and_or_b32 v5, 0x3fffff, v3, v5
	v_lshrrev_b32_e32 v3, 23, v3
	v_cmp_ne_u32_e32 vcc_lo, 0, v4
	v_cmp_ne_u32_e64 s4, 0, v5
	s_and_b32 s4, vcc_lo, s4
	v_cndmask_b32_e64 v4, 0, 1, s4
	v_add_nc_u32_e32 v4, v3, v4
.LBB108_840:
	s_or_b32 exec_lo, exec_lo, s9
	s_mov_b32 s4, 0
	global_store_byte v[1:2], v4, off
.LBB108_841:
	s_mov_b32 s9, 0
.LBB108_842:
	s_and_b32 vcc_lo, exec_lo, s9
	s_cbranch_vccz .LBB108_845
; %bb.843:
	s_cmp_eq_u32 s7, 29
	s_mov_b32 s4, -1
	s_cbranch_scc0 .LBB108_845
; %bb.844:
	v_cvt_f32_f16_e32 v3, v0
	v_mov_b32_e32 v4, 0
	s_mov_b32 s4, 0
	v_cvt_u32_f32_e32 v3, v3
	global_store_dwordx2 v[1:2], v[3:4], off
.LBB108_845:
	s_mov_b32 s9, 0
.LBB108_846:
	s_and_b32 vcc_lo, exec_lo, s9
	s_cbranch_vccz .LBB108_861
; %bb.847:
	s_cmp_lt_i32 s7, 27
	s_mov_b32 s9, -1
	s_cbranch_scc1 .LBB108_853
; %bb.848:
	s_cmp_gt_i32 s7, 27
	s_cbranch_scc0 .LBB108_850
; %bb.849:
	v_cvt_f32_f16_e32 v3, v0
	s_mov_b32 s9, 0
	v_cvt_u32_f32_e32 v3, v3
	global_store_dword v[1:2], v3, off
.LBB108_850:
	s_andn2_b32 vcc_lo, exec_lo, s9
	s_cbranch_vccnz .LBB108_852
; %bb.851:
	v_cvt_u16_f16_e32 v3, v0
	global_store_short v[1:2], v3, off
.LBB108_852:
	s_mov_b32 s9, 0
.LBB108_853:
	s_andn2_b32 vcc_lo, exec_lo, s9
	s_cbranch_vccnz .LBB108_861
; %bb.854:
	v_cvt_f32_f16_e32 v3, v0
	v_mov_b32_e32 v5, 0x80
	s_mov_b32 s9, exec_lo
	v_and_b32_e32 v4, 0x7fffffff, v3
	v_cmpx_gt_u32_e32 0x43800000, v4
	s_cbranch_execz .LBB108_860
; %bb.855:
	v_cmp_lt_u32_e32 vcc_lo, 0x3bffffff, v4
	s_mov_b32 s10, 0
                                        ; implicit-def: $vgpr4
	s_and_saveexec_b32 s11, vcc_lo
	s_xor_b32 s11, exec_lo, s11
	s_cbranch_execz .LBB108_1004
; %bb.856:
	v_bfe_u32 v4, v3, 20, 1
	s_mov_b32 s10, exec_lo
	v_add3_u32 v4, v3, v4, 0x487ffff
	v_lshrrev_b32_e32 v4, 20, v4
	s_andn2_saveexec_b32 s11, s11
	s_cbranch_execnz .LBB108_1005
.LBB108_857:
	s_or_b32 exec_lo, exec_lo, s11
	v_mov_b32_e32 v5, 0
	s_and_saveexec_b32 s11, s10
.LBB108_858:
	v_lshrrev_b32_e32 v3, 24, v3
	v_and_or_b32 v5, 0x80, v3, v4
.LBB108_859:
	s_or_b32 exec_lo, exec_lo, s11
.LBB108_860:
	s_or_b32 exec_lo, exec_lo, s9
	global_store_byte v[1:2], v5, off
.LBB108_861:
	s_mov_b32 s9, 0
.LBB108_862:
	s_and_b32 vcc_lo, exec_lo, s9
	s_cbranch_vccz .LBB108_902
; %bb.863:
	s_cmp_gt_i32 s7, 22
	s_mov_b32 s8, -1
	s_cbranch_scc0 .LBB108_895
; %bb.864:
	s_cmp_lt_i32 s7, 24
	s_cbranch_scc1 .LBB108_884
; %bb.865:
	s_cmp_gt_i32 s7, 24
	s_cbranch_scc0 .LBB108_873
; %bb.866:
	v_cvt_f32_f16_e32 v3, v0
	v_mov_b32_e32 v5, 0x80
	s_mov_b32 s8, exec_lo
	v_and_b32_e32 v4, 0x7fffffff, v3
	v_cmpx_gt_u32_e32 0x47800000, v4
	s_cbranch_execz .LBB108_872
; %bb.867:
	v_cmp_lt_u32_e32 vcc_lo, 0x37ffffff, v4
	s_mov_b32 s9, 0
                                        ; implicit-def: $vgpr4
	s_and_saveexec_b32 s10, vcc_lo
	s_xor_b32 s10, exec_lo, s10
	s_cbranch_execz .LBB108_1009
; %bb.868:
	v_bfe_u32 v4, v3, 21, 1
	s_mov_b32 s9, exec_lo
	v_add3_u32 v4, v3, v4, 0x88fffff
	v_lshrrev_b32_e32 v4, 21, v4
	s_andn2_saveexec_b32 s10, s10
	s_cbranch_execnz .LBB108_1010
.LBB108_869:
	s_or_b32 exec_lo, exec_lo, s10
	v_mov_b32_e32 v5, 0
	s_and_saveexec_b32 s10, s9
.LBB108_870:
	v_lshrrev_b32_e32 v3, 24, v3
	v_and_or_b32 v5, 0x80, v3, v4
.LBB108_871:
	s_or_b32 exec_lo, exec_lo, s10
.LBB108_872:
	s_or_b32 exec_lo, exec_lo, s8
	s_mov_b32 s8, 0
	global_store_byte v[1:2], v5, off
.LBB108_873:
	s_and_b32 vcc_lo, exec_lo, s8
	s_cbranch_vccz .LBB108_883
; %bb.874:
	v_cvt_f32_f16_e32 v3, v0
	s_mov_b32 s8, exec_lo
                                        ; implicit-def: $vgpr4
	v_and_b32_e32 v5, 0x7fffffff, v3
	v_cmpx_gt_u32_e32 0x43f00000, v5
	s_xor_b32 s8, exec_lo, s8
	s_cbranch_execz .LBB108_880
; %bb.875:
	s_mov_b32 s9, exec_lo
                                        ; implicit-def: $vgpr4
	v_cmpx_lt_u32_e32 0x3c7fffff, v5
	s_xor_b32 s9, exec_lo, s9
; %bb.876:
	v_bfe_u32 v4, v3, 20, 1
	v_add3_u32 v4, v3, v4, 0x407ffff
	v_and_b32_e32 v5, 0xff00000, v4
	v_lshrrev_b32_e32 v4, 20, v4
	v_cmp_ne_u32_e32 vcc_lo, 0x7f00000, v5
	v_cndmask_b32_e32 v4, 0x7e, v4, vcc_lo
; %bb.877:
	s_andn2_saveexec_b32 s9, s9
; %bb.878:
	v_add_f32_e64 v4, 0x46800000, |v3|
; %bb.879:
	s_or_b32 exec_lo, exec_lo, s9
                                        ; implicit-def: $vgpr5
.LBB108_880:
	s_andn2_saveexec_b32 s8, s8
; %bb.881:
	v_mov_b32_e32 v4, 0x7f
	v_cmp_lt_u32_e32 vcc_lo, 0x7f800000, v5
	v_cndmask_b32_e32 v4, 0x7e, v4, vcc_lo
; %bb.882:
	s_or_b32 exec_lo, exec_lo, s8
	v_lshrrev_b32_e32 v3, 24, v3
	v_and_or_b32 v3, 0x80, v3, v4
	global_store_byte v[1:2], v3, off
.LBB108_883:
	s_mov_b32 s8, 0
.LBB108_884:
	s_andn2_b32 vcc_lo, exec_lo, s8
	s_cbranch_vccnz .LBB108_894
; %bb.885:
	v_cvt_f32_f16_e32 v3, v0
	s_mov_b32 s8, exec_lo
                                        ; implicit-def: $vgpr4
	v_and_b32_e32 v5, 0x7fffffff, v3
	v_cmpx_gt_u32_e32 0x47800000, v5
	s_xor_b32 s8, exec_lo, s8
	s_cbranch_execz .LBB108_891
; %bb.886:
	s_mov_b32 s9, exec_lo
                                        ; implicit-def: $vgpr4
	v_cmpx_lt_u32_e32 0x387fffff, v5
	s_xor_b32 s9, exec_lo, s9
; %bb.887:
	v_bfe_u32 v4, v3, 21, 1
	v_add3_u32 v4, v3, v4, 0x80fffff
	v_lshrrev_b32_e32 v4, 21, v4
; %bb.888:
	s_andn2_saveexec_b32 s9, s9
; %bb.889:
	v_add_f32_e64 v4, 0x43000000, |v3|
; %bb.890:
	s_or_b32 exec_lo, exec_lo, s9
                                        ; implicit-def: $vgpr5
.LBB108_891:
	s_andn2_saveexec_b32 s8, s8
; %bb.892:
	v_mov_b32_e32 v4, 0x7f
	v_cmp_lt_u32_e32 vcc_lo, 0x7f800000, v5
	v_cndmask_b32_e32 v4, 0x7c, v4, vcc_lo
; %bb.893:
	s_or_b32 exec_lo, exec_lo, s8
	v_lshrrev_b32_e32 v3, 24, v3
	v_and_or_b32 v3, 0x80, v3, v4
	global_store_byte v[1:2], v3, off
.LBB108_894:
	s_mov_b32 s8, 0
.LBB108_895:
	s_andn2_b32 vcc_lo, exec_lo, s8
	s_mov_b32 s8, 0
	s_cbranch_vccnz .LBB108_902
; %bb.896:
	s_cmp_gt_i32 s7, 14
	s_mov_b32 s8, -1
	s_cbranch_scc0 .LBB108_900
; %bb.897:
	s_cmp_eq_u32 s7, 15
	s_mov_b32 s4, -1
	s_cbranch_scc0 .LBB108_899
; %bb.898:
	v_cvt_f32_f16_e32 v3, v0
	v_cmp_o_f16_e32 vcc_lo, v0, v0
	s_mov_b32 s4, 0
	v_bfe_u32 v4, v3, 16, 1
	v_add3_u32 v3, v3, v4, 0x7fff
	v_mov_b32_e32 v4, 0x7fc0
	v_cndmask_b32_sdwa v3, v4, v3, vcc_lo dst_sel:DWORD dst_unused:UNUSED_PAD src0_sel:DWORD src1_sel:WORD_1
	global_store_short v[1:2], v3, off
.LBB108_899:
	s_mov_b32 s8, 0
.LBB108_900:
	s_and_b32 vcc_lo, exec_lo, s8
	s_mov_b32 s8, 0
	s_cbranch_vccz .LBB108_902
; %bb.901:
	s_cmp_lg_u32 s7, 11
	s_mov_b32 s8, -1
	s_cselect_b32 s4, -1, 0
.LBB108_902:
	s_and_b32 vcc_lo, exec_lo, s4
	s_cbranch_vccnz .LBB108_1006
.LBB108_903:
	s_mov_b32 s4, 0
	s_branch .LBB108_944
.LBB108_904:
	s_mov_b32 s10, 0
	s_cbranch_execz .LBB108_827
; %bb.905:
	s_and_b32 s4, 0xffff, s5
	s_mov_b32 s8, -1
	s_cmp_lt_i32 s4, 5
	s_cbranch_scc1 .LBB108_926
; %bb.906:
	s_cmp_lt_i32 s4, 8
	s_cbranch_scc1 .LBB108_916
; %bb.907:
	;; [unrolled: 3-line block ×3, first 2 shown]
	s_cmp_gt_i32 s4, 9
	s_cbranch_scc0 .LBB108_910
; %bb.909:
	v_cvt_f32_f16_e32 v4, v20
	v_mov_b32_e32 v6, 0
	s_mov_b32 s8, 0
	v_cvt_f64_f32_e32 v[4:5], v4
	v_mov_b32_e32 v7, v6
	global_store_dwordx4 v[1:2], v[4:7], off
.LBB108_910:
	s_andn2_b32 vcc_lo, exec_lo, s8
	s_cbranch_vccnz .LBB108_912
; %bb.911:
	v_cvt_f32_f16_e32 v4, v20
	v_mov_b32_e32 v5, 0
	global_store_dwordx2 v[1:2], v[4:5], off
.LBB108_912:
	s_mov_b32 s8, 0
.LBB108_913:
	s_andn2_b32 vcc_lo, exec_lo, s8
	s_cbranch_vccnz .LBB108_915
; %bb.914:
	v_and_b32_e32 v4, 0xffff, v20
	global_store_dword v[1:2], v4, off
.LBB108_915:
	s_mov_b32 s8, 0
.LBB108_916:
	s_andn2_b32 vcc_lo, exec_lo, s8
	s_cbranch_vccnz .LBB108_925
; %bb.917:
	s_cmp_lt_i32 s4, 6
	s_mov_b32 s8, -1
	s_cbranch_scc1 .LBB108_923
; %bb.918:
	s_cmp_gt_i32 s4, 6
	s_cbranch_scc0 .LBB108_920
; %bb.919:
	v_cvt_f32_f16_e32 v4, v20
	s_mov_b32 s8, 0
	v_cvt_f64_f32_e32 v[4:5], v4
	global_store_dwordx2 v[1:2], v[4:5], off
.LBB108_920:
	s_andn2_b32 vcc_lo, exec_lo, s8
	s_cbranch_vccnz .LBB108_922
; %bb.921:
	v_cvt_f32_f16_e32 v4, v20
	global_store_dword v[1:2], v4, off
.LBB108_922:
	s_mov_b32 s8, 0
.LBB108_923:
	s_andn2_b32 vcc_lo, exec_lo, s8
	s_cbranch_vccnz .LBB108_925
; %bb.924:
	global_store_short v[1:2], v20, off
.LBB108_925:
	s_mov_b32 s8, 0
.LBB108_926:
	s_andn2_b32 vcc_lo, exec_lo, s8
	s_cbranch_vccnz .LBB108_942
; %bb.927:
	s_cmp_lt_i32 s4, 2
	s_mov_b32 s8, -1
	s_cbranch_scc1 .LBB108_937
; %bb.928:
	s_cmp_lt_i32 s4, 3
	s_cbranch_scc1 .LBB108_934
; %bb.929:
	s_cmp_gt_i32 s4, 3
	s_cbranch_scc0 .LBB108_931
; %bb.930:
	v_cvt_f32_f16_e32 v4, v20
	s_mov_b32 s8, 0
	v_cvt_i32_f32_e32 v4, v4
	v_ashrrev_i32_e32 v5, 31, v4
	global_store_dwordx2 v[1:2], v[4:5], off
.LBB108_931:
	s_andn2_b32 vcc_lo, exec_lo, s8
	s_cbranch_vccnz .LBB108_933
; %bb.932:
	v_cvt_f32_f16_e32 v4, v20
	v_cvt_i32_f32_e32 v4, v4
	global_store_dword v[1:2], v4, off
.LBB108_933:
	s_mov_b32 s8, 0
.LBB108_934:
	s_andn2_b32 vcc_lo, exec_lo, s8
	s_cbranch_vccnz .LBB108_936
; %bb.935:
	v_cvt_i16_f16_e32 v4, v20
	global_store_short v[1:2], v4, off
.LBB108_936:
	s_mov_b32 s8, 0
.LBB108_937:
	s_andn2_b32 vcc_lo, exec_lo, s8
	s_cbranch_vccnz .LBB108_942
; %bb.938:
	s_cmp_gt_i32 s4, 0
	s_mov_b32 s4, -1
	s_cbranch_scc0 .LBB108_940
; %bb.939:
	v_cvt_i16_f16_e32 v4, v20
	s_mov_b32 s4, 0
	global_store_byte v[1:2], v4, off
.LBB108_940:
	s_andn2_b32 vcc_lo, exec_lo, s4
	s_cbranch_vccnz .LBB108_942
; %bb.941:
	v_cvt_f32_f16_e32 v4, v20
	v_cvt_i32_f32_e32 v4, v4
	global_store_byte v[1:2], v4, off
.LBB108_942:
	s_branch .LBB108_828
.LBB108_943:
	s_mov_b32 s4, 0
	s_mov_b32 s8, 0
                                        ; implicit-def: $sgpr5
                                        ; implicit-def: $vgpr1_vgpr2
.LBB108_944:
	s_andn2_b32 s7, s25, exec_lo
	s_and_b32 s6, s6, exec_lo
	s_and_b32 s4, s4, exec_lo
	;; [unrolled: 1-line block ×3, first 2 shown]
	s_or_b32 s25, s7, s6
.LBB108_945:
	s_or_b32 exec_lo, exec_lo, s24
	s_and_saveexec_b32 s6, s25
	s_cbranch_execz .LBB108_948
; %bb.946:
	; divergent unreachable
	s_or_b32 exec_lo, exec_lo, s6
	s_and_saveexec_b32 s6, s23
	s_xor_b32 s6, exec_lo, s6
	s_cbranch_execnz .LBB108_949
.LBB108_947:
	s_or_b32 exec_lo, exec_lo, s6
	s_and_saveexec_b32 s6, s4
	s_cbranch_execnz .LBB108_950
	s_branch .LBB108_987
.LBB108_948:
	s_or_b32 exec_lo, exec_lo, s6
	s_and_saveexec_b32 s6, s23
	s_xor_b32 s6, exec_lo, s6
	s_cbranch_execz .LBB108_947
.LBB108_949:
	v_and_b32_e32 v3, 0x7fff, v0
	v_cmp_ne_u16_e32 vcc_lo, 0, v3
	v_cndmask_b32_e64 v3, 0, 1, vcc_lo
	global_store_byte v[1:2], v3, off
	s_or_b32 exec_lo, exec_lo, s6
	s_and_saveexec_b32 s6, s4
	s_cbranch_execz .LBB108_987
.LBB108_950:
	s_sext_i32_i16 s6, s5
	s_mov_b32 s4, -1
	s_cmp_lt_i32 s6, 5
	s_cbranch_scc1 .LBB108_971
; %bb.951:
	s_cmp_lt_i32 s6, 8
	s_cbranch_scc1 .LBB108_961
; %bb.952:
	;; [unrolled: 3-line block ×3, first 2 shown]
	s_cmp_gt_i32 s6, 9
	s_cbranch_scc0 .LBB108_955
; %bb.954:
	v_cvt_f32_f16_e32 v3, v0
	v_mov_b32_e32 v5, 0
	s_mov_b32 s4, 0
	v_cvt_f64_f32_e32 v[3:4], v3
	v_mov_b32_e32 v6, v5
	global_store_dwordx4 v[1:2], v[3:6], off
.LBB108_955:
	s_andn2_b32 vcc_lo, exec_lo, s4
	s_cbranch_vccnz .LBB108_957
; %bb.956:
	v_cvt_f32_f16_e32 v3, v0
	v_mov_b32_e32 v4, 0
	global_store_dwordx2 v[1:2], v[3:4], off
.LBB108_957:
	s_mov_b32 s4, 0
.LBB108_958:
	s_andn2_b32 vcc_lo, exec_lo, s4
	s_cbranch_vccnz .LBB108_960
; %bb.959:
	v_and_b32_e32 v3, 0xffff, v0
	global_store_dword v[1:2], v3, off
.LBB108_960:
	s_mov_b32 s4, 0
.LBB108_961:
	s_andn2_b32 vcc_lo, exec_lo, s4
	s_cbranch_vccnz .LBB108_970
; %bb.962:
	s_sext_i32_i16 s6, s5
	s_mov_b32 s4, -1
	s_cmp_lt_i32 s6, 6
	s_cbranch_scc1 .LBB108_968
; %bb.963:
	s_cmp_gt_i32 s6, 6
	s_cbranch_scc0 .LBB108_965
; %bb.964:
	v_cvt_f32_f16_e32 v3, v0
	s_mov_b32 s4, 0
	v_cvt_f64_f32_e32 v[3:4], v3
	global_store_dwordx2 v[1:2], v[3:4], off
.LBB108_965:
	s_andn2_b32 vcc_lo, exec_lo, s4
	s_cbranch_vccnz .LBB108_967
; %bb.966:
	v_cvt_f32_f16_e32 v3, v0
	global_store_dword v[1:2], v3, off
.LBB108_967:
	s_mov_b32 s4, 0
.LBB108_968:
	s_andn2_b32 vcc_lo, exec_lo, s4
	s_cbranch_vccnz .LBB108_970
; %bb.969:
	global_store_short v[1:2], v0, off
.LBB108_970:
	s_mov_b32 s4, 0
.LBB108_971:
	s_andn2_b32 vcc_lo, exec_lo, s4
	s_cbranch_vccnz .LBB108_987
; %bb.972:
	s_sext_i32_i16 s6, s5
	s_mov_b32 s4, -1
	s_cmp_lt_i32 s6, 2
	s_cbranch_scc1 .LBB108_982
; %bb.973:
	s_cmp_lt_i32 s6, 3
	s_cbranch_scc1 .LBB108_979
; %bb.974:
	s_cmp_gt_i32 s6, 3
	s_cbranch_scc0 .LBB108_976
; %bb.975:
	v_cvt_f32_f16_e32 v3, v0
	s_mov_b32 s4, 0
	v_cvt_i32_f32_e32 v3, v3
	v_ashrrev_i32_e32 v4, 31, v3
	global_store_dwordx2 v[1:2], v[3:4], off
.LBB108_976:
	s_andn2_b32 vcc_lo, exec_lo, s4
	s_cbranch_vccnz .LBB108_978
; %bb.977:
	v_cvt_f32_f16_e32 v3, v0
	v_cvt_i32_f32_e32 v3, v3
	global_store_dword v[1:2], v3, off
.LBB108_978:
	s_mov_b32 s4, 0
.LBB108_979:
	s_andn2_b32 vcc_lo, exec_lo, s4
	s_cbranch_vccnz .LBB108_981
; %bb.980:
	v_cvt_i16_f16_e32 v3, v0
	global_store_short v[1:2], v3, off
.LBB108_981:
	s_mov_b32 s4, 0
.LBB108_982:
	s_andn2_b32 vcc_lo, exec_lo, s4
	s_cbranch_vccnz .LBB108_987
; %bb.983:
	s_sext_i32_i16 s4, s5
	s_cmp_gt_i32 s4, 0
	s_mov_b32 s4, -1
	s_cbranch_scc0 .LBB108_985
; %bb.984:
	v_cvt_i16_f16_e32 v3, v0
	s_mov_b32 s4, 0
	global_store_byte v[1:2], v3, off
.LBB108_985:
	s_andn2_b32 vcc_lo, exec_lo, s4
	s_cbranch_vccnz .LBB108_987
; %bb.986:
	v_cvt_f32_f16_e32 v0, v0
	v_cvt_i32_f32_e32 v0, v0
	global_store_byte v[1:2], v0, off
	s_endpgm
.LBB108_987:
	s_endpgm
.LBB108_988:
	s_mov_b32 s8, 0
	s_mov_b32 s4, -1
	s_branch .LBB108_944
.LBB108_989:
	s_andn2_saveexec_b32 s10, s10
	s_cbranch_execz .LBB108_541
.LBB108_990:
	v_add_f32_e64 v5, 0x46000000, |v4|
	s_andn2_b32 s9, s9, exec_lo
	v_and_b32_e32 v5, 0xff, v5
	v_cmp_ne_u32_e32 vcc_lo, 0, v5
	s_and_b32 s11, vcc_lo, exec_lo
	s_or_b32 s9, s9, s11
	s_or_b32 exec_lo, exec_lo, s10
	v_mov_b32_e32 v6, 0
	s_and_saveexec_b32 s10, s9
	s_cbranch_execnz .LBB108_542
	s_branch .LBB108_543
.LBB108_991:
	s_or_b32 s6, s25, exec_lo
	s_trap 2
	s_cbranch_execz .LBB108_589
	s_branch .LBB108_590
.LBB108_992:
	s_andn2_saveexec_b32 s9, s9
	s_cbranch_execz .LBB108_554
.LBB108_993:
	v_add_f32_e64 v5, 0x42800000, |v4|
	s_andn2_b32 s8, s8, exec_lo
	v_and_b32_e32 v5, 0xff, v5
	v_cmp_ne_u32_e32 vcc_lo, 0, v5
	s_and_b32 s10, vcc_lo, exec_lo
	s_or_b32 s8, s8, s10
	s_or_b32 exec_lo, exec_lo, s9
	v_mov_b32_e32 v6, 0
	s_and_saveexec_b32 s9, s8
	s_cbranch_execnz .LBB108_555
	s_branch .LBB108_556
.LBB108_994:
	s_andn2_saveexec_b32 s12, s12
	s_cbranch_execz .LBB108_659
.LBB108_995:
	v_add_f32_e64 v5, 0x46000000, |v4|
	s_andn2_b32 s11, s11, exec_lo
	v_and_b32_e32 v5, 0xff, v5
	v_cmp_ne_u32_e32 vcc_lo, 0, v5
	s_and_b32 s13, vcc_lo, exec_lo
	s_or_b32 s11, s11, s13
	s_or_b32 exec_lo, exec_lo, s12
	v_mov_b32_e32 v6, 0
	s_and_saveexec_b32 s12, s11
	s_cbranch_execnz .LBB108_660
	s_branch .LBB108_661
.LBB108_996:
	s_or_b32 s6, s6, exec_lo
	s_trap 2
	s_cbranch_execz .LBB108_707
	s_branch .LBB108_708
.LBB108_997:
	s_andn2_saveexec_b32 s11, s11
	s_cbranch_execz .LBB108_672
.LBB108_998:
	v_add_f32_e64 v5, 0x42800000, |v4|
	s_andn2_b32 s10, s10, exec_lo
	v_and_b32_e32 v5, 0xff, v5
	v_cmp_ne_u32_e32 vcc_lo, 0, v5
	s_and_b32 s12, vcc_lo, exec_lo
	s_or_b32 s10, s10, s12
	s_or_b32 exec_lo, exec_lo, s11
	v_mov_b32_e32 v6, 0
	s_and_saveexec_b32 s11, s10
	s_cbranch_execnz .LBB108_673
	s_branch .LBB108_674
.LBB108_999:
	s_andn2_saveexec_b32 s12, s12
	s_cbranch_execz .LBB108_777
.LBB108_1000:
	v_add_f32_e64 v5, 0x46000000, |v4|
	s_andn2_b32 s11, s11, exec_lo
	v_and_b32_e32 v5, 0xff, v5
	v_cmp_ne_u32_e32 vcc_lo, 0, v5
	s_and_b32 s13, vcc_lo, exec_lo
	s_or_b32 s11, s11, s13
	s_or_b32 exec_lo, exec_lo, s12
	v_mov_b32_e32 v6, 0
	s_and_saveexec_b32 s12, s11
	s_cbranch_execnz .LBB108_778
	s_branch .LBB108_779
.LBB108_1001:
	s_or_b32 s6, s6, exec_lo
	s_trap 2
	s_cbranch_execz .LBB108_825
	s_branch .LBB108_826
.LBB108_1002:
	s_andn2_saveexec_b32 s11, s11
	s_cbranch_execz .LBB108_790
.LBB108_1003:
	v_add_f32_e64 v5, 0x42800000, |v4|
	s_andn2_b32 s10, s10, exec_lo
	v_and_b32_e32 v5, 0xff, v5
	v_cmp_ne_u32_e32 vcc_lo, 0, v5
	s_and_b32 s12, vcc_lo, exec_lo
	s_or_b32 s10, s10, s12
	s_or_b32 exec_lo, exec_lo, s11
	v_mov_b32_e32 v6, 0
	s_and_saveexec_b32 s11, s10
	s_cbranch_execnz .LBB108_791
	s_branch .LBB108_792
.LBB108_1004:
	s_andn2_saveexec_b32 s11, s11
	s_cbranch_execz .LBB108_857
.LBB108_1005:
	v_add_f32_e64 v4, 0x46000000, |v3|
	s_andn2_b32 s10, s10, exec_lo
	v_and_b32_e32 v4, 0xff, v4
	v_cmp_ne_u32_e32 vcc_lo, 0, v4
	s_and_b32 s12, vcc_lo, exec_lo
	s_or_b32 s10, s10, s12
	s_or_b32 exec_lo, exec_lo, s11
	v_mov_b32_e32 v5, 0
	s_and_saveexec_b32 s11, s10
	s_cbranch_execnz .LBB108_858
	s_branch .LBB108_859
.LBB108_1006:
	s_mov_b32 s8, 0
	s_or_b32 s6, s6, exec_lo
	s_trap 2
	s_branch .LBB108_903
.LBB108_1007:
	s_andn2_saveexec_b32 s9, s9
	s_cbranch_execz .LBB108_422
.LBB108_1008:
	v_add_f32_e64 v4, 0x46000000, |v3|
	s_andn2_b32 s8, s8, exec_lo
	v_and_b32_e32 v4, 0xff, v4
	v_cmp_ne_u32_e32 vcc_lo, 0, v4
	s_and_b32 s10, vcc_lo, exec_lo
	s_or_b32 s8, s8, s10
	s_or_b32 exec_lo, exec_lo, s9
	v_mov_b32_e32 v5, 0
	s_and_saveexec_b32 s9, s8
	s_cbranch_execnz .LBB108_423
	s_branch .LBB108_424
.LBB108_1009:
	s_andn2_saveexec_b32 s10, s10
	s_cbranch_execz .LBB108_869
.LBB108_1010:
	v_add_f32_e64 v4, 0x42800000, |v3|
	s_andn2_b32 s9, s9, exec_lo
	v_and_b32_e32 v4, 0xff, v4
	v_cmp_ne_u32_e32 vcc_lo, 0, v4
	s_and_b32 s11, vcc_lo, exec_lo
	s_or_b32 s9, s9, s11
	s_or_b32 exec_lo, exec_lo, s10
	v_mov_b32_e32 v5, 0
	s_and_saveexec_b32 s10, s9
	s_cbranch_execnz .LBB108_870
	s_branch .LBB108_871
.LBB108_1011:
	s_andn2_saveexec_b32 s10, s10
	s_cbranch_execz .LBB108_434
.LBB108_1012:
	v_add_f32_e64 v4, 0x42800000, |v3|
	s_andn2_b32 s9, s9, exec_lo
	v_and_b32_e32 v4, 0xff, v4
	v_cmp_ne_u32_e32 vcc_lo, 0, v4
	s_and_b32 s11, vcc_lo, exec_lo
	s_or_b32 s9, s9, s11
	s_or_b32 exec_lo, exec_lo, s10
	v_mov_b32_e32 v5, 0
	s_and_saveexec_b32 s10, s9
	s_cbranch_execnz .LBB108_435
	s_branch .LBB108_436
	.section	.rodata,"a",@progbits
	.p2align	6, 0x0
	.amdhsa_kernel _ZN2at6native32elementwise_kernel_manual_unrollILi128ELi4EZNS0_15gpu_kernel_implIZZZNS0_21polygamma_kernel_cudaERNS_18TensorIteratorBaseElENKUlvE_clEvENKUlvE1_clEvEUlN3c104HalfEE_EEvS4_RKT_EUlibE_EEviT1_
		.amdhsa_group_segment_fixed_size 0
		.amdhsa_private_segment_fixed_size 0
		.amdhsa_kernarg_size 48
		.amdhsa_user_sgpr_count 6
		.amdhsa_user_sgpr_private_segment_buffer 1
		.amdhsa_user_sgpr_dispatch_ptr 0
		.amdhsa_user_sgpr_queue_ptr 0
		.amdhsa_user_sgpr_kernarg_segment_ptr 1
		.amdhsa_user_sgpr_dispatch_id 0
		.amdhsa_user_sgpr_flat_scratch_init 0
		.amdhsa_user_sgpr_private_segment_size 0
		.amdhsa_wavefront_size32 1
		.amdhsa_uses_dynamic_stack 0
		.amdhsa_system_sgpr_private_segment_wavefront_offset 0
		.amdhsa_system_sgpr_workgroup_id_x 1
		.amdhsa_system_sgpr_workgroup_id_y 0
		.amdhsa_system_sgpr_workgroup_id_z 0
		.amdhsa_system_sgpr_workgroup_info 0
		.amdhsa_system_vgpr_workitem_id 0
		.amdhsa_next_free_vgpr 25
		.amdhsa_next_free_sgpr 44
		.amdhsa_reserve_vcc 1
		.amdhsa_reserve_flat_scratch 0
		.amdhsa_float_round_mode_32 0
		.amdhsa_float_round_mode_16_64 0
		.amdhsa_float_denorm_mode_32 3
		.amdhsa_float_denorm_mode_16_64 3
		.amdhsa_dx10_clamp 1
		.amdhsa_ieee_mode 1
		.amdhsa_fp16_overflow 0
		.amdhsa_workgroup_processor_mode 1
		.amdhsa_memory_ordered 1
		.amdhsa_forward_progress 1
		.amdhsa_shared_vgpr_count 0
		.amdhsa_exception_fp_ieee_invalid_op 0
		.amdhsa_exception_fp_denorm_src 0
		.amdhsa_exception_fp_ieee_div_zero 0
		.amdhsa_exception_fp_ieee_overflow 0
		.amdhsa_exception_fp_ieee_underflow 0
		.amdhsa_exception_fp_ieee_inexact 0
		.amdhsa_exception_int_div_zero 0
	.end_amdhsa_kernel
	.section	.text._ZN2at6native32elementwise_kernel_manual_unrollILi128ELi4EZNS0_15gpu_kernel_implIZZZNS0_21polygamma_kernel_cudaERNS_18TensorIteratorBaseElENKUlvE_clEvENKUlvE1_clEvEUlN3c104HalfEE_EEvS4_RKT_EUlibE_EEviT1_,"axG",@progbits,_ZN2at6native32elementwise_kernel_manual_unrollILi128ELi4EZNS0_15gpu_kernel_implIZZZNS0_21polygamma_kernel_cudaERNS_18TensorIteratorBaseElENKUlvE_clEvENKUlvE1_clEvEUlN3c104HalfEE_EEvS4_RKT_EUlibE_EEviT1_,comdat
.Lfunc_end108:
	.size	_ZN2at6native32elementwise_kernel_manual_unrollILi128ELi4EZNS0_15gpu_kernel_implIZZZNS0_21polygamma_kernel_cudaERNS_18TensorIteratorBaseElENKUlvE_clEvENKUlvE1_clEvEUlN3c104HalfEE_EEvS4_RKT_EUlibE_EEviT1_, .Lfunc_end108-_ZN2at6native32elementwise_kernel_manual_unrollILi128ELi4EZNS0_15gpu_kernel_implIZZZNS0_21polygamma_kernel_cudaERNS_18TensorIteratorBaseElENKUlvE_clEvENKUlvE1_clEvEUlN3c104HalfEE_EEvS4_RKT_EUlibE_EEviT1_
                                        ; -- End function
	.set _ZN2at6native32elementwise_kernel_manual_unrollILi128ELi4EZNS0_15gpu_kernel_implIZZZNS0_21polygamma_kernel_cudaERNS_18TensorIteratorBaseElENKUlvE_clEvENKUlvE1_clEvEUlN3c104HalfEE_EEvS4_RKT_EUlibE_EEviT1_.num_vgpr, max(25, .L_ZN2at6native6invokeIZZZNS0_21polygamma_kernel_cudaERNS_18TensorIteratorBaseElENKUlvE_clEvENKUlvE1_clEvEUlN3c104HalfEE_i15function_traitsIS8_EEENT1_11result_typeERKT_PrKPcPKT0_PKNS6_10ScalarTypeEi.num_vgpr)
	.set _ZN2at6native32elementwise_kernel_manual_unrollILi128ELi4EZNS0_15gpu_kernel_implIZZZNS0_21polygamma_kernel_cudaERNS_18TensorIteratorBaseElENKUlvE_clEvENKUlvE1_clEvEUlN3c104HalfEE_EEvS4_RKT_EUlibE_EEviT1_.num_agpr, max(0, .L_ZN2at6native6invokeIZZZNS0_21polygamma_kernel_cudaERNS_18TensorIteratorBaseElENKUlvE_clEvENKUlvE1_clEvEUlN3c104HalfEE_i15function_traitsIS8_EEENT1_11result_typeERKT_PrKPcPKT0_PKNS6_10ScalarTypeEi.num_agpr)
	.set _ZN2at6native32elementwise_kernel_manual_unrollILi128ELi4EZNS0_15gpu_kernel_implIZZZNS0_21polygamma_kernel_cudaERNS_18TensorIteratorBaseElENKUlvE_clEvENKUlvE1_clEvEUlN3c104HalfEE_EEvS4_RKT_EUlibE_EEviT1_.numbered_sgpr, max(44, .L_ZN2at6native6invokeIZZZNS0_21polygamma_kernel_cudaERNS_18TensorIteratorBaseElENKUlvE_clEvENKUlvE1_clEvEUlN3c104HalfEE_i15function_traitsIS8_EEENT1_11result_typeERKT_PrKPcPKT0_PKNS6_10ScalarTypeEi.numbered_sgpr)
	.set _ZN2at6native32elementwise_kernel_manual_unrollILi128ELi4EZNS0_15gpu_kernel_implIZZZNS0_21polygamma_kernel_cudaERNS_18TensorIteratorBaseElENKUlvE_clEvENKUlvE1_clEvEUlN3c104HalfEE_EEvS4_RKT_EUlibE_EEviT1_.num_named_barrier, max(0, .L_ZN2at6native6invokeIZZZNS0_21polygamma_kernel_cudaERNS_18TensorIteratorBaseElENKUlvE_clEvENKUlvE1_clEvEUlN3c104HalfEE_i15function_traitsIS8_EEENT1_11result_typeERKT_PrKPcPKT0_PKNS6_10ScalarTypeEi.num_named_barrier)
	.set _ZN2at6native32elementwise_kernel_manual_unrollILi128ELi4EZNS0_15gpu_kernel_implIZZZNS0_21polygamma_kernel_cudaERNS_18TensorIteratorBaseElENKUlvE_clEvENKUlvE1_clEvEUlN3c104HalfEE_EEvS4_RKT_EUlibE_EEviT1_.private_seg_size, 0+max(.L_ZN2at6native6invokeIZZZNS0_21polygamma_kernel_cudaERNS_18TensorIteratorBaseElENKUlvE_clEvENKUlvE1_clEvEUlN3c104HalfEE_i15function_traitsIS8_EEENT1_11result_typeERKT_PrKPcPKT0_PKNS6_10ScalarTypeEi.private_seg_size)
	.set _ZN2at6native32elementwise_kernel_manual_unrollILi128ELi4EZNS0_15gpu_kernel_implIZZZNS0_21polygamma_kernel_cudaERNS_18TensorIteratorBaseElENKUlvE_clEvENKUlvE1_clEvEUlN3c104HalfEE_EEvS4_RKT_EUlibE_EEviT1_.uses_vcc, or(1, .L_ZN2at6native6invokeIZZZNS0_21polygamma_kernel_cudaERNS_18TensorIteratorBaseElENKUlvE_clEvENKUlvE1_clEvEUlN3c104HalfEE_i15function_traitsIS8_EEENT1_11result_typeERKT_PrKPcPKT0_PKNS6_10ScalarTypeEi.uses_vcc)
	.set _ZN2at6native32elementwise_kernel_manual_unrollILi128ELi4EZNS0_15gpu_kernel_implIZZZNS0_21polygamma_kernel_cudaERNS_18TensorIteratorBaseElENKUlvE_clEvENKUlvE1_clEvEUlN3c104HalfEE_EEvS4_RKT_EUlibE_EEviT1_.uses_flat_scratch, or(0, .L_ZN2at6native6invokeIZZZNS0_21polygamma_kernel_cudaERNS_18TensorIteratorBaseElENKUlvE_clEvENKUlvE1_clEvEUlN3c104HalfEE_i15function_traitsIS8_EEENT1_11result_typeERKT_PrKPcPKT0_PKNS6_10ScalarTypeEi.uses_flat_scratch)
	.set _ZN2at6native32elementwise_kernel_manual_unrollILi128ELi4EZNS0_15gpu_kernel_implIZZZNS0_21polygamma_kernel_cudaERNS_18TensorIteratorBaseElENKUlvE_clEvENKUlvE1_clEvEUlN3c104HalfEE_EEvS4_RKT_EUlibE_EEviT1_.has_dyn_sized_stack, or(0, .L_ZN2at6native6invokeIZZZNS0_21polygamma_kernel_cudaERNS_18TensorIteratorBaseElENKUlvE_clEvENKUlvE1_clEvEUlN3c104HalfEE_i15function_traitsIS8_EEENT1_11result_typeERKT_PrKPcPKT0_PKNS6_10ScalarTypeEi.has_dyn_sized_stack)
	.set _ZN2at6native32elementwise_kernel_manual_unrollILi128ELi4EZNS0_15gpu_kernel_implIZZZNS0_21polygamma_kernel_cudaERNS_18TensorIteratorBaseElENKUlvE_clEvENKUlvE1_clEvEUlN3c104HalfEE_EEvS4_RKT_EUlibE_EEviT1_.has_recursion, or(0, .L_ZN2at6native6invokeIZZZNS0_21polygamma_kernel_cudaERNS_18TensorIteratorBaseElENKUlvE_clEvENKUlvE1_clEvEUlN3c104HalfEE_i15function_traitsIS8_EEENT1_11result_typeERKT_PrKPcPKT0_PKNS6_10ScalarTypeEi.has_recursion)
	.set _ZN2at6native32elementwise_kernel_manual_unrollILi128ELi4EZNS0_15gpu_kernel_implIZZZNS0_21polygamma_kernel_cudaERNS_18TensorIteratorBaseElENKUlvE_clEvENKUlvE1_clEvEUlN3c104HalfEE_EEvS4_RKT_EUlibE_EEviT1_.has_indirect_call, or(0, .L_ZN2at6native6invokeIZZZNS0_21polygamma_kernel_cudaERNS_18TensorIteratorBaseElENKUlvE_clEvENKUlvE1_clEvEUlN3c104HalfEE_i15function_traitsIS8_EEENT1_11result_typeERKT_PrKPcPKT0_PKNS6_10ScalarTypeEi.has_indirect_call)
	.section	.AMDGPU.csdata,"",@progbits
; Kernel info:
; codeLenInByte = 15856
; TotalNumSgprs: 46
; NumVgprs: 25
; ScratchSize: 0
; MemoryBound: 0
; FloatMode: 240
; IeeeMode: 1
; LDSByteSize: 0 bytes/workgroup (compile time only)
; SGPRBlocks: 0
; VGPRBlocks: 3
; NumSGPRsForWavesPerEU: 46
; NumVGPRsForWavesPerEU: 25
; Occupancy: 16
; WaveLimiterHint : 0
; COMPUTE_PGM_RSRC2:SCRATCH_EN: 0
; COMPUTE_PGM_RSRC2:USER_SGPR: 6
; COMPUTE_PGM_RSRC2:TRAP_HANDLER: 0
; COMPUTE_PGM_RSRC2:TGID_X_EN: 1
; COMPUTE_PGM_RSRC2:TGID_Y_EN: 0
; COMPUTE_PGM_RSRC2:TGID_Z_EN: 0
; COMPUTE_PGM_RSRC2:TIDIG_COMP_CNT: 0
	.text
	.p2align	2                               ; -- Begin function _ZN2at6native6invokeIZZZNS0_21polygamma_kernel_cudaERNS_18TensorIteratorBaseElENKUlvE_clEvENKUlvE1_clEvEUlN3c104HalfEE_j15function_traitsIS8_EEENT1_11result_typeERKT_PrKPcPKT0_PKNS6_10ScalarTypeEi
	.type	_ZN2at6native6invokeIZZZNS0_21polygamma_kernel_cudaERNS_18TensorIteratorBaseElENKUlvE_clEvENKUlvE1_clEvEUlN3c104HalfEE_j15function_traitsIS8_EEENT1_11result_typeERKT_PrKPcPKT0_PKNS6_10ScalarTypeEi,@function
_ZN2at6native6invokeIZZZNS0_21polygamma_kernel_cudaERNS_18TensorIteratorBaseElENKUlvE_clEvENKUlvE1_clEvEUlN3c104HalfEE_j15function_traitsIS8_EEENT1_11result_typeERKT_PrKPcPKT0_PKNS6_10ScalarTypeEi: ; @_ZN2at6native6invokeIZZZNS0_21polygamma_kernel_cudaERNS_18TensorIteratorBaseElENKUlvE_clEvENKUlvE1_clEvEUlN3c104HalfEE_j15function_traitsIS8_EEENT1_11result_typeERKT_PrKPcPKT0_PKNS6_10ScalarTypeEi
; %bb.0:
	s_waitcnt vmcnt(0) expcnt(0) lgkmcnt(0)
	v_mov_b32_e32 v6, 10
	v_add_co_u32 v1, vcc_lo, v2, v4
	v_add_co_ci_u32_e64 v2, null, 0, v3, vcc_lo
	v_cmp_gt_i16_sdwa s4, v5, v6 src0_sel:BYTE_0 src1_sel:DWORD
	s_mov_b32 s5, 0
                                        ; implicit-def: $vgpr3
	s_and_saveexec_b32 s6, s4
	s_xor_b32 s4, exec_lo, s6
	s_cbranch_execnz .LBB109_4
; %bb.1:
	s_andn2_saveexec_b32 s4, s4
	s_cbranch_execnz .LBB109_10
.LBB109_2:
	s_or_b32 exec_lo, exec_lo, s4
                                        ; implicit-def: $vgpr1
	s_and_saveexec_b32 s8, s5
	s_cbranch_execnz .LBB109_51
.LBB109_3:
	s_or_b32 exec_lo, exec_lo, s8
	v_mov_b32_e32 v0, v1
	s_waitcnt vmcnt(0) lgkmcnt(0)
	s_setpc_b64 s[30:31]
.LBB109_4:
	v_mov_b32_e32 v3, 25
	s_mov_b32 s8, 0
	s_mov_b32 s7, 0
	v_cmp_gt_i16_sdwa s6, v5, v3 src0_sel:BYTE_0 src1_sel:DWORD
                                        ; implicit-def: $vgpr3
	s_and_saveexec_b32 s9, s6
	s_xor_b32 s6, exec_lo, s9
	s_cbranch_execnz .LBB109_100
; %bb.5:
	s_andn2_saveexec_b32 s6, s6
	s_cbranch_execnz .LBB109_131
.LBB109_6:
	s_or_b32 exec_lo, exec_lo, s6
	s_and_saveexec_b32 s6, s8
	s_cbranch_execnz .LBB109_154
.LBB109_7:
	s_or_b32 exec_lo, exec_lo, s6
	s_and_saveexec_b32 s6, s5
	s_xor_b32 s5, exec_lo, s6
	s_cbranch_execz .LBB109_9
.LBB109_8:
	flat_load_ubyte v1, v[1:2]
	s_or_b32 s7, s7, exec_lo
	s_waitcnt vmcnt(0) lgkmcnt(0)
	v_cmp_ne_u16_e32 vcc_lo, 0, v1
	v_cndmask_b32_e64 v3, 0, 0x3c00, vcc_lo
.LBB109_9:
	s_or_b32 exec_lo, exec_lo, s5
	s_and_b32 s5, s7, exec_lo
                                        ; implicit-def: $vgpr5
                                        ; implicit-def: $vgpr1_vgpr2
	s_andn2_saveexec_b32 s4, s4
	s_cbranch_execz .LBB109_2
.LBB109_10:
	v_mov_b32_e32 v3, 4
	v_cmp_gt_i16_sdwa s6, v5, v3 src0_sel:BYTE_0 src1_sel:DWORD
                                        ; implicit-def: $vgpr3
	s_and_saveexec_b32 s7, s6
	s_xor_b32 s6, exec_lo, s7
	s_cbranch_execz .LBB109_32
; %bb.11:
	v_mov_b32_e32 v3, 7
	v_cmp_gt_i16_sdwa s7, v5, v3 src0_sel:BYTE_0 src1_sel:DWORD
                                        ; implicit-def: $vgpr3
	s_and_saveexec_b32 s8, s7
	s_xor_b32 s7, exec_lo, s8
	s_cbranch_execz .LBB109_21
; %bb.12:
	;; [unrolled: 7-line block ×4, first 2 shown]
	flat_load_dwordx2 v[1:2], v[1:2]
	s_waitcnt vmcnt(0) lgkmcnt(0)
	v_and_or_b32 v1, 0x1ff, v2, v1
	v_lshrrev_b32_e32 v3, 8, v2
	v_bfe_u32 v4, v2, 20, 11
	v_lshrrev_b32_e32 v2, 16, v2
	v_cmp_ne_u32_e32 vcc_lo, 0, v1
	v_sub_nc_u32_e32 v5, 0x3f1, v4
	v_add_nc_u32_e32 v4, 0xfffffc10, v4
	v_cndmask_b32_e64 v1, 0, 1, vcc_lo
	v_and_or_b32 v1, 0xffe, v3, v1
	v_med3_i32 v3, v5, 0, 13
	v_or_b32_e32 v5, 0x1000, v1
	v_lshrrev_b32_e32 v6, v3, v5
	v_lshlrev_b32_e32 v3, v3, v6
	v_cmp_ne_u32_e32 vcc_lo, v3, v5
	v_lshl_or_b32 v5, v4, 12, v1
	v_cndmask_b32_e64 v3, 0, 1, vcc_lo
	v_cmp_gt_i32_e32 vcc_lo, 1, v4
	v_or_b32_e32 v3, v6, v3
	v_cndmask_b32_e32 v3, v5, v3, vcc_lo
	v_and_b32_e32 v5, 7, v3
	v_lshrrev_b32_e32 v3, 2, v3
	v_cmp_lt_i32_e32 vcc_lo, 5, v5
	v_cndmask_b32_e64 v6, 0, 1, vcc_lo
	v_cmp_eq_u32_e32 vcc_lo, 3, v5
	v_cndmask_b32_e64 v5, 0, 1, vcc_lo
	v_cmp_ne_u32_e32 vcc_lo, 0, v1
	v_or_b32_e32 v5, v5, v6
	v_mov_b32_e32 v6, 0x7e00
	v_add_nc_u32_e32 v3, v3, v5
	v_cndmask_b32_e32 v1, 0x7c00, v6, vcc_lo
	v_cmp_gt_i32_e32 vcc_lo, 31, v4
	v_cndmask_b32_e32 v3, 0x7c00, v3, vcc_lo
	v_cmp_eq_u32_e32 vcc_lo, 0x40f, v4
	v_cndmask_b32_e32 v1, v3, v1, vcc_lo
	v_and_or_b32 v3, 0x8000, v2, v1
                                        ; implicit-def: $vgpr1_vgpr2
.LBB109_15:
	s_andn2_saveexec_b32 s9, s9
	s_cbranch_execz .LBB109_17
; %bb.16:
	flat_load_dword v1, v[1:2]
	s_waitcnt vmcnt(0) lgkmcnt(0)
	v_cvt_f16_f32_e32 v3, v1
.LBB109_17:
	s_or_b32 exec_lo, exec_lo, s9
                                        ; implicit-def: $vgpr1_vgpr2
.LBB109_18:
	s_andn2_saveexec_b32 s8, s8
	s_cbranch_execz .LBB109_20
; %bb.19:
	flat_load_dword v3, v[1:2]
.LBB109_20:
	s_or_b32 exec_lo, exec_lo, s8
                                        ; implicit-def: $vgpr1_vgpr2
                                        ; implicit-def: $vgpr5
.LBB109_21:
	s_andn2_saveexec_b32 s7, s7
	s_cbranch_execz .LBB109_31
; %bb.22:
	s_waitcnt vmcnt(0) lgkmcnt(0)
	v_mov_b32_e32 v3, 5
	v_cmp_gt_i16_sdwa s8, v5, v3 src0_sel:BYTE_0 src1_sel:DWORD
                                        ; implicit-def: $vgpr3
	s_and_saveexec_b32 s9, s8
	s_xor_b32 s8, exec_lo, s9
	s_cbranch_execz .LBB109_28
; %bb.23:
	v_mov_b32_e32 v3, 6
	v_cmp_gt_i16_sdwa s9, v5, v3 src0_sel:BYTE_0 src1_sel:DWORD
                                        ; implicit-def: $vgpr3
	s_and_saveexec_b32 s10, s9
	s_xor_b32 s9, exec_lo, s10
	s_cbranch_execz .LBB109_25
; %bb.24:
	flat_load_dwordx2 v[1:2], v[1:2]
	s_waitcnt vmcnt(0) lgkmcnt(0)
	v_and_or_b32 v1, 0x1ff, v2, v1
	v_lshrrev_b32_e32 v3, 8, v2
	v_bfe_u32 v4, v2, 20, 11
	v_lshrrev_b32_e32 v2, 16, v2
	v_cmp_ne_u32_e32 vcc_lo, 0, v1
	v_sub_nc_u32_e32 v5, 0x3f1, v4
	v_add_nc_u32_e32 v4, 0xfffffc10, v4
	v_cndmask_b32_e64 v1, 0, 1, vcc_lo
	v_and_or_b32 v1, 0xffe, v3, v1
	v_med3_i32 v3, v5, 0, 13
	v_or_b32_e32 v5, 0x1000, v1
	v_lshrrev_b32_e32 v6, v3, v5
	v_lshlrev_b32_e32 v3, v3, v6
	v_cmp_ne_u32_e32 vcc_lo, v3, v5
	v_lshl_or_b32 v5, v4, 12, v1
	v_cndmask_b32_e64 v3, 0, 1, vcc_lo
	v_cmp_gt_i32_e32 vcc_lo, 1, v4
	v_or_b32_e32 v3, v6, v3
	v_cndmask_b32_e32 v3, v5, v3, vcc_lo
	v_and_b32_e32 v5, 7, v3
	v_lshrrev_b32_e32 v3, 2, v3
	v_cmp_lt_i32_e32 vcc_lo, 5, v5
	v_cndmask_b32_e64 v6, 0, 1, vcc_lo
	v_cmp_eq_u32_e32 vcc_lo, 3, v5
	v_cndmask_b32_e64 v5, 0, 1, vcc_lo
	v_cmp_ne_u32_e32 vcc_lo, 0, v1
	v_or_b32_e32 v5, v5, v6
	v_mov_b32_e32 v6, 0x7e00
	v_add_nc_u32_e32 v3, v3, v5
	v_cndmask_b32_e32 v1, 0x7c00, v6, vcc_lo
	v_cmp_gt_i32_e32 vcc_lo, 31, v4
	v_cndmask_b32_e32 v3, 0x7c00, v3, vcc_lo
	v_cmp_eq_u32_e32 vcc_lo, 0x40f, v4
	v_cndmask_b32_e32 v1, v3, v1, vcc_lo
	v_and_or_b32 v3, 0x8000, v2, v1
                                        ; implicit-def: $vgpr1_vgpr2
.LBB109_25:
	s_andn2_saveexec_b32 s9, s9
	s_cbranch_execz .LBB109_27
; %bb.26:
	flat_load_dword v1, v[1:2]
	s_waitcnt vmcnt(0) lgkmcnt(0)
	v_cvt_f16_f32_e32 v3, v1
.LBB109_27:
	s_or_b32 exec_lo, exec_lo, s9
                                        ; implicit-def: $vgpr1_vgpr2
.LBB109_28:
	s_andn2_saveexec_b32 s8, s8
	s_cbranch_execz .LBB109_30
; %bb.29:
	flat_load_ushort v3, v[1:2]
.LBB109_30:
	s_or_b32 exec_lo, exec_lo, s8
.LBB109_31:
	s_or_b32 exec_lo, exec_lo, s7
                                        ; implicit-def: $vgpr5
                                        ; implicit-def: $vgpr1_vgpr2
.LBB109_32:
	s_andn2_saveexec_b32 s6, s6
	s_cbranch_execz .LBB109_50
; %bb.33:
	s_waitcnt vmcnt(0) lgkmcnt(0)
	v_mov_b32_e32 v3, 1
	v_cmp_gt_i16_sdwa s7, v5, v3 src0_sel:BYTE_0 src1_sel:DWORD
                                        ; implicit-def: $vgpr3
	s_and_saveexec_b32 s8, s7
	s_xor_b32 s7, exec_lo, s8
	s_cbranch_execz .LBB109_43
; %bb.34:
	v_mov_b32_e32 v3, 2
	v_cmp_gt_i16_sdwa s8, v5, v3 src0_sel:BYTE_0 src1_sel:DWORD
                                        ; implicit-def: $vgpr3
	s_and_saveexec_b32 s9, s8
	s_xor_b32 s8, exec_lo, s9
	s_cbranch_execz .LBB109_40
; %bb.35:
	;; [unrolled: 7-line block ×3, first 2 shown]
	flat_load_dwordx2 v[1:2], v[1:2]
	s_waitcnt vmcnt(0) lgkmcnt(0)
	v_xor_b32_e32 v3, v1, v2
	v_ffbh_i32_e32 v4, v2
	v_ashrrev_i32_e32 v3, 31, v3
	v_add_nc_u32_e32 v4, -1, v4
	v_add_nc_u32_e32 v3, 32, v3
	v_min_u32_e32 v3, v4, v3
	v_lshlrev_b64 v[1:2], v3, v[1:2]
	v_min_u32_e32 v1, 1, v1
	v_or_b32_e32 v1, v2, v1
	v_sub_nc_u32_e32 v2, 32, v3
	v_cvt_f32_i32_e32 v1, v1
	v_ldexp_f32 v1, v1, v2
	v_cvt_f16_f32_e32 v3, v1
                                        ; implicit-def: $vgpr1_vgpr2
.LBB109_37:
	s_andn2_saveexec_b32 s9, s9
	s_cbranch_execz .LBB109_39
; %bb.38:
	flat_load_dword v1, v[1:2]
	s_waitcnt vmcnt(0) lgkmcnt(0)
	v_cvt_f32_i32_e32 v1, v1
	v_cvt_f16_f32_e32 v3, v1
.LBB109_39:
	s_or_b32 exec_lo, exec_lo, s9
                                        ; implicit-def: $vgpr1_vgpr2
.LBB109_40:
	s_andn2_saveexec_b32 s8, s8
	s_cbranch_execz .LBB109_42
; %bb.41:
	flat_load_ushort v1, v[1:2]
	s_waitcnt vmcnt(0) lgkmcnt(0)
	v_cvt_f16_i16_e32 v3, v1
.LBB109_42:
	s_or_b32 exec_lo, exec_lo, s8
                                        ; implicit-def: $vgpr1_vgpr2
                                        ; implicit-def: $vgpr5
.LBB109_43:
	s_andn2_saveexec_b32 s7, s7
	s_cbranch_execz .LBB109_49
; %bb.44:
	v_mov_b32_e32 v3, 0
	v_cmp_gt_i16_sdwa s8, v5, v3 src0_sel:BYTE_0 src1_sel:DWORD
                                        ; implicit-def: $vgpr3
	s_and_saveexec_b32 s9, s8
	s_xor_b32 s8, exec_lo, s9
	s_cbranch_execz .LBB109_46
; %bb.45:
	flat_load_sbyte v1, v[1:2]
	s_waitcnt vmcnt(0) lgkmcnt(0)
	v_cvt_f16_i16_e32 v3, v1
                                        ; implicit-def: $vgpr1_vgpr2
.LBB109_46:
	s_andn2_saveexec_b32 s8, s8
	s_cbranch_execz .LBB109_48
; %bb.47:
	flat_load_ubyte v1, v[1:2]
	s_waitcnt vmcnt(0) lgkmcnt(0)
	v_cvt_f16_u16_e32 v3, v1
.LBB109_48:
	s_or_b32 exec_lo, exec_lo, s8
.LBB109_49:
	s_or_b32 exec_lo, exec_lo, s7
.LBB109_50:
	s_or_b32 exec_lo, exec_lo, s6
	s_or_b32 s5, s5, exec_lo
	s_or_b32 exec_lo, exec_lo, s4
                                        ; implicit-def: $vgpr1
	s_and_saveexec_b32 s8, s5
	s_cbranch_execz .LBB109_3
.LBB109_51:
	v_cvt_f32_i32_e32 v1, v0
	s_mov_b32 s5, exec_lo
                                        ; implicit-def: $vgpr2
	v_cvt_f16_f32_e32 v1, v1
	v_add_f16_e32 v5, 1.0, v1
	v_cvt_f32_f16_e32 v1, v5
	v_and_b32_e32 v4, 0x7fffffff, v1
	v_cmpx_ngt_f32_e64 0x3c800000, |v1|
	s_xor_b32 s5, exec_lo, s5
	s_cbranch_execz .LBB109_81
; %bb.52:
	s_mov_b32 s6, exec_lo
                                        ; implicit-def: $vgpr2
	v_cmpx_nlt_f32_e64 |v1|, 2.0
	s_xor_b32 s6, exec_lo, s6
	s_cbranch_execz .LBB109_62
; %bb.53:
	v_cmp_ngt_f32_e64 s4, 0x41000000, |v1|
                                        ; implicit-def: $vgpr2
	s_and_saveexec_b32 s7, s4
	s_xor_b32 s4, exec_lo, s7
	s_cbranch_execz .LBB109_59
; %bb.54:
	v_cmp_ngt_f32_e64 s7, 0x5c800000, |v1|
                                        ; implicit-def: $vgpr2
	s_and_saveexec_b32 s9, s7
	s_xor_b32 s7, exec_lo, s9
	s_cbranch_execz .LBB109_56
; %bb.55:
	v_cmp_gt_f32_e64 s9, 0x800000, |v1|
	v_cndmask_b32_e64 v2, 0, 32, s9
	v_ldexp_f32 v2, |v1|, v2
	v_log_f32_e32 v2, v2
	v_mul_f32_e32 v6, 0x3f317217, v2
	v_cmp_gt_f32_e64 vcc_lo, 0x7f800000, |v2|
	v_fma_f32 v7, 0x3f317217, v2, -v6
	v_fmamk_f32 v7, v2, 0x3377d1cf, v7
	v_add_f32_e32 v6, v6, v7
	v_cndmask_b32_e32 v2, v2, v6, vcc_lo
	v_cndmask_b32_e64 v6, 0, 0x41b17218, s9
	v_sub_f32_e32 v2, v2, v6
	v_fma_f32 v2, |v1|, v2, -|v1|
.LBB109_56:
	s_andn2_saveexec_b32 s7, s7
	s_cbranch_execz .LBB109_58
; %bb.57:
	v_cmp_gt_f32_e64 s9, 0x800000, |v1|
	v_rcp_f32_e64 v6, |v1|
	s_mov_b32 s10, 0xbad5c4e8
	v_cndmask_b32_e64 v2, 0, 32, s9
	v_ldexp_f32 v2, |v1|, v2
	v_mul_f32_e32 v7, v6, v6
	v_log_f32_e32 v2, v2
	v_fmaak_f32 v9, s10, v7, 0x3a5b3dd2
	v_fmaak_f32 v9, v7, v9, 0xba1c065c
	v_mul_f32_e32 v8, 0x3f317217, v2
	v_fmaak_f32 v9, v7, v9, 0x3a500cfd
	v_cmp_gt_f32_e64 vcc_lo, 0x7f800000, |v2|
	v_fma_f32 v10, 0x3f317217, v2, -v8
	v_fmaak_f32 v9, v7, v9, 0xbb360b61
	v_fmamk_f32 v10, v2, 0x3377d1cf, v10
	v_fmaak_f32 v7, v7, v9, 0x3daaaaab
	v_add_f32_e32 v8, v8, v10
	v_cndmask_b32_e32 v2, v2, v8, vcc_lo
	v_cndmask_b32_e64 v8, 0, 0x41b17218, s9
	v_sub_f32_e32 v8, v2, v8
	v_fmaak_f32 v2, v6, v7, 0x3ed67f1d
	v_add_f32_e64 v6, |v1|, -0.5
	v_add_f32_e32 v7, -1.0, v8
	v_fmac_f32_e32 v2, v6, v7
.LBB109_58:
	s_or_b32 exec_lo, exec_lo, s7
.LBB109_59:
	s_andn2_saveexec_b32 s7, s4
	s_cbranch_execz .LBB109_61
; %bb.60:
	v_cvt_i32_f32_e32 v2, v4
	s_mov_b32 s4, 0x36f5d7bd
	s_mov_b32 s9, 0x3805ff67
	v_cvt_f32_i32_e32 v6, v2
	v_cmp_lt_i32_e32 vcc_lo, 2, v2
	v_sub_f32_e64 v6, |v1|, v6
	v_add_f32_e32 v7, 2.0, v6
	v_add_f32_e32 v8, 0x40400000, v6
	v_add_f32_e32 v9, 4.0, v6
	v_add_f32_e32 v10, 0x40a00000, v6
	v_cndmask_b32_e32 v7, 1.0, v7, vcc_lo
	v_cmp_lt_i32_e32 vcc_lo, 3, v2
	v_cndmask_b32_e32 v8, 1.0, v8, vcc_lo
	v_cmp_lt_i32_e32 vcc_lo, 4, v2
	v_mul_f32_e32 v7, v7, v8
	v_cndmask_b32_e32 v9, 1.0, v9, vcc_lo
	v_cmp_lt_i32_e32 vcc_lo, 5, v2
	v_add_f32_e32 v8, 0x40c00000, v6
	v_mul_f32_e32 v7, v9, v7
	v_cndmask_b32_e32 v10, 1.0, v10, vcc_lo
	v_cmp_lt_i32_e32 vcc_lo, 6, v2
	v_fmaak_f32 v9, s9, v6, 0x3af135b4
	v_mul_f32_e32 v7, v10, v7
	v_cndmask_b32_e32 v2, 1.0, v8, vcc_lo
	v_mul_f32_e32 v2, v2, v7
	v_fmaak_f32 v7, s4, v6, 0x3a4beed6
	v_cmp_gt_f32_e32 vcc_lo, 0x800000, v2
	v_fmaak_f32 v7, v6, v7, 0x3c98bf54
	v_cndmask_b32_e64 v8, 0, 32, vcc_lo
	v_fmaak_f32 v7, v6, v7, 0x3e300f6e
	v_ldexp_f32 v2, v2, v8
	v_fmaak_f32 v8, v6, v9, 0x3cda40e4
	v_fmaak_f32 v7, v6, v7, 0x3f38d0c5
	v_log_f32_e32 v2, v2
	v_fmaak_f32 v8, v6, v8, 0x3e15dce6
	v_fmaak_f32 v7, v6, v7, 0x3fb22d3b
	;; [unrolled: 1-line block ×3, first 2 shown]
	v_fma_f32 v7, v6, v7, 1.0
	v_mul_f32_e32 v9, 0x3f317217, v2
	v_fmaak_f32 v8, v6, v8, 0x3e5c245a
	v_rcp_f32_e32 v7, v7
	v_cmp_gt_f32_e64 s4, 0x7f800000, |v2|
	v_fma_f32 v10, 0x3f317217, v2, -v9
	v_fmaak_f32 v8, v6, v8, 0xbd9e233f
	v_fmamk_f32 v10, v2, 0x3377d1cf, v10
	v_mul_f32_e32 v8, v6, v8
	v_add_f32_e32 v9, v9, v10
	v_mul_f32_e32 v7, v8, v7
	v_cndmask_b32_e64 v8, 0, 0x41b17218, vcc_lo
	v_cndmask_b32_e64 v2, v2, v9, s4
	v_fmac_f32_e32 v7, 0.5, v6
	v_sub_f32_e32 v2, v2, v8
	v_add_f32_e32 v2, v2, v7
.LBB109_61:
	s_or_b32 exec_lo, exec_lo, s7
.LBB109_62:
	s_andn2_saveexec_b32 s6, s6
	s_cbranch_execz .LBB109_80
; %bb.63:
	s_mov_b32 s7, exec_lo
                                        ; implicit-def: $vgpr2
                                        ; implicit-def: $vgpr7
                                        ; implicit-def: $vgpr6
	v_cmpx_ge_f32_e64 0x3f666666, |v1|
	s_xor_b32 s7, exec_lo, s7
	s_cbranch_execz .LBB109_65
; %bb.64:
	v_cmp_gt_f32_e64 s4, 0x800000, |v1|
	v_sub_f32_e64 v8, 1.0, |v1|
	v_cmp_gt_f32_e64 vcc_lo, 0x3f3b4a23, |v1|
	v_cndmask_b32_e64 v2, 0, 32, s4
	v_cndmask_b32_e64 v9, 0, 0x41b17218, s4
	v_ldexp_f32 v2, |v1|, v2
	v_log_f32_e32 v2, v2
	v_mul_f32_e32 v6, 0x3f317217, v2
	v_cmp_gt_f32_e64 s4, 0x7f800000, |v2|
	v_fma_f32 v7, 0x3f317217, v2, -v6
	v_fmamk_f32 v7, v2, 0x3377d1cf, v7
	v_add_f32_e32 v6, v6, v7
	v_add_f32_e64 v7, 0xbeec5b0c, |v1|
	v_cndmask_b32_e64 v2, v2, v6, s4
	v_cndmask_b32_e32 v6, v8, v7, vcc_lo
	v_cndmask_b32_e64 v7, 0, 1, vcc_lo
	v_cmp_gt_f32_e64 s4, 0x3e6d3309, |v1|
	v_sub_f32_e32 v2, v2, v9
	v_cndmask_b32_e64 v6, v6, |v1|, s4
	v_cndmask_b32_e64 v7, v7, 2, s4
	v_xor_b32_e32 v2, 0x80000000, v2
.LBB109_65:
	s_andn2_saveexec_b32 s4, s7
	s_cbranch_execz .LBB109_67
; %bb.66:
	v_sub_f32_e64 v2, 2.0, |v1|
	v_add_f32_e64 v6, 0xbfbb16c3, |v1|
	v_cmp_gt_f32_e64 vcc_lo, 0x3fdda512, |v1|
	v_add_f32_e64 v7, |v1|, -1.0
	v_cndmask_b32_e32 v6, v2, v6, vcc_lo
	v_cndmask_b32_e64 v2, v2, 1.0, vcc_lo
	v_cmp_gt_f32_e64 vcc_lo, 0x3f9d70a4, |v1|
	v_cvt_i32_f32_e32 v2, v2
	v_cndmask_b32_e32 v6, v6, v7, vcc_lo
	v_cndmask_b32_e64 v7, v2, 2, vcc_lo
	v_mov_b32_e32 v2, 0
.LBB109_67:
	s_or_b32 exec_lo, exec_lo, s4
	s_mov_b32 s4, exec_lo
	v_cmpx_lt_i32_e32 0, v7
	s_xor_b32 s4, exec_lo, s4
	s_cbranch_execz .LBB109_75
; %bb.68:
	s_mov_b32 s7, exec_lo
	v_cmpx_lt_i32_e32 1, v7
	s_xor_b32 s7, exec_lo, s7
	s_cbranch_execz .LBB109_72
; %bb.69:
	s_mov_b32 s9, exec_lo
	v_cmpx_eq_u32_e32 2, v7
	s_cbranch_execz .LBB109_71
; %bb.70:
	s_mov_b32 s10, 0x3b52d5db
	v_fmaak_f32 v7, s10, v6, 0x3dd572af
	s_mov_b32 s10, 0x3c5b3c5e
	v_fmaak_f32 v8, s10, v6, 0x3e6a7578
	v_fmaak_f32 v7, v6, v7, 0x3f44efdf
	;; [unrolled: 1-line block ×7, first 2 shown]
	v_fma_f32 v7, v6, v7, 1.0
	v_fmaak_f32 v8, v6, v8, 0xbd9e233f
	v_rcp_f32_e32 v7, v7
	v_mul_f32_e32 v8, v6, v8
	v_mul_f32_e32 v7, v8, v7
	v_fmac_f32_e32 v7, -0.5, v6
	v_add_f32_e32 v2, v2, v7
.LBB109_71:
	s_or_b32 exec_lo, exec_lo, s9
                                        ; implicit-def: $vgpr6
.LBB109_72:
	s_andn2_saveexec_b32 s7, s7
	s_cbranch_execz .LBB109_74
; %bb.73:
	v_mul_f32_e32 v7, v6, v6
	s_mov_b32 s9, 0xb9a3f927
	s_mov_b32 s10, 0x39afe9f7
	v_mul_f32_e32 v8, v6, v7
	v_fmaak_f32 v9, s9, v8, 0x3a66f867
	v_fmaak_f32 v10, s10, v8, 0xba0d3085
	s_mov_b32 s9, 0x39a57b6b
	v_fmaak_f32 v11, s9, v8, 0xbab7f476
	v_fmaak_f32 v9, v8, v9, 0xbb7177fe
	;; [unrolled: 1-line block ×9, first 2 shown]
	v_fmac_f32_e32 v9, v6, v10
	v_fmaak_f32 v6, v8, v11, 0x3ef7b95e
	v_fma_f32 v8, v8, -v9, 0xa2863e55
	v_fma_f32 v6, v7, v6, -v8
	v_add_f32_e32 v6, 0xbdf8cdce, v6
	v_add_f32_e32 v2, v2, v6
.LBB109_74:
	s_or_b32 exec_lo, exec_lo, s7
                                        ; implicit-def: $vgpr7
                                        ; implicit-def: $vgpr6
.LBB109_75:
	s_andn2_saveexec_b32 s4, s4
	s_cbranch_execz .LBB109_79
; %bb.76:
	s_mov_b32 s7, exec_lo
	v_cmpx_eq_u32_e32 0, v7
	s_cbranch_execz .LBB109_78
; %bb.77:
	v_mul_f32_e32 v7, v6, v6
	s_mov_b32 s9, 0x383c2c75
	v_fmaak_f32 v8, s9, v7, 0x38e28445
	s_mov_b32 s9, 0x37d383a2
	v_fmaak_f32 v9, s9, v7, 0x39679767
	v_fmaak_f32 v8, v7, v8, 0x3a05b634
	;; [unrolled: 1-line block ×9, first 2 shown]
	v_mul_f32_e32 v7, v7, v8
	v_fmac_f32_e32 v7, v6, v9
	v_fmac_f32_e32 v7, -0.5, v6
	v_add_f32_e32 v2, v2, v7
.LBB109_78:
	s_or_b32 exec_lo, exec_lo, s7
.LBB109_79:
	s_or_b32 exec_lo, exec_lo, s4
.LBB109_80:
	s_or_b32 exec_lo, exec_lo, s6
.LBB109_81:
	s_andn2_saveexec_b32 s4, s5
	s_cbranch_execz .LBB109_83
; %bb.82:
	v_cmp_gt_f32_e64 s5, 0x800000, |v1|
	s_mov_b32 s6, 0x3e8a8991
	v_fma_f32 v8, |v1|, s6, 0xbecd26ab
	v_cndmask_b32_e64 v2, 0, 32, s5
	v_ldexp_f32 v2, |v1|, v2
	v_log_f32_e32 v2, v2
	v_mul_f32_e32 v6, 0x3f317217, v2
	v_cmp_gt_f32_e64 vcc_lo, 0x7f800000, |v2|
	v_fma_f32 v7, 0x3f317217, v2, -v6
	v_fmamk_f32 v7, v2, 0x3377d1cf, v7
	v_add_f32_e32 v6, v6, v7
	v_fma_f32 v7, |v1|, v8, 0x3f528d33
	v_cndmask_b32_e32 v2, v2, v6, vcc_lo
	v_cndmask_b32_e64 v6, 0, 0x41b17218, s5
	v_fma_f32 v7, |v1|, v7, 0xbf13c468
	v_sub_f32_e32 v2, v2, v6
	v_fma_f32 v2, |v1|, v7, -v2
.LBB109_83:
	s_or_b32 exec_lo, exec_lo, s4
	v_cmp_le_f16_e64 s4, 0, v5
	s_mov_b32 s5, exec_lo
	v_cmpx_nle_f16_e32 0, v5
	s_xor_b32 s6, exec_lo, s5
	s_cbranch_execz .LBB109_87
; %bb.84:
	v_cmp_gt_f32_e64 s5, 0x4b000000, |v1|
	v_cmp_lt_f32_e64 s7, 0x35000000, |v1|
	s_and_b32 s5, s5, s7
	s_and_saveexec_b32 s7, s5
	s_cbranch_execz .LBB109_86
; %bb.85:
	v_mul_f32_e64 v5, |v1|, 0.5
	v_cmp_gt_f32_e64 s5, |v1|, 1.0
	s_mov_b32 s9, 0x3d4be544
	v_xor_b32_e32 v4, v4, v1
	v_fract_f32_e32 v6, v5
	v_cmp_neq_f32_e32 vcc_lo, 0x7f800000, v5
	v_add_f32_e32 v6, v6, v6
	v_cndmask_b32_e32 v5, 0, v6, vcc_lo
	v_cndmask_b32_e64 v5, |v1|, v5, s5
	s_mov_b32 s5, 0x3e75aa41
	v_add_f32_e32 v6, v5, v5
	v_rndne_f32_e32 v6, v6
	v_fmac_f32_e32 v5, -0.5, v6
	v_cvt_i32_f32_e32 v6, v6
	v_mul_f32_e32 v7, v5, v5
	v_fmaak_f32 v8, s5, v7, 0xbf1f24be
	v_fmaak_f32 v9, s9, v7, 0x3e642e9d
	v_mul_f32_e32 v10, v5, v7
	v_fmaak_f32 v8, v7, v8, 0x40234736
	v_fmaak_f32 v9, v7, v9, 0xbfaad1da
	;; [unrolled: 1-line block ×4, first 2 shown]
	v_mul_f32_e32 v8, v10, v8
	v_fmaak_f32 v9, v7, v9, 0xc09de9e6
	v_and_b32_e32 v10, 1, v6
	v_lshlrev_b32_e32 v6, 30, v6
	v_fmamk_f32 v5, v5, 0x40490fdb, v8
	v_fma_f32 v7, v7, v9, 1.0
	v_cmp_eq_u32_e32 vcc_lo, 0, v10
	v_and_b32_e32 v6, 0x80000000, v6
	v_cndmask_b32_e32 v5, v7, v5, vcc_lo
	v_xor3_b32 v4, v4, v6, v5
	v_mul_f32_e32 v4, v1, v4
	v_frexp_mant_f32_e64 v5, |v4|
	v_frexp_exp_i32_f32_e32 v4, v4
	v_rcp_f32_e32 v5, v5
	v_sub_nc_u32_e32 v4, 2, v4
	v_mul_f32_e32 v5, 0x3f490fdb, v5
	v_ldexp_f32 v4, v5, v4
	v_cmp_gt_f32_e32 vcc_lo, 0x800000, v4
	v_cndmask_b32_e64 v5, 0, 32, vcc_lo
	v_ldexp_f32 v4, v4, v5
	v_log_f32_e32 v4, v4
	v_mul_f32_e32 v5, 0x3f317217, v4
	v_cmp_gt_f32_e64 s5, 0x7f800000, |v4|
	v_fma_f32 v6, 0x3f317217, v4, -v5
	v_fmamk_f32 v6, v4, 0x3377d1cf, v6
	v_add_f32_e32 v5, v5, v6
	v_cndmask_b32_e64 v4, v4, v5, s5
	v_cndmask_b32_e64 v5, 0, 0x41b17218, vcc_lo
	v_sub_f32_e32 v4, v4, v5
	v_fract_f32_e32 v5, v1
	v_sub_f32_e32 v2, v4, v2
	v_cmp_neq_f32_e32 vcc_lo, 0, v5
	v_cndmask_b32_e32 v2, 0x7f800000, v2, vcc_lo
.LBB109_86:
	s_or_b32 exec_lo, exec_lo, s7
                                        ; implicit-def: $vgpr5
.LBB109_87:
	s_andn2_saveexec_b32 s6, s6
; %bb.88:
	v_cmp_eq_f16_e32 vcc_lo, 1.0, v5
	v_cmp_eq_f16_e64 s5, 2.0, v5
	s_or_b32 s5, vcc_lo, s5
	v_cndmask_b32_e64 v2, v2, 0, s5
; %bb.89:
	s_or_b32 exec_lo, exec_lo, s6
	v_add_nc_u32_e32 v4, 1, v0
	v_mov_b32_e32 v8, 0x7c00
	s_mov_b32 s9, exec_lo
	v_cvt_f32_i32_e32 v4, v4
	v_cvt_f16_f32_e32 v6, v4
	v_cmpx_neq_f16_e32 1.0, v6
	s_cbranch_execz .LBB109_176
; %bb.90:
	v_mov_b32_e32 v8, 0x7e00
	s_mov_b32 s6, -1
	s_mov_b32 s10, exec_lo
	v_cmpx_lt_i32_e32 -1, v0
	s_cbranch_execz .LBB109_175
; %bb.91:
	v_cvt_f32_f16_e32 v4, v6
	s_waitcnt vmcnt(0) lgkmcnt(0)
	v_cvt_f32_f16_e32 v5, v3
	s_mov_b32 s7, 0
	s_mov_b32 s5, exec_lo
                                        ; implicit-def: $vgpr8
	v_cmpx_ge_f16_e32 0, v3
	s_cbranch_execz .LBB109_95
; %bb.92:
	v_floor_f32_e32 v7, v5
	v_mov_b32_e32 v8, 0x7c00
	s_mov_b32 s6, exec_lo
	v_cmpx_neq_f32_e32 v7, v5
; %bb.93:
	v_floor_f32_e32 v7, v4
	v_mov_b32_e32 v8, 0x7e00
	v_cmp_eq_f32_e32 vcc_lo, v7, v4
	s_and_b32 s7, vcc_lo, exec_lo
; %bb.94:
	s_or_b32 exec_lo, exec_lo, s6
	s_orn2_b32 s6, s7, exec_lo
.LBB109_95:
	s_or_b32 exec_lo, exec_lo, s5
	s_and_saveexec_b32 s11, s6
	s_cbranch_execz .LBB109_174
; %bb.96:
	v_frexp_mant_f32_e64 v7, |v5|
	s_mov_b32 s12, 0x3e76c4e1
	v_cvt_f32_f16_e64 v6, -v6
	v_cmp_lt_f32_e64 s13, |v5|, 1.0
	s_mov_b32 s17, 0
	v_cmp_gt_f32_e32 vcc_lo, 0x3f2aaaab, v7
                                        ; implicit-def: $sgpr16
                                        ; implicit-def: $sgpr15
	v_cndmask_b32_e64 v8, 1.0, 2.0, vcc_lo
	v_mul_f32_e32 v7, v7, v8
	v_add_f32_e32 v8, 1.0, v7
	v_add_f32_e32 v10, -1.0, v7
	v_rcp_f32_e32 v9, v8
	v_add_f32_e32 v12, -1.0, v8
	v_sub_f32_e32 v7, v7, v12
	v_mul_f32_e32 v11, v10, v9
	v_mul_f32_e32 v13, v8, v11
	v_fma_f32 v8, v11, v8, -v13
	v_fmac_f32_e32 v8, v11, v7
	v_add_f32_e32 v7, v13, v8
	v_sub_f32_e32 v12, v10, v7
	v_sub_f32_e32 v13, v7, v13
	v_sub_f32_e32 v10, v10, v12
	v_sub_f32_e32 v8, v13, v8
	v_sub_f32_e32 v7, v10, v7
	v_add_f32_e32 v7, v8, v7
	v_add_f32_e32 v7, v12, v7
	v_mul_f32_e32 v7, v9, v7
	v_add_f32_e32 v9, v11, v7
	v_sub_f32_e32 v8, v9, v11
	v_mul_f32_e32 v10, v9, v9
	v_sub_f32_e32 v11, v7, v8
	v_fma_f32 v7, v9, v9, -v10
	v_add_f32_e32 v8, v11, v11
	v_fmac_f32_e32 v7, v9, v8
	v_add_f32_e32 v12, v10, v7
	v_fmaak_f32 v8, s12, v12, 0x3e91f4c4
	v_sub_f32_e32 v10, v12, v10
	v_mul_f32_e32 v17, v9, v12
	v_fmaak_f32 v8, v12, v8, 0x3ecccdef
	v_sub_f32_e32 v10, v7, v10
	v_fma_f32 v18, v12, v9, -v17
	v_mul_f32_e32 v13, v12, v8
	v_fmac_f32_e32 v18, v12, v11
	v_ldexp_f32 v11, v11, 1
	v_fma_f32 v14, v12, v8, -v13
	v_fmac_f32_e32 v18, v10, v9
	v_fmac_f32_e32 v14, v10, v8
	v_cvt_f64_f32_e64 v[7:8], |v5|
	v_add_f32_e32 v15, v13, v14
	v_sub_f32_e32 v13, v15, v13
	v_add_f32_e32 v16, 0x3f2aaaaa, v15
	v_sub_f32_e32 v13, v14, v13
	v_add_f32_e32 v14, 0xbf2aaaaa, v16
	v_add_f32_e32 v13, 0x31739010, v13
	v_sub_f32_e32 v14, v15, v14
	v_frexp_exp_i32_f64_e32 v7, v[7:8]
	v_add_f32_e32 v12, v13, v14
	v_add_f32_e32 v13, v17, v18
	;; [unrolled: 1-line block ×3, first 2 shown]
	v_sub_f32_e32 v15, v13, v17
	v_sub_f32_e32 v8, v16, v10
	v_mul_f32_e32 v14, v13, v10
	v_sub_f32_e32 v15, v18, v15
	v_add_f32_e32 v8, v12, v8
	v_fma_f32 v12, v13, v10, -v14
	v_subrev_co_ci_u32_e64 v7, null, 0, v7, vcc_lo
	v_fmac_f32_e32 v12, v13, v8
	v_ldexp_f32 v8, v9, 1
	v_cmp_neq_f16_e32 vcc_lo, 1.0, v3
	v_cvt_f32_i32_e32 v7, v7
	v_fmac_f32_e32 v12, v15, v10
	v_add_f32_e32 v9, v14, v12
	v_add_f32_e32 v10, v8, v9
	v_sub_f32_e32 v13, v9, v14
	v_mul_f32_e32 v14, 0x3f317218, v7
	v_sub_f32_e32 v8, v10, v8
	v_sub_f32_e32 v12, v12, v13
	v_fma_f32 v13, 0x3f317218, v7, -v14
	v_sub_f32_e32 v8, v9, v8
	v_add_f32_e32 v9, v11, v12
	v_fmac_f32_e32 v13, 0xb102e308, v7
	v_add_f32_e32 v7, v9, v8
	v_add_f32_e32 v8, v14, v13
	;; [unrolled: 1-line block ×3, first 2 shown]
	v_sub_f32_e32 v14, v8, v14
	v_add_f32_e32 v11, v8, v9
	v_sub_f32_e32 v10, v9, v10
	v_sub_f32_e32 v13, v13, v14
	;; [unrolled: 1-line block ×6, first 2 shown]
	v_add_f32_e32 v10, v13, v7
	v_sub_f32_e32 v8, v8, v15
	v_add_f32_e32 v8, v9, v8
	v_sub_f32_e32 v9, v10, v13
	;; [unrolled: 2-line block ×3, first 2 shown]
	v_sub_f32_e32 v7, v7, v9
	v_add_f32_e32 v12, v11, v8
	v_sub_f32_e32 v9, v13, v10
	v_sub_f32_e32 v10, v12, v11
	v_add_f32_e32 v7, v7, v9
	v_cndmask_b32_e32 v9, 1.0, v6, vcc_lo
	v_sub_f32_e32 v8, v8, v10
	v_cmp_neq_f32_e64 s14, v9, |v9|
	v_cmp_gt_f32_e64 s7, 0, v9
	v_add_f32_e32 v7, v7, v8
	s_xor_b32 s13, s13, s14
                                        ; implicit-def: $sgpr14
	v_add_f32_e32 v8, v12, v7
	v_sub_f32_e32 v10, v8, v12
	v_mul_f32_e32 v11, v9, v8
	v_sub_f32_e32 v7, v7, v10
	v_fma_f32 v8, v9, v8, -v11
	v_cmp_class_f32_e64 vcc_lo, v11, 0x204
	v_fmac_f32_e32 v8, v9, v7
	v_add_f32_e32 v7, v11, v8
	v_cndmask_b32_e32 v10, v7, v11, vcc_lo
	v_sub_f32_e32 v7, v7, v11
	v_cmp_eq_f32_e32 vcc_lo, 0x42b17218, v10
	v_sub_f32_e32 v7, v8, v7
	v_cndmask_b32_e64 v12, 0, 0x37000000, vcc_lo
	v_cmp_neq_f32_e64 vcc_lo, 0x7f800000, |v10|
	v_sub_f32_e32 v13, v10, v12
	v_cndmask_b32_e32 v7, 0, v7, vcc_lo
	v_trunc_f32_e32 v10, v9
	v_mul_f32_e32 v14, 0x3fb8aa3b, v13
	v_cmp_ngt_f32_e32 vcc_lo, 0xc2ce8ed0, v13
	v_add_f32_e32 v7, v12, v7
	v_fma_f32 v15, 0x3fb8aa3b, v13, -v14
	v_rndne_f32_e32 v16, v14
	v_fmac_f32_e32 v15, 0x32a5705f, v13
	v_sub_f32_e32 v14, v14, v16
	v_cvt_i32_f32_e32 v11, v16
	v_add_f32_e32 v14, v14, v15
	v_exp_f32_e32 v14, v14
	v_ldexp_f32 v8, v14, v11
	v_mul_f32_e32 v11, 0.5, v9
	v_cndmask_b32_e32 v8, 0, v8, vcc_lo
	v_cmp_nlt_f32_e32 vcc_lo, 0x42b17218, v13
	v_trunc_f32_e32 v14, v11
	v_cndmask_b32_e32 v8, 0x7f800000, v8, vcc_lo
	v_cmp_eq_f32_e32 vcc_lo, v10, v9
	v_cmp_neq_f32_e64 s5, v14, v11
	v_fma_f32 v7, v8, v7, v8
	v_cmp_class_f32_e64 s6, v8, 0x204
	s_and_b32 s5, vcc_lo, s5
	v_cndmask_b32_e64 v10, 1.0, v5, s5
	v_cndmask_b32_e64 v7, v7, v8, s6
	v_cndmask_b32_e64 v8, 0x7f800000, 0, s13
	v_cmp_eq_f16_e64 s6, 0, v3
	s_mov_b32 s13, 0
	v_bfi_b32 v7, 0x7fffffff, v7, v10
	s_xor_b32 s7, s6, s7
	v_cndmask_b32_e64 v11, 0x7f800000, 0, s7
	v_cndmask_b32_e32 v10, 0x7fc00000, v7, vcc_lo
	v_cmp_neq_f32_e64 vcc_lo, |v5|, 1.0
	v_cndmask_b32_e32 v8, 1.0, v8, vcc_lo
	v_cmp_gt_f16_e32 vcc_lo, 0, v3
	v_cndmask_b32_e32 v7, v7, v10, vcc_lo
	v_cndmask_b32_e64 v10, 0, v5, s5
	v_cmp_class_f32_e64 vcc_lo, v9, 0x204
	v_cmp_class_f32_e64 s5, v5, 0x204
	v_cndmask_b32_e32 v7, v7, v8, vcc_lo
	v_bfi_b32 v8, 0x7fffffff, v11, v10
	s_or_b32 vcc_lo, s6, s5
	v_cndmask_b32_e32 v7, v7, v8, vcc_lo
	v_cmp_o_f16_e32 vcc_lo, v3, v3
	v_cndmask_b32_e32 v3, 0x7fc00000, v7, vcc_lo
	s_branch .LBB109_98
.LBB109_97:                             ;   in Loop: Header=BB109_98 Depth=1
	s_or_b32 exec_lo, exec_lo, s5
	s_and_b32 s5, exec_lo, s16
	s_or_b32 s13, s5, s13
	s_andn2_b32 s5, s14, exec_lo
	s_and_b32 s6, s15, exec_lo
	s_or_b32 s14, s5, s6
	s_andn2_b32 exec_lo, exec_lo, s13
	s_cbranch_execz .LBB109_155
.LBB109_98:                             ; =>This Inner Loop Header: Depth=1
	v_add_f32_e32 v5, 1.0, v5
	s_or_b32 s15, s15, exec_lo
	s_or_b32 s16, s16, exec_lo
	v_frexp_mant_f32_e64 v7, |v5|
	v_cmp_lt_f32_e64 s18, |v5|, 1.0
	v_cmp_gt_f32_e32 vcc_lo, 0x3f2aaaab, v7
	v_cndmask_b32_e64 v8, 1.0, 2.0, vcc_lo
	v_mul_f32_e32 v7, v7, v8
	v_add_f32_e32 v8, 1.0, v7
	v_add_f32_e32 v10, -1.0, v7
	v_rcp_f32_e32 v9, v8
	v_add_f32_e32 v12, -1.0, v8
	v_sub_f32_e32 v7, v7, v12
	v_mul_f32_e32 v11, v10, v9
	v_mul_f32_e32 v13, v8, v11
	v_fma_f32 v8, v11, v8, -v13
	v_fmac_f32_e32 v8, v11, v7
	v_add_f32_e32 v7, v13, v8
	v_sub_f32_e32 v12, v10, v7
	v_sub_f32_e32 v13, v7, v13
	v_sub_f32_e32 v10, v10, v12
	v_sub_f32_e32 v8, v13, v8
	v_sub_f32_e32 v7, v10, v7
	v_add_f32_e32 v7, v8, v7
	v_add_f32_e32 v7, v12, v7
	v_mul_f32_e32 v7, v9, v7
	v_add_f32_e32 v9, v11, v7
	v_sub_f32_e32 v8, v9, v11
	v_mul_f32_e32 v10, v9, v9
	v_sub_f32_e32 v11, v7, v8
	v_fma_f32 v7, v9, v9, -v10
	v_add_f32_e32 v8, v11, v11
	v_fmac_f32_e32 v7, v9, v8
	v_add_f32_e32 v12, v10, v7
	v_fmaak_f32 v8, s12, v12, 0x3e91f4c4
	v_sub_f32_e32 v10, v12, v10
	v_mul_f32_e32 v17, v9, v12
	v_fmaak_f32 v8, v12, v8, 0x3ecccdef
	v_sub_f32_e32 v10, v7, v10
	v_fma_f32 v18, v12, v9, -v17
	v_mul_f32_e32 v13, v12, v8
	v_fmac_f32_e32 v18, v12, v11
	v_ldexp_f32 v11, v11, 1
	v_fma_f32 v14, v12, v8, -v13
	v_fmac_f32_e32 v18, v10, v9
	v_fmac_f32_e32 v14, v10, v8
	v_cvt_f64_f32_e64 v[7:8], |v5|
	v_add_f32_e32 v15, v13, v14
	v_sub_f32_e32 v13, v15, v13
	v_add_f32_e32 v16, 0x3f2aaaaa, v15
	v_sub_f32_e32 v13, v14, v13
	v_add_f32_e32 v14, 0xbf2aaaaa, v16
	v_add_f32_e32 v13, 0x31739010, v13
	v_sub_f32_e32 v14, v15, v14
	v_frexp_exp_i32_f64_e32 v7, v[7:8]
	v_add_f32_e32 v12, v13, v14
	v_add_f32_e32 v13, v17, v18
	;; [unrolled: 1-line block ×3, first 2 shown]
	v_sub_f32_e32 v15, v13, v17
	v_sub_f32_e32 v8, v16, v10
	v_mul_f32_e32 v14, v13, v10
	v_sub_f32_e32 v15, v18, v15
	v_add_f32_e32 v8, v12, v8
	v_fma_f32 v12, v13, v10, -v14
	v_subrev_co_ci_u32_e64 v7, null, 0, v7, vcc_lo
	v_fmac_f32_e32 v12, v13, v8
	v_ldexp_f32 v8, v9, 1
	v_cmp_neq_f32_e32 vcc_lo, 1.0, v5
	v_cvt_f32_i32_e32 v7, v7
	v_fmac_f32_e32 v12, v15, v10
	v_add_f32_e32 v9, v14, v12
	v_add_f32_e32 v10, v8, v9
	v_sub_f32_e32 v13, v9, v14
	v_mul_f32_e32 v14, 0x3f317218, v7
	v_sub_f32_e32 v8, v10, v8
	v_sub_f32_e32 v12, v12, v13
	v_fma_f32 v13, 0x3f317218, v7, -v14
	v_sub_f32_e32 v8, v9, v8
	v_add_f32_e32 v9, v11, v12
	v_fmac_f32_e32 v13, 0xb102e308, v7
	v_add_f32_e32 v7, v9, v8
	v_add_f32_e32 v8, v14, v13
	;; [unrolled: 1-line block ×3, first 2 shown]
	v_sub_f32_e32 v14, v8, v14
	v_add_f32_e32 v11, v8, v9
	v_sub_f32_e32 v10, v9, v10
	v_sub_f32_e32 v13, v13, v14
	;; [unrolled: 1-line block ×6, first 2 shown]
	v_add_f32_e32 v10, v13, v7
	v_sub_f32_e32 v8, v8, v15
	v_add_f32_e32 v8, v9, v8
	v_sub_f32_e32 v9, v10, v13
	;; [unrolled: 2-line block ×3, first 2 shown]
	v_sub_f32_e32 v7, v7, v9
	v_add_f32_e32 v12, v11, v8
	v_sub_f32_e32 v9, v13, v10
	v_sub_f32_e32 v10, v12, v11
	v_add_f32_e32 v7, v7, v9
	v_cndmask_b32_e32 v9, 1.0, v6, vcc_lo
	v_sub_f32_e32 v8, v8, v10
	v_cmp_neq_f32_e64 s19, v9, |v9|
	v_cmp_gt_f32_e64 s7, 0, v9
	v_add_f32_e32 v7, v7, v8
	s_xor_b32 s18, s18, s19
	v_add_f32_e32 v8, v12, v7
	v_sub_f32_e32 v10, v8, v12
	v_mul_f32_e32 v11, v9, v8
	v_sub_f32_e32 v7, v7, v10
	v_fma_f32 v8, v9, v8, -v11
	v_cmp_class_f32_e64 vcc_lo, v11, 0x204
	v_fmac_f32_e32 v8, v9, v7
	v_add_f32_e32 v7, v11, v8
	v_cndmask_b32_e32 v10, v7, v11, vcc_lo
	v_sub_f32_e32 v7, v7, v11
	v_cmp_eq_f32_e32 vcc_lo, 0x42b17218, v10
	v_sub_f32_e32 v7, v8, v7
	v_cndmask_b32_e64 v12, 0, 0x37000000, vcc_lo
	v_cmp_neq_f32_e64 vcc_lo, 0x7f800000, |v10|
	v_sub_f32_e32 v13, v10, v12
	v_cndmask_b32_e32 v7, 0, v7, vcc_lo
	v_trunc_f32_e32 v10, v9
	v_mul_f32_e32 v14, 0x3fb8aa3b, v13
	v_cmp_ngt_f32_e32 vcc_lo, 0xc2ce8ed0, v13
	v_add_f32_e32 v7, v12, v7
	v_fma_f32 v15, 0x3fb8aa3b, v13, -v14
	v_rndne_f32_e32 v16, v14
	v_fmac_f32_e32 v15, 0x32a5705f, v13
	v_sub_f32_e32 v14, v14, v16
	v_cvt_i32_f32_e32 v11, v16
	v_add_f32_e32 v14, v14, v15
	v_exp_f32_e32 v14, v14
	v_ldexp_f32 v8, v14, v11
	v_mul_f32_e32 v11, 0.5, v9
	v_cndmask_b32_e32 v8, 0, v8, vcc_lo
	v_cmp_nlt_f32_e32 vcc_lo, 0x42b17218, v13
	v_trunc_f32_e32 v14, v11
	v_cndmask_b32_e32 v8, 0x7f800000, v8, vcc_lo
	v_cmp_eq_f32_e32 vcc_lo, v10, v9
	v_cmp_neq_f32_e64 s5, v14, v11
	v_fma_f32 v7, v8, v7, v8
	v_cmp_class_f32_e64 s6, v8, 0x204
	s_and_b32 s5, vcc_lo, s5
	v_cndmask_b32_e64 v10, 1.0, v5, s5
	v_cndmask_b32_e64 v12, 0, v5, s5
	v_cndmask_b32_e64 v7, v7, v8, s6
	;; [unrolled: 1-line block ×3, first 2 shown]
	v_cmp_eq_f32_e64 s6, 0, v5
	v_cmp_class_f32_e64 s5, v5, 0x204
	v_bfi_b32 v7, 0x7fffffff, v7, v10
	s_xor_b32 s7, s6, s7
	v_cndmask_b32_e64 v10, 0x7f800000, 0, s7
	v_cndmask_b32_e32 v11, 0x7fc00000, v7, vcc_lo
	v_cmp_neq_f32_e64 vcc_lo, |v5|, 1.0
	v_bfi_b32 v10, 0x7fffffff, v10, v12
	v_cndmask_b32_e32 v8, 1.0, v8, vcc_lo
	v_cmp_gt_f32_e32 vcc_lo, 0, v5
	v_cndmask_b32_e32 v7, v7, v11, vcc_lo
	v_cmp_class_f32_e64 vcc_lo, v9, 0x204
	v_cndmask_b32_e32 v7, v7, v8, vcc_lo
	s_or_b32 vcc_lo, s6, s5
	v_cndmask_b32_e32 v7, v7, v10, vcc_lo
	v_cmp_o_f32_e32 vcc_lo, v5, v5
	v_cndmask_b32_e32 v7, 0x7fc00000, v7, vcc_lo
	v_add_f32_e32 v3, v3, v7
	v_mul_f32_e32 v8, 0xa5000000, v3
	v_mul_f32_e32 v9, 0x25000000, v3
	v_cmp_nlt_f32_e32 vcc_lo, v8, v7
	v_cmp_nlt_f32_e64 s5, v7, v9
	s_or_b32 s6, vcc_lo, s5
	s_and_saveexec_b32 s5, s6
	s_cbranch_execz .LBB109_97
; %bb.99:                               ;   in Loop: Header=BB109_98 Depth=1
	s_add_i32 s6, s17, 1
	v_cmp_nge_f32_e32 vcc_lo, 0x41100000, v5
	s_cmp_gt_u32 s17, 7
	s_mov_b32 s17, s6
	s_cselect_b32 s7, -1, 0
	s_andn2_b32 s16, s16, exec_lo
	s_and_b32 s7, s7, vcc_lo
	s_andn2_b32 s15, s15, exec_lo
	s_and_b32 s7, s7, exec_lo
	s_or_b32 s16, s16, s7
	s_branch .LBB109_97
.LBB109_100:
	v_mov_b32_e32 v3, 28
	s_mov_b32 s9, 0
	v_cmp_gt_i16_sdwa s7, v5, v3 src0_sel:BYTE_0 src1_sel:DWORD
                                        ; implicit-def: $vgpr3
	s_and_saveexec_b32 s10, s7
	s_xor_b32 s7, exec_lo, s10
	s_cbranch_execz .LBB109_116
; %bb.101:
	v_mov_b32_e32 v3, 43
	s_mov_b32 s10, 0
	s_mov_b32 s11, 0
	v_cmp_gt_i16_sdwa s8, v5, v3 src0_sel:BYTE_0 src1_sel:DWORD
                                        ; implicit-def: $vgpr3
	s_and_saveexec_b32 s9, s8
	s_xor_b32 s8, exec_lo, s9
	s_cbranch_execz .LBB109_111
; %bb.102:
	v_mov_b32_e32 v3, 45
	s_mov_b32 s9, 0
	v_cmp_gt_i16_sdwa s11, v5, v3 src0_sel:BYTE_0 src1_sel:DWORD
                                        ; implicit-def: $vgpr3
	s_and_saveexec_b32 s12, s11
	s_xor_b32 s11, exec_lo, s12
	s_cbranch_execz .LBB109_106
; %bb.103:
	v_mov_b32_e32 v3, 46
	s_mov_b32 s12, -1
	v_cmp_eq_u16_sdwa s13, v5, v3 src0_sel:BYTE_0 src1_sel:DWORD
                                        ; implicit-def: $vgpr3
	s_and_saveexec_b32 s10, s13
	s_cbranch_execz .LBB109_105
; %bb.104:
	flat_load_dword v3, v[1:2]
	s_mov_b32 s9, exec_lo
	s_xor_b32 s12, exec_lo, -1
	s_waitcnt vmcnt(0) lgkmcnt(0)
	v_lshlrev_b32_e32 v3, 16, v3
	v_cvt_f16_f32_e32 v3, v3
.LBB109_105:
	s_or_b32 exec_lo, exec_lo, s10
	s_and_b32 s10, s9, exec_lo
	s_and_b32 s9, s12, exec_lo
                                        ; implicit-def: $vgpr5
.LBB109_106:
	s_andn2_saveexec_b32 s11, s11
	s_cbranch_execz .LBB109_110
; %bb.107:
	v_mov_b32_e32 v3, 44
	s_mov_b32 s12, -1
	s_mov_b32 s14, s10
	v_cmp_eq_u16_sdwa s15, v5, v3 src0_sel:BYTE_0 src1_sel:DWORD
                                        ; implicit-def: $vgpr3
	s_and_saveexec_b32 s13, s15
	s_cbranch_execz .LBB109_109
; %bb.108:
	flat_load_ubyte v3, v[1:2]
	s_or_b32 s14, s10, exec_lo
	s_xor_b32 s12, exec_lo, -1
	s_waitcnt vmcnt(0) lgkmcnt(0)
	v_lshlrev_b32_e32 v4, 23, v3
	v_cmp_ne_u32_e32 vcc_lo, 0xff, v3
	v_cvt_f16_f32_e32 v4, v4
	v_cndmask_b32_e32 v4, 0x7e00, v4, vcc_lo
	v_cmp_ne_u32_e32 vcc_lo, 0, v3
	v_cndmask_b32_e32 v3, 0, v4, vcc_lo
.LBB109_109:
	s_or_b32 exec_lo, exec_lo, s13
	s_andn2_b32 s10, s10, exec_lo
	s_and_b32 s13, s14, exec_lo
	s_andn2_b32 s9, s9, exec_lo
	s_and_b32 s12, s12, exec_lo
	s_or_b32 s10, s10, s13
	s_or_b32 s9, s9, s12
.LBB109_110:
	s_or_b32 exec_lo, exec_lo, s11
	s_and_b32 s11, s10, exec_lo
	s_and_b32 s10, s9, exec_lo
                                        ; implicit-def: $vgpr5
.LBB109_111:
	s_andn2_saveexec_b32 s8, s8
	s_cbranch_execz .LBB109_115
; %bb.112:
	v_mov_b32_e32 v3, 29
	s_mov_b32 s12, -1
	s_mov_b32 s13, s11
	v_cmp_eq_u16_sdwa s14, v5, v3 src0_sel:BYTE_0 src1_sel:DWORD
                                        ; implicit-def: $vgpr3
	s_and_saveexec_b32 s9, s14
	s_cbranch_execz .LBB109_114
; %bb.113:
	flat_load_dwordx2 v[3:4], v[1:2]
	s_or_b32 s13, s11, exec_lo
	s_xor_b32 s12, exec_lo, -1
	s_waitcnt vmcnt(0) lgkmcnt(0)
	v_ffbh_u32_e32 v5, v4
	v_min_u32_e32 v5, 32, v5
	v_lshlrev_b64 v[3:4], v5, v[3:4]
	v_min_u32_e32 v3, 1, v3
	v_or_b32_e32 v3, v4, v3
	v_sub_nc_u32_e32 v4, 32, v5
	v_cvt_f32_u32_e32 v3, v3
	v_ldexp_f32 v3, v3, v4
	v_cvt_f16_f32_e32 v3, v3
.LBB109_114:
	s_or_b32 exec_lo, exec_lo, s9
	s_andn2_b32 s9, s11, exec_lo
	s_and_b32 s11, s13, exec_lo
	s_andn2_b32 s10, s10, exec_lo
	s_and_b32 s12, s12, exec_lo
	s_or_b32 s11, s9, s11
	s_or_b32 s10, s10, s12
.LBB109_115:
	s_or_b32 exec_lo, exec_lo, s8
	s_and_b32 s9, s11, exec_lo
	s_and_b32 s8, s10, exec_lo
                                        ; implicit-def: $vgpr5
.LBB109_116:
	s_andn2_saveexec_b32 s7, s7
	s_cbranch_execz .LBB109_130
; %bb.117:
	v_mov_b32_e32 v3, 26
	v_cmp_gt_i16_sdwa s10, v5, v3 src0_sel:BYTE_0 src1_sel:DWORD
                                        ; implicit-def: $vgpr3
	s_and_saveexec_b32 s11, s10
	s_xor_b32 s10, exec_lo, s11
	s_cbranch_execz .LBB109_123
; %bb.118:
	v_mov_b32_e32 v3, 27
	v_cmp_gt_i16_sdwa s11, v5, v3 src0_sel:BYTE_0 src1_sel:DWORD
                                        ; implicit-def: $vgpr3
	s_and_saveexec_b32 s12, s11
	s_xor_b32 s11, exec_lo, s12
	s_cbranch_execz .LBB109_120
; %bb.119:
	flat_load_dword v3, v[1:2]
	s_waitcnt vmcnt(0) lgkmcnt(0)
	v_cvt_f32_u32_e32 v3, v3
	v_cvt_f16_f32_e32 v3, v3
.LBB109_120:
	s_andn2_saveexec_b32 s11, s11
	s_cbranch_execz .LBB109_122
; %bb.121:
	flat_load_ushort v3, v[1:2]
	s_waitcnt vmcnt(0) lgkmcnt(0)
	v_cvt_f16_u16_e32 v3, v3
.LBB109_122:
	s_or_b32 exec_lo, exec_lo, s11
.LBB109_123:
	s_andn2_saveexec_b32 s10, s10
	s_cbranch_execz .LBB109_129
; %bb.124:
	flat_load_ubyte v4, v[1:2]
	s_mov_b32 s11, 0
	s_mov_b32 s12, exec_lo
	s_waitcnt vmcnt(0) lgkmcnt(0)
	v_cmpx_lt_i16_e32 0x7f, v4
	s_xor_b32 s12, exec_lo, s12
	s_cbranch_execnz .LBB109_162
; %bb.125:
	s_or_saveexec_b32 s12, s12
	v_mov_b32_e32 v3, 0x7e00
	s_xor_b32 exec_lo, exec_lo, s12
	s_cbranch_execnz .LBB109_165
.LBB109_126:
	s_or_b32 exec_lo, exec_lo, s12
	s_and_saveexec_b32 s12, s11
	s_cbranch_execz .LBB109_128
.LBB109_127:
	v_and_b32_e32 v3, 0xffff, v4
	v_lshlrev_b32_e32 v4, 24, v4
	v_and_b32_e32 v5, 7, v3
	v_bfe_u32 v8, v3, 3, 4
	v_and_b32_e32 v4, 0x80000000, v4
	v_ffbh_u32_e32 v6, v5
	v_cmp_eq_u32_e32 vcc_lo, 0, v8
	v_min_u32_e32 v6, 32, v6
	v_subrev_nc_u32_e32 v7, 28, v6
	v_sub_nc_u32_e32 v6, 29, v6
	v_lshlrev_b32_e32 v3, v7, v3
	v_cndmask_b32_e32 v6, v8, v6, vcc_lo
	v_and_b32_e32 v3, 7, v3
	v_cndmask_b32_e32 v3, v5, v3, vcc_lo
	v_lshl_add_u32 v5, v6, 23, 0x3b800000
	v_lshlrev_b32_e32 v3, 20, v3
	v_or3_b32 v3, v4, v5, v3
	v_cvt_f16_f32_e32 v3, v3
.LBB109_128:
	s_or_b32 exec_lo, exec_lo, s12
.LBB109_129:
	s_or_b32 exec_lo, exec_lo, s10
	s_or_b32 s9, s9, exec_lo
.LBB109_130:
	s_or_b32 exec_lo, exec_lo, s7
	s_and_b32 s7, s9, exec_lo
	s_and_b32 s8, s8, exec_lo
                                        ; implicit-def: $vgpr5
	s_andn2_saveexec_b32 s6, s6
	s_cbranch_execz .LBB109_6
.LBB109_131:
	v_mov_b32_e32 v3, 22
	s_mov_b32 s9, s7
	v_cmp_gt_i16_sdwa s5, v5, v3 src0_sel:BYTE_0 src1_sel:DWORD
                                        ; implicit-def: $vgpr3
	s_and_saveexec_b32 s10, s5
	s_xor_b32 s5, exec_lo, s10
	s_cbranch_execz .LBB109_145
; %bb.132:
	v_mov_b32_e32 v3, 23
	v_cmp_gt_i16_sdwa s9, v5, v3 src0_sel:BYTE_0 src1_sel:DWORD
                                        ; implicit-def: $vgpr3
	s_and_saveexec_b32 s10, s9
	s_xor_b32 s9, exec_lo, s10
	s_cbranch_execz .LBB109_142
; %bb.133:
	v_mov_b32_e32 v3, 24
	v_cmp_gt_i16_sdwa s10, v5, v3 src0_sel:BYTE_0 src1_sel:DWORD
                                        ; implicit-def: $vgpr3
	s_and_saveexec_b32 s11, s10
	s_xor_b32 s10, exec_lo, s11
	s_cbranch_execz .LBB109_139
; %bb.134:
	flat_load_ubyte v4, v[1:2]
	s_mov_b32 s11, 0
	s_mov_b32 s12, exec_lo
	s_waitcnt vmcnt(0) lgkmcnt(0)
	v_cmpx_lt_i16_e32 0x7f, v4
	s_xor_b32 s12, exec_lo, s12
	s_cbranch_execnz .LBB109_177
; %bb.135:
	s_or_saveexec_b32 s12, s12
	v_mov_b32_e32 v3, 0x7e00
	s_xor_b32 exec_lo, exec_lo, s12
	s_cbranch_execnz .LBB109_180
.LBB109_136:
	s_or_b32 exec_lo, exec_lo, s12
	s_and_saveexec_b32 s12, s11
	s_cbranch_execz .LBB109_138
.LBB109_137:
	v_and_b32_e32 v3, 0xffff, v4
	v_lshlrev_b32_e32 v4, 24, v4
	v_and_b32_e32 v5, 3, v3
	v_bfe_u32 v8, v3, 2, 5
	v_and_b32_e32 v4, 0x80000000, v4
	v_ffbh_u32_e32 v6, v5
	v_cmp_eq_u32_e32 vcc_lo, 0, v8
	v_min_u32_e32 v6, 32, v6
	v_subrev_nc_u32_e32 v7, 29, v6
	v_sub_nc_u32_e32 v6, 30, v6
	v_lshlrev_b32_e32 v3, v7, v3
	v_cndmask_b32_e32 v6, v8, v6, vcc_lo
	v_and_b32_e32 v3, 3, v3
	v_cndmask_b32_e32 v3, v5, v3, vcc_lo
	v_lshl_add_u32 v5, v6, 23, 0x37800000
	v_lshlrev_b32_e32 v3, 21, v3
	v_or3_b32 v3, v4, v5, v3
	v_cvt_f16_f32_e32 v3, v3
.LBB109_138:
	s_or_b32 exec_lo, exec_lo, s12
.LBB109_139:
	s_andn2_saveexec_b32 s10, s10
	s_cbranch_execz .LBB109_141
; %bb.140:
	flat_load_ubyte v3, v[1:2]
	s_waitcnt vmcnt(0) lgkmcnt(0)
	v_lshlrev_b32_e32 v3, 24, v3
	v_and_b32_e32 v4, 0x7f000000, v3
	v_ffbh_u32_e32 v5, v4
	v_add_nc_u32_e32 v7, 0x1000000, v4
	v_cmp_ne_u32_e32 vcc_lo, 0, v4
	v_min_u32_e32 v5, 32, v5
	v_sub_nc_u32_e64 v5, v5, 4 clamp
	v_lshlrev_b32_e32 v6, v5, v4
	v_lshlrev_b32_e32 v5, 23, v5
	v_lshrrev_b32_e32 v6, 4, v6
	v_sub_nc_u32_e32 v5, v6, v5
	v_ashrrev_i32_e32 v6, 8, v7
	v_add_nc_u32_e32 v5, 0x3c000000, v5
	v_and_or_b32 v5, 0x7f800000, v6, v5
	v_cndmask_b32_e32 v4, 0, v5, vcc_lo
	v_and_or_b32 v3, 0x80000000, v3, v4
	v_cvt_f16_f32_e32 v3, v3
.LBB109_141:
	s_or_b32 exec_lo, exec_lo, s10
.LBB109_142:
	s_andn2_saveexec_b32 s9, s9
	s_cbranch_execz .LBB109_144
; %bb.143:
	flat_load_ubyte v3, v[1:2]
	s_waitcnt vmcnt(0) lgkmcnt(0)
	v_lshlrev_b32_e32 v4, 25, v3
	v_lshlrev_b16 v3, 8, v3
	v_lshrrev_b32_e32 v5, 4, v4
	v_and_or_b32 v6, 0x7f00, v3, 0.5
	v_cmp_gt_u32_e32 vcc_lo, 0x8000000, v4
	v_bfe_i32 v3, v3, 0, 16
	v_or_b32_e32 v5, 0x70000000, v5
	v_add_f32_e32 v6, -0.5, v6
	v_mul_f32_e32 v5, 0x7800000, v5
	v_cndmask_b32_e32 v4, v5, v6, vcc_lo
	v_and_or_b32 v3, 0x80000000, v3, v4
	v_cvt_f16_f32_e32 v3, v3
.LBB109_144:
	s_or_b32 exec_lo, exec_lo, s9
	s_or_b32 s9, s7, exec_lo
                                        ; implicit-def: $vgpr5
.LBB109_145:
	s_or_saveexec_b32 s5, s5
	s_mov_b32 s10, 0
	s_mov_b32 s11, s8
	s_xor_b32 exec_lo, exec_lo, s5
	s_cbranch_execz .LBB109_153
; %bb.146:
	v_mov_b32_e32 v3, 14
	s_mov_b32 s10, s8
	s_mov_b32 s11, s9
	v_cmp_gt_i16_sdwa s12, v5, v3 src0_sel:BYTE_0 src1_sel:DWORD
                                        ; implicit-def: $vgpr3
	s_and_saveexec_b32 s13, s12
	s_xor_b32 s12, exec_lo, s13
	s_cbranch_execz .LBB109_150
; %bb.147:
	v_mov_b32_e32 v3, 15
	s_mov_b32 s10, -1
	s_mov_b32 s11, s9
	v_cmp_eq_u16_sdwa s14, v5, v3 src0_sel:BYTE_0 src1_sel:DWORD
                                        ; implicit-def: $vgpr3
	s_and_saveexec_b32 s13, s14
	s_cbranch_execz .LBB109_149
; %bb.148:
	flat_load_ushort v3, v[1:2]
	s_or_b32 s11, s9, exec_lo
	s_xor_b32 s10, exec_lo, -1
	s_waitcnt vmcnt(0) lgkmcnt(0)
	v_lshlrev_b32_e32 v3, 16, v3
	v_cvt_f16_f32_e32 v3, v3
.LBB109_149:
	s_or_b32 exec_lo, exec_lo, s13
	s_andn2_b32 s13, s9, exec_lo
	s_and_b32 s11, s11, exec_lo
	s_andn2_b32 s14, s8, exec_lo
	s_and_b32 s10, s10, exec_lo
	s_or_b32 s11, s13, s11
	s_or_b32 s10, s14, s10
                                        ; implicit-def: $vgpr5
.LBB109_150:
	s_or_saveexec_b32 s12, s12
	s_mov_b32 s13, 0
	s_xor_b32 exec_lo, exec_lo, s12
; %bb.151:
	v_mov_b32_e32 v4, 11
	s_andn2_b32 s10, s10, exec_lo
	s_mov_b32 s13, exec_lo
	v_cmp_ne_u16_sdwa s14, v5, v4 src0_sel:BYTE_0 src1_sel:DWORD
	s_and_b32 s14, s14, exec_lo
	s_or_b32 s10, s10, s14
; %bb.152:
	s_or_b32 exec_lo, exec_lo, s12
	s_andn2_b32 s9, s9, exec_lo
	s_and_b32 s11, s11, exec_lo
	s_and_b32 s12, s10, exec_lo
	s_or_b32 s9, s9, s11
	s_andn2_b32 s11, s8, exec_lo
	s_and_b32 s10, s13, exec_lo
	s_or_b32 s11, s11, s12
.LBB109_153:
	s_or_b32 exec_lo, exec_lo, s5
	s_andn2_b32 s5, s7, exec_lo
	s_and_b32 s7, s9, exec_lo
	s_andn2_b32 s8, s8, exec_lo
	s_and_b32 s9, s11, exec_lo
	s_or_b32 s7, s5, s7
	s_and_b32 s5, s10, exec_lo
	s_or_b32 s8, s8, s9
	s_or_b32 exec_lo, exec_lo, s6
	s_and_saveexec_b32 s6, s8
	s_cbranch_execz .LBB109_7
.LBB109_154:
	s_trap 2
	; divergent unreachable
	s_andn2_b32 s5, s5, exec_lo
	s_or_b32 exec_lo, exec_lo, s6
	s_and_saveexec_b32 s6, s5
	s_xor_b32 s5, exec_lo, s6
	s_cbranch_execnz .LBB109_8
	s_branch .LBB109_9
.LBB109_155:
	s_or_b32 exec_lo, exec_lo, s13
	s_xor_b32 s5, s14, -1
                                        ; implicit-def: $vgpr8
	s_and_saveexec_b32 s6, s5
	s_xor_b32 s5, exec_lo, s6
	s_cbranch_execz .LBB109_171
; %bb.156:
	v_mul_f32_e32 v6, v5, v7
	v_add_f32_e32 v8, -1.0, v4
	s_mov_b64 s[6:7], 0
	s_mov_b32 s12, 0
                                        ; implicit-def: $sgpr13
                                        ; implicit-def: $sgpr14
                                        ; implicit-def: $sgpr15
	v_div_scale_f32 v9, null, v8, v8, v6
	v_div_scale_f32 v12, vcc_lo, v6, v8, v6
	v_rcp_f32_e32 v10, v9
	v_fma_f32 v11, -v9, v10, 1.0
	v_fmac_f32_e32 v10, v11, v10
	v_mul_f32_e32 v11, v12, v10
	v_fma_f32 v13, -v9, v11, v12
	v_fmac_f32_e32 v11, v13, v10
	v_fma_f32 v9, -v9, v11, v12
	v_div_fmas_f32 v9, v9, v10, v11
	v_div_fixup_f32 v6, v9, v8, v6
	v_mov_b32_e32 v9, 1.0
	v_mov_b32_e32 v8, 0
	v_add_f32_e32 v6, v3, v6
	v_fmac_f32_e32 v6, -0.5, v7
	s_branch .LBB109_159
.LBB109_157:                            ;   in Loop: Header=BB109_159 Depth=1
	s_or_b32 exec_lo, exec_lo, s17
	s_andn2_b32 s15, s15, exec_lo
	s_and_b32 s17, s19, exec_lo
	s_andn2_b32 s14, s14, exec_lo
	s_and_b32 s18, s18, exec_lo
	s_or_b32 s15, s15, s17
	s_or_b32 s14, s14, s18
.LBB109_158:                            ;   in Loop: Header=BB109_159 Depth=1
	s_or_b32 exec_lo, exec_lo, s16
	s_and_b32 s16, exec_lo, s14
	s_or_b32 s12, s16, s12
	s_andn2_b32 s13, s13, exec_lo
	s_and_b32 s16, s15, exec_lo
	s_or_b32 s13, s13, s16
	s_andn2_b32 exec_lo, exec_lo, s12
	s_cbranch_execz .LBB109_166
.LBB109_159:                            ; =>This Inner Loop Header: Depth=1
	v_div_scale_f32 v10, null, v5, v5, v7
	v_div_scale_f32 v13, vcc_lo, v7, v5, v7
	s_getpc_b64 s[16:17]
	s_add_u32 s16, s16, _ZZ4zetaIN3c104HalfELb1EET_S2_S2_E1A@rel32@lo+4
	s_addc_u32 s17, s17, _ZZ4zetaIN3c104HalfELb1EET_S2_S2_E1A@rel32@hi+12
	v_rcp_f32_e32 v11, v10
	s_add_u32 s16, s16, s6
	s_addc_u32 s17, s17, s7
	s_or_b32 s15, s15, exec_lo
	s_load_dword s16, s[16:17], 0x0
	s_or_b32 s14, s14, exec_lo
	v_fma_f32 v12, -v10, v11, 1.0
	v_fmac_f32_e32 v11, v12, v11
	v_mul_f32_e32 v12, v13, v11
	v_fma_f32 v14, -v10, v12, v13
	v_fmac_f32_e32 v12, v14, v11
	v_fma_f32 v10, -v10, v12, v13
	v_add_f32_e32 v13, v8, v4
	v_div_fmas_f32 v11, v10, v11, v12
	v_mul_f32_e32 v10, v9, v13
	v_div_fixup_f32 v11, v11, v5, v7
	v_mul_f32_e32 v7, v11, v10
	s_waitcnt lgkmcnt(0)
	v_div_scale_f32 v9, null, s16, s16, v7
	v_div_scale_f32 v14, vcc_lo, v7, s16, v7
	v_rcp_f32_e32 v12, v9
	v_fma_f32 v13, -v9, v12, 1.0
	v_fmac_f32_e32 v12, v13, v12
	v_mul_f32_e32 v13, v14, v12
	v_fma_f32 v15, -v9, v13, v14
	v_fmac_f32_e32 v13, v15, v12
	v_fma_f32 v9, -v9, v13, v14
	v_div_fmas_f32 v9, v9, v12, v13
	v_div_fixup_f32 v7, v9, s16, v7
	v_add_f32_e32 v6, v6, v7
	v_div_scale_f32 v9, null, v6, v6, v7
	v_rcp_f32_e32 v12, v9
	v_fma_f32 v13, -v9, v12, 1.0
	v_fmac_f32_e32 v12, v13, v12
	v_div_scale_f32 v13, vcc_lo, v7, v6, v7
	v_mul_f32_e32 v14, v13, v12
	v_fma_f32 v15, -v9, v14, v13
	v_fmac_f32_e32 v14, v15, v12
	v_fma_f32 v9, -v9, v14, v13
	v_div_fmas_f32 v9, v9, v12, v14
	v_div_fixup_f32 v7, v9, v6, v7
                                        ; implicit-def: $vgpr9
	v_cmp_ngt_f32_e64 s17, 0x25000000, |v7|
                                        ; implicit-def: $vgpr7
	s_and_saveexec_b32 s16, s17
	s_cbranch_execz .LBB109_158
; %bb.160:                              ;   in Loop: Header=BB109_159 Depth=1
	v_div_scale_f32 v7, null, v5, v5, v11
	v_div_scale_f32 v13, vcc_lo, v11, v5, v11
	v_add_f32_e32 v8, 1.0, v8
	v_rcp_f32_e32 v9, v7
	s_getpc_b64 s[18:19]
	s_add_u32 s18, s18, _ZZ4zetaIN3c104HalfELb1EET_S2_S2_E1A@rel32@lo+8
	s_addc_u32 s19, s19, _ZZ4zetaIN3c104HalfELb1EET_S2_S2_E1A@rel32@hi+16
	s_add_u32 s18, s18, s6
	s_addc_u32 s19, s19, s7
	v_add_f32_e32 v16, v8, v4
	s_load_dword s17, s[18:19], 0x0
	s_mov_b32 s18, -1
	s_mov_b32 s19, -1
	v_fma_f32 v12, -v7, v9, 1.0
	v_fmac_f32_e32 v9, v12, v9
	v_mul_f32_e32 v12, v13, v9
	v_fma_f32 v14, -v7, v12, v13
	v_fmac_f32_e32 v12, v14, v9
	v_fma_f32 v7, -v7, v12, v13
	v_div_fmas_f32 v7, v7, v9, v12
	v_div_fixup_f32 v7, v7, v5, v11
	v_div_scale_f32 v9, null, v5, v5, v7
	v_div_scale_f32 v13, vcc_lo, v7, v5, v7
	v_rcp_f32_e32 v11, v9
	v_fma_f32 v12, -v9, v11, 1.0
	v_fmac_f32_e32 v11, v12, v11
	v_add_f32_e32 v12, 1.0, v8
	v_mul_f32_e32 v14, v13, v11
	v_fma_f32 v15, -v9, v14, v13
	v_fmac_f32_e32 v14, v15, v11
	v_fma_f32 v8, -v9, v14, v13
	v_mul_f32_e32 v9, v16, v10
	v_add_f32_e32 v10, v12, v4
	v_div_fmas_f32 v8, v8, v11, v14
	v_mul_f32_e32 v10, v9, v10
	v_div_fixup_f32 v11, v8, v5, v7
	v_mul_f32_e32 v7, v11, v10
	s_waitcnt lgkmcnt(0)
	v_div_scale_f32 v8, null, s17, s17, v7
	v_div_scale_f32 v14, vcc_lo, v7, s17, v7
	v_rcp_f32_e32 v9, v8
	v_fma_f32 v13, -v8, v9, 1.0
	v_fmac_f32_e32 v9, v13, v9
	v_mul_f32_e32 v13, v14, v9
	v_fma_f32 v15, -v8, v13, v14
	v_fmac_f32_e32 v13, v15, v9
	v_fma_f32 v8, -v8, v13, v14
	v_div_fmas_f32 v8, v8, v9, v13
	v_div_fixup_f32 v7, v8, s17, v7
	v_add_f32_e32 v6, v6, v7
	v_div_scale_f32 v8, null, v6, v6, v7
	v_rcp_f32_e32 v9, v8
	v_fma_f32 v13, -v8, v9, 1.0
	v_fmac_f32_e32 v9, v13, v9
	v_div_scale_f32 v13, vcc_lo, v7, v6, v7
	v_mul_f32_e32 v14, v13, v9
	v_fma_f32 v15, -v8, v14, v13
	v_fmac_f32_e32 v14, v15, v9
	v_fma_f32 v8, -v8, v14, v13
	v_div_fmas_f32 v8, v8, v9, v14
                                        ; implicit-def: $vgpr9
	v_div_fixup_f32 v7, v8, v6, v7
                                        ; implicit-def: $vgpr8
	v_cmp_ngt_f32_e64 s20, 0x25000000, |v7|
                                        ; implicit-def: $vgpr7
	s_and_saveexec_b32 s17, s20
	s_cbranch_execz .LBB109_157
; %bb.161:                              ;   in Loop: Header=BB109_159 Depth=1
	v_div_scale_f32 v7, null, v5, v5, v11
	v_div_scale_f32 v13, vcc_lo, v11, v5, v11
	v_add_f32_e32 v12, 1.0, v12
	v_rcp_f32_e32 v8, v7
	s_add_u32 s6, s6, 8
	s_addc_u32 s7, s7, 0
	s_cmp_eq_u32 s6, 48
	s_cselect_b32 s18, -1, 0
	s_xor_b32 s19, exec_lo, -1
	s_orn2_b32 s18, s18, exec_lo
	v_fma_f32 v9, -v7, v8, 1.0
	v_fmac_f32_e32 v8, v9, v8
	v_mul_f32_e32 v9, v13, v8
	v_fma_f32 v14, -v7, v9, v13
	v_fmac_f32_e32 v9, v14, v8
	v_fma_f32 v7, -v7, v9, v13
	v_add_f32_e32 v13, v12, v4
	v_div_fmas_f32 v7, v7, v8, v9
	v_mul_f32_e32 v9, v13, v10
	v_add_f32_e32 v8, 1.0, v12
	v_div_fixup_f32 v7, v7, v5, v11
	s_branch .LBB109_157
.LBB109_162:
	s_mov_b32 s11, -1
	s_mov_b32 s13, exec_lo
	v_cmpx_eq_u16_e32 0x80, v4
; %bb.163:
	s_xor_b32 s11, exec_lo, -1
; %bb.164:
	s_or_b32 exec_lo, exec_lo, s13
	s_and_b32 s11, s11, exec_lo
	s_or_saveexec_b32 s12, s12
	v_mov_b32_e32 v3, 0x7e00
	s_xor_b32 exec_lo, exec_lo, s12
	s_cbranch_execz .LBB109_126
.LBB109_165:
	v_cmp_ne_u16_e32 vcc_lo, 0, v4
	v_mov_b32_e32 v3, v4
	s_andn2_b32 s11, s11, exec_lo
	s_and_b32 s13, vcc_lo, exec_lo
	s_or_b32 s11, s11, s13
	s_or_b32 exec_lo, exec_lo, s12
	s_and_saveexec_b32 s12, s11
	s_cbranch_execnz .LBB109_127
	s_branch .LBB109_128
.LBB109_166:
	s_or_b32 exec_lo, exec_lo, s12
	s_xor_b32 s6, s13, -1
                                        ; implicit-def: $vgpr8
	s_and_saveexec_b32 s7, s6
	s_xor_b32 s6, exec_lo, s7
; %bb.167:
	v_cvt_f16_f32_e32 v8, v6
; %bb.168:
	s_andn2_saveexec_b32 s6, s6
; %bb.169:
	v_cvt_f16_f32_e32 v8, v6
; %bb.170:
	s_or_b32 exec_lo, exec_lo, s6
.LBB109_171:
	s_andn2_saveexec_b32 s5, s5
; %bb.172:
	v_cvt_f16_f32_e32 v8, v3
; %bb.173:
	s_or_b32 exec_lo, exec_lo, s5
.LBB109_174:
	s_or_b32 exec_lo, exec_lo, s11
.LBB109_175:
	s_or_b32 exec_lo, exec_lo, s10
.LBB109_176:
	s_or_b32 exec_lo, exec_lo, s9
	v_cmp_gt_f32_e64 s5, 0x4b000000, |v1|
	v_and_b32_e32 v0, 1, v0
	s_or_b32 vcc_lo, s4, s5
	v_cmp_class_f32_e64 s4, v1, 0x244
	v_cndmask_b32_e32 v2, 0x7f800000, v2, vcc_lo
	v_cndmask_b32_e64 v1, v2, 0x7f800000, s4
	v_mul_f32_e32 v2, 0x3fb8aa3b, v1
	v_cmp_ngt_f32_e32 vcc_lo, 0xc2ce8ed0, v1
	s_waitcnt vmcnt(0) lgkmcnt(0)
	v_fma_f32 v3, 0x3fb8aa3b, v1, -v2
	v_rndne_f32_e32 v4, v2
	v_fmamk_f32 v3, v1, 0x32a5705f, v3
	v_sub_f32_e32 v2, v2, v4
	v_add_f32_e32 v2, v2, v3
	v_cvt_i32_f32_e32 v3, v4
	v_exp_f32_e32 v2, v2
	v_ldexp_f32 v2, v2, v3
	v_cndmask_b32_e32 v2, 0, v2, vcc_lo
	v_cmp_nlt_f32_e32 vcc_lo, 0x42b17218, v1
	v_cndmask_b32_e32 v1, 0x7f800000, v2, vcc_lo
	v_cmp_eq_u32_e32 vcc_lo, 0, v0
	v_cndmask_b32_e64 v0, v1, -v1, vcc_lo
	v_fma_mixlo_f16 v1, v0, v8, 0 op_sel_hi:[0,1,0]
	s_or_b32 exec_lo, exec_lo, s8
	v_mov_b32_e32 v0, v1
	s_setpc_b64 s[30:31]
.LBB109_177:
	s_mov_b32 s11, -1
	s_mov_b32 s13, exec_lo
	v_cmpx_eq_u16_e32 0x80, v4
; %bb.178:
	s_xor_b32 s11, exec_lo, -1
; %bb.179:
	s_or_b32 exec_lo, exec_lo, s13
	s_and_b32 s11, s11, exec_lo
	s_or_saveexec_b32 s12, s12
	v_mov_b32_e32 v3, 0x7e00
	s_xor_b32 exec_lo, exec_lo, s12
	s_cbranch_execz .LBB109_136
.LBB109_180:
	v_cmp_ne_u16_e32 vcc_lo, 0, v4
	v_mov_b32_e32 v3, v4
	s_andn2_b32 s11, s11, exec_lo
	s_and_b32 s13, vcc_lo, exec_lo
	s_or_b32 s11, s11, s13
	s_or_b32 exec_lo, exec_lo, s12
	s_and_saveexec_b32 s12, s11
	s_cbranch_execnz .LBB109_137
	s_branch .LBB109_138
.Lfunc_end109:
	.size	_ZN2at6native6invokeIZZZNS0_21polygamma_kernel_cudaERNS_18TensorIteratorBaseElENKUlvE_clEvENKUlvE1_clEvEUlN3c104HalfEE_j15function_traitsIS8_EEENT1_11result_typeERKT_PrKPcPKT0_PKNS6_10ScalarTypeEi, .Lfunc_end109-_ZN2at6native6invokeIZZZNS0_21polygamma_kernel_cudaERNS_18TensorIteratorBaseElENKUlvE_clEvENKUlvE1_clEvEUlN3c104HalfEE_j15function_traitsIS8_EEENT1_11result_typeERKT_PrKPcPKT0_PKNS6_10ScalarTypeEi
                                        ; -- End function
	.set .L_ZN2at6native6invokeIZZZNS0_21polygamma_kernel_cudaERNS_18TensorIteratorBaseElENKUlvE_clEvENKUlvE1_clEvEUlN3c104HalfEE_j15function_traitsIS8_EEENT1_11result_typeERKT_PrKPcPKT0_PKNS6_10ScalarTypeEi.num_vgpr, 19
	.set .L_ZN2at6native6invokeIZZZNS0_21polygamma_kernel_cudaERNS_18TensorIteratorBaseElENKUlvE_clEvENKUlvE1_clEvEUlN3c104HalfEE_j15function_traitsIS8_EEENT1_11result_typeERKT_PrKPcPKT0_PKNS6_10ScalarTypeEi.num_agpr, 0
	.set .L_ZN2at6native6invokeIZZZNS0_21polygamma_kernel_cudaERNS_18TensorIteratorBaseElENKUlvE_clEvENKUlvE1_clEvEUlN3c104HalfEE_j15function_traitsIS8_EEENT1_11result_typeERKT_PrKPcPKT0_PKNS6_10ScalarTypeEi.numbered_sgpr, 32
	.set .L_ZN2at6native6invokeIZZZNS0_21polygamma_kernel_cudaERNS_18TensorIteratorBaseElENKUlvE_clEvENKUlvE1_clEvEUlN3c104HalfEE_j15function_traitsIS8_EEENT1_11result_typeERKT_PrKPcPKT0_PKNS6_10ScalarTypeEi.num_named_barrier, 0
	.set .L_ZN2at6native6invokeIZZZNS0_21polygamma_kernel_cudaERNS_18TensorIteratorBaseElENKUlvE_clEvENKUlvE1_clEvEUlN3c104HalfEE_j15function_traitsIS8_EEENT1_11result_typeERKT_PrKPcPKT0_PKNS6_10ScalarTypeEi.private_seg_size, 0
	.set .L_ZN2at6native6invokeIZZZNS0_21polygamma_kernel_cudaERNS_18TensorIteratorBaseElENKUlvE_clEvENKUlvE1_clEvEUlN3c104HalfEE_j15function_traitsIS8_EEENT1_11result_typeERKT_PrKPcPKT0_PKNS6_10ScalarTypeEi.uses_vcc, 1
	.set .L_ZN2at6native6invokeIZZZNS0_21polygamma_kernel_cudaERNS_18TensorIteratorBaseElENKUlvE_clEvENKUlvE1_clEvEUlN3c104HalfEE_j15function_traitsIS8_EEENT1_11result_typeERKT_PrKPcPKT0_PKNS6_10ScalarTypeEi.uses_flat_scratch, 0
	.set .L_ZN2at6native6invokeIZZZNS0_21polygamma_kernel_cudaERNS_18TensorIteratorBaseElENKUlvE_clEvENKUlvE1_clEvEUlN3c104HalfEE_j15function_traitsIS8_EEENT1_11result_typeERKT_PrKPcPKT0_PKNS6_10ScalarTypeEi.has_dyn_sized_stack, 0
	.set .L_ZN2at6native6invokeIZZZNS0_21polygamma_kernel_cudaERNS_18TensorIteratorBaseElENKUlvE_clEvENKUlvE1_clEvEUlN3c104HalfEE_j15function_traitsIS8_EEENT1_11result_typeERKT_PrKPcPKT0_PKNS6_10ScalarTypeEi.has_recursion, 0
	.set .L_ZN2at6native6invokeIZZZNS0_21polygamma_kernel_cudaERNS_18TensorIteratorBaseElENKUlvE_clEvENKUlvE1_clEvEUlN3c104HalfEE_j15function_traitsIS8_EEENT1_11result_typeERKT_PrKPcPKT0_PKNS6_10ScalarTypeEi.has_indirect_call, 0
	.section	.AMDGPU.csdata,"",@progbits
; Function info:
; codeLenInByte = 8396
; TotalNumSgprs: 34
; NumVgprs: 19
; ScratchSize: 0
; MemoryBound: 0
	.section	.text._ZN2at6native32elementwise_kernel_manual_unrollILi128ELi4EZNS0_15gpu_kernel_implIZZZNS0_21polygamma_kernel_cudaERNS_18TensorIteratorBaseElENKUlvE_clEvENKUlvE1_clEvEUlN3c104HalfEE_EEvS4_RKT_EUlibE0_EEviT1_,"axG",@progbits,_ZN2at6native32elementwise_kernel_manual_unrollILi128ELi4EZNS0_15gpu_kernel_implIZZZNS0_21polygamma_kernel_cudaERNS_18TensorIteratorBaseElENKUlvE_clEvENKUlvE1_clEvEUlN3c104HalfEE_EEvS4_RKT_EUlibE0_EEviT1_,comdat
	.globl	_ZN2at6native32elementwise_kernel_manual_unrollILi128ELi4EZNS0_15gpu_kernel_implIZZZNS0_21polygamma_kernel_cudaERNS_18TensorIteratorBaseElENKUlvE_clEvENKUlvE1_clEvEUlN3c104HalfEE_EEvS4_RKT_EUlibE0_EEviT1_ ; -- Begin function _ZN2at6native32elementwise_kernel_manual_unrollILi128ELi4EZNS0_15gpu_kernel_implIZZZNS0_21polygamma_kernel_cudaERNS_18TensorIteratorBaseElENKUlvE_clEvENKUlvE1_clEvEUlN3c104HalfEE_EEvS4_RKT_EUlibE0_EEviT1_
	.p2align	8
	.type	_ZN2at6native32elementwise_kernel_manual_unrollILi128ELi4EZNS0_15gpu_kernel_implIZZZNS0_21polygamma_kernel_cudaERNS_18TensorIteratorBaseElENKUlvE_clEvENKUlvE1_clEvEUlN3c104HalfEE_EEvS4_RKT_EUlibE0_EEviT1_,@function
_ZN2at6native32elementwise_kernel_manual_unrollILi128ELi4EZNS0_15gpu_kernel_implIZZZNS0_21polygamma_kernel_cudaERNS_18TensorIteratorBaseElENKUlvE_clEvENKUlvE1_clEvEUlN3c104HalfEE_EEvS4_RKT_EUlibE0_EEviT1_: ; @_ZN2at6native32elementwise_kernel_manual_unrollILi128ELi4EZNS0_15gpu_kernel_implIZZZNS0_21polygamma_kernel_cudaERNS_18TensorIteratorBaseElENKUlvE_clEvENKUlvE1_clEvEUlN3c104HalfEE_EEvS4_RKT_EUlibE0_EEviT1_
; %bb.0:
	s_clause 0x1
	s_load_dword s21, s[4:5], 0x8
	s_load_dword s54, s[4:5], 0x0
	v_lshl_or_b32 v21, s6, 9, v0
	s_add_u32 s0, s0, s7
	s_mov_b64 s[22:23], s[4:5]
	s_addc_u32 s1, s1, 0
	s_add_u32 s28, s22, 8
	s_addc_u32 s29, s23, 0
	v_or_b32_e32 v3, 0x180, v21
	s_mov_b32 s4, -1
	s_mov_b32 s48, 0
	s_mov_b32 s34, 0
	;; [unrolled: 1-line block ×3, first 2 shown]
	s_mov_b32 s5, exec_lo
	s_waitcnt lgkmcnt(0)
	s_add_i32 s33, s21, -1
	s_cmp_gt_u32 s33, 1
	s_cselect_b32 s49, -1, 0
	v_cmpx_le_i32_e64 s54, v3
	s_xor_b32 s50, exec_lo, s5
	s_cbranch_execz .LBB110_570
; %bb.1:
	s_clause 0x5
	s_load_dwordx2 s[34:35], s[28:29], 0x158
	s_load_dword s51, s[28:29], 0x160
	s_load_dwordx4 s[40:43], s[28:29], 0x4
	s_load_dwordx2 s[44:45], s[28:29], 0x14
	s_load_dwordx4 s[36:39], s[28:29], 0xc4
	s_load_dwordx4 s[24:27], s[28:29], 0x148
	s_cmp_lg_u32 s21, 0
	s_mov_b32 s59, 0
	s_cselect_b32 s56, -1, 0
	s_add_u32 s46, s28, 0xc4
	s_addc_u32 s47, s29, 0
	s_min_u32 s55, s33, 15
	s_cmp_gt_u32 s21, 1
	s_mov_b32 s57, 0
	s_cselect_b32 s53, -1, 0
	s_mov_b32 s58, exec_lo
	s_waitcnt lgkmcnt(0)
	s_bfe_u32 s52, s51, 0x80008
	v_cmpx_gt_i32_e64 s54, v21
	s_cbranch_execz .LBB110_138
; %bb.2:
	s_andn2_b32 vcc_lo, exec_lo, s49
	s_cbranch_vccnz .LBB110_7
; %bb.3:
	s_andn2_b32 vcc_lo, exec_lo, s56
	s_cbranch_vccnz .LBB110_8
; %bb.4:
	s_add_i32 s9, s55, 1
	s_cmp_eq_u32 s33, 2
	s_cbranch_scc1 .LBB110_9
; %bb.5:
	v_mov_b32_e32 v4, 0
	v_mov_b32_e32 v19, 0
	;; [unrolled: 1-line block ×3, first 2 shown]
	s_and_b32 s8, s9, 28
	s_mov_b32 s10, 0
	s_mov_b64 s[4:5], s[28:29]
	s_mov_b64 s[6:7], s[46:47]
.LBB110_6:                              ; =>This Inner Loop Header: Depth=1
	s_clause 0x1
	s_load_dwordx8 s[12:19], s[4:5], 0x4
	s_load_dwordx4 s[68:71], s[4:5], 0x24
	s_load_dwordx8 s[60:67], s[6:7], 0x0
	s_add_u32 s4, s4, 48
	s_addc_u32 s5, s5, 0
	s_add_i32 s10, s10, 4
	s_add_u32 s6, s6, 32
	s_addc_u32 s7, s7, 0
	s_cmp_lg_u32 s8, s10
	s_waitcnt lgkmcnt(0)
	v_mul_hi_u32 v1, s13, v0
	v_add_nc_u32_e32 v1, v0, v1
	v_lshrrev_b32_e32 v1, s14, v1
	v_mul_hi_u32 v2, s16, v1
	v_mul_lo_u32 v5, v1, s12
	v_add_nc_u32_e32 v2, v1, v2
	v_sub_nc_u32_e32 v0, v0, v5
	v_lshrrev_b32_e32 v2, s17, v2
	v_mul_lo_u32 v5, v0, s60
	v_mul_lo_u32 v7, v0, s61
	v_mul_hi_u32 v3, s19, v2
	v_add_nc_u32_e32 v3, v2, v3
	v_lshrrev_b32_e32 v3, s68, v3
	v_mul_hi_u32 v6, s70, v3
	v_mul_lo_u32 v8, v3, s18
	v_add_nc_u32_e32 v0, v3, v6
	v_mul_lo_u32 v6, v2, s15
	v_sub_nc_u32_e32 v2, v2, v8
	v_lshrrev_b32_e32 v0, s71, v0
	v_mul_lo_u32 v8, v2, s64
	v_mul_lo_u32 v2, v2, s65
	v_sub_nc_u32_e32 v1, v1, v6
	v_mul_lo_u32 v9, v0, s69
	v_mul_lo_u32 v6, v1, s62
	;; [unrolled: 1-line block ×3, first 2 shown]
	v_sub_nc_u32_e32 v3, v3, v9
	v_add3_u32 v5, v5, v19, v6
	v_mul_lo_u32 v9, v3, s66
	v_mul_lo_u32 v3, v3, s67
	v_add3_u32 v1, v7, v4, v1
	v_add3_u32 v19, v8, v5, v9
	;; [unrolled: 1-line block ×3, first 2 shown]
	s_cbranch_scc1 .LBB110_6
	s_branch .LBB110_10
.LBB110_7:
                                        ; implicit-def: $vgpr19
                                        ; implicit-def: $vgpr4
	s_andn2_b32 vcc_lo, exec_lo, s4
	s_cbranch_vccz .LBB110_14
	s_branch .LBB110_16
.LBB110_8:
	v_mov_b32_e32 v19, 0
	v_mov_b32_e32 v4, 0
	s_branch .LBB110_13
.LBB110_9:
	v_mov_b32_e32 v19, 0
	v_mov_b32_e32 v4, 0
	;; [unrolled: 1-line block ×3, first 2 shown]
	s_mov_b32 s8, 0
.LBB110_10:
	s_and_b32 s9, s9, 3
	s_cmp_eq_u32 s9, 0
	s_cbranch_scc1 .LBB110_13
; %bb.11:
	s_lshl_b32 s4, s8, 3
	s_mul_i32 s6, s8, 12
	s_add_u32 s4, s28, s4
	s_addc_u32 s5, s29, 0
	s_add_u32 s4, s4, 0xc4
	s_addc_u32 s5, s5, 0
	;; [unrolled: 2-line block ×3, first 2 shown]
	.p2align	6
.LBB110_12:                             ; =>This Inner Loop Header: Depth=1
	s_clause 0x1
	s_load_dwordx2 s[10:11], s[6:7], 0x4
	s_load_dword s8, s[6:7], 0xc
	s_load_dwordx2 s[12:13], s[4:5], 0x0
	s_add_u32 s6, s6, 12
	s_addc_u32 s7, s7, 0
	s_add_u32 s4, s4, 8
	s_addc_u32 s5, s5, 0
	s_add_i32 s9, s9, -1
	s_cmp_lg_u32 s9, 0
	s_waitcnt lgkmcnt(0)
	v_mul_hi_u32 v1, s11, v0
	v_add_nc_u32_e32 v1, v0, v1
	v_lshrrev_b32_e32 v1, s8, v1
	v_mul_lo_u32 v2, v1, s10
	v_sub_nc_u32_e32 v0, v0, v2
	v_mad_u64_u32 v[19:20], null, v0, s12, v[19:20]
	v_mad_u64_u32 v[4:5], null, v0, s13, v[4:5]
	v_mov_b32_e32 v0, v1
	s_cbranch_scc1 .LBB110_12
.LBB110_13:
	s_cbranch_execnz .LBB110_16
.LBB110_14:
	v_mul_hi_u32 v0, s41, v21
	s_andn2_b32 vcc_lo, exec_lo, s53
	v_add_nc_u32_e32 v0, v21, v0
	v_lshrrev_b32_e32 v0, s42, v0
	v_mul_lo_u32 v1, v0, s40
	v_sub_nc_u32_e32 v1, v21, v1
	v_mul_lo_u32 v19, v1, s36
	v_mul_lo_u32 v4, v1, s37
	s_cbranch_vccnz .LBB110_16
; %bb.15:
	v_mul_hi_u32 v1, s44, v0
	v_add_nc_u32_e32 v1, v0, v1
	v_lshrrev_b32_e32 v1, s45, v1
	v_mul_lo_u32 v1, v1, s43
	v_sub_nc_u32_e32 v0, v0, v1
	v_mad_u64_u32 v[19:20], null, v0, s38, v[19:20]
	v_mad_u64_u32 v[4:5], null, v0, s39, v[4:5]
.LBB110_16:
	v_mov_b32_e32 v0, s34
	v_mov_b32_e32 v1, s35
	;; [unrolled: 1-line block ×5, first 2 shown]
	s_getpc_b64 s[4:5]
	s_add_u32 s4, s4, _ZN2at6native6invokeIZZZNS0_21polygamma_kernel_cudaERNS_18TensorIteratorBaseElENKUlvE_clEvENKUlvE1_clEvEUlN3c104HalfEE_j15function_traitsIS8_EEENT1_11result_typeERKT_PrKPcPKT0_PKNS6_10ScalarTypeEi@rel32@lo+4
	s_addc_u32 s5, s5, _ZN2at6native6invokeIZZZNS0_21polygamma_kernel_cudaERNS_18TensorIteratorBaseElENKUlvE_clEvENKUlvE1_clEvEUlN3c104HalfEE_j15function_traitsIS8_EEENT1_11result_typeERKT_PrKPcPKT0_PKNS6_10ScalarTypeEi@rel32@hi+12
	s_swappc_b64 s[30:31], s[4:5]
	v_add_co_u32 v1, s4, s24, v19
	v_add_co_ci_u32_e64 v2, null, s25, 0, s4
	s_and_b32 s5, s51, 0xff
	s_cmp_lt_i32 s5, 11
	s_cbranch_scc1 .LBB110_23
; %bb.17:
	s_and_b32 s6, 0xffff, s5
	s_cmp_gt_i32 s6, 25
	s_cbranch_scc0 .LBB110_26
; %bb.18:
	s_cmp_gt_i32 s6, 28
	s_cbranch_scc0 .LBB110_27
; %bb.19:
	;; [unrolled: 3-line block ×4, first 2 shown]
	s_mov_b32 s8, 0
	s_mov_b32 s4, -1
	s_cmp_eq_u32 s6, 46
	s_mov_b32 s7, 0
	s_cbranch_scc0 .LBB110_30
; %bb.22:
	v_cvt_f32_f16_e32 v3, v0
	v_cmp_o_f16_e32 vcc_lo, v0, v0
	s_mov_b32 s7, -1
	s_mov_b32 s4, 0
	v_bfe_u32 v4, v3, 16, 1
	v_add3_u32 v3, v3, v4, 0x7fff
	v_mov_b32_e32 v4, 0x7fc0
	v_cndmask_b32_sdwa v3, v4, v3, vcc_lo dst_sel:DWORD dst_unused:UNUSED_PAD src0_sel:DWORD src1_sel:WORD_1
	global_store_dword v[1:2], v3, off
	s_branch .LBB110_30
.LBB110_23:
	s_mov_b32 s4, 0
	s_mov_b32 s7, 0
	s_cbranch_execnz .LBB110_98
.LBB110_24:
	s_andn2_b32 vcc_lo, exec_lo, s7
	s_cbranch_vccnz .LBB110_136
.LBB110_25:
	v_add_nc_u32_e32 v21, 0x80, v21
	s_mov_b32 s5, -1
	s_branch .LBB110_137
.LBB110_26:
	s_mov_b32 s4, 0
	s_mov_b32 s7, 0
	s_cbranch_execnz .LBB110_57
	s_branch .LBB110_97
.LBB110_27:
	s_mov_b32 s8, -1
	s_mov_b32 s4, 0
	s_mov_b32 s7, 0
	s_branch .LBB110_40
.LBB110_28:
	s_mov_b32 s8, -1
	s_mov_b32 s4, 0
	s_mov_b32 s7, 0
	s_branch .LBB110_36
.LBB110_29:
	s_mov_b32 s8, -1
	s_mov_b32 s4, 0
	s_mov_b32 s7, 0
.LBB110_30:
	s_and_b32 vcc_lo, exec_lo, s8
	s_cbranch_vccz .LBB110_35
; %bb.31:
	s_cmp_eq_u32 s6, 44
	s_mov_b32 s4, -1
	s_cbranch_scc0 .LBB110_35
; %bb.32:
	v_cvt_f32_f16_e32 v3, v0
	v_mov_b32_e32 v4, 0xff
	s_mov_b32 s7, exec_lo
	v_bfe_u32 v5, v3, 23, 8
	v_cmpx_ne_u32_e32 0xff, v5
	s_cbranch_execz .LBB110_34
; %bb.33:
	v_and_b32_e32 v4, 0x400000, v3
	v_and_or_b32 v5, 0x3fffff, v3, v5
	v_lshrrev_b32_e32 v3, 23, v3
	v_cmp_ne_u32_e32 vcc_lo, 0, v4
	v_cmp_ne_u32_e64 s4, 0, v5
	s_and_b32 s4, vcc_lo, s4
	v_cndmask_b32_e64 v4, 0, 1, s4
	v_add_nc_u32_e32 v4, v3, v4
.LBB110_34:
	s_or_b32 exec_lo, exec_lo, s7
	s_mov_b32 s7, -1
	s_mov_b32 s4, 0
	global_store_byte v[1:2], v4, off
.LBB110_35:
	s_mov_b32 s8, 0
.LBB110_36:
	s_and_b32 vcc_lo, exec_lo, s8
	s_cbranch_vccz .LBB110_39
; %bb.37:
	s_cmp_eq_u32 s6, 29
	s_mov_b32 s4, -1
	s_cbranch_scc0 .LBB110_39
; %bb.38:
	v_cvt_f32_f16_e32 v3, v0
	v_mov_b32_e32 v4, 0
	s_mov_b32 s7, -1
	s_mov_b32 s4, 0
	s_mov_b32 s8, 0
	v_cvt_u32_f32_e32 v3, v3
	global_store_dwordx2 v[1:2], v[3:4], off
	s_branch .LBB110_40
.LBB110_39:
	s_mov_b32 s8, 0
.LBB110_40:
	s_and_b32 vcc_lo, exec_lo, s8
	s_cbranch_vccz .LBB110_56
; %bb.41:
	s_cmp_lt_i32 s6, 27
	s_mov_b32 s7, -1
	s_cbranch_scc1 .LBB110_47
; %bb.42:
	s_cmp_gt_i32 s6, 27
	s_cbranch_scc0 .LBB110_44
; %bb.43:
	v_cvt_f32_f16_e32 v3, v0
	s_mov_b32 s7, 0
	v_cvt_u32_f32_e32 v3, v3
	global_store_dword v[1:2], v3, off
.LBB110_44:
	s_andn2_b32 vcc_lo, exec_lo, s7
	s_cbranch_vccnz .LBB110_46
; %bb.45:
	v_cvt_u16_f16_e32 v3, v0
	global_store_short v[1:2], v3, off
.LBB110_46:
	s_mov_b32 s7, 0
.LBB110_47:
	s_andn2_b32 vcc_lo, exec_lo, s7
	s_cbranch_vccnz .LBB110_55
; %bb.48:
	v_cvt_f32_f16_e32 v3, v0
	v_mov_b32_e32 v5, 0x80
	s_mov_b32 s7, exec_lo
	v_and_b32_e32 v4, 0x7fffffff, v3
	v_cmpx_gt_u32_e32 0x43800000, v4
	s_cbranch_execz .LBB110_54
; %bb.49:
	v_cmp_lt_u32_e32 vcc_lo, 0x3bffffff, v4
	s_mov_b32 s8, 0
                                        ; implicit-def: $vgpr4
	s_and_saveexec_b32 s9, vcc_lo
	s_xor_b32 s9, exec_lo, s9
	s_cbranch_execz .LBB110_169
; %bb.50:
	v_bfe_u32 v4, v3, 20, 1
	s_mov_b32 s8, exec_lo
	v_add3_u32 v4, v3, v4, 0x487ffff
	v_lshrrev_b32_e32 v4, 20, v4
	s_andn2_saveexec_b32 s9, s9
	s_cbranch_execnz .LBB110_170
.LBB110_51:
	s_or_b32 exec_lo, exec_lo, s9
	v_mov_b32_e32 v5, 0
	s_and_saveexec_b32 s9, s8
.LBB110_52:
	v_lshrrev_b32_e32 v3, 24, v3
	v_and_or_b32 v5, 0x80, v3, v4
.LBB110_53:
	s_or_b32 exec_lo, exec_lo, s9
.LBB110_54:
	s_or_b32 exec_lo, exec_lo, s7
	global_store_byte v[1:2], v5, off
.LBB110_55:
	s_mov_b32 s7, -1
.LBB110_56:
	s_branch .LBB110_97
.LBB110_57:
	s_cmp_gt_i32 s6, 22
	s_mov_b32 s8, -1
	s_cbranch_scc0 .LBB110_89
; %bb.58:
	s_cmp_lt_i32 s6, 24
	s_mov_b32 s7, -1
	s_cbranch_scc1 .LBB110_78
; %bb.59:
	s_cmp_gt_i32 s6, 24
	s_cbranch_scc0 .LBB110_67
; %bb.60:
	v_cvt_f32_f16_e32 v3, v0
	v_mov_b32_e32 v5, 0x80
	s_mov_b32 s7, exec_lo
	v_and_b32_e32 v4, 0x7fffffff, v3
	v_cmpx_gt_u32_e32 0x47800000, v4
	s_cbranch_execz .LBB110_66
; %bb.61:
	v_cmp_lt_u32_e32 vcc_lo, 0x37ffffff, v4
	s_mov_b32 s8, 0
                                        ; implicit-def: $vgpr4
	s_and_saveexec_b32 s9, vcc_lo
	s_xor_b32 s9, exec_lo, s9
	s_cbranch_execz .LBB110_172
; %bb.62:
	v_bfe_u32 v4, v3, 21, 1
	s_mov_b32 s8, exec_lo
	v_add3_u32 v4, v3, v4, 0x88fffff
	v_lshrrev_b32_e32 v4, 21, v4
	s_andn2_saveexec_b32 s9, s9
	s_cbranch_execnz .LBB110_173
.LBB110_63:
	s_or_b32 exec_lo, exec_lo, s9
	v_mov_b32_e32 v5, 0
	s_and_saveexec_b32 s9, s8
.LBB110_64:
	v_lshrrev_b32_e32 v3, 24, v3
	v_and_or_b32 v5, 0x80, v3, v4
.LBB110_65:
	s_or_b32 exec_lo, exec_lo, s9
.LBB110_66:
	s_or_b32 exec_lo, exec_lo, s7
	s_mov_b32 s7, 0
	global_store_byte v[1:2], v5, off
.LBB110_67:
	s_and_b32 vcc_lo, exec_lo, s7
	s_cbranch_vccz .LBB110_77
; %bb.68:
	v_cvt_f32_f16_e32 v3, v0
	s_mov_b32 s7, exec_lo
                                        ; implicit-def: $vgpr4
	v_and_b32_e32 v5, 0x7fffffff, v3
	v_cmpx_gt_u32_e32 0x43f00000, v5
	s_xor_b32 s7, exec_lo, s7
	s_cbranch_execz .LBB110_74
; %bb.69:
	s_mov_b32 s8, exec_lo
                                        ; implicit-def: $vgpr4
	v_cmpx_lt_u32_e32 0x3c7fffff, v5
	s_xor_b32 s8, exec_lo, s8
; %bb.70:
	v_bfe_u32 v4, v3, 20, 1
	v_add3_u32 v4, v3, v4, 0x407ffff
	v_and_b32_e32 v5, 0xff00000, v4
	v_lshrrev_b32_e32 v4, 20, v4
	v_cmp_ne_u32_e32 vcc_lo, 0x7f00000, v5
	v_cndmask_b32_e32 v4, 0x7e, v4, vcc_lo
; %bb.71:
	s_andn2_saveexec_b32 s8, s8
; %bb.72:
	v_add_f32_e64 v4, 0x46800000, |v3|
; %bb.73:
	s_or_b32 exec_lo, exec_lo, s8
                                        ; implicit-def: $vgpr5
.LBB110_74:
	s_andn2_saveexec_b32 s7, s7
; %bb.75:
	v_mov_b32_e32 v4, 0x7f
	v_cmp_lt_u32_e32 vcc_lo, 0x7f800000, v5
	v_cndmask_b32_e32 v4, 0x7e, v4, vcc_lo
; %bb.76:
	s_or_b32 exec_lo, exec_lo, s7
	v_lshrrev_b32_e32 v3, 24, v3
	v_and_or_b32 v3, 0x80, v3, v4
	global_store_byte v[1:2], v3, off
.LBB110_77:
	s_mov_b32 s7, 0
.LBB110_78:
	s_andn2_b32 vcc_lo, exec_lo, s7
	s_cbranch_vccnz .LBB110_88
; %bb.79:
	v_cvt_f32_f16_e32 v3, v0
	s_mov_b32 s7, exec_lo
                                        ; implicit-def: $vgpr4
	v_and_b32_e32 v5, 0x7fffffff, v3
	v_cmpx_gt_u32_e32 0x47800000, v5
	s_xor_b32 s7, exec_lo, s7
	s_cbranch_execz .LBB110_85
; %bb.80:
	s_mov_b32 s8, exec_lo
                                        ; implicit-def: $vgpr4
	v_cmpx_lt_u32_e32 0x387fffff, v5
	s_xor_b32 s8, exec_lo, s8
; %bb.81:
	v_bfe_u32 v4, v3, 21, 1
	v_add3_u32 v4, v3, v4, 0x80fffff
	v_lshrrev_b32_e32 v4, 21, v4
; %bb.82:
	s_andn2_saveexec_b32 s8, s8
; %bb.83:
	v_add_f32_e64 v4, 0x43000000, |v3|
; %bb.84:
	s_or_b32 exec_lo, exec_lo, s8
                                        ; implicit-def: $vgpr5
.LBB110_85:
	s_andn2_saveexec_b32 s7, s7
; %bb.86:
	v_mov_b32_e32 v4, 0x7f
	v_cmp_lt_u32_e32 vcc_lo, 0x7f800000, v5
	v_cndmask_b32_e32 v4, 0x7c, v4, vcc_lo
; %bb.87:
	s_or_b32 exec_lo, exec_lo, s7
	v_lshrrev_b32_e32 v3, 24, v3
	v_and_or_b32 v3, 0x80, v3, v4
	global_store_byte v[1:2], v3, off
.LBB110_88:
	s_mov_b32 s8, 0
	s_mov_b32 s7, -1
.LBB110_89:
	s_andn2_b32 vcc_lo, exec_lo, s8
	s_cbranch_vccnz .LBB110_97
; %bb.90:
	s_cmp_gt_i32 s6, 14
	s_mov_b32 s8, -1
	s_cbranch_scc0 .LBB110_94
; %bb.91:
	s_cmp_eq_u32 s6, 15
	s_mov_b32 s4, -1
	s_cbranch_scc0 .LBB110_93
; %bb.92:
	v_cvt_f32_f16_e32 v3, v0
	v_cmp_o_f16_e32 vcc_lo, v0, v0
	s_mov_b32 s7, -1
	s_mov_b32 s4, 0
	v_bfe_u32 v4, v3, 16, 1
	v_add3_u32 v3, v3, v4, 0x7fff
	v_mov_b32_e32 v4, 0x7fc0
	v_cndmask_b32_sdwa v3, v4, v3, vcc_lo dst_sel:DWORD dst_unused:UNUSED_PAD src0_sel:DWORD src1_sel:WORD_1
	global_store_short v[1:2], v3, off
.LBB110_93:
	s_mov_b32 s8, 0
.LBB110_94:
	s_and_b32 vcc_lo, exec_lo, s8
	s_cbranch_vccz .LBB110_97
; %bb.95:
	s_cmp_eq_u32 s6, 11
	s_mov_b32 s4, -1
	s_cbranch_scc0 .LBB110_97
; %bb.96:
	v_and_b32_e32 v3, 0x7fff, v0
	s_mov_b32 s4, 0
	s_mov_b32 s7, -1
	v_cmp_ne_u16_e32 vcc_lo, 0, v3
	v_cndmask_b32_e64 v3, 0, 1, vcc_lo
	global_store_byte v[1:2], v3, off
.LBB110_97:
	s_branch .LBB110_24
.LBB110_98:
	s_and_b32 s5, 0xffff, s5
	s_mov_b32 s6, -1
	s_cmp_lt_i32 s5, 5
	s_cbranch_scc1 .LBB110_119
; %bb.99:
	s_cmp_lt_i32 s5, 8
	s_cbranch_scc1 .LBB110_109
; %bb.100:
	;; [unrolled: 3-line block ×3, first 2 shown]
	s_cmp_gt_i32 s5, 9
	s_cbranch_scc0 .LBB110_103
; %bb.102:
	v_cvt_f32_f16_e32 v3, v0
	v_mov_b32_e32 v5, 0
	s_mov_b32 s6, 0
	v_cvt_f64_f32_e32 v[3:4], v3
	v_mov_b32_e32 v6, v5
	global_store_dwordx4 v[1:2], v[3:6], off
.LBB110_103:
	s_andn2_b32 vcc_lo, exec_lo, s6
	s_cbranch_vccnz .LBB110_105
; %bb.104:
	v_cvt_f32_f16_e32 v3, v0
	v_mov_b32_e32 v4, 0
	global_store_dwordx2 v[1:2], v[3:4], off
.LBB110_105:
	s_mov_b32 s6, 0
.LBB110_106:
	s_andn2_b32 vcc_lo, exec_lo, s6
	s_cbranch_vccnz .LBB110_108
; %bb.107:
	v_and_b32_e32 v3, 0xffff, v0
	global_store_dword v[1:2], v3, off
.LBB110_108:
	s_mov_b32 s6, 0
.LBB110_109:
	s_andn2_b32 vcc_lo, exec_lo, s6
	s_cbranch_vccnz .LBB110_118
; %bb.110:
	s_cmp_lt_i32 s5, 6
	s_mov_b32 s6, -1
	s_cbranch_scc1 .LBB110_116
; %bb.111:
	s_cmp_gt_i32 s5, 6
	s_cbranch_scc0 .LBB110_113
; %bb.112:
	v_cvt_f32_f16_e32 v3, v0
	s_mov_b32 s6, 0
	v_cvt_f64_f32_e32 v[3:4], v3
	global_store_dwordx2 v[1:2], v[3:4], off
.LBB110_113:
	s_andn2_b32 vcc_lo, exec_lo, s6
	s_cbranch_vccnz .LBB110_115
; %bb.114:
	v_cvt_f32_f16_e32 v3, v0
	global_store_dword v[1:2], v3, off
.LBB110_115:
	s_mov_b32 s6, 0
.LBB110_116:
	s_andn2_b32 vcc_lo, exec_lo, s6
	s_cbranch_vccnz .LBB110_118
; %bb.117:
	global_store_short v[1:2], v0, off
.LBB110_118:
	s_mov_b32 s6, 0
.LBB110_119:
	s_andn2_b32 vcc_lo, exec_lo, s6
	s_cbranch_vccnz .LBB110_135
; %bb.120:
	s_cmp_lt_i32 s5, 2
	s_mov_b32 s6, -1
	s_cbranch_scc1 .LBB110_130
; %bb.121:
	s_cmp_lt_i32 s5, 3
	s_cbranch_scc1 .LBB110_127
; %bb.122:
	s_cmp_gt_i32 s5, 3
	s_cbranch_scc0 .LBB110_124
; %bb.123:
	v_cvt_f32_f16_e32 v3, v0
	s_mov_b32 s6, 0
	v_cvt_i32_f32_e32 v3, v3
	v_ashrrev_i32_e32 v4, 31, v3
	global_store_dwordx2 v[1:2], v[3:4], off
.LBB110_124:
	s_andn2_b32 vcc_lo, exec_lo, s6
	s_cbranch_vccnz .LBB110_126
; %bb.125:
	v_cvt_f32_f16_e32 v3, v0
	v_cvt_i32_f32_e32 v3, v3
	global_store_dword v[1:2], v3, off
.LBB110_126:
	s_mov_b32 s6, 0
.LBB110_127:
	s_andn2_b32 vcc_lo, exec_lo, s6
	s_cbranch_vccnz .LBB110_129
; %bb.128:
	v_cvt_i16_f16_e32 v3, v0
	global_store_short v[1:2], v3, off
.LBB110_129:
	s_mov_b32 s6, 0
.LBB110_130:
	s_andn2_b32 vcc_lo, exec_lo, s6
	s_cbranch_vccnz .LBB110_135
; %bb.131:
	s_cmp_gt_i32 s5, 0
	s_mov_b32 s5, -1
	s_cbranch_scc0 .LBB110_133
; %bb.132:
	v_cvt_i16_f16_e32 v3, v0
	s_mov_b32 s5, 0
	global_store_byte v[1:2], v3, off
.LBB110_133:
	s_andn2_b32 vcc_lo, exec_lo, s5
	s_cbranch_vccnz .LBB110_135
; %bb.134:
	v_cvt_f32_f16_e32 v0, v0
	v_cvt_i32_f32_e32 v0, v0
	global_store_byte v[1:2], v0, off
.LBB110_135:
	s_branch .LBB110_25
.LBB110_136:
	s_mov_b32 s5, 0
                                        ; implicit-def: $vgpr21
.LBB110_137:
	s_and_b32 s57, s4, exec_lo
	s_orn2_b32 s4, s5, exec_lo
.LBB110_138:
	s_or_b32 exec_lo, exec_lo, s58
	s_mov_b32 s6, 0
                                        ; implicit-def: $sgpr5
                                        ; implicit-def: $vgpr1_vgpr2
                                        ; implicit-def: $vgpr0
	s_and_saveexec_b32 s58, s4
	s_cbranch_execz .LBB110_145
; %bb.139:
	s_mov_b32 s7, -1
	s_mov_b32 s59, s57
	s_mov_b32 s60, exec_lo
	v_cmpx_gt_i32_e64 s54, v21
	s_cbranch_execz .LBB110_284
; %bb.140:
	s_andn2_b32 vcc_lo, exec_lo, s49
	s_cbranch_vccnz .LBB110_148
; %bb.141:
	s_andn2_b32 vcc_lo, exec_lo, s56
	s_cbranch_vccnz .LBB110_149
; %bb.142:
	s_add_i32 s9, s55, 1
	s_cmp_eq_u32 s33, 2
	s_cbranch_scc1 .LBB110_150
; %bb.143:
	v_mov_b32_e32 v4, 0
	v_mov_b32_e32 v19, 0
	;; [unrolled: 1-line block ×3, first 2 shown]
	s_and_b32 s8, s9, 28
	s_mov_b32 s10, 0
	s_mov_b64 s[4:5], s[28:29]
	s_mov_b64 s[6:7], s[46:47]
.LBB110_144:                            ; =>This Inner Loop Header: Depth=1
	s_clause 0x1
	s_load_dwordx8 s[12:19], s[4:5], 0x4
	s_load_dwordx4 s[72:75], s[4:5], 0x24
	s_load_dwordx8 s[64:71], s[6:7], 0x0
	s_add_u32 s4, s4, 48
	s_addc_u32 s5, s5, 0
	s_add_i32 s10, s10, 4
	s_add_u32 s6, s6, 32
	s_addc_u32 s7, s7, 0
	s_cmp_eq_u32 s8, s10
	s_waitcnt lgkmcnt(0)
	v_mul_hi_u32 v1, s13, v0
	v_add_nc_u32_e32 v1, v0, v1
	v_lshrrev_b32_e32 v1, s14, v1
	v_mul_hi_u32 v2, s16, v1
	v_mul_lo_u32 v5, v1, s12
	v_add_nc_u32_e32 v2, v1, v2
	v_sub_nc_u32_e32 v0, v0, v5
	v_lshrrev_b32_e32 v2, s17, v2
	v_mul_lo_u32 v5, v0, s64
	v_mul_lo_u32 v7, v0, s65
	v_mul_hi_u32 v3, s19, v2
	v_add_nc_u32_e32 v3, v2, v3
	v_lshrrev_b32_e32 v3, s72, v3
	v_mul_hi_u32 v6, s74, v3
	v_mul_lo_u32 v8, v3, s18
	v_add_nc_u32_e32 v0, v3, v6
	v_mul_lo_u32 v6, v2, s15
	v_sub_nc_u32_e32 v2, v2, v8
	v_lshrrev_b32_e32 v0, s75, v0
	v_mul_lo_u32 v8, v2, s68
	v_mul_lo_u32 v2, v2, s69
	v_sub_nc_u32_e32 v1, v1, v6
	v_mul_lo_u32 v9, v0, s73
	v_mul_lo_u32 v6, v1, s66
	;; [unrolled: 1-line block ×3, first 2 shown]
	v_sub_nc_u32_e32 v3, v3, v9
	v_add3_u32 v5, v5, v19, v6
	v_mul_lo_u32 v9, v3, s70
	v_mul_lo_u32 v3, v3, s71
	v_add3_u32 v1, v7, v4, v1
	v_add3_u32 v19, v8, v5, v9
	;; [unrolled: 1-line block ×3, first 2 shown]
	s_cbranch_scc0 .LBB110_144
	s_branch .LBB110_151
.LBB110_145:
	s_or_b32 exec_lo, exec_lo, s58
	s_mov_b32 s4, 0
	s_and_saveexec_b32 s7, s57
	s_cbranch_execnz .LBB110_530
.LBB110_146:
	s_or_b32 exec_lo, exec_lo, s7
	s_and_saveexec_b32 s7, s59
	s_xor_b32 s7, exec_lo, s7
	s_cbranch_execz .LBB110_531
.LBB110_147:
	v_and_b32_e32 v3, 0x7fff, v0
	v_cmp_ne_u16_e32 vcc_lo, 0, v3
	v_cndmask_b32_e64 v3, 0, 1, vcc_lo
	global_store_byte v[1:2], v3, off
	s_or_b32 exec_lo, exec_lo, s7
	s_and_saveexec_b32 s7, s6
	s_xor_b32 s6, exec_lo, s7
	s_cbranch_execz .LBB110_569
	s_branch .LBB110_532
.LBB110_148:
                                        ; implicit-def: $vgpr19
                                        ; implicit-def: $vgpr4
	s_branch .LBB110_155
.LBB110_149:
	v_mov_b32_e32 v19, 0
	v_mov_b32_e32 v4, 0
	s_branch .LBB110_154
.LBB110_150:
	v_mov_b32_e32 v19, 0
	v_mov_b32_e32 v4, 0
	;; [unrolled: 1-line block ×3, first 2 shown]
	s_mov_b32 s8, 0
.LBB110_151:
	s_and_b32 s9, s9, 3
	s_cmp_eq_u32 s9, 0
	s_cbranch_scc1 .LBB110_154
; %bb.152:
	s_lshl_b32 s4, s8, 3
	s_mul_i32 s6, s8, 12
	s_add_u32 s4, s28, s4
	s_addc_u32 s5, s29, 0
	s_add_u32 s4, s4, 0xc4
	s_addc_u32 s5, s5, 0
	;; [unrolled: 2-line block ×3, first 2 shown]
	.p2align	6
.LBB110_153:                            ; =>This Inner Loop Header: Depth=1
	s_clause 0x1
	s_load_dwordx2 s[10:11], s[6:7], 0x4
	s_load_dword s8, s[6:7], 0xc
	s_load_dwordx2 s[12:13], s[4:5], 0x0
	s_add_u32 s6, s6, 12
	s_addc_u32 s7, s7, 0
	s_add_u32 s4, s4, 8
	s_addc_u32 s5, s5, 0
	s_add_i32 s9, s9, -1
	s_cmp_lg_u32 s9, 0
	s_waitcnt lgkmcnt(0)
	v_mul_hi_u32 v1, s11, v0
	v_add_nc_u32_e32 v1, v0, v1
	v_lshrrev_b32_e32 v1, s8, v1
	v_mul_lo_u32 v2, v1, s10
	v_sub_nc_u32_e32 v0, v0, v2
	v_mad_u64_u32 v[19:20], null, v0, s12, v[19:20]
	v_mad_u64_u32 v[4:5], null, v0, s13, v[4:5]
	v_mov_b32_e32 v0, v1
	s_cbranch_scc1 .LBB110_153
.LBB110_154:
	s_cbranch_execnz .LBB110_157
.LBB110_155:
	v_mul_hi_u32 v0, s41, v21
	s_andn2_b32 vcc_lo, exec_lo, s53
	v_add_nc_u32_e32 v0, v21, v0
	v_lshrrev_b32_e32 v0, s42, v0
	v_mul_lo_u32 v1, v0, s40
	v_sub_nc_u32_e32 v1, v21, v1
	v_mul_lo_u32 v19, v1, s36
	v_mul_lo_u32 v4, v1, s37
	s_cbranch_vccnz .LBB110_157
; %bb.156:
	v_mul_hi_u32 v1, s44, v0
	v_add_nc_u32_e32 v1, v0, v1
	v_lshrrev_b32_e32 v1, s45, v1
	v_mul_lo_u32 v1, v1, s43
	v_sub_nc_u32_e32 v0, v0, v1
	v_mad_u64_u32 v[19:20], null, v0, s38, v[19:20]
	v_mad_u64_u32 v[4:5], null, v0, s39, v[4:5]
.LBB110_157:
	v_mov_b32_e32 v0, s34
	v_mov_b32_e32 v1, s35
	;; [unrolled: 1-line block ×5, first 2 shown]
	s_getpc_b64 s[4:5]
	s_add_u32 s4, s4, _ZN2at6native6invokeIZZZNS0_21polygamma_kernel_cudaERNS_18TensorIteratorBaseElENKUlvE_clEvENKUlvE1_clEvEUlN3c104HalfEE_j15function_traitsIS8_EEENT1_11result_typeERKT_PrKPcPKT0_PKNS6_10ScalarTypeEi@rel32@lo+4
	s_addc_u32 s5, s5, _ZN2at6native6invokeIZZZNS0_21polygamma_kernel_cudaERNS_18TensorIteratorBaseElENKUlvE_clEvENKUlvE1_clEvEUlN3c104HalfEE_j15function_traitsIS8_EEENT1_11result_typeERKT_PrKPcPKT0_PKNS6_10ScalarTypeEi@rel32@hi+12
	s_swappc_b64 s[30:31], s[4:5]
	v_add_co_u32 v1, s4, s24, v19
	v_add_co_ci_u32_e64 v2, null, s25, 0, s4
	s_and_b32 s5, s51, 0xff
	s_cmp_lt_i32 s5, 11
	s_cbranch_scc1 .LBB110_164
; %bb.158:
	s_and_b32 s6, 0xffff, s5
	s_cmp_gt_i32 s6, 25
	s_cbranch_scc0 .LBB110_167
; %bb.159:
	s_cmp_gt_i32 s6, 28
	s_cbranch_scc0 .LBB110_168
; %bb.160:
	s_cmp_gt_i32 s6, 43
	s_cbranch_scc0 .LBB110_171
; %bb.161:
	s_cmp_gt_i32 s6, 45
	s_cbranch_scc0 .LBB110_174
; %bb.162:
	s_mov_b32 s8, 0
	s_mov_b32 s4, -1
	s_cmp_eq_u32 s6, 46
	s_mov_b32 s7, 0
	s_cbranch_scc0 .LBB110_175
; %bb.163:
	v_cvt_f32_f16_e32 v3, v0
	v_cmp_o_f16_e32 vcc_lo, v0, v0
	s_mov_b32 s7, -1
	s_mov_b32 s4, 0
	v_bfe_u32 v4, v3, 16, 1
	v_add3_u32 v3, v3, v4, 0x7fff
	v_mov_b32_e32 v4, 0x7fc0
	v_cndmask_b32_sdwa v3, v4, v3, vcc_lo dst_sel:DWORD dst_unused:UNUSED_PAD src0_sel:DWORD src1_sel:WORD_1
	global_store_dword v[1:2], v3, off
	s_branch .LBB110_175
.LBB110_164:
	s_mov_b32 s7, 0
	s_mov_b32 s4, s57
	s_cbranch_execnz .LBB110_244
.LBB110_165:
	s_andn2_b32 vcc_lo, exec_lo, s7
	s_cbranch_vccnz .LBB110_282
.LBB110_166:
	v_add_nc_u32_e32 v21, 0x80, v21
	s_mov_b32 s5, -1
	s_branch .LBB110_283
.LBB110_167:
	s_mov_b32 s8, -1
	s_mov_b32 s7, 0
	s_mov_b32 s4, s57
	s_branch .LBB110_202
.LBB110_168:
	s_mov_b32 s8, -1
	s_mov_b32 s7, 0
	s_mov_b32 s4, s57
	s_branch .LBB110_185
.LBB110_169:
	s_andn2_saveexec_b32 s9, s9
	s_cbranch_execz .LBB110_51
.LBB110_170:
	v_add_f32_e64 v4, 0x46000000, |v3|
	s_andn2_b32 s8, s8, exec_lo
	v_and_b32_e32 v4, 0xff, v4
	v_cmp_ne_u32_e32 vcc_lo, 0, v4
	s_and_b32 s10, vcc_lo, exec_lo
	s_or_b32 s8, s8, s10
	s_or_b32 exec_lo, exec_lo, s9
	v_mov_b32_e32 v5, 0
	s_and_saveexec_b32 s9, s8
	s_cbranch_execnz .LBB110_52
	s_branch .LBB110_53
.LBB110_171:
	s_mov_b32 s8, -1
	s_mov_b32 s7, 0
	s_mov_b32 s4, s57
	s_branch .LBB110_181
.LBB110_172:
	s_andn2_saveexec_b32 s9, s9
	s_cbranch_execz .LBB110_63
.LBB110_173:
	v_add_f32_e64 v4, 0x42800000, |v3|
	s_andn2_b32 s8, s8, exec_lo
	v_and_b32_e32 v4, 0xff, v4
	v_cmp_ne_u32_e32 vcc_lo, 0, v4
	s_and_b32 s10, vcc_lo, exec_lo
	s_or_b32 s8, s8, s10
	s_or_b32 exec_lo, exec_lo, s9
	v_mov_b32_e32 v5, 0
	s_and_saveexec_b32 s9, s8
	s_cbranch_execnz .LBB110_64
	s_branch .LBB110_65
.LBB110_174:
	s_mov_b32 s8, -1
	s_mov_b32 s7, 0
	s_mov_b32 s4, s57
.LBB110_175:
	s_and_b32 vcc_lo, exec_lo, s8
	s_cbranch_vccz .LBB110_180
; %bb.176:
	s_cmp_eq_u32 s6, 44
	s_mov_b32 s4, -1
	s_cbranch_scc0 .LBB110_180
; %bb.177:
	v_cvt_f32_f16_e32 v3, v0
	v_mov_b32_e32 v4, 0xff
	s_mov_b32 s7, exec_lo
	v_bfe_u32 v5, v3, 23, 8
	v_cmpx_ne_u32_e32 0xff, v5
	s_cbranch_execz .LBB110_179
; %bb.178:
	v_and_b32_e32 v4, 0x400000, v3
	v_and_or_b32 v5, 0x3fffff, v3, v5
	v_lshrrev_b32_e32 v3, 23, v3
	v_cmp_ne_u32_e32 vcc_lo, 0, v4
	v_cmp_ne_u32_e64 s4, 0, v5
	s_and_b32 s4, vcc_lo, s4
	v_cndmask_b32_e64 v4, 0, 1, s4
	v_add_nc_u32_e32 v4, v3, v4
.LBB110_179:
	s_or_b32 exec_lo, exec_lo, s7
	s_mov_b32 s7, -1
	s_mov_b32 s4, 0
	global_store_byte v[1:2], v4, off
.LBB110_180:
	s_mov_b32 s8, 0
.LBB110_181:
	s_and_b32 vcc_lo, exec_lo, s8
	s_cbranch_vccz .LBB110_184
; %bb.182:
	s_cmp_eq_u32 s6, 29
	s_mov_b32 s4, -1
	s_cbranch_scc0 .LBB110_184
; %bb.183:
	v_cvt_f32_f16_e32 v3, v0
	v_mov_b32_e32 v4, 0
	s_mov_b32 s7, -1
	s_mov_b32 s4, 0
	s_mov_b32 s8, 0
	v_cvt_u32_f32_e32 v3, v3
	global_store_dwordx2 v[1:2], v[3:4], off
	s_branch .LBB110_185
.LBB110_184:
	s_mov_b32 s8, 0
.LBB110_185:
	s_and_b32 vcc_lo, exec_lo, s8
	s_cbranch_vccz .LBB110_201
; %bb.186:
	s_cmp_lt_i32 s6, 27
	s_mov_b32 s7, -1
	s_cbranch_scc1 .LBB110_192
; %bb.187:
	s_cmp_gt_i32 s6, 27
	s_cbranch_scc0 .LBB110_189
; %bb.188:
	v_cvt_f32_f16_e32 v3, v0
	s_mov_b32 s7, 0
	v_cvt_u32_f32_e32 v3, v3
	global_store_dword v[1:2], v3, off
.LBB110_189:
	s_andn2_b32 vcc_lo, exec_lo, s7
	s_cbranch_vccnz .LBB110_191
; %bb.190:
	v_cvt_u16_f16_e32 v3, v0
	global_store_short v[1:2], v3, off
.LBB110_191:
	s_mov_b32 s7, 0
.LBB110_192:
	s_andn2_b32 vcc_lo, exec_lo, s7
	s_cbranch_vccnz .LBB110_200
; %bb.193:
	v_cvt_f32_f16_e32 v3, v0
	v_mov_b32_e32 v5, 0x80
	s_mov_b32 s7, exec_lo
	v_and_b32_e32 v4, 0x7fffffff, v3
	v_cmpx_gt_u32_e32 0x43800000, v4
	s_cbranch_execz .LBB110_199
; %bb.194:
	v_cmp_lt_u32_e32 vcc_lo, 0x3bffffff, v4
	s_mov_b32 s8, 0
                                        ; implicit-def: $vgpr4
	s_and_saveexec_b32 s9, vcc_lo
	s_xor_b32 s9, exec_lo, s9
	s_cbranch_execz .LBB110_311
; %bb.195:
	v_bfe_u32 v4, v3, 20, 1
	s_mov_b32 s8, exec_lo
	v_add3_u32 v4, v3, v4, 0x487ffff
	v_lshrrev_b32_e32 v4, 20, v4
	s_andn2_saveexec_b32 s9, s9
	s_cbranch_execnz .LBB110_312
.LBB110_196:
	s_or_b32 exec_lo, exec_lo, s9
	v_mov_b32_e32 v5, 0
	s_and_saveexec_b32 s9, s8
.LBB110_197:
	v_lshrrev_b32_e32 v3, 24, v3
	v_and_or_b32 v5, 0x80, v3, v4
.LBB110_198:
	s_or_b32 exec_lo, exec_lo, s9
.LBB110_199:
	s_or_b32 exec_lo, exec_lo, s7
	global_store_byte v[1:2], v5, off
.LBB110_200:
	s_mov_b32 s7, -1
.LBB110_201:
	s_mov_b32 s8, 0
.LBB110_202:
	s_and_b32 vcc_lo, exec_lo, s8
	s_cbranch_vccz .LBB110_243
; %bb.203:
	s_cmp_gt_i32 s6, 22
	s_mov_b32 s8, -1
	s_cbranch_scc0 .LBB110_235
; %bb.204:
	s_cmp_lt_i32 s6, 24
	s_mov_b32 s7, -1
	s_cbranch_scc1 .LBB110_224
; %bb.205:
	s_cmp_gt_i32 s6, 24
	s_cbranch_scc0 .LBB110_213
; %bb.206:
	v_cvt_f32_f16_e32 v3, v0
	v_mov_b32_e32 v5, 0x80
	s_mov_b32 s7, exec_lo
	v_and_b32_e32 v4, 0x7fffffff, v3
	v_cmpx_gt_u32_e32 0x47800000, v4
	s_cbranch_execz .LBB110_212
; %bb.207:
	v_cmp_lt_u32_e32 vcc_lo, 0x37ffffff, v4
	s_mov_b32 s8, 0
                                        ; implicit-def: $vgpr4
	s_and_saveexec_b32 s9, vcc_lo
	s_xor_b32 s9, exec_lo, s9
	s_cbranch_execz .LBB110_314
; %bb.208:
	v_bfe_u32 v4, v3, 21, 1
	s_mov_b32 s8, exec_lo
	v_add3_u32 v4, v3, v4, 0x88fffff
	v_lshrrev_b32_e32 v4, 21, v4
	s_andn2_saveexec_b32 s9, s9
	s_cbranch_execnz .LBB110_315
.LBB110_209:
	s_or_b32 exec_lo, exec_lo, s9
	v_mov_b32_e32 v5, 0
	s_and_saveexec_b32 s9, s8
.LBB110_210:
	v_lshrrev_b32_e32 v3, 24, v3
	v_and_or_b32 v5, 0x80, v3, v4
.LBB110_211:
	s_or_b32 exec_lo, exec_lo, s9
.LBB110_212:
	s_or_b32 exec_lo, exec_lo, s7
	s_mov_b32 s7, 0
	global_store_byte v[1:2], v5, off
.LBB110_213:
	s_and_b32 vcc_lo, exec_lo, s7
	s_cbranch_vccz .LBB110_223
; %bb.214:
	v_cvt_f32_f16_e32 v3, v0
	s_mov_b32 s7, exec_lo
                                        ; implicit-def: $vgpr4
	v_and_b32_e32 v5, 0x7fffffff, v3
	v_cmpx_gt_u32_e32 0x43f00000, v5
	s_xor_b32 s7, exec_lo, s7
	s_cbranch_execz .LBB110_220
; %bb.215:
	s_mov_b32 s8, exec_lo
                                        ; implicit-def: $vgpr4
	v_cmpx_lt_u32_e32 0x3c7fffff, v5
	s_xor_b32 s8, exec_lo, s8
; %bb.216:
	v_bfe_u32 v4, v3, 20, 1
	v_add3_u32 v4, v3, v4, 0x407ffff
	v_and_b32_e32 v5, 0xff00000, v4
	v_lshrrev_b32_e32 v4, 20, v4
	v_cmp_ne_u32_e32 vcc_lo, 0x7f00000, v5
	v_cndmask_b32_e32 v4, 0x7e, v4, vcc_lo
; %bb.217:
	s_andn2_saveexec_b32 s8, s8
; %bb.218:
	v_add_f32_e64 v4, 0x46800000, |v3|
; %bb.219:
	s_or_b32 exec_lo, exec_lo, s8
                                        ; implicit-def: $vgpr5
.LBB110_220:
	s_andn2_saveexec_b32 s7, s7
; %bb.221:
	v_mov_b32_e32 v4, 0x7f
	v_cmp_lt_u32_e32 vcc_lo, 0x7f800000, v5
	v_cndmask_b32_e32 v4, 0x7e, v4, vcc_lo
; %bb.222:
	s_or_b32 exec_lo, exec_lo, s7
	v_lshrrev_b32_e32 v3, 24, v3
	v_and_or_b32 v3, 0x80, v3, v4
	global_store_byte v[1:2], v3, off
.LBB110_223:
	s_mov_b32 s7, 0
.LBB110_224:
	s_andn2_b32 vcc_lo, exec_lo, s7
	s_cbranch_vccnz .LBB110_234
; %bb.225:
	v_cvt_f32_f16_e32 v3, v0
	s_mov_b32 s7, exec_lo
                                        ; implicit-def: $vgpr4
	v_and_b32_e32 v5, 0x7fffffff, v3
	v_cmpx_gt_u32_e32 0x47800000, v5
	s_xor_b32 s7, exec_lo, s7
	s_cbranch_execz .LBB110_231
; %bb.226:
	s_mov_b32 s8, exec_lo
                                        ; implicit-def: $vgpr4
	v_cmpx_lt_u32_e32 0x387fffff, v5
	s_xor_b32 s8, exec_lo, s8
; %bb.227:
	v_bfe_u32 v4, v3, 21, 1
	v_add3_u32 v4, v3, v4, 0x80fffff
	v_lshrrev_b32_e32 v4, 21, v4
; %bb.228:
	s_andn2_saveexec_b32 s8, s8
; %bb.229:
	v_add_f32_e64 v4, 0x43000000, |v3|
; %bb.230:
	s_or_b32 exec_lo, exec_lo, s8
                                        ; implicit-def: $vgpr5
.LBB110_231:
	s_andn2_saveexec_b32 s7, s7
; %bb.232:
	v_mov_b32_e32 v4, 0x7f
	v_cmp_lt_u32_e32 vcc_lo, 0x7f800000, v5
	v_cndmask_b32_e32 v4, 0x7c, v4, vcc_lo
; %bb.233:
	s_or_b32 exec_lo, exec_lo, s7
	v_lshrrev_b32_e32 v3, 24, v3
	v_and_or_b32 v3, 0x80, v3, v4
	global_store_byte v[1:2], v3, off
.LBB110_234:
	s_mov_b32 s8, 0
	s_mov_b32 s7, -1
.LBB110_235:
	s_andn2_b32 vcc_lo, exec_lo, s8
	s_cbranch_vccnz .LBB110_243
; %bb.236:
	s_cmp_gt_i32 s6, 14
	s_mov_b32 s8, -1
	s_cbranch_scc0 .LBB110_240
; %bb.237:
	s_cmp_eq_u32 s6, 15
	s_mov_b32 s4, -1
	s_cbranch_scc0 .LBB110_239
; %bb.238:
	v_cvt_f32_f16_e32 v3, v0
	v_cmp_o_f16_e32 vcc_lo, v0, v0
	s_mov_b32 s7, -1
	s_mov_b32 s4, 0
	v_bfe_u32 v4, v3, 16, 1
	v_add3_u32 v3, v3, v4, 0x7fff
	v_mov_b32_e32 v4, 0x7fc0
	v_cndmask_b32_sdwa v3, v4, v3, vcc_lo dst_sel:DWORD dst_unused:UNUSED_PAD src0_sel:DWORD src1_sel:WORD_1
	global_store_short v[1:2], v3, off
.LBB110_239:
	s_mov_b32 s8, 0
.LBB110_240:
	s_and_b32 vcc_lo, exec_lo, s8
	s_cbranch_vccz .LBB110_243
; %bb.241:
	s_cmp_eq_u32 s6, 11
	s_mov_b32 s4, -1
	s_cbranch_scc0 .LBB110_243
; %bb.242:
	v_and_b32_e32 v3, 0x7fff, v0
	s_mov_b32 s4, 0
	s_mov_b32 s7, -1
	v_cmp_ne_u16_e32 vcc_lo, 0, v3
	v_cndmask_b32_e64 v3, 0, 1, vcc_lo
	global_store_byte v[1:2], v3, off
.LBB110_243:
	s_branch .LBB110_165
.LBB110_244:
	s_and_b32 s5, 0xffff, s5
	s_mov_b32 s6, -1
	s_cmp_lt_i32 s5, 5
	s_cbranch_scc1 .LBB110_265
; %bb.245:
	s_cmp_lt_i32 s5, 8
	s_cbranch_scc1 .LBB110_255
; %bb.246:
	s_cmp_lt_i32 s5, 9
	s_cbranch_scc1 .LBB110_252
; %bb.247:
	s_cmp_gt_i32 s5, 9
	s_cbranch_scc0 .LBB110_249
; %bb.248:
	v_cvt_f32_f16_e32 v3, v0
	v_mov_b32_e32 v5, 0
	s_mov_b32 s6, 0
	v_cvt_f64_f32_e32 v[3:4], v3
	v_mov_b32_e32 v6, v5
	global_store_dwordx4 v[1:2], v[3:6], off
.LBB110_249:
	s_andn2_b32 vcc_lo, exec_lo, s6
	s_cbranch_vccnz .LBB110_251
; %bb.250:
	v_cvt_f32_f16_e32 v3, v0
	v_mov_b32_e32 v4, 0
	global_store_dwordx2 v[1:2], v[3:4], off
.LBB110_251:
	s_mov_b32 s6, 0
.LBB110_252:
	s_andn2_b32 vcc_lo, exec_lo, s6
	s_cbranch_vccnz .LBB110_254
; %bb.253:
	v_and_b32_e32 v3, 0xffff, v0
	global_store_dword v[1:2], v3, off
.LBB110_254:
	s_mov_b32 s6, 0
.LBB110_255:
	s_andn2_b32 vcc_lo, exec_lo, s6
	s_cbranch_vccnz .LBB110_264
; %bb.256:
	s_cmp_lt_i32 s5, 6
	s_mov_b32 s6, -1
	s_cbranch_scc1 .LBB110_262
; %bb.257:
	s_cmp_gt_i32 s5, 6
	s_cbranch_scc0 .LBB110_259
; %bb.258:
	v_cvt_f32_f16_e32 v3, v0
	s_mov_b32 s6, 0
	v_cvt_f64_f32_e32 v[3:4], v3
	global_store_dwordx2 v[1:2], v[3:4], off
.LBB110_259:
	s_andn2_b32 vcc_lo, exec_lo, s6
	s_cbranch_vccnz .LBB110_261
; %bb.260:
	v_cvt_f32_f16_e32 v3, v0
	global_store_dword v[1:2], v3, off
.LBB110_261:
	s_mov_b32 s6, 0
.LBB110_262:
	s_andn2_b32 vcc_lo, exec_lo, s6
	s_cbranch_vccnz .LBB110_264
; %bb.263:
	global_store_short v[1:2], v0, off
.LBB110_264:
	s_mov_b32 s6, 0
.LBB110_265:
	s_andn2_b32 vcc_lo, exec_lo, s6
	s_cbranch_vccnz .LBB110_281
; %bb.266:
	s_cmp_lt_i32 s5, 2
	s_mov_b32 s6, -1
	s_cbranch_scc1 .LBB110_276
; %bb.267:
	s_cmp_lt_i32 s5, 3
	s_cbranch_scc1 .LBB110_273
; %bb.268:
	s_cmp_gt_i32 s5, 3
	s_cbranch_scc0 .LBB110_270
; %bb.269:
	v_cvt_f32_f16_e32 v3, v0
	s_mov_b32 s6, 0
	v_cvt_i32_f32_e32 v3, v3
	v_ashrrev_i32_e32 v4, 31, v3
	global_store_dwordx2 v[1:2], v[3:4], off
.LBB110_270:
	s_andn2_b32 vcc_lo, exec_lo, s6
	s_cbranch_vccnz .LBB110_272
; %bb.271:
	v_cvt_f32_f16_e32 v3, v0
	v_cvt_i32_f32_e32 v3, v3
	global_store_dword v[1:2], v3, off
.LBB110_272:
	s_mov_b32 s6, 0
.LBB110_273:
	s_andn2_b32 vcc_lo, exec_lo, s6
	s_cbranch_vccnz .LBB110_275
; %bb.274:
	v_cvt_i16_f16_e32 v3, v0
	global_store_short v[1:2], v3, off
.LBB110_275:
	s_mov_b32 s6, 0
.LBB110_276:
	s_andn2_b32 vcc_lo, exec_lo, s6
	s_cbranch_vccnz .LBB110_281
; %bb.277:
	s_cmp_gt_i32 s5, 0
	s_mov_b32 s5, -1
	s_cbranch_scc0 .LBB110_279
; %bb.278:
	v_cvt_i16_f16_e32 v3, v0
	s_mov_b32 s5, 0
	global_store_byte v[1:2], v3, off
.LBB110_279:
	s_andn2_b32 vcc_lo, exec_lo, s5
	s_cbranch_vccnz .LBB110_281
; %bb.280:
	v_cvt_f32_f16_e32 v0, v0
	v_cvt_i32_f32_e32 v0, v0
	global_store_byte v[1:2], v0, off
.LBB110_281:
	s_branch .LBB110_166
.LBB110_282:
	s_mov_b32 s5, 0
                                        ; implicit-def: $vgpr21
.LBB110_283:
	s_andn2_b32 s6, s57, exec_lo
	s_and_b32 s4, s4, exec_lo
	s_orn2_b32 s7, s5, exec_lo
	s_or_b32 s59, s6, s4
.LBB110_284:
	s_or_b32 exec_lo, exec_lo, s60
	s_mov_b32 s4, 0
	s_mov_b32 s6, 0
                                        ; implicit-def: $sgpr5
                                        ; implicit-def: $vgpr1_vgpr2
                                        ; implicit-def: $vgpr0
	s_and_saveexec_b32 s60, s7
	s_cbranch_execz .LBB110_529
; %bb.285:
	s_mov_b32 s7, -1
	s_mov_b32 s62, s59
	s_mov_b32 s61, exec_lo
	v_cmpx_gt_i32_e64 s54, v21
	s_cbranch_execz .LBB110_429
; %bb.286:
	s_andn2_b32 vcc_lo, exec_lo, s49
	s_cbranch_vccnz .LBB110_291
; %bb.287:
	s_andn2_b32 vcc_lo, exec_lo, s56
	s_cbranch_vccnz .LBB110_292
; %bb.288:
	s_add_i32 s9, s55, 1
	s_cmp_eq_u32 s33, 2
	s_cbranch_scc1 .LBB110_293
; %bb.289:
	v_mov_b32_e32 v4, 0
	v_mov_b32_e32 v19, 0
	;; [unrolled: 1-line block ×3, first 2 shown]
	s_and_b32 s8, s9, 28
	s_mov_b32 s10, 0
	s_mov_b64 s[4:5], s[28:29]
	s_mov_b64 s[6:7], s[46:47]
.LBB110_290:                            ; =>This Inner Loop Header: Depth=1
	s_clause 0x1
	s_load_dwordx8 s[12:19], s[4:5], 0x4
	s_load_dwordx4 s[72:75], s[4:5], 0x24
	s_load_dwordx8 s[64:71], s[6:7], 0x0
	s_add_u32 s4, s4, 48
	s_addc_u32 s5, s5, 0
	s_add_i32 s10, s10, 4
	s_add_u32 s6, s6, 32
	s_addc_u32 s7, s7, 0
	s_cmp_eq_u32 s8, s10
	s_waitcnt lgkmcnt(0)
	v_mul_hi_u32 v1, s13, v0
	v_add_nc_u32_e32 v1, v0, v1
	v_lshrrev_b32_e32 v1, s14, v1
	v_mul_hi_u32 v2, s16, v1
	v_mul_lo_u32 v5, v1, s12
	v_add_nc_u32_e32 v2, v1, v2
	v_sub_nc_u32_e32 v0, v0, v5
	v_lshrrev_b32_e32 v2, s17, v2
	v_mul_lo_u32 v5, v0, s64
	v_mul_lo_u32 v7, v0, s65
	v_mul_hi_u32 v3, s19, v2
	v_add_nc_u32_e32 v3, v2, v3
	v_lshrrev_b32_e32 v3, s72, v3
	v_mul_hi_u32 v6, s74, v3
	v_mul_lo_u32 v8, v3, s18
	v_add_nc_u32_e32 v0, v3, v6
	v_mul_lo_u32 v6, v2, s15
	v_sub_nc_u32_e32 v2, v2, v8
	v_lshrrev_b32_e32 v0, s75, v0
	v_mul_lo_u32 v8, v2, s68
	v_mul_lo_u32 v2, v2, s69
	v_sub_nc_u32_e32 v1, v1, v6
	v_mul_lo_u32 v9, v0, s73
	v_mul_lo_u32 v6, v1, s66
	;; [unrolled: 1-line block ×3, first 2 shown]
	v_sub_nc_u32_e32 v3, v3, v9
	v_add3_u32 v5, v5, v19, v6
	v_mul_lo_u32 v9, v3, s70
	v_mul_lo_u32 v3, v3, s71
	v_add3_u32 v1, v7, v4, v1
	v_add3_u32 v19, v8, v5, v9
	v_add3_u32 v4, v2, v1, v3
	s_cbranch_scc0 .LBB110_290
	s_branch .LBB110_294
.LBB110_291:
	s_mov_b32 s4, -1
                                        ; implicit-def: $vgpr19
                                        ; implicit-def: $vgpr4
	s_branch .LBB110_298
.LBB110_292:
	v_mov_b32_e32 v19, 0
	v_mov_b32_e32 v4, 0
	s_branch .LBB110_297
.LBB110_293:
	v_mov_b32_e32 v19, 0
	v_mov_b32_e32 v4, 0
	;; [unrolled: 1-line block ×3, first 2 shown]
	s_mov_b32 s8, 0
.LBB110_294:
	s_and_b32 s9, s9, 3
	s_cmp_eq_u32 s9, 0
	s_cbranch_scc1 .LBB110_297
; %bb.295:
	s_lshl_b32 s4, s8, 3
	s_mul_i32 s6, s8, 12
	s_add_u32 s4, s28, s4
	s_addc_u32 s5, s29, 0
	s_add_u32 s4, s4, 0xc4
	s_addc_u32 s5, s5, 0
	;; [unrolled: 2-line block ×3, first 2 shown]
	.p2align	6
.LBB110_296:                            ; =>This Inner Loop Header: Depth=1
	s_clause 0x1
	s_load_dwordx2 s[10:11], s[6:7], 0x4
	s_load_dword s8, s[6:7], 0xc
	s_load_dwordx2 s[12:13], s[4:5], 0x0
	s_add_u32 s6, s6, 12
	s_addc_u32 s7, s7, 0
	s_add_u32 s4, s4, 8
	s_addc_u32 s5, s5, 0
	s_add_i32 s9, s9, -1
	s_cmp_lg_u32 s9, 0
	s_waitcnt lgkmcnt(0)
	v_mul_hi_u32 v1, s11, v0
	v_add_nc_u32_e32 v1, v0, v1
	v_lshrrev_b32_e32 v1, s8, v1
	v_mul_lo_u32 v2, v1, s10
	v_sub_nc_u32_e32 v0, v0, v2
	v_mad_u64_u32 v[19:20], null, v0, s12, v[19:20]
	v_mad_u64_u32 v[4:5], null, v0, s13, v[4:5]
	v_mov_b32_e32 v0, v1
	s_cbranch_scc1 .LBB110_296
.LBB110_297:
	s_mov_b32 s4, 0
.LBB110_298:
	s_andn2_b32 vcc_lo, exec_lo, s4
	s_cbranch_vccnz .LBB110_301
; %bb.299:
	v_mul_hi_u32 v0, s41, v21
	s_andn2_b32 vcc_lo, exec_lo, s53
	v_add_nc_u32_e32 v0, v21, v0
	v_lshrrev_b32_e32 v0, s42, v0
	v_mul_lo_u32 v1, v0, s40
	v_sub_nc_u32_e32 v1, v21, v1
	v_mul_lo_u32 v19, v1, s36
	v_mul_lo_u32 v4, v1, s37
	s_cbranch_vccnz .LBB110_301
; %bb.300:
	v_mul_hi_u32 v1, s44, v0
	v_add_nc_u32_e32 v1, v0, v1
	v_lshrrev_b32_e32 v1, s45, v1
	v_mul_lo_u32 v1, v1, s43
	v_sub_nc_u32_e32 v0, v0, v1
	v_mad_u64_u32 v[19:20], null, v0, s38, v[19:20]
	v_mad_u64_u32 v[4:5], null, v0, s39, v[4:5]
.LBB110_301:
	v_mov_b32_e32 v0, s34
	v_mov_b32_e32 v1, s35
	;; [unrolled: 1-line block ×5, first 2 shown]
	s_getpc_b64 s[4:5]
	s_add_u32 s4, s4, _ZN2at6native6invokeIZZZNS0_21polygamma_kernel_cudaERNS_18TensorIteratorBaseElENKUlvE_clEvENKUlvE1_clEvEUlN3c104HalfEE_j15function_traitsIS8_EEENT1_11result_typeERKT_PrKPcPKT0_PKNS6_10ScalarTypeEi@rel32@lo+4
	s_addc_u32 s5, s5, _ZN2at6native6invokeIZZZNS0_21polygamma_kernel_cudaERNS_18TensorIteratorBaseElENKUlvE_clEvENKUlvE1_clEvEUlN3c104HalfEE_j15function_traitsIS8_EEENT1_11result_typeERKT_PrKPcPKT0_PKNS6_10ScalarTypeEi@rel32@hi+12
	s_swappc_b64 s[30:31], s[4:5]
	v_add_co_u32 v1, s4, s24, v19
	v_add_co_ci_u32_e64 v2, null, s25, 0, s4
	s_and_b32 s5, s51, 0xff
	s_cmp_lt_i32 s5, 11
	s_cbranch_scc1 .LBB110_308
; %bb.302:
	s_and_b32 s6, 0xffff, s5
	s_cmp_gt_i32 s6, 25
	s_cbranch_scc0 .LBB110_309
; %bb.303:
	s_cmp_gt_i32 s6, 28
	s_cbranch_scc0 .LBB110_310
; %bb.304:
	;; [unrolled: 3-line block ×4, first 2 shown]
	s_mov_b32 s8, 0
	s_mov_b32 s4, -1
	s_cmp_eq_u32 s6, 46
	s_mov_b32 s7, 0
	s_cbranch_scc0 .LBB110_317
; %bb.307:
	v_cvt_f32_f16_e32 v3, v0
	v_cmp_o_f16_e32 vcc_lo, v0, v0
	s_mov_b32 s7, -1
	s_mov_b32 s4, 0
	v_bfe_u32 v4, v3, 16, 1
	v_add3_u32 v3, v3, v4, 0x7fff
	v_mov_b32_e32 v4, 0x7fc0
	v_cndmask_b32_sdwa v3, v4, v3, vcc_lo dst_sel:DWORD dst_unused:UNUSED_PAD src0_sel:DWORD src1_sel:WORD_1
	global_store_dword v[1:2], v3, off
	s_branch .LBB110_317
.LBB110_308:
	s_mov_b32 s6, -1
	s_mov_b32 s7, 0
	s_mov_b32 s4, s59
	s_branch .LBB110_386
.LBB110_309:
	s_mov_b32 s8, -1
	s_mov_b32 s7, 0
	s_mov_b32 s4, s59
	s_branch .LBB110_344
.LBB110_310:
	s_mov_b32 s8, -1
	s_mov_b32 s7, 0
	s_mov_b32 s4, s59
	s_branch .LBB110_327
.LBB110_311:
	s_andn2_saveexec_b32 s9, s9
	s_cbranch_execz .LBB110_196
.LBB110_312:
	v_add_f32_e64 v4, 0x46000000, |v3|
	s_andn2_b32 s8, s8, exec_lo
	v_and_b32_e32 v4, 0xff, v4
	v_cmp_ne_u32_e32 vcc_lo, 0, v4
	s_and_b32 s10, vcc_lo, exec_lo
	s_or_b32 s8, s8, s10
	s_or_b32 exec_lo, exec_lo, s9
	v_mov_b32_e32 v5, 0
	s_and_saveexec_b32 s9, s8
	s_cbranch_execnz .LBB110_197
	s_branch .LBB110_198
.LBB110_313:
	s_mov_b32 s8, -1
	s_mov_b32 s7, 0
	s_mov_b32 s4, s59
	s_branch .LBB110_323
.LBB110_314:
	s_andn2_saveexec_b32 s9, s9
	s_cbranch_execz .LBB110_209
.LBB110_315:
	v_add_f32_e64 v4, 0x42800000, |v3|
	s_andn2_b32 s8, s8, exec_lo
	v_and_b32_e32 v4, 0xff, v4
	v_cmp_ne_u32_e32 vcc_lo, 0, v4
	s_and_b32 s10, vcc_lo, exec_lo
	s_or_b32 s8, s8, s10
	s_or_b32 exec_lo, exec_lo, s9
	v_mov_b32_e32 v5, 0
	s_and_saveexec_b32 s9, s8
	s_cbranch_execnz .LBB110_210
	s_branch .LBB110_211
.LBB110_316:
	s_mov_b32 s8, -1
	s_mov_b32 s7, 0
	s_mov_b32 s4, s59
.LBB110_317:
	s_and_b32 vcc_lo, exec_lo, s8
	s_cbranch_vccz .LBB110_322
; %bb.318:
	s_cmp_eq_u32 s6, 44
	s_mov_b32 s4, -1
	s_cbranch_scc0 .LBB110_322
; %bb.319:
	v_cvt_f32_f16_e32 v3, v0
	v_mov_b32_e32 v4, 0xff
	s_mov_b32 s7, exec_lo
	v_bfe_u32 v5, v3, 23, 8
	v_cmpx_ne_u32_e32 0xff, v5
	s_cbranch_execz .LBB110_321
; %bb.320:
	v_and_b32_e32 v4, 0x400000, v3
	v_and_or_b32 v5, 0x3fffff, v3, v5
	v_lshrrev_b32_e32 v3, 23, v3
	v_cmp_ne_u32_e32 vcc_lo, 0, v4
	v_cmp_ne_u32_e64 s4, 0, v5
	s_and_b32 s4, vcc_lo, s4
	v_cndmask_b32_e64 v4, 0, 1, s4
	v_add_nc_u32_e32 v4, v3, v4
.LBB110_321:
	s_or_b32 exec_lo, exec_lo, s7
	s_mov_b32 s7, -1
	s_mov_b32 s4, 0
	global_store_byte v[1:2], v4, off
.LBB110_322:
	s_mov_b32 s8, 0
.LBB110_323:
	s_and_b32 vcc_lo, exec_lo, s8
	s_cbranch_vccz .LBB110_326
; %bb.324:
	s_cmp_eq_u32 s6, 29
	s_mov_b32 s4, -1
	s_cbranch_scc0 .LBB110_326
; %bb.325:
	v_cvt_f32_f16_e32 v3, v0
	v_mov_b32_e32 v4, 0
	s_mov_b32 s7, -1
	s_mov_b32 s4, 0
	s_mov_b32 s8, 0
	v_cvt_u32_f32_e32 v3, v3
	global_store_dwordx2 v[1:2], v[3:4], off
	s_branch .LBB110_327
.LBB110_326:
	s_mov_b32 s8, 0
.LBB110_327:
	s_and_b32 vcc_lo, exec_lo, s8
	s_cbranch_vccz .LBB110_343
; %bb.328:
	s_cmp_lt_i32 s6, 27
	s_mov_b32 s7, -1
	s_cbranch_scc1 .LBB110_334
; %bb.329:
	s_cmp_gt_i32 s6, 27
	s_cbranch_scc0 .LBB110_331
; %bb.330:
	v_cvt_f32_f16_e32 v3, v0
	s_mov_b32 s7, 0
	v_cvt_u32_f32_e32 v3, v3
	global_store_dword v[1:2], v3, off
.LBB110_331:
	s_andn2_b32 vcc_lo, exec_lo, s7
	s_cbranch_vccnz .LBB110_333
; %bb.332:
	v_cvt_u16_f16_e32 v3, v0
	global_store_short v[1:2], v3, off
.LBB110_333:
	s_mov_b32 s7, 0
.LBB110_334:
	s_andn2_b32 vcc_lo, exec_lo, s7
	s_cbranch_vccnz .LBB110_342
; %bb.335:
	v_cvt_f32_f16_e32 v3, v0
	v_mov_b32_e32 v5, 0x80
	s_mov_b32 s7, exec_lo
	v_and_b32_e32 v4, 0x7fffffff, v3
	v_cmpx_gt_u32_e32 0x43800000, v4
	s_cbranch_execz .LBB110_341
; %bb.336:
	v_cmp_lt_u32_e32 vcc_lo, 0x3bffffff, v4
	s_mov_b32 s8, 0
                                        ; implicit-def: $vgpr4
	s_and_saveexec_b32 s9, vcc_lo
	s_xor_b32 s9, exec_lo, s9
	s_cbranch_execz .LBB110_454
; %bb.337:
	v_bfe_u32 v4, v3, 20, 1
	s_mov_b32 s8, exec_lo
	v_add3_u32 v4, v3, v4, 0x487ffff
	v_lshrrev_b32_e32 v4, 20, v4
	s_andn2_saveexec_b32 s9, s9
	s_cbranch_execnz .LBB110_455
.LBB110_338:
	s_or_b32 exec_lo, exec_lo, s9
	v_mov_b32_e32 v5, 0
	s_and_saveexec_b32 s9, s8
.LBB110_339:
	v_lshrrev_b32_e32 v3, 24, v3
	v_and_or_b32 v5, 0x80, v3, v4
.LBB110_340:
	s_or_b32 exec_lo, exec_lo, s9
.LBB110_341:
	s_or_b32 exec_lo, exec_lo, s7
	global_store_byte v[1:2], v5, off
.LBB110_342:
	s_mov_b32 s7, -1
.LBB110_343:
	s_mov_b32 s8, 0
.LBB110_344:
	s_and_b32 vcc_lo, exec_lo, s8
	s_cbranch_vccz .LBB110_385
; %bb.345:
	s_cmp_gt_i32 s6, 22
	s_mov_b32 s8, -1
	s_cbranch_scc0 .LBB110_377
; %bb.346:
	s_cmp_lt_i32 s6, 24
	s_mov_b32 s7, -1
	s_cbranch_scc1 .LBB110_366
; %bb.347:
	s_cmp_gt_i32 s6, 24
	s_cbranch_scc0 .LBB110_355
; %bb.348:
	v_cvt_f32_f16_e32 v3, v0
	v_mov_b32_e32 v5, 0x80
	s_mov_b32 s7, exec_lo
	v_and_b32_e32 v4, 0x7fffffff, v3
	v_cmpx_gt_u32_e32 0x47800000, v4
	s_cbranch_execz .LBB110_354
; %bb.349:
	v_cmp_lt_u32_e32 vcc_lo, 0x37ffffff, v4
	s_mov_b32 s8, 0
                                        ; implicit-def: $vgpr4
	s_and_saveexec_b32 s9, vcc_lo
	s_xor_b32 s9, exec_lo, s9
	s_cbranch_execz .LBB110_456
; %bb.350:
	v_bfe_u32 v4, v3, 21, 1
	s_mov_b32 s8, exec_lo
	v_add3_u32 v4, v3, v4, 0x88fffff
	v_lshrrev_b32_e32 v4, 21, v4
	s_andn2_saveexec_b32 s9, s9
	s_cbranch_execnz .LBB110_457
.LBB110_351:
	s_or_b32 exec_lo, exec_lo, s9
	v_mov_b32_e32 v5, 0
	s_and_saveexec_b32 s9, s8
.LBB110_352:
	v_lshrrev_b32_e32 v3, 24, v3
	v_and_or_b32 v5, 0x80, v3, v4
.LBB110_353:
	s_or_b32 exec_lo, exec_lo, s9
.LBB110_354:
	s_or_b32 exec_lo, exec_lo, s7
	s_mov_b32 s7, 0
	global_store_byte v[1:2], v5, off
.LBB110_355:
	s_and_b32 vcc_lo, exec_lo, s7
	s_cbranch_vccz .LBB110_365
; %bb.356:
	v_cvt_f32_f16_e32 v3, v0
	s_mov_b32 s7, exec_lo
                                        ; implicit-def: $vgpr4
	v_and_b32_e32 v5, 0x7fffffff, v3
	v_cmpx_gt_u32_e32 0x43f00000, v5
	s_xor_b32 s7, exec_lo, s7
	s_cbranch_execz .LBB110_362
; %bb.357:
	s_mov_b32 s8, exec_lo
                                        ; implicit-def: $vgpr4
	v_cmpx_lt_u32_e32 0x3c7fffff, v5
	s_xor_b32 s8, exec_lo, s8
; %bb.358:
	v_bfe_u32 v4, v3, 20, 1
	v_add3_u32 v4, v3, v4, 0x407ffff
	v_and_b32_e32 v5, 0xff00000, v4
	v_lshrrev_b32_e32 v4, 20, v4
	v_cmp_ne_u32_e32 vcc_lo, 0x7f00000, v5
	v_cndmask_b32_e32 v4, 0x7e, v4, vcc_lo
; %bb.359:
	s_andn2_saveexec_b32 s8, s8
; %bb.360:
	v_add_f32_e64 v4, 0x46800000, |v3|
; %bb.361:
	s_or_b32 exec_lo, exec_lo, s8
                                        ; implicit-def: $vgpr5
.LBB110_362:
	s_andn2_saveexec_b32 s7, s7
; %bb.363:
	v_mov_b32_e32 v4, 0x7f
	v_cmp_lt_u32_e32 vcc_lo, 0x7f800000, v5
	v_cndmask_b32_e32 v4, 0x7e, v4, vcc_lo
; %bb.364:
	s_or_b32 exec_lo, exec_lo, s7
	v_lshrrev_b32_e32 v3, 24, v3
	v_and_or_b32 v3, 0x80, v3, v4
	global_store_byte v[1:2], v3, off
.LBB110_365:
	s_mov_b32 s7, 0
.LBB110_366:
	s_andn2_b32 vcc_lo, exec_lo, s7
	s_cbranch_vccnz .LBB110_376
; %bb.367:
	v_cvt_f32_f16_e32 v3, v0
	s_mov_b32 s7, exec_lo
                                        ; implicit-def: $vgpr4
	v_and_b32_e32 v5, 0x7fffffff, v3
	v_cmpx_gt_u32_e32 0x47800000, v5
	s_xor_b32 s7, exec_lo, s7
	s_cbranch_execz .LBB110_373
; %bb.368:
	s_mov_b32 s8, exec_lo
                                        ; implicit-def: $vgpr4
	v_cmpx_lt_u32_e32 0x387fffff, v5
	s_xor_b32 s8, exec_lo, s8
; %bb.369:
	v_bfe_u32 v4, v3, 21, 1
	v_add3_u32 v4, v3, v4, 0x80fffff
	v_lshrrev_b32_e32 v4, 21, v4
; %bb.370:
	s_andn2_saveexec_b32 s8, s8
; %bb.371:
	v_add_f32_e64 v4, 0x43000000, |v3|
; %bb.372:
	s_or_b32 exec_lo, exec_lo, s8
                                        ; implicit-def: $vgpr5
.LBB110_373:
	s_andn2_saveexec_b32 s7, s7
; %bb.374:
	v_mov_b32_e32 v4, 0x7f
	v_cmp_lt_u32_e32 vcc_lo, 0x7f800000, v5
	v_cndmask_b32_e32 v4, 0x7c, v4, vcc_lo
; %bb.375:
	s_or_b32 exec_lo, exec_lo, s7
	v_lshrrev_b32_e32 v3, 24, v3
	v_and_or_b32 v3, 0x80, v3, v4
	global_store_byte v[1:2], v3, off
.LBB110_376:
	s_mov_b32 s8, 0
	s_mov_b32 s7, -1
.LBB110_377:
	s_andn2_b32 vcc_lo, exec_lo, s8
	s_cbranch_vccnz .LBB110_385
; %bb.378:
	s_cmp_gt_i32 s6, 14
	s_mov_b32 s8, -1
	s_cbranch_scc0 .LBB110_382
; %bb.379:
	s_cmp_eq_u32 s6, 15
	s_mov_b32 s4, -1
	s_cbranch_scc0 .LBB110_381
; %bb.380:
	v_cvt_f32_f16_e32 v3, v0
	v_cmp_o_f16_e32 vcc_lo, v0, v0
	s_mov_b32 s7, -1
	s_mov_b32 s4, 0
	v_bfe_u32 v4, v3, 16, 1
	v_add3_u32 v3, v3, v4, 0x7fff
	v_mov_b32_e32 v4, 0x7fc0
	v_cndmask_b32_sdwa v3, v4, v3, vcc_lo dst_sel:DWORD dst_unused:UNUSED_PAD src0_sel:DWORD src1_sel:WORD_1
	global_store_short v[1:2], v3, off
.LBB110_381:
	s_mov_b32 s8, 0
.LBB110_382:
	s_and_b32 vcc_lo, exec_lo, s8
	s_cbranch_vccz .LBB110_385
; %bb.383:
	s_cmp_eq_u32 s6, 11
	s_mov_b32 s4, -1
	s_cbranch_scc0 .LBB110_385
; %bb.384:
	v_and_b32_e32 v3, 0x7fff, v0
	s_mov_b32 s4, 0
	s_mov_b32 s7, -1
	v_cmp_ne_u16_e32 vcc_lo, 0, v3
	v_cndmask_b32_e64 v3, 0, 1, vcc_lo
	global_store_byte v[1:2], v3, off
.LBB110_385:
	s_mov_b32 s6, 0
.LBB110_386:
	s_and_b32 vcc_lo, exec_lo, s6
	s_cbranch_vccz .LBB110_425
; %bb.387:
	s_and_b32 s5, 0xffff, s5
	s_mov_b32 s6, -1
	s_cmp_lt_i32 s5, 5
	s_cbranch_scc1 .LBB110_408
; %bb.388:
	s_cmp_lt_i32 s5, 8
	s_cbranch_scc1 .LBB110_398
; %bb.389:
	;; [unrolled: 3-line block ×3, first 2 shown]
	s_cmp_gt_i32 s5, 9
	s_cbranch_scc0 .LBB110_392
; %bb.391:
	v_cvt_f32_f16_e32 v3, v0
	v_mov_b32_e32 v5, 0
	s_mov_b32 s6, 0
	v_cvt_f64_f32_e32 v[3:4], v3
	v_mov_b32_e32 v6, v5
	global_store_dwordx4 v[1:2], v[3:6], off
.LBB110_392:
	s_andn2_b32 vcc_lo, exec_lo, s6
	s_cbranch_vccnz .LBB110_394
; %bb.393:
	v_cvt_f32_f16_e32 v3, v0
	v_mov_b32_e32 v4, 0
	global_store_dwordx2 v[1:2], v[3:4], off
.LBB110_394:
	s_mov_b32 s6, 0
.LBB110_395:
	s_andn2_b32 vcc_lo, exec_lo, s6
	s_cbranch_vccnz .LBB110_397
; %bb.396:
	v_and_b32_e32 v3, 0xffff, v0
	global_store_dword v[1:2], v3, off
.LBB110_397:
	s_mov_b32 s6, 0
.LBB110_398:
	s_andn2_b32 vcc_lo, exec_lo, s6
	s_cbranch_vccnz .LBB110_407
; %bb.399:
	s_cmp_lt_i32 s5, 6
	s_mov_b32 s6, -1
	s_cbranch_scc1 .LBB110_405
; %bb.400:
	s_cmp_gt_i32 s5, 6
	s_cbranch_scc0 .LBB110_402
; %bb.401:
	v_cvt_f32_f16_e32 v3, v0
	s_mov_b32 s6, 0
	v_cvt_f64_f32_e32 v[3:4], v3
	global_store_dwordx2 v[1:2], v[3:4], off
.LBB110_402:
	s_andn2_b32 vcc_lo, exec_lo, s6
	s_cbranch_vccnz .LBB110_404
; %bb.403:
	v_cvt_f32_f16_e32 v3, v0
	global_store_dword v[1:2], v3, off
.LBB110_404:
	s_mov_b32 s6, 0
.LBB110_405:
	s_andn2_b32 vcc_lo, exec_lo, s6
	s_cbranch_vccnz .LBB110_407
; %bb.406:
	global_store_short v[1:2], v0, off
.LBB110_407:
	s_mov_b32 s6, 0
.LBB110_408:
	s_andn2_b32 vcc_lo, exec_lo, s6
	s_cbranch_vccnz .LBB110_424
; %bb.409:
	s_cmp_lt_i32 s5, 2
	s_mov_b32 s6, -1
	s_cbranch_scc1 .LBB110_419
; %bb.410:
	s_cmp_lt_i32 s5, 3
	s_cbranch_scc1 .LBB110_416
; %bb.411:
	s_cmp_gt_i32 s5, 3
	s_cbranch_scc0 .LBB110_413
; %bb.412:
	v_cvt_f32_f16_e32 v3, v0
	s_mov_b32 s6, 0
	v_cvt_i32_f32_e32 v3, v3
	v_ashrrev_i32_e32 v4, 31, v3
	global_store_dwordx2 v[1:2], v[3:4], off
.LBB110_413:
	s_andn2_b32 vcc_lo, exec_lo, s6
	s_cbranch_vccnz .LBB110_415
; %bb.414:
	v_cvt_f32_f16_e32 v3, v0
	v_cvt_i32_f32_e32 v3, v3
	global_store_dword v[1:2], v3, off
.LBB110_415:
	s_mov_b32 s6, 0
.LBB110_416:
	s_andn2_b32 vcc_lo, exec_lo, s6
	s_cbranch_vccnz .LBB110_418
; %bb.417:
	v_cvt_i16_f16_e32 v3, v0
	global_store_short v[1:2], v3, off
.LBB110_418:
	s_mov_b32 s6, 0
.LBB110_419:
	s_andn2_b32 vcc_lo, exec_lo, s6
	s_cbranch_vccnz .LBB110_424
; %bb.420:
	s_cmp_gt_i32 s5, 0
	s_mov_b32 s5, -1
	s_cbranch_scc0 .LBB110_422
; %bb.421:
	v_cvt_i16_f16_e32 v3, v0
	s_mov_b32 s5, 0
	global_store_byte v[1:2], v3, off
.LBB110_422:
	s_andn2_b32 vcc_lo, exec_lo, s5
	s_cbranch_vccnz .LBB110_424
; %bb.423:
	v_cvt_f32_f16_e32 v0, v0
	v_cvt_i32_f32_e32 v0, v0
	global_store_byte v[1:2], v0, off
.LBB110_424:
	s_mov_b32 s7, -1
.LBB110_425:
	s_andn2_b32 vcc_lo, exec_lo, s7
	s_cbranch_vccnz .LBB110_427
; %bb.426:
	v_add_nc_u32_e32 v21, 0x80, v21
	s_mov_b32 s5, -1
	s_branch .LBB110_428
.LBB110_427:
	s_mov_b32 s5, 0
                                        ; implicit-def: $vgpr21
.LBB110_428:
	s_andn2_b32 s6, s59, exec_lo
	s_and_b32 s4, s4, exec_lo
	s_orn2_b32 s7, s5, exec_lo
	s_or_b32 s62, s6, s4
.LBB110_429:
	s_or_b32 exec_lo, exec_lo, s61
	s_mov_b32 s4, 0
	s_mov_b32 s6, 0
                                        ; implicit-def: $sgpr5
                                        ; implicit-def: $vgpr1_vgpr2
                                        ; implicit-def: $vgpr0
	s_and_saveexec_b32 s61, s7
	s_cbranch_execz .LBB110_528
; %bb.430:
	v_cmp_gt_i32_e32 vcc_lo, s54, v21
	s_mov_b32 s7, s62
                                        ; implicit-def: $sgpr5
                                        ; implicit-def: $vgpr1_vgpr2
                                        ; implicit-def: $vgpr0
	s_and_saveexec_b32 s54, vcc_lo
	s_cbranch_execz .LBB110_527
; %bb.431:
	s_andn2_b32 vcc_lo, exec_lo, s49
	s_cbranch_vccnz .LBB110_436
; %bb.432:
	s_andn2_b32 vcc_lo, exec_lo, s56
	s_cbranch_vccnz .LBB110_437
; %bb.433:
	s_add_i32 s55, s55, 1
	s_cmp_eq_u32 s33, 2
	s_cbranch_scc1 .LBB110_438
; %bb.434:
	v_mov_b32_e32 v4, 0
	v_mov_b32_e32 v19, 0
	;; [unrolled: 1-line block ×3, first 2 shown]
	s_and_b32 s6, s55, 28
	s_mov_b32 s7, 0
	s_mov_b64 s[4:5], s[28:29]
.LBB110_435:                            ; =>This Inner Loop Header: Depth=1
	s_clause 0x1
	s_load_dwordx8 s[8:15], s[4:5], 0x4
	s_load_dwordx4 s[16:19], s[4:5], 0x24
	s_load_dwordx8 s[64:71], s[46:47], 0x0
	s_add_u32 s4, s4, 48
	s_addc_u32 s5, s5, 0
	s_add_i32 s7, s7, 4
	s_add_u32 s46, s46, 32
	s_addc_u32 s47, s47, 0
	s_cmp_eq_u32 s6, s7
	s_waitcnt lgkmcnt(0)
	v_mul_hi_u32 v1, s9, v0
	v_add_nc_u32_e32 v1, v0, v1
	v_lshrrev_b32_e32 v1, s10, v1
	v_mul_hi_u32 v2, s12, v1
	v_mul_lo_u32 v5, v1, s8
	v_add_nc_u32_e32 v2, v1, v2
	v_sub_nc_u32_e32 v0, v0, v5
	v_lshrrev_b32_e32 v2, s13, v2
	v_mul_lo_u32 v5, v0, s64
	v_mul_lo_u32 v7, v0, s65
	v_mul_hi_u32 v3, s15, v2
	v_add_nc_u32_e32 v3, v2, v3
	v_lshrrev_b32_e32 v3, s16, v3
	v_mul_hi_u32 v6, s18, v3
	v_mul_lo_u32 v8, v3, s14
	v_add_nc_u32_e32 v0, v3, v6
	v_mul_lo_u32 v6, v2, s11
	v_sub_nc_u32_e32 v2, v2, v8
	v_lshrrev_b32_e32 v0, s19, v0
	v_mul_lo_u32 v8, v2, s68
	v_mul_lo_u32 v2, v2, s69
	v_sub_nc_u32_e32 v1, v1, v6
	v_mul_lo_u32 v9, v0, s17
	v_mul_lo_u32 v6, v1, s66
	;; [unrolled: 1-line block ×3, first 2 shown]
	v_sub_nc_u32_e32 v3, v3, v9
	v_add3_u32 v5, v5, v19, v6
	v_mul_lo_u32 v9, v3, s70
	v_mul_lo_u32 v3, v3, s71
	v_add3_u32 v1, v7, v4, v1
	v_add3_u32 v19, v8, v5, v9
	;; [unrolled: 1-line block ×3, first 2 shown]
	s_cbranch_scc0 .LBB110_435
	s_branch .LBB110_439
.LBB110_436:
	s_mov_b32 s4, -1
                                        ; implicit-def: $vgpr19
                                        ; implicit-def: $vgpr4
	s_branch .LBB110_443
.LBB110_437:
	v_mov_b32_e32 v19, 0
	v_mov_b32_e32 v4, 0
	s_branch .LBB110_442
.LBB110_438:
	v_mov_b32_e32 v19, 0
	v_mov_b32_e32 v4, 0
	;; [unrolled: 1-line block ×3, first 2 shown]
.LBB110_439:
	s_and_b32 s8, s55, 3
	s_cmp_eq_u32 s8, 0
	s_cbranch_scc1 .LBB110_442
; %bb.440:
	s_lshl_b32 s4, s6, 3
	s_mul_i32 s6, s6, 12
	s_add_u32 s4, s28, s4
	s_addc_u32 s5, s29, 0
	s_add_u32 s4, s4, 0xc4
	s_addc_u32 s5, s5, 0
	;; [unrolled: 2-line block ×3, first 2 shown]
.LBB110_441:                            ; =>This Inner Loop Header: Depth=1
	s_clause 0x1
	s_load_dwordx2 s[10:11], s[6:7], 0x4
	s_load_dword s9, s[6:7], 0xc
	s_load_dwordx2 s[12:13], s[4:5], 0x0
	s_add_u32 s6, s6, 12
	s_addc_u32 s7, s7, 0
	s_add_u32 s4, s4, 8
	s_addc_u32 s5, s5, 0
	s_add_i32 s8, s8, -1
	s_cmp_lg_u32 s8, 0
	s_waitcnt lgkmcnt(0)
	v_mul_hi_u32 v1, s11, v0
	v_add_nc_u32_e32 v1, v0, v1
	v_lshrrev_b32_e32 v1, s9, v1
	v_mul_lo_u32 v2, v1, s10
	v_sub_nc_u32_e32 v0, v0, v2
	v_mad_u64_u32 v[19:20], null, v0, s12, v[19:20]
	v_mad_u64_u32 v[4:5], null, v0, s13, v[4:5]
	v_mov_b32_e32 v0, v1
	s_cbranch_scc1 .LBB110_441
.LBB110_442:
	s_mov_b32 s4, 0
.LBB110_443:
	s_andn2_b32 vcc_lo, exec_lo, s4
	s_cbranch_vccnz .LBB110_446
; %bb.444:
	v_mul_hi_u32 v0, s41, v21
	s_andn2_b32 vcc_lo, exec_lo, s53
	v_add_nc_u32_e32 v0, v21, v0
	v_lshrrev_b32_e32 v0, s42, v0
	v_mul_lo_u32 v1, v0, s40
	v_sub_nc_u32_e32 v1, v21, v1
	v_mul_lo_u32 v19, v1, s36
	v_mul_lo_u32 v4, v1, s37
	s_cbranch_vccnz .LBB110_446
; %bb.445:
	v_mul_hi_u32 v1, s44, v0
	v_add_nc_u32_e32 v1, v0, v1
	v_lshrrev_b32_e32 v1, s45, v1
	v_mul_lo_u32 v1, v1, s43
	v_sub_nc_u32_e32 v0, v0, v1
	v_mad_u64_u32 v[19:20], null, v0, s38, v[19:20]
	v_mad_u64_u32 v[4:5], null, v0, s39, v[4:5]
.LBB110_446:
	v_mov_b32_e32 v0, s34
	v_mov_b32_e32 v1, s35
	;; [unrolled: 1-line block ×5, first 2 shown]
	s_getpc_b64 s[4:5]
	s_add_u32 s4, s4, _ZN2at6native6invokeIZZZNS0_21polygamma_kernel_cudaERNS_18TensorIteratorBaseElENKUlvE_clEvENKUlvE1_clEvEUlN3c104HalfEE_j15function_traitsIS8_EEENT1_11result_typeERKT_PrKPcPKT0_PKNS6_10ScalarTypeEi@rel32@lo+4
	s_addc_u32 s5, s5, _ZN2at6native6invokeIZZZNS0_21polygamma_kernel_cudaERNS_18TensorIteratorBaseElENKUlvE_clEvENKUlvE1_clEvEUlN3c104HalfEE_j15function_traitsIS8_EEENT1_11result_typeERKT_PrKPcPKT0_PKNS6_10ScalarTypeEi@rel32@hi+12
	s_swappc_b64 s[30:31], s[4:5]
	v_add_co_u32 v1, s4, s24, v19
	v_add_co_ci_u32_e64 v2, null, s25, 0, s4
	s_and_b32 s5, s51, 0xff
	s_cmp_lt_i32 s5, 11
	s_cbranch_scc1 .LBB110_453
; %bb.447:
	s_and_b32 s6, 0xffff, s5
	s_mov_b32 s7, -1
	s_cmp_gt_i32 s6, 25
	s_mov_b32 s4, s62
	s_cbranch_scc0 .LBB110_485
; %bb.448:
	s_cmp_gt_i32 s6, 28
	s_mov_b32 s4, s62
	s_cbranch_scc0 .LBB110_469
; %bb.449:
	;; [unrolled: 4-line block ×4, first 2 shown]
	s_cmp_eq_u32 s6, 46
	s_mov_b32 s4, -1
	s_cbranch_scc0 .LBB110_458
; %bb.452:
	v_cvt_f32_f16_e32 v3, v0
	v_cmp_o_f16_e32 vcc_lo, v0, v0
	s_mov_b32 s4, 0
	s_mov_b32 s7, 0
	v_bfe_u32 v4, v3, 16, 1
	v_add3_u32 v3, v3, v4, 0x7fff
	v_mov_b32_e32 v4, 0x7fc0
	v_cndmask_b32_sdwa v3, v4, v3, vcc_lo dst_sel:DWORD dst_unused:UNUSED_PAD src0_sel:DWORD src1_sel:WORD_1
	global_store_dword v[1:2], v3, off
	s_branch .LBB110_459
.LBB110_453:
	s_mov_b32 s8, 0
	s_mov_b32 s7, -1
	s_mov_b32 s4, s62
	s_branch .LBB110_526
.LBB110_454:
	s_andn2_saveexec_b32 s9, s9
	s_cbranch_execz .LBB110_338
.LBB110_455:
	v_add_f32_e64 v4, 0x46000000, |v3|
	s_andn2_b32 s8, s8, exec_lo
	v_and_b32_e32 v4, 0xff, v4
	v_cmp_ne_u32_e32 vcc_lo, 0, v4
	s_and_b32 s10, vcc_lo, exec_lo
	s_or_b32 s8, s8, s10
	s_or_b32 exec_lo, exec_lo, s9
	v_mov_b32_e32 v5, 0
	s_and_saveexec_b32 s9, s8
	s_cbranch_execnz .LBB110_339
	s_branch .LBB110_340
.LBB110_456:
	s_andn2_saveexec_b32 s9, s9
	s_cbranch_execz .LBB110_351
.LBB110_457:
	v_add_f32_e64 v4, 0x42800000, |v3|
	s_andn2_b32 s8, s8, exec_lo
	v_and_b32_e32 v4, 0xff, v4
	v_cmp_ne_u32_e32 vcc_lo, 0, v4
	s_and_b32 s10, vcc_lo, exec_lo
	s_or_b32 s8, s8, s10
	s_or_b32 exec_lo, exec_lo, s9
	v_mov_b32_e32 v5, 0
	s_and_saveexec_b32 s9, s8
	s_cbranch_execnz .LBB110_352
	s_branch .LBB110_353
.LBB110_458:
	s_mov_b32 s7, 0
.LBB110_459:
	s_and_b32 vcc_lo, exec_lo, s7
	s_cbranch_vccz .LBB110_464
; %bb.460:
	s_cmp_eq_u32 s6, 44
	s_mov_b32 s4, -1
	s_cbranch_scc0 .LBB110_464
; %bb.461:
	v_cvt_f32_f16_e32 v3, v0
	v_mov_b32_e32 v4, 0xff
	s_mov_b32 s7, exec_lo
	v_bfe_u32 v5, v3, 23, 8
	v_cmpx_ne_u32_e32 0xff, v5
	s_cbranch_execz .LBB110_463
; %bb.462:
	v_and_b32_e32 v4, 0x400000, v3
	v_and_or_b32 v5, 0x3fffff, v3, v5
	v_lshrrev_b32_e32 v3, 23, v3
	v_cmp_ne_u32_e32 vcc_lo, 0, v4
	v_cmp_ne_u32_e64 s4, 0, v5
	s_and_b32 s4, vcc_lo, s4
	v_cndmask_b32_e64 v4, 0, 1, s4
	v_add_nc_u32_e32 v4, v3, v4
.LBB110_463:
	s_or_b32 exec_lo, exec_lo, s7
	s_mov_b32 s4, 0
	global_store_byte v[1:2], v4, off
.LBB110_464:
	s_mov_b32 s7, 0
.LBB110_465:
	s_and_b32 vcc_lo, exec_lo, s7
	s_cbranch_vccz .LBB110_468
; %bb.466:
	s_cmp_eq_u32 s6, 29
	s_mov_b32 s4, -1
	s_cbranch_scc0 .LBB110_468
; %bb.467:
	v_cvt_f32_f16_e32 v3, v0
	v_mov_b32_e32 v4, 0
	s_mov_b32 s4, 0
	s_mov_b32 s7, 0
	v_cvt_u32_f32_e32 v3, v3
	global_store_dwordx2 v[1:2], v[3:4], off
	s_branch .LBB110_469
.LBB110_468:
	s_mov_b32 s7, 0
.LBB110_469:
	s_and_b32 vcc_lo, exec_lo, s7
	s_cbranch_vccz .LBB110_484
; %bb.470:
	s_cmp_lt_i32 s6, 27
	s_mov_b32 s7, -1
	s_cbranch_scc1 .LBB110_476
; %bb.471:
	s_cmp_gt_i32 s6, 27
	s_cbranch_scc0 .LBB110_473
; %bb.472:
	v_cvt_f32_f16_e32 v3, v0
	s_mov_b32 s7, 0
	v_cvt_u32_f32_e32 v3, v3
	global_store_dword v[1:2], v3, off
.LBB110_473:
	s_andn2_b32 vcc_lo, exec_lo, s7
	s_cbranch_vccnz .LBB110_475
; %bb.474:
	v_cvt_u16_f16_e32 v3, v0
	global_store_short v[1:2], v3, off
.LBB110_475:
	s_mov_b32 s7, 0
.LBB110_476:
	s_andn2_b32 vcc_lo, exec_lo, s7
	s_cbranch_vccnz .LBB110_484
; %bb.477:
	v_cvt_f32_f16_e32 v3, v0
	v_mov_b32_e32 v5, 0x80
	s_mov_b32 s7, exec_lo
	v_and_b32_e32 v4, 0x7fffffff, v3
	v_cmpx_gt_u32_e32 0x43800000, v4
	s_cbranch_execz .LBB110_483
; %bb.478:
	v_cmp_lt_u32_e32 vcc_lo, 0x3bffffff, v4
	s_mov_b32 s8, 0
                                        ; implicit-def: $vgpr4
	s_and_saveexec_b32 s9, vcc_lo
	s_xor_b32 s9, exec_lo, s9
	s_cbranch_execz .LBB110_1121
; %bb.479:
	v_bfe_u32 v4, v3, 20, 1
	s_mov_b32 s8, exec_lo
	v_add3_u32 v4, v3, v4, 0x487ffff
	v_lshrrev_b32_e32 v4, 20, v4
	s_andn2_saveexec_b32 s9, s9
	s_cbranch_execnz .LBB110_1122
.LBB110_480:
	s_or_b32 exec_lo, exec_lo, s9
	v_mov_b32_e32 v5, 0
	s_and_saveexec_b32 s9, s8
.LBB110_481:
	v_lshrrev_b32_e32 v3, 24, v3
	v_and_or_b32 v5, 0x80, v3, v4
.LBB110_482:
	s_or_b32 exec_lo, exec_lo, s9
.LBB110_483:
	s_or_b32 exec_lo, exec_lo, s7
	global_store_byte v[1:2], v5, off
.LBB110_484:
	s_mov_b32 s7, 0
.LBB110_485:
	s_and_b32 vcc_lo, exec_lo, s7
	s_mov_b32 s7, 0
	s_cbranch_vccz .LBB110_525
; %bb.486:
	s_cmp_gt_i32 s6, 22
	s_mov_b32 s8, -1
	s_cbranch_scc0 .LBB110_518
; %bb.487:
	s_cmp_lt_i32 s6, 24
	s_cbranch_scc1 .LBB110_507
; %bb.488:
	s_cmp_gt_i32 s6, 24
	s_cbranch_scc0 .LBB110_496
; %bb.489:
	v_cvt_f32_f16_e32 v3, v0
	v_mov_b32_e32 v5, 0x80
	s_mov_b32 s8, exec_lo
	v_and_b32_e32 v4, 0x7fffffff, v3
	v_cmpx_gt_u32_e32 0x47800000, v4
	s_cbranch_execz .LBB110_495
; %bb.490:
	v_cmp_lt_u32_e32 vcc_lo, 0x37ffffff, v4
	s_mov_b32 s9, 0
                                        ; implicit-def: $vgpr4
	s_and_saveexec_b32 s10, vcc_lo
	s_xor_b32 s10, exec_lo, s10
	s_cbranch_execz .LBB110_1125
; %bb.491:
	v_bfe_u32 v4, v3, 21, 1
	s_mov_b32 s9, exec_lo
	v_add3_u32 v4, v3, v4, 0x88fffff
	v_lshrrev_b32_e32 v4, 21, v4
	s_andn2_saveexec_b32 s10, s10
	s_cbranch_execnz .LBB110_1126
.LBB110_492:
	s_or_b32 exec_lo, exec_lo, s10
	v_mov_b32_e32 v5, 0
	s_and_saveexec_b32 s10, s9
.LBB110_493:
	v_lshrrev_b32_e32 v3, 24, v3
	v_and_or_b32 v5, 0x80, v3, v4
.LBB110_494:
	s_or_b32 exec_lo, exec_lo, s10
.LBB110_495:
	s_or_b32 exec_lo, exec_lo, s8
	s_mov_b32 s8, 0
	global_store_byte v[1:2], v5, off
.LBB110_496:
	s_and_b32 vcc_lo, exec_lo, s8
	s_cbranch_vccz .LBB110_506
; %bb.497:
	v_cvt_f32_f16_e32 v3, v0
	s_mov_b32 s8, exec_lo
                                        ; implicit-def: $vgpr4
	v_and_b32_e32 v5, 0x7fffffff, v3
	v_cmpx_gt_u32_e32 0x43f00000, v5
	s_xor_b32 s8, exec_lo, s8
	s_cbranch_execz .LBB110_503
; %bb.498:
	s_mov_b32 s9, exec_lo
                                        ; implicit-def: $vgpr4
	v_cmpx_lt_u32_e32 0x3c7fffff, v5
	s_xor_b32 s9, exec_lo, s9
; %bb.499:
	v_bfe_u32 v4, v3, 20, 1
	v_add3_u32 v4, v3, v4, 0x407ffff
	v_and_b32_e32 v5, 0xff00000, v4
	v_lshrrev_b32_e32 v4, 20, v4
	v_cmp_ne_u32_e32 vcc_lo, 0x7f00000, v5
	v_cndmask_b32_e32 v4, 0x7e, v4, vcc_lo
; %bb.500:
	s_andn2_saveexec_b32 s9, s9
; %bb.501:
	v_add_f32_e64 v4, 0x46800000, |v3|
; %bb.502:
	s_or_b32 exec_lo, exec_lo, s9
                                        ; implicit-def: $vgpr5
.LBB110_503:
	s_andn2_saveexec_b32 s8, s8
; %bb.504:
	v_mov_b32_e32 v4, 0x7f
	v_cmp_lt_u32_e32 vcc_lo, 0x7f800000, v5
	v_cndmask_b32_e32 v4, 0x7e, v4, vcc_lo
; %bb.505:
	s_or_b32 exec_lo, exec_lo, s8
	v_lshrrev_b32_e32 v3, 24, v3
	v_and_or_b32 v3, 0x80, v3, v4
	global_store_byte v[1:2], v3, off
.LBB110_506:
	s_mov_b32 s8, 0
.LBB110_507:
	s_andn2_b32 vcc_lo, exec_lo, s8
	s_cbranch_vccnz .LBB110_517
; %bb.508:
	v_cvt_f32_f16_e32 v3, v0
	s_mov_b32 s8, exec_lo
                                        ; implicit-def: $vgpr4
	v_and_b32_e32 v5, 0x7fffffff, v3
	v_cmpx_gt_u32_e32 0x47800000, v5
	s_xor_b32 s8, exec_lo, s8
	s_cbranch_execz .LBB110_514
; %bb.509:
	s_mov_b32 s9, exec_lo
                                        ; implicit-def: $vgpr4
	v_cmpx_lt_u32_e32 0x387fffff, v5
	s_xor_b32 s9, exec_lo, s9
; %bb.510:
	v_bfe_u32 v4, v3, 21, 1
	v_add3_u32 v4, v3, v4, 0x80fffff
	v_lshrrev_b32_e32 v4, 21, v4
; %bb.511:
	s_andn2_saveexec_b32 s9, s9
; %bb.512:
	v_add_f32_e64 v4, 0x43000000, |v3|
; %bb.513:
	s_or_b32 exec_lo, exec_lo, s9
                                        ; implicit-def: $vgpr5
.LBB110_514:
	s_andn2_saveexec_b32 s8, s8
; %bb.515:
	v_mov_b32_e32 v4, 0x7f
	v_cmp_lt_u32_e32 vcc_lo, 0x7f800000, v5
	v_cndmask_b32_e32 v4, 0x7c, v4, vcc_lo
; %bb.516:
	s_or_b32 exec_lo, exec_lo, s8
	v_lshrrev_b32_e32 v3, 24, v3
	v_and_or_b32 v3, 0x80, v3, v4
	global_store_byte v[1:2], v3, off
.LBB110_517:
	s_mov_b32 s8, 0
.LBB110_518:
	s_andn2_b32 vcc_lo, exec_lo, s8
	s_mov_b32 s8, 0
	s_cbranch_vccnz .LBB110_526
; %bb.519:
	s_cmp_gt_i32 s6, 14
	s_mov_b32 s8, -1
	s_cbranch_scc0 .LBB110_523
; %bb.520:
	s_cmp_eq_u32 s6, 15
	s_mov_b32 s4, -1
	s_cbranch_scc0 .LBB110_522
; %bb.521:
	v_cvt_f32_f16_e32 v3, v0
	v_cmp_o_f16_e32 vcc_lo, v0, v0
	s_mov_b32 s4, 0
	v_bfe_u32 v4, v3, 16, 1
	v_add3_u32 v3, v3, v4, 0x7fff
	v_mov_b32_e32 v4, 0x7fc0
	v_cndmask_b32_sdwa v3, v4, v3, vcc_lo dst_sel:DWORD dst_unused:UNUSED_PAD src0_sel:DWORD src1_sel:WORD_1
	global_store_short v[1:2], v3, off
.LBB110_522:
	s_mov_b32 s8, 0
.LBB110_523:
	s_and_b32 vcc_lo, exec_lo, s8
	s_mov_b32 s8, 0
	s_cbranch_vccz .LBB110_526
; %bb.524:
	s_cmp_lg_u32 s6, 11
	s_mov_b32 s8, -1
	s_cselect_b32 s6, -1, 0
	s_andn2_b32 s4, s4, exec_lo
	s_and_b32 s6, s6, exec_lo
	s_or_b32 s4, s4, s6
	s_branch .LBB110_526
.LBB110_525:
	s_mov_b32 s8, 0
.LBB110_526:
	s_and_b32 s6, s7, exec_lo
	s_andn2_b32 s7, s62, exec_lo
	s_and_b32 s9, s4, exec_lo
	s_and_b32 s4, s8, exec_lo
	s_or_b32 s7, s7, s9
.LBB110_527:
	s_or_b32 exec_lo, exec_lo, s54
	s_andn2_b32 s8, s62, exec_lo
	s_and_b32 s7, s7, exec_lo
	s_and_b32 s6, s6, exec_lo
	;; [unrolled: 1-line block ×3, first 2 shown]
	s_or_b32 s62, s8, s7
.LBB110_528:
	s_or_b32 exec_lo, exec_lo, s61
	s_andn2_b32 s7, s59, exec_lo
	s_and_b32 s8, s62, exec_lo
	s_and_b32 s6, s6, exec_lo
	;; [unrolled: 1-line block ×3, first 2 shown]
	s_or_b32 s59, s7, s8
.LBB110_529:
	s_or_b32 exec_lo, exec_lo, s60
	s_andn2_b32 s7, s57, exec_lo
	s_and_b32 s8, s59, exec_lo
	s_and_b32 s6, s6, exec_lo
	;; [unrolled: 1-line block ×3, first 2 shown]
	s_or_b32 s57, s7, s8
	s_or_b32 exec_lo, exec_lo, s58
	s_mov_b32 s4, 0
	s_and_saveexec_b32 s7, s57
	s_cbranch_execz .LBB110_146
.LBB110_530:
	s_mov_b32 s4, exec_lo
	s_andn2_b32 s59, s59, exec_lo
	s_trap 2
	s_or_b32 exec_lo, exec_lo, s7
	s_and_saveexec_b32 s7, s59
	s_xor_b32 s7, exec_lo, s7
	s_cbranch_execnz .LBB110_147
.LBB110_531:
	s_or_b32 exec_lo, exec_lo, s7
	s_and_saveexec_b32 s7, s6
	s_xor_b32 s6, exec_lo, s7
	s_cbranch_execz .LBB110_569
.LBB110_532:
	s_sext_i32_i16 s8, s5
	s_mov_b32 s7, -1
	s_cmp_lt_i32 s8, 5
	s_cbranch_scc1 .LBB110_553
; %bb.533:
	s_cmp_lt_i32 s8, 8
	s_cbranch_scc1 .LBB110_543
; %bb.534:
	s_cmp_lt_i32 s8, 9
	s_cbranch_scc1 .LBB110_540
; %bb.535:
	s_cmp_gt_i32 s8, 9
	s_cbranch_scc0 .LBB110_537
; %bb.536:
	v_cvt_f32_f16_e32 v3, v0
	v_mov_b32_e32 v5, 0
	s_mov_b32 s7, 0
	v_cvt_f64_f32_e32 v[3:4], v3
	v_mov_b32_e32 v6, v5
	global_store_dwordx4 v[1:2], v[3:6], off
.LBB110_537:
	s_andn2_b32 vcc_lo, exec_lo, s7
	s_cbranch_vccnz .LBB110_539
; %bb.538:
	v_cvt_f32_f16_e32 v3, v0
	v_mov_b32_e32 v4, 0
	global_store_dwordx2 v[1:2], v[3:4], off
.LBB110_539:
	s_mov_b32 s7, 0
.LBB110_540:
	s_andn2_b32 vcc_lo, exec_lo, s7
	s_cbranch_vccnz .LBB110_542
; %bb.541:
	v_and_b32_e32 v3, 0xffff, v0
	global_store_dword v[1:2], v3, off
.LBB110_542:
	s_mov_b32 s7, 0
.LBB110_543:
	s_andn2_b32 vcc_lo, exec_lo, s7
	s_cbranch_vccnz .LBB110_552
; %bb.544:
	s_sext_i32_i16 s8, s5
	s_mov_b32 s7, -1
	s_cmp_lt_i32 s8, 6
	s_cbranch_scc1 .LBB110_550
; %bb.545:
	s_cmp_gt_i32 s8, 6
	s_cbranch_scc0 .LBB110_547
; %bb.546:
	v_cvt_f32_f16_e32 v3, v0
	s_mov_b32 s7, 0
	v_cvt_f64_f32_e32 v[3:4], v3
	global_store_dwordx2 v[1:2], v[3:4], off
.LBB110_547:
	s_andn2_b32 vcc_lo, exec_lo, s7
	s_cbranch_vccnz .LBB110_549
; %bb.548:
	v_cvt_f32_f16_e32 v3, v0
	global_store_dword v[1:2], v3, off
.LBB110_549:
	s_mov_b32 s7, 0
.LBB110_550:
	s_andn2_b32 vcc_lo, exec_lo, s7
	s_cbranch_vccnz .LBB110_552
; %bb.551:
	global_store_short v[1:2], v0, off
.LBB110_552:
	s_mov_b32 s7, 0
.LBB110_553:
	s_andn2_b32 vcc_lo, exec_lo, s7
	s_cbranch_vccnz .LBB110_569
; %bb.554:
	s_sext_i32_i16 s8, s5
	s_mov_b32 s7, -1
	s_cmp_lt_i32 s8, 2
	s_cbranch_scc1 .LBB110_564
; %bb.555:
	s_cmp_lt_i32 s8, 3
	s_cbranch_scc1 .LBB110_561
; %bb.556:
	s_cmp_gt_i32 s8, 3
	s_cbranch_scc0 .LBB110_558
; %bb.557:
	v_cvt_f32_f16_e32 v3, v0
	s_mov_b32 s7, 0
	v_cvt_i32_f32_e32 v3, v3
	v_ashrrev_i32_e32 v4, 31, v3
	global_store_dwordx2 v[1:2], v[3:4], off
.LBB110_558:
	s_andn2_b32 vcc_lo, exec_lo, s7
	s_cbranch_vccnz .LBB110_560
; %bb.559:
	v_cvt_f32_f16_e32 v3, v0
	v_cvt_i32_f32_e32 v3, v3
	global_store_dword v[1:2], v3, off
.LBB110_560:
	s_mov_b32 s7, 0
.LBB110_561:
	s_andn2_b32 vcc_lo, exec_lo, s7
	s_cbranch_vccnz .LBB110_563
; %bb.562:
	v_cvt_i16_f16_e32 v3, v0
	global_store_short v[1:2], v3, off
.LBB110_563:
	s_mov_b32 s7, 0
.LBB110_564:
	s_andn2_b32 vcc_lo, exec_lo, s7
	s_cbranch_vccnz .LBB110_569
; %bb.565:
	s_sext_i32_i16 s5, s5
	s_cmp_gt_i32 s5, 0
	s_mov_b32 s5, -1
	s_cbranch_scc0 .LBB110_567
; %bb.566:
	v_cvt_i16_f16_e32 v3, v0
	s_mov_b32 s5, 0
	global_store_byte v[1:2], v3, off
.LBB110_567:
	s_andn2_b32 vcc_lo, exec_lo, s5
	s_cbranch_vccnz .LBB110_569
; %bb.568:
	v_cvt_f32_f16_e32 v0, v0
	v_cvt_i32_f32_e32 v0, v0
	global_store_byte v[1:2], v0, off
.LBB110_569:
	s_or_b32 exec_lo, exec_lo, s6
	s_and_b32 s34, s4, exec_lo
                                        ; implicit-def: $vgpr3
                                        ; implicit-def: $vgpr21
.LBB110_570:
	s_or_saveexec_b32 s35, s50
	s_mov_b32 s4, 0
                                        ; implicit-def: $sgpr5
                                        ; implicit-def: $vgpr1_vgpr2
                                        ; implicit-def: $vgpr0
	s_xor_b32 exec_lo, exec_lo, s35
	s_cbranch_execz .LBB110_1059
; %bb.571:
	v_cndmask_b32_e64 v0, 0, 1, s49
	s_andn2_b32 vcc_lo, exec_lo, s49
	s_cbranch_vccnz .LBB110_577
; %bb.572:
	s_cmp_lg_u32 s21, 0
	s_mov_b32 s8, 0
	s_cbranch_scc0 .LBB110_578
; %bb.573:
	s_min_u32 s10, s33, 15
	s_add_i32 s10, s10, 1
	s_cmp_eq_u32 s33, 2
	s_cbranch_scc1 .LBB110_579
; %bb.574:
	v_mov_b32_e32 v4, 0
	v_mov_b32_e32 v30, 0
	;; [unrolled: 1-line block ×3, first 2 shown]
	s_and_b32 s9, s10, 28
	s_add_u32 s4, s28, 0xc4
	s_addc_u32 s5, s29, 0
	s_mov_b32 s11, 0
	s_mov_b64 s[6:7], s[28:29]
.LBB110_575:                            ; =>This Inner Loop Header: Depth=1
	s_clause 0x1
	s_load_dwordx8 s[12:19], s[6:7], 0x4
	s_load_dwordx4 s[24:27], s[6:7], 0x24
	s_load_dwordx8 s[36:43], s[4:5], 0x0
	s_add_u32 s6, s6, 48
	s_addc_u32 s7, s7, 0
	s_add_i32 s11, s11, 4
	s_add_u32 s4, s4, 32
	s_addc_u32 s5, s5, 0
	s_cmp_lg_u32 s9, s11
	s_waitcnt lgkmcnt(0)
	v_mul_hi_u32 v2, s13, v1
	v_add_nc_u32_e32 v2, v1, v2
	v_lshrrev_b32_e32 v2, s14, v2
	v_mul_hi_u32 v5, s16, v2
	v_mul_lo_u32 v7, v2, s12
	v_add_nc_u32_e32 v5, v2, v5
	v_sub_nc_u32_e32 v1, v1, v7
	v_lshrrev_b32_e32 v5, s17, v5
	v_mul_lo_u32 v7, v1, s36
	v_mul_lo_u32 v9, v1, s37
	v_mul_hi_u32 v6, s19, v5
	v_add_nc_u32_e32 v6, v5, v6
	v_lshrrev_b32_e32 v6, s24, v6
	v_mul_hi_u32 v8, s26, v6
	v_mul_lo_u32 v10, v6, s18
	v_add_nc_u32_e32 v1, v6, v8
	v_mul_lo_u32 v8, v5, s15
	v_sub_nc_u32_e32 v5, v5, v10
	v_lshrrev_b32_e32 v1, s27, v1
	v_mul_lo_u32 v10, v5, s40
	v_mul_lo_u32 v5, v5, s41
	v_sub_nc_u32_e32 v2, v2, v8
	v_mul_lo_u32 v11, v1, s25
	v_mul_lo_u32 v8, v2, s38
	;; [unrolled: 1-line block ×3, first 2 shown]
	v_sub_nc_u32_e32 v6, v6, v11
	v_add3_u32 v7, v7, v30, v8
	v_mul_lo_u32 v11, v6, s42
	v_mul_lo_u32 v6, v6, s43
	v_add3_u32 v2, v9, v4, v2
	v_add3_u32 v30, v10, v7, v11
	;; [unrolled: 1-line block ×3, first 2 shown]
	s_cbranch_scc1 .LBB110_575
; %bb.576:
	s_and_b32 s10, s10, 3
	s_cmp_eq_u32 s10, 0
	s_cbranch_scc0 .LBB110_580
	s_branch .LBB110_582
.LBB110_577:
	s_mov_b32 s8, -1
                                        ; implicit-def: $vgpr30
                                        ; implicit-def: $vgpr4
	s_branch .LBB110_582
.LBB110_578:
	v_mov_b32_e32 v30, 0
	v_mov_b32_e32 v4, 0
	s_branch .LBB110_582
.LBB110_579:
	v_mov_b32_e32 v30, 0
	v_mov_b32_e32 v4, 0
	;; [unrolled: 1-line block ×3, first 2 shown]
	s_mov_b32 s9, 0
	s_and_b32 s10, s10, 3
	s_cmp_eq_u32 s10, 0
	s_cbranch_scc1 .LBB110_582
.LBB110_580:
	s_lshl_b32 s4, s9, 3
	s_mul_i32 s6, s9, 12
	s_add_u32 s4, s28, s4
	s_addc_u32 s5, s29, 0
	s_add_u32 s4, s4, 0xc4
	s_addc_u32 s5, s5, 0
	;; [unrolled: 2-line block ×3, first 2 shown]
	.p2align	6
.LBB110_581:                            ; =>This Inner Loop Header: Depth=1
	s_clause 0x1
	s_load_dwordx2 s[12:13], s[6:7], 0x4
	s_load_dword s9, s[6:7], 0xc
	s_load_dwordx2 s[14:15], s[4:5], 0x0
	s_add_u32 s6, s6, 12
	s_addc_u32 s7, s7, 0
	s_add_u32 s4, s4, 8
	s_addc_u32 s5, s5, 0
	s_add_i32 s10, s10, -1
	s_cmp_lg_u32 s10, 0
	s_waitcnt lgkmcnt(0)
	v_mul_hi_u32 v2, s13, v1
	v_add_nc_u32_e32 v2, v1, v2
	v_lshrrev_b32_e32 v2, s9, v2
	v_mul_lo_u32 v5, v2, s12
	v_sub_nc_u32_e32 v1, v1, v5
	v_mad_u64_u32 v[30:31], null, v1, s14, v[30:31]
	v_mad_u64_u32 v[4:5], null, v1, s15, v[4:5]
	v_mov_b32_e32 v1, v2
	s_cbranch_scc1 .LBB110_581
.LBB110_582:
	s_andn2_b32 vcc_lo, exec_lo, s8
	s_cbranch_vccnz .LBB110_585
; %bb.583:
	s_clause 0x1
	s_load_dwordx4 s[4:7], s[28:29], 0x4
	s_load_dwordx2 s[8:9], s[28:29], 0xc4
	s_cmp_lt_u32 s21, 2
	s_waitcnt lgkmcnt(0)
	v_mul_hi_u32 v1, s5, v21
	v_add_nc_u32_e32 v1, v21, v1
	v_lshrrev_b32_e32 v1, s6, v1
	v_mul_lo_u32 v2, v1, s4
	v_sub_nc_u32_e32 v2, v21, v2
	v_mul_lo_u32 v30, v2, s8
	v_mul_lo_u32 v4, v2, s9
	s_cbranch_scc1 .LBB110_585
; %bb.584:
	s_clause 0x1
	s_load_dwordx4 s[4:7], s[28:29], 0x10
	s_load_dwordx2 s[8:9], s[28:29], 0xcc
	s_waitcnt lgkmcnt(0)
	v_mul_hi_u32 v2, s5, v1
	v_add_nc_u32_e32 v2, v1, v2
	v_lshrrev_b32_e32 v2, s6, v2
	v_mul_lo_u32 v2, v2, s4
	v_sub_nc_u32_e32 v1, v1, v2
	v_mad_u64_u32 v[30:31], null, v1, s8, v[30:31]
	v_mad_u64_u32 v[4:5], null, v1, s9, v[4:5]
.LBB110_585:
	v_cmp_ne_u32_e32 vcc_lo, 1, v0
	v_add_nc_u32_e32 v1, 0x80, v21
	s_cbranch_vccnz .LBB110_591
; %bb.586:
	s_cmp_lg_u32 s21, 0
	s_mov_b32 s8, 0
	s_cbranch_scc0 .LBB110_592
; %bb.587:
	s_min_u32 s10, s33, 15
	s_add_i32 s10, s10, 1
	s_cmp_eq_u32 s33, 2
	s_cbranch_scc1 .LBB110_593
; %bb.588:
	v_mov_b32_e32 v19, 0
	v_mov_b32_e32 v28, 0
	;; [unrolled: 1-line block ×3, first 2 shown]
	s_and_b32 s9, s10, 28
	s_add_u32 s4, s28, 0xc4
	s_addc_u32 s5, s29, 0
	s_mov_b32 s11, 0
	s_mov_b64 s[6:7], s[28:29]
.LBB110_589:                            ; =>This Inner Loop Header: Depth=1
	s_clause 0x1
	s_load_dwordx8 s[12:19], s[6:7], 0x4
	s_load_dwordx4 s[24:27], s[6:7], 0x24
	s_load_dwordx8 s[36:43], s[4:5], 0x0
	s_add_u32 s6, s6, 48
	s_addc_u32 s7, s7, 0
	s_add_i32 s11, s11, 4
	s_add_u32 s4, s4, 32
	s_addc_u32 s5, s5, 0
	s_cmp_lg_u32 s9, s11
	s_waitcnt lgkmcnt(0)
	v_mul_hi_u32 v5, s13, v2
	v_add_nc_u32_e32 v5, v2, v5
	v_lshrrev_b32_e32 v5, s14, v5
	v_mul_hi_u32 v6, s16, v5
	v_mul_lo_u32 v8, v5, s12
	v_add_nc_u32_e32 v6, v5, v6
	v_sub_nc_u32_e32 v2, v2, v8
	v_lshrrev_b32_e32 v6, s17, v6
	v_mul_lo_u32 v8, v2, s36
	v_mul_lo_u32 v10, v2, s37
	v_mul_hi_u32 v7, s19, v6
	v_add_nc_u32_e32 v7, v6, v7
	v_lshrrev_b32_e32 v7, s24, v7
	v_mul_hi_u32 v9, s26, v7
	v_mul_lo_u32 v11, v7, s18
	v_add_nc_u32_e32 v2, v7, v9
	v_mul_lo_u32 v9, v6, s15
	v_sub_nc_u32_e32 v6, v6, v11
	v_lshrrev_b32_e32 v2, s27, v2
	v_mul_lo_u32 v11, v6, s40
	v_mul_lo_u32 v6, v6, s41
	v_sub_nc_u32_e32 v5, v5, v9
	v_mul_lo_u32 v12, v2, s25
	v_mul_lo_u32 v9, v5, s38
	;; [unrolled: 1-line block ×3, first 2 shown]
	v_sub_nc_u32_e32 v7, v7, v12
	v_add3_u32 v8, v8, v28, v9
	v_mul_lo_u32 v12, v7, s42
	v_mul_lo_u32 v7, v7, s43
	v_add3_u32 v5, v10, v19, v5
	v_add3_u32 v28, v11, v8, v12
	;; [unrolled: 1-line block ×3, first 2 shown]
	s_cbranch_scc1 .LBB110_589
; %bb.590:
	s_and_b32 s10, s10, 3
	s_cmp_eq_u32 s10, 0
	s_cbranch_scc0 .LBB110_594
	s_branch .LBB110_596
.LBB110_591:
	s_mov_b32 s8, -1
                                        ; implicit-def: $vgpr28
                                        ; implicit-def: $vgpr19
	s_branch .LBB110_596
.LBB110_592:
	v_mov_b32_e32 v28, 0
	v_mov_b32_e32 v19, 0
	s_branch .LBB110_596
.LBB110_593:
	v_mov_b32_e32 v28, 0
	v_mov_b32_e32 v19, 0
	;; [unrolled: 1-line block ×3, first 2 shown]
	s_mov_b32 s9, 0
	s_and_b32 s10, s10, 3
	s_cmp_eq_u32 s10, 0
	s_cbranch_scc1 .LBB110_596
.LBB110_594:
	s_lshl_b32 s4, s9, 3
	s_mul_i32 s6, s9, 12
	s_add_u32 s4, s28, s4
	s_addc_u32 s5, s29, 0
	s_add_u32 s4, s4, 0xc4
	s_addc_u32 s5, s5, 0
	;; [unrolled: 2-line block ×3, first 2 shown]
	.p2align	6
.LBB110_595:                            ; =>This Inner Loop Header: Depth=1
	s_clause 0x1
	s_load_dwordx2 s[12:13], s[6:7], 0x4
	s_load_dword s9, s[6:7], 0xc
	s_load_dwordx2 s[14:15], s[4:5], 0x0
	s_add_u32 s6, s6, 12
	s_addc_u32 s7, s7, 0
	s_add_u32 s4, s4, 8
	s_addc_u32 s5, s5, 0
	s_add_i32 s10, s10, -1
	s_cmp_lg_u32 s10, 0
	s_waitcnt lgkmcnt(0)
	v_mul_hi_u32 v5, s13, v2
	v_add_nc_u32_e32 v5, v2, v5
	v_lshrrev_b32_e32 v5, s9, v5
	v_mul_lo_u32 v6, v5, s12
	v_sub_nc_u32_e32 v2, v2, v6
	v_mad_u64_u32 v[28:29], null, v2, s14, v[28:29]
	v_mad_u64_u32 v[19:20], null, v2, s15, v[19:20]
	v_mov_b32_e32 v2, v5
	s_cbranch_scc1 .LBB110_595
.LBB110_596:
	s_andn2_b32 vcc_lo, exec_lo, s8
	s_cbranch_vccnz .LBB110_599
; %bb.597:
	s_clause 0x1
	s_load_dwordx4 s[4:7], s[28:29], 0x4
	s_load_dwordx2 s[8:9], s[28:29], 0xc4
	s_cmp_lt_u32 s21, 2
	s_waitcnt lgkmcnt(0)
	v_mul_hi_u32 v2, s5, v1
	v_add_nc_u32_e32 v2, v1, v2
	v_lshrrev_b32_e32 v2, s6, v2
	v_mul_lo_u32 v5, v2, s4
	v_sub_nc_u32_e32 v1, v1, v5
	v_mul_lo_u32 v28, v1, s8
	v_mul_lo_u32 v19, v1, s9
	s_cbranch_scc1 .LBB110_599
; %bb.598:
	s_clause 0x1
	s_load_dwordx4 s[4:7], s[28:29], 0x10
	s_load_dwordx2 s[8:9], s[28:29], 0xcc
	s_waitcnt lgkmcnt(0)
	v_mul_hi_u32 v1, s5, v2
	v_add_nc_u32_e32 v1, v2, v1
	v_lshrrev_b32_e32 v1, s6, v1
	v_mul_lo_u32 v1, v1, s4
	v_sub_nc_u32_e32 v1, v2, v1
	v_mad_u64_u32 v[28:29], null, v1, s8, v[28:29]
	v_mad_u64_u32 v[19:20], null, v1, s9, v[19:20]
.LBB110_599:
	v_cmp_ne_u32_e32 vcc_lo, 1, v0
	v_add_nc_u32_e32 v1, 0x100, v21
	s_cbranch_vccnz .LBB110_605
; %bb.600:
	s_cmp_lg_u32 s21, 0
	s_mov_b32 s8, 0
	s_cbranch_scc0 .LBB110_606
; %bb.601:
	s_min_u32 s10, s33, 15
	s_add_i32 s10, s10, 1
	s_cmp_eq_u32 s33, 2
	s_cbranch_scc1 .LBB110_607
; %bb.602:
	v_mov_b32_e32 v20, 0
	v_mov_b32_e32 v26, 0
	v_mov_b32_e32 v2, v1
	s_and_b32 s9, s10, 28
	s_add_u32 s4, s28, 0xc4
	s_addc_u32 s5, s29, 0
	s_mov_b32 s11, 0
	s_mov_b64 s[6:7], s[28:29]
.LBB110_603:                            ; =>This Inner Loop Header: Depth=1
	s_clause 0x1
	s_load_dwordx8 s[12:19], s[6:7], 0x4
	s_load_dwordx4 s[24:27], s[6:7], 0x24
	s_load_dwordx8 s[36:43], s[4:5], 0x0
	s_add_u32 s6, s6, 48
	s_addc_u32 s7, s7, 0
	s_add_i32 s11, s11, 4
	s_add_u32 s4, s4, 32
	s_addc_u32 s5, s5, 0
	s_cmp_lg_u32 s9, s11
	s_waitcnt lgkmcnt(0)
	v_mul_hi_u32 v5, s13, v2
	v_add_nc_u32_e32 v5, v2, v5
	v_lshrrev_b32_e32 v5, s14, v5
	v_mul_hi_u32 v6, s16, v5
	v_mul_lo_u32 v8, v5, s12
	v_add_nc_u32_e32 v6, v5, v6
	v_sub_nc_u32_e32 v2, v2, v8
	v_lshrrev_b32_e32 v6, s17, v6
	v_mul_lo_u32 v8, v2, s36
	v_mul_lo_u32 v10, v2, s37
	v_mul_hi_u32 v7, s19, v6
	v_add_nc_u32_e32 v7, v6, v7
	v_lshrrev_b32_e32 v7, s24, v7
	v_mul_hi_u32 v9, s26, v7
	v_mul_lo_u32 v11, v7, s18
	v_add_nc_u32_e32 v2, v7, v9
	v_mul_lo_u32 v9, v6, s15
	v_sub_nc_u32_e32 v6, v6, v11
	v_lshrrev_b32_e32 v2, s27, v2
	v_mul_lo_u32 v11, v6, s40
	v_mul_lo_u32 v6, v6, s41
	v_sub_nc_u32_e32 v5, v5, v9
	v_mul_lo_u32 v12, v2, s25
	v_mul_lo_u32 v9, v5, s38
	;; [unrolled: 1-line block ×3, first 2 shown]
	v_sub_nc_u32_e32 v7, v7, v12
	v_add3_u32 v8, v8, v26, v9
	v_mul_lo_u32 v12, v7, s42
	v_mul_lo_u32 v7, v7, s43
	v_add3_u32 v5, v10, v20, v5
	v_add3_u32 v26, v11, v8, v12
	;; [unrolled: 1-line block ×3, first 2 shown]
	s_cbranch_scc1 .LBB110_603
; %bb.604:
	s_and_b32 s10, s10, 3
	s_cmp_eq_u32 s10, 0
	s_cbranch_scc0 .LBB110_608
	s_branch .LBB110_610
.LBB110_605:
	s_mov_b32 s8, -1
                                        ; implicit-def: $vgpr26
                                        ; implicit-def: $vgpr20
	s_branch .LBB110_610
.LBB110_606:
	v_mov_b32_e32 v26, 0
	v_mov_b32_e32 v20, 0
	s_branch .LBB110_610
.LBB110_607:
	v_mov_b32_e32 v26, 0
	v_mov_b32_e32 v20, 0
	;; [unrolled: 1-line block ×3, first 2 shown]
	s_mov_b32 s9, 0
	s_and_b32 s10, s10, 3
	s_cmp_eq_u32 s10, 0
	s_cbranch_scc1 .LBB110_610
.LBB110_608:
	s_lshl_b32 s4, s9, 3
	s_mul_i32 s6, s9, 12
	s_add_u32 s4, s28, s4
	s_addc_u32 s5, s29, 0
	s_add_u32 s4, s4, 0xc4
	s_addc_u32 s5, s5, 0
	;; [unrolled: 2-line block ×3, first 2 shown]
	.p2align	6
.LBB110_609:                            ; =>This Inner Loop Header: Depth=1
	s_clause 0x1
	s_load_dwordx2 s[12:13], s[6:7], 0x4
	s_load_dword s9, s[6:7], 0xc
	s_load_dwordx2 s[14:15], s[4:5], 0x0
	s_add_u32 s6, s6, 12
	s_addc_u32 s7, s7, 0
	s_add_u32 s4, s4, 8
	s_addc_u32 s5, s5, 0
	s_add_i32 s10, s10, -1
	s_cmp_lg_u32 s10, 0
	s_waitcnt lgkmcnt(0)
	v_mul_hi_u32 v5, s13, v2
	v_add_nc_u32_e32 v5, v2, v5
	v_lshrrev_b32_e32 v5, s9, v5
	v_mul_lo_u32 v6, v5, s12
	v_sub_nc_u32_e32 v2, v2, v6
	v_mad_u64_u32 v[26:27], null, v2, s14, v[26:27]
	v_mad_u64_u32 v[20:21], null, v2, s15, v[20:21]
	v_mov_b32_e32 v2, v5
	s_cbranch_scc1 .LBB110_609
.LBB110_610:
	s_andn2_b32 vcc_lo, exec_lo, s8
	s_cbranch_vccnz .LBB110_613
; %bb.611:
	s_clause 0x1
	s_load_dwordx4 s[4:7], s[28:29], 0x4
	s_load_dwordx2 s[8:9], s[28:29], 0xc4
	s_cmp_lt_u32 s21, 2
	s_waitcnt lgkmcnt(0)
	v_mul_hi_u32 v2, s5, v1
	v_add_nc_u32_e32 v2, v1, v2
	v_lshrrev_b32_e32 v2, s6, v2
	v_mul_lo_u32 v5, v2, s4
	v_sub_nc_u32_e32 v1, v1, v5
	v_mul_lo_u32 v26, v1, s8
	v_mul_lo_u32 v20, v1, s9
	s_cbranch_scc1 .LBB110_613
; %bb.612:
	s_clause 0x1
	s_load_dwordx4 s[4:7], s[28:29], 0x10
	s_load_dwordx2 s[8:9], s[28:29], 0xcc
	s_waitcnt lgkmcnt(0)
	v_mul_hi_u32 v1, s5, v2
	v_add_nc_u32_e32 v1, v2, v1
	v_lshrrev_b32_e32 v1, s6, v1
	v_mul_lo_u32 v1, v1, s4
	v_sub_nc_u32_e32 v1, v2, v1
	v_mad_u64_u32 v[26:27], null, v1, s8, v[26:27]
	v_mad_u64_u32 v[20:21], null, v1, s9, v[20:21]
.LBB110_613:
	v_cmp_ne_u32_e32 vcc_lo, 1, v0
	s_cbranch_vccnz .LBB110_619
; %bb.614:
	s_cmp_lg_u32 s21, 0
	s_mov_b32 s8, 0
	s_cbranch_scc0 .LBB110_620
; %bb.615:
	s_min_u32 s10, s33, 15
	s_add_i32 s10, s10, 1
	s_cmp_eq_u32 s33, 2
	s_cbranch_scc1 .LBB110_621
; %bb.616:
	v_mov_b32_e32 v21, 0
	v_mov_b32_e32 v24, 0
	;; [unrolled: 1-line block ×3, first 2 shown]
	s_and_b32 s9, s10, 28
	s_add_u32 s4, s28, 0xc4
	s_addc_u32 s5, s29, 0
	s_mov_b32 s11, 0
	s_mov_b64 s[6:7], s[28:29]
.LBB110_617:                            ; =>This Inner Loop Header: Depth=1
	s_clause 0x1
	s_load_dwordx8 s[12:19], s[6:7], 0x4
	s_load_dwordx4 s[24:27], s[6:7], 0x24
	s_load_dwordx8 s[36:43], s[4:5], 0x0
	s_add_u32 s6, s6, 48
	s_addc_u32 s7, s7, 0
	s_add_i32 s11, s11, 4
	s_add_u32 s4, s4, 32
	s_addc_u32 s5, s5, 0
	s_cmp_lg_u32 s9, s11
	s_waitcnt lgkmcnt(0)
	v_mul_hi_u32 v1, s13, v0
	v_add_nc_u32_e32 v1, v0, v1
	v_lshrrev_b32_e32 v1, s14, v1
	v_mul_hi_u32 v2, s16, v1
	v_mul_lo_u32 v6, v1, s12
	v_add_nc_u32_e32 v2, v1, v2
	v_sub_nc_u32_e32 v0, v0, v6
	v_lshrrev_b32_e32 v2, s17, v2
	v_mul_lo_u32 v6, v0, s36
	v_mul_lo_u32 v8, v0, s37
	v_mul_hi_u32 v5, s19, v2
	v_add_nc_u32_e32 v5, v2, v5
	v_lshrrev_b32_e32 v5, s24, v5
	v_mul_hi_u32 v7, s26, v5
	v_mul_lo_u32 v9, v5, s18
	v_add_nc_u32_e32 v0, v5, v7
	v_mul_lo_u32 v7, v2, s15
	v_sub_nc_u32_e32 v2, v2, v9
	v_lshrrev_b32_e32 v0, s27, v0
	v_mul_lo_u32 v9, v2, s40
	v_mul_lo_u32 v2, v2, s41
	v_sub_nc_u32_e32 v1, v1, v7
	v_mul_lo_u32 v10, v0, s25
	v_mul_lo_u32 v7, v1, s38
	;; [unrolled: 1-line block ×3, first 2 shown]
	v_sub_nc_u32_e32 v5, v5, v10
	v_add3_u32 v6, v6, v24, v7
	v_mul_lo_u32 v10, v5, s42
	v_mul_lo_u32 v5, v5, s43
	v_add3_u32 v1, v8, v21, v1
	v_add3_u32 v24, v9, v6, v10
	;; [unrolled: 1-line block ×3, first 2 shown]
	s_cbranch_scc1 .LBB110_617
; %bb.618:
	s_and_b32 s10, s10, 3
	s_cmp_eq_u32 s10, 0
	s_cbranch_scc0 .LBB110_622
	s_branch .LBB110_624
.LBB110_619:
	s_mov_b32 s8, -1
                                        ; implicit-def: $vgpr24
                                        ; implicit-def: $vgpr21
	s_branch .LBB110_624
.LBB110_620:
	v_mov_b32_e32 v24, 0
	v_mov_b32_e32 v21, 0
	s_branch .LBB110_624
.LBB110_621:
	v_mov_b32_e32 v24, 0
	v_mov_b32_e32 v21, 0
	v_mov_b32_e32 v0, v3
	s_mov_b32 s9, 0
	s_and_b32 s10, s10, 3
	s_cmp_eq_u32 s10, 0
	s_cbranch_scc1 .LBB110_624
.LBB110_622:
	s_lshl_b32 s4, s9, 3
	s_mul_i32 s6, s9, 12
	s_add_u32 s4, s28, s4
	s_addc_u32 s5, s29, 0
	s_add_u32 s4, s4, 0xc4
	s_addc_u32 s5, s5, 0
	;; [unrolled: 2-line block ×3, first 2 shown]
	.p2align	6
.LBB110_623:                            ; =>This Inner Loop Header: Depth=1
	s_clause 0x1
	s_load_dwordx2 s[12:13], s[6:7], 0x4
	s_load_dword s9, s[6:7], 0xc
	s_load_dwordx2 s[14:15], s[4:5], 0x0
	s_add_u32 s6, s6, 12
	s_addc_u32 s7, s7, 0
	s_add_u32 s4, s4, 8
	s_addc_u32 s5, s5, 0
	s_add_i32 s10, s10, -1
	s_cmp_lg_u32 s10, 0
	s_waitcnt lgkmcnt(0)
	v_mul_hi_u32 v1, s13, v0
	v_add_nc_u32_e32 v1, v0, v1
	v_lshrrev_b32_e32 v1, s9, v1
	v_mul_lo_u32 v2, v1, s12
	v_sub_nc_u32_e32 v0, v0, v2
	v_mad_u64_u32 v[24:25], null, v0, s14, v[24:25]
	v_mad_u64_u32 v[21:22], null, v0, s15, v[21:22]
	v_mov_b32_e32 v0, v1
	s_cbranch_scc1 .LBB110_623
.LBB110_624:
	s_andn2_b32 vcc_lo, exec_lo, s8
	s_cbranch_vccnz .LBB110_627
; %bb.625:
	s_clause 0x1
	s_load_dwordx4 s[4:7], s[28:29], 0x4
	s_load_dwordx2 s[8:9], s[28:29], 0xc4
	s_cmp_lt_u32 s21, 2
	s_waitcnt lgkmcnt(0)
	v_mul_hi_u32 v0, s5, v3
	v_add_nc_u32_e32 v0, v3, v0
	v_lshrrev_b32_e32 v0, s6, v0
	v_mul_lo_u32 v1, v0, s4
	v_sub_nc_u32_e32 v1, v3, v1
	v_mul_lo_u32 v24, v1, s8
	v_mul_lo_u32 v21, v1, s9
	s_cbranch_scc1 .LBB110_627
; %bb.626:
	s_clause 0x1
	s_load_dwordx4 s[4:7], s[28:29], 0x10
	s_load_dwordx2 s[8:9], s[28:29], 0xcc
	s_waitcnt lgkmcnt(0)
	v_mul_hi_u32 v1, s5, v0
	v_add_nc_u32_e32 v1, v0, v1
	v_lshrrev_b32_e32 v1, s6, v1
	v_mul_lo_u32 v1, v1, s4
	v_sub_nc_u32_e32 v0, v0, v1
	v_mad_u64_u32 v[24:25], null, v0, s8, v[24:25]
	v_mad_u64_u32 v[21:22], null, v0, s9, v[21:22]
.LBB110_627:
	s_clause 0x2
	s_load_dword s4, s[22:23], 0x168
	s_load_dwordx2 s[22:23], s[28:29], 0x158
	s_load_dwordx4 s[24:27], s[28:29], 0x148
	s_getpc_b64 s[36:37]
	s_add_u32 s36, s36, _ZN2at6native6invokeIZZZNS0_21polygamma_kernel_cudaERNS_18TensorIteratorBaseElENKUlvE_clEvENKUlvE1_clEvEUlN3c104HalfEE_j15function_traitsIS8_EEENT1_11result_typeERKT_PrKPcPKT0_PKNS6_10ScalarTypeEi@rel32@lo+4
	s_addc_u32 s37, s37, _ZN2at6native6invokeIZZZNS0_21polygamma_kernel_cudaERNS_18TensorIteratorBaseElENKUlvE_clEvENKUlvE1_clEvEUlN3c104HalfEE_j15function_traitsIS8_EEENT1_11result_typeERKT_PrKPcPKT0_PKNS6_10ScalarTypeEi@rel32@hi+12
	s_waitcnt lgkmcnt(0)
	s_lshr_b32 s21, s4, 8
	v_mov_b32_e32 v0, s22
	v_mov_b32_e32 v1, s23
	v_mov_b32_e32 v2, s26
	v_mov_b32_e32 v3, s27
	v_mov_b32_e32 v5, s21
	s_swappc_b64 s[30:31], s[36:37]
	v_mov_b32_e32 v23, v0
	v_mov_b32_e32 v0, s22
	v_mov_b32_e32 v1, s23
	v_mov_b32_e32 v2, s26
	v_mov_b32_e32 v3, s27
	v_mov_b32_e32 v4, v19
	v_mov_b32_e32 v5, s21
	s_swappc_b64 s[30:31], s[36:37]
	v_mov_b32_e32 v22, v0
	v_mov_b32_e32 v0, s22
	;; [unrolled: 8-line block ×3, first 2 shown]
	v_mov_b32_e32 v1, s23
	v_mov_b32_e32 v2, s26
	;; [unrolled: 1-line block ×5, first 2 shown]
	s_swappc_b64 s[30:31], s[36:37]
	s_load_dword s4, s[28:29], 0x160
	v_add_co_u32 v1, s5, s24, v30
	v_add_co_ci_u32_e64 v2, null, s25, 0, s5
	s_waitcnt lgkmcnt(0)
	s_and_b32 s5, s4, 0xff
	s_cmp_lt_i32 s5, 11
	s_cbranch_scc1 .LBB110_706
; %bb.628:
	s_and_b32 s6, 0xffff, s5
	s_mov_b32 s9, -1
	s_mov_b32 s7, 0
	s_cmp_gt_i32 s6, 25
	s_mov_b32 s8, 0
	s_mov_b32 s4, 0
	s_cbranch_scc0 .LBB110_661
; %bb.629:
	s_cmp_gt_i32 s6, 28
	s_cbranch_scc0 .LBB110_644
; %bb.630:
	s_cmp_gt_i32 s6, 43
	s_cbranch_scc0 .LBB110_640
; %bb.631:
	s_cmp_gt_i32 s6, 45
	s_cbranch_scc0 .LBB110_634
; %bb.632:
	s_mov_b32 s4, -1
	s_mov_b32 s9, 0
	s_cmp_eq_u32 s6, 46
	s_cbranch_scc0 .LBB110_634
; %bb.633:
	v_cvt_f32_f16_e32 v3, v23
	v_cmp_o_f16_e32 vcc_lo, v23, v23
	s_mov_b32 s4, 0
	s_mov_b32 s8, -1
	v_bfe_u32 v4, v3, 16, 1
	v_add3_u32 v3, v3, v4, 0x7fff
	v_mov_b32_e32 v4, 0x7fc0
	v_cndmask_b32_sdwa v3, v4, v3, vcc_lo dst_sel:DWORD dst_unused:UNUSED_PAD src0_sel:DWORD src1_sel:WORD_1
	global_store_dword v[1:2], v3, off
.LBB110_634:
	s_and_b32 vcc_lo, exec_lo, s9
	s_cbranch_vccz .LBB110_639
; %bb.635:
	s_cmp_eq_u32 s6, 44
	s_mov_b32 s4, -1
	s_cbranch_scc0 .LBB110_639
; %bb.636:
	v_cvt_f32_f16_e32 v3, v23
	v_mov_b32_e32 v4, 0xff
	s_mov_b32 s8, exec_lo
	v_bfe_u32 v5, v3, 23, 8
	v_cmpx_ne_u32_e32 0xff, v5
	s_cbranch_execz .LBB110_638
; %bb.637:
	v_and_b32_e32 v4, 0x400000, v3
	v_and_or_b32 v5, 0x3fffff, v3, v5
	v_lshrrev_b32_e32 v3, 23, v3
	v_cmp_ne_u32_e32 vcc_lo, 0, v4
	v_cmp_ne_u32_e64 s4, 0, v5
	s_and_b32 s4, vcc_lo, s4
	v_cndmask_b32_e64 v4, 0, 1, s4
	v_add_nc_u32_e32 v4, v3, v4
.LBB110_638:
	s_or_b32 exec_lo, exec_lo, s8
	s_mov_b32 s4, 0
	s_mov_b32 s8, -1
	global_store_byte v[1:2], v4, off
.LBB110_639:
	s_mov_b32 s9, 0
.LBB110_640:
	s_and_b32 vcc_lo, exec_lo, s9
	s_cbranch_vccz .LBB110_643
; %bb.641:
	s_cmp_eq_u32 s6, 29
	s_mov_b32 s4, -1
	s_cbranch_scc0 .LBB110_643
; %bb.642:
	v_cvt_f32_f16_e32 v3, v23
	v_mov_b32_e32 v4, 0
	s_mov_b32 s4, 0
	s_mov_b32 s8, -1
	v_cvt_u32_f32_e32 v3, v3
	global_store_dwordx2 v[1:2], v[3:4], off
.LBB110_643:
	s_mov_b32 s9, 0
.LBB110_644:
	s_and_b32 vcc_lo, exec_lo, s9
	s_cbranch_vccz .LBB110_660
; %bb.645:
	s_cmp_lt_i32 s6, 27
	s_mov_b32 s8, -1
	s_cbranch_scc1 .LBB110_651
; %bb.646:
	s_cmp_gt_i32 s6, 27
	s_cbranch_scc0 .LBB110_648
; %bb.647:
	v_cvt_f32_f16_e32 v3, v23
	s_mov_b32 s8, 0
	v_cvt_u32_f32_e32 v3, v3
	global_store_dword v[1:2], v3, off
.LBB110_648:
	s_andn2_b32 vcc_lo, exec_lo, s8
	s_cbranch_vccnz .LBB110_650
; %bb.649:
	v_cvt_u16_f16_e32 v3, v23
	global_store_short v[1:2], v3, off
.LBB110_650:
	s_mov_b32 s8, 0
.LBB110_651:
	s_andn2_b32 vcc_lo, exec_lo, s8
	s_cbranch_vccnz .LBB110_659
; %bb.652:
	v_cvt_f32_f16_e32 v3, v23
	v_mov_b32_e32 v5, 0x80
	s_mov_b32 s8, exec_lo
	v_and_b32_e32 v4, 0x7fffffff, v3
	v_cmpx_gt_u32_e32 0x43800000, v4
	s_cbranch_execz .LBB110_658
; %bb.653:
	v_cmp_lt_u32_e32 vcc_lo, 0x3bffffff, v4
	s_mov_b32 s9, 0
                                        ; implicit-def: $vgpr4
	s_and_saveexec_b32 s10, vcc_lo
	s_xor_b32 s10, exec_lo, s10
	s_cbranch_execz .LBB110_1103
; %bb.654:
	v_bfe_u32 v4, v3, 20, 1
	s_mov_b32 s9, exec_lo
	v_add3_u32 v4, v3, v4, 0x487ffff
	v_lshrrev_b32_e32 v4, 20, v4
	s_andn2_saveexec_b32 s10, s10
	s_cbranch_execnz .LBB110_1104
.LBB110_655:
	s_or_b32 exec_lo, exec_lo, s10
	v_mov_b32_e32 v5, 0
	s_and_saveexec_b32 s10, s9
.LBB110_656:
	v_lshrrev_b32_e32 v3, 24, v3
	v_and_or_b32 v5, 0x80, v3, v4
.LBB110_657:
	s_or_b32 exec_lo, exec_lo, s10
.LBB110_658:
	s_or_b32 exec_lo, exec_lo, s8
	global_store_byte v[1:2], v5, off
.LBB110_659:
	s_mov_b32 s8, -1
.LBB110_660:
	s_mov_b32 s9, 0
.LBB110_661:
	s_and_b32 vcc_lo, exec_lo, s9
	s_cbranch_vccz .LBB110_701
; %bb.662:
	s_cmp_gt_i32 s6, 22
	s_mov_b32 s7, -1
	s_cbranch_scc0 .LBB110_694
; %bb.663:
	s_cmp_lt_i32 s6, 24
	s_cbranch_scc1 .LBB110_683
; %bb.664:
	s_cmp_gt_i32 s6, 24
	s_cbranch_scc0 .LBB110_672
; %bb.665:
	v_cvt_f32_f16_e32 v3, v23
	v_mov_b32_e32 v5, 0x80
	s_mov_b32 s7, exec_lo
	v_and_b32_e32 v4, 0x7fffffff, v3
	v_cmpx_gt_u32_e32 0x47800000, v4
	s_cbranch_execz .LBB110_671
; %bb.666:
	v_cmp_lt_u32_e32 vcc_lo, 0x37ffffff, v4
	s_mov_b32 s8, 0
                                        ; implicit-def: $vgpr4
	s_and_saveexec_b32 s9, vcc_lo
	s_xor_b32 s9, exec_lo, s9
	s_cbranch_execz .LBB110_1106
; %bb.667:
	v_bfe_u32 v4, v3, 21, 1
	s_mov_b32 s8, exec_lo
	v_add3_u32 v4, v3, v4, 0x88fffff
	v_lshrrev_b32_e32 v4, 21, v4
	s_andn2_saveexec_b32 s9, s9
	s_cbranch_execnz .LBB110_1107
.LBB110_668:
	s_or_b32 exec_lo, exec_lo, s9
	v_mov_b32_e32 v5, 0
	s_and_saveexec_b32 s9, s8
.LBB110_669:
	v_lshrrev_b32_e32 v3, 24, v3
	v_and_or_b32 v5, 0x80, v3, v4
.LBB110_670:
	s_or_b32 exec_lo, exec_lo, s9
.LBB110_671:
	s_or_b32 exec_lo, exec_lo, s7
	s_mov_b32 s7, 0
	global_store_byte v[1:2], v5, off
.LBB110_672:
	s_and_b32 vcc_lo, exec_lo, s7
	s_cbranch_vccz .LBB110_682
; %bb.673:
	v_cvt_f32_f16_e32 v3, v23
	s_mov_b32 s7, exec_lo
                                        ; implicit-def: $vgpr4
	v_and_b32_e32 v5, 0x7fffffff, v3
	v_cmpx_gt_u32_e32 0x43f00000, v5
	s_xor_b32 s7, exec_lo, s7
	s_cbranch_execz .LBB110_679
; %bb.674:
	s_mov_b32 s8, exec_lo
                                        ; implicit-def: $vgpr4
	v_cmpx_lt_u32_e32 0x3c7fffff, v5
	s_xor_b32 s8, exec_lo, s8
; %bb.675:
	v_bfe_u32 v4, v3, 20, 1
	v_add3_u32 v4, v3, v4, 0x407ffff
	v_and_b32_e32 v5, 0xff00000, v4
	v_lshrrev_b32_e32 v4, 20, v4
	v_cmp_ne_u32_e32 vcc_lo, 0x7f00000, v5
	v_cndmask_b32_e32 v4, 0x7e, v4, vcc_lo
; %bb.676:
	s_andn2_saveexec_b32 s8, s8
; %bb.677:
	v_add_f32_e64 v4, 0x46800000, |v3|
; %bb.678:
	s_or_b32 exec_lo, exec_lo, s8
                                        ; implicit-def: $vgpr5
.LBB110_679:
	s_andn2_saveexec_b32 s7, s7
; %bb.680:
	v_mov_b32_e32 v4, 0x7f
	v_cmp_lt_u32_e32 vcc_lo, 0x7f800000, v5
	v_cndmask_b32_e32 v4, 0x7e, v4, vcc_lo
; %bb.681:
	s_or_b32 exec_lo, exec_lo, s7
	v_lshrrev_b32_e32 v3, 24, v3
	v_and_or_b32 v3, 0x80, v3, v4
	global_store_byte v[1:2], v3, off
.LBB110_682:
	s_mov_b32 s7, 0
.LBB110_683:
	s_andn2_b32 vcc_lo, exec_lo, s7
	s_cbranch_vccnz .LBB110_693
; %bb.684:
	v_cvt_f32_f16_e32 v3, v23
	s_mov_b32 s7, exec_lo
                                        ; implicit-def: $vgpr4
	v_and_b32_e32 v5, 0x7fffffff, v3
	v_cmpx_gt_u32_e32 0x47800000, v5
	s_xor_b32 s7, exec_lo, s7
	s_cbranch_execz .LBB110_690
; %bb.685:
	s_mov_b32 s8, exec_lo
                                        ; implicit-def: $vgpr4
	v_cmpx_lt_u32_e32 0x387fffff, v5
	s_xor_b32 s8, exec_lo, s8
; %bb.686:
	v_bfe_u32 v4, v3, 21, 1
	v_add3_u32 v4, v3, v4, 0x80fffff
	v_lshrrev_b32_e32 v4, 21, v4
; %bb.687:
	s_andn2_saveexec_b32 s8, s8
; %bb.688:
	v_add_f32_e64 v4, 0x43000000, |v3|
; %bb.689:
	s_or_b32 exec_lo, exec_lo, s8
                                        ; implicit-def: $vgpr5
.LBB110_690:
	s_andn2_saveexec_b32 s7, s7
; %bb.691:
	v_mov_b32_e32 v4, 0x7f
	v_cmp_lt_u32_e32 vcc_lo, 0x7f800000, v5
	v_cndmask_b32_e32 v4, 0x7c, v4, vcc_lo
; %bb.692:
	s_or_b32 exec_lo, exec_lo, s7
	v_lshrrev_b32_e32 v3, 24, v3
	v_and_or_b32 v3, 0x80, v3, v4
	global_store_byte v[1:2], v3, off
.LBB110_693:
	s_mov_b32 s7, 0
	s_mov_b32 s8, -1
.LBB110_694:
	s_andn2_b32 vcc_lo, exec_lo, s7
	s_mov_b32 s7, 0
	s_cbranch_vccnz .LBB110_701
; %bb.695:
	s_cmp_gt_i32 s6, 14
	s_mov_b32 s7, -1
	s_cbranch_scc0 .LBB110_699
; %bb.696:
	s_cmp_eq_u32 s6, 15
	s_mov_b32 s4, -1
	s_cbranch_scc0 .LBB110_698
; %bb.697:
	v_cvt_f32_f16_e32 v3, v23
	v_cmp_o_f16_e32 vcc_lo, v23, v23
	s_mov_b32 s4, 0
	s_mov_b32 s8, -1
	v_bfe_u32 v4, v3, 16, 1
	v_add3_u32 v3, v3, v4, 0x7fff
	v_mov_b32_e32 v4, 0x7fc0
	v_cndmask_b32_sdwa v3, v4, v3, vcc_lo dst_sel:DWORD dst_unused:UNUSED_PAD src0_sel:DWORD src1_sel:WORD_1
	global_store_short v[1:2], v3, off
.LBB110_698:
	s_mov_b32 s7, 0
.LBB110_699:
	s_and_b32 vcc_lo, exec_lo, s7
	s_mov_b32 s7, 0
	s_cbranch_vccz .LBB110_701
; %bb.700:
	s_cmp_lg_u32 s6, 11
	s_mov_b32 s7, -1
	s_cselect_b32 s4, -1, 0
.LBB110_701:
	s_and_b32 vcc_lo, exec_lo, s4
	s_mov_b32 s6, s34
	s_cbranch_vccnz .LBB110_1105
; %bb.702:
	s_andn2_b32 vcc_lo, exec_lo, s7
	s_cbranch_vccnz .LBB110_704
.LBB110_703:
	v_and_b32_e32 v3, 0x7fff, v23
	s_mov_b32 s8, -1
	v_cmp_ne_u16_e32 vcc_lo, 0, v3
	v_cndmask_b32_e64 v3, 0, 1, vcc_lo
	global_store_byte v[1:2], v3, off
.LBB110_704:
.LBB110_705:
	s_andn2_b32 vcc_lo, exec_lo, s8
	s_cbranch_vccz .LBB110_745
	s_branch .LBB110_1057
.LBB110_706:
	s_mov_b32 s8, 0
	s_mov_b32 s6, s34
	s_cbranch_execz .LBB110_705
; %bb.707:
	s_and_b32 s4, 0xffff, s5
	s_mov_b32 s7, -1
	s_cmp_lt_i32 s4, 5
	s_cbranch_scc1 .LBB110_728
; %bb.708:
	s_cmp_lt_i32 s4, 8
	s_cbranch_scc1 .LBB110_718
; %bb.709:
	;; [unrolled: 3-line block ×3, first 2 shown]
	s_cmp_gt_i32 s4, 9
	s_cbranch_scc0 .LBB110_712
; %bb.711:
	v_cvt_f32_f16_e32 v3, v23
	v_mov_b32_e32 v5, 0
	s_mov_b32 s7, 0
	v_cvt_f64_f32_e32 v[3:4], v3
	v_mov_b32_e32 v6, v5
	global_store_dwordx4 v[1:2], v[3:6], off
.LBB110_712:
	s_andn2_b32 vcc_lo, exec_lo, s7
	s_cbranch_vccnz .LBB110_714
; %bb.713:
	v_cvt_f32_f16_e32 v3, v23
	v_mov_b32_e32 v4, 0
	global_store_dwordx2 v[1:2], v[3:4], off
.LBB110_714:
	s_mov_b32 s7, 0
.LBB110_715:
	s_andn2_b32 vcc_lo, exec_lo, s7
	s_cbranch_vccnz .LBB110_717
; %bb.716:
	v_and_b32_e32 v3, 0xffff, v23
	global_store_dword v[1:2], v3, off
.LBB110_717:
	s_mov_b32 s7, 0
.LBB110_718:
	s_andn2_b32 vcc_lo, exec_lo, s7
	s_cbranch_vccnz .LBB110_727
; %bb.719:
	s_cmp_lt_i32 s4, 6
	s_mov_b32 s7, -1
	s_cbranch_scc1 .LBB110_725
; %bb.720:
	s_cmp_gt_i32 s4, 6
	s_cbranch_scc0 .LBB110_722
; %bb.721:
	v_cvt_f32_f16_e32 v3, v23
	s_mov_b32 s7, 0
	v_cvt_f64_f32_e32 v[3:4], v3
	global_store_dwordx2 v[1:2], v[3:4], off
.LBB110_722:
	s_andn2_b32 vcc_lo, exec_lo, s7
	s_cbranch_vccnz .LBB110_724
; %bb.723:
	v_cvt_f32_f16_e32 v3, v23
	global_store_dword v[1:2], v3, off
.LBB110_724:
	s_mov_b32 s7, 0
.LBB110_725:
	s_andn2_b32 vcc_lo, exec_lo, s7
	s_cbranch_vccnz .LBB110_727
; %bb.726:
	global_store_short v[1:2], v23, off
.LBB110_727:
	s_mov_b32 s7, 0
.LBB110_728:
	s_andn2_b32 vcc_lo, exec_lo, s7
	s_cbranch_vccnz .LBB110_744
; %bb.729:
	s_cmp_lt_i32 s4, 2
	s_mov_b32 s7, -1
	s_cbranch_scc1 .LBB110_739
; %bb.730:
	s_cmp_lt_i32 s4, 3
	s_cbranch_scc1 .LBB110_736
; %bb.731:
	s_cmp_gt_i32 s4, 3
	s_cbranch_scc0 .LBB110_733
; %bb.732:
	v_cvt_f32_f16_e32 v3, v23
	s_mov_b32 s7, 0
	v_cvt_i32_f32_e32 v3, v3
	v_ashrrev_i32_e32 v4, 31, v3
	global_store_dwordx2 v[1:2], v[3:4], off
.LBB110_733:
	s_andn2_b32 vcc_lo, exec_lo, s7
	s_cbranch_vccnz .LBB110_735
; %bb.734:
	v_cvt_f32_f16_e32 v3, v23
	v_cvt_i32_f32_e32 v3, v3
	global_store_dword v[1:2], v3, off
.LBB110_735:
	s_mov_b32 s7, 0
.LBB110_736:
	s_andn2_b32 vcc_lo, exec_lo, s7
	s_cbranch_vccnz .LBB110_738
; %bb.737:
	v_cvt_i16_f16_e32 v3, v23
	global_store_short v[1:2], v3, off
.LBB110_738:
	s_mov_b32 s7, 0
.LBB110_739:
	s_andn2_b32 vcc_lo, exec_lo, s7
	s_cbranch_vccnz .LBB110_744
; %bb.740:
	s_cmp_gt_i32 s4, 0
	s_mov_b32 s4, -1
	s_cbranch_scc0 .LBB110_742
; %bb.741:
	v_cvt_i16_f16_e32 v3, v23
	s_mov_b32 s4, 0
	global_store_byte v[1:2], v3, off
.LBB110_742:
	s_andn2_b32 vcc_lo, exec_lo, s4
	s_cbranch_vccnz .LBB110_744
; %bb.743:
	v_cvt_f32_f16_e32 v3, v23
	v_cvt_i32_f32_e32 v3, v3
	global_store_byte v[1:2], v3, off
.LBB110_744:
.LBB110_745:
	v_add_co_u32 v1, s4, s24, v28
	v_add_co_ci_u32_e64 v2, null, s25, 0, s4
	s_and_b32 s7, 0xffff, s5
	s_cmp_lt_i32 s7, 11
	s_cbranch_scc1 .LBB110_824
; %bb.746:
	s_mov_b32 s10, -1
	s_mov_b32 s8, 0
	s_cmp_gt_i32 s7, 25
	s_mov_b32 s9, 0
	s_mov_b32 s4, 0
	s_cbranch_scc0 .LBB110_779
; %bb.747:
	s_cmp_gt_i32 s7, 28
	s_cbranch_scc0 .LBB110_762
; %bb.748:
	s_cmp_gt_i32 s7, 43
	;; [unrolled: 3-line block ×3, first 2 shown]
	s_cbranch_scc0 .LBB110_752
; %bb.750:
	s_mov_b32 s4, -1
	s_mov_b32 s10, 0
	s_cmp_eq_u32 s7, 46
	s_cbranch_scc0 .LBB110_752
; %bb.751:
	v_cvt_f32_f16_e32 v3, v22
	v_cmp_o_f16_e32 vcc_lo, v22, v22
	s_mov_b32 s4, 0
	s_mov_b32 s9, -1
	v_bfe_u32 v4, v3, 16, 1
	v_add3_u32 v3, v3, v4, 0x7fff
	v_mov_b32_e32 v4, 0x7fc0
	v_cndmask_b32_sdwa v3, v4, v3, vcc_lo dst_sel:DWORD dst_unused:UNUSED_PAD src0_sel:DWORD src1_sel:WORD_1
	global_store_dword v[1:2], v3, off
.LBB110_752:
	s_and_b32 vcc_lo, exec_lo, s10
	s_cbranch_vccz .LBB110_757
; %bb.753:
	s_cmp_eq_u32 s7, 44
	s_mov_b32 s4, -1
	s_cbranch_scc0 .LBB110_757
; %bb.754:
	v_cvt_f32_f16_e32 v3, v22
	v_mov_b32_e32 v4, 0xff
	s_mov_b32 s9, exec_lo
	v_bfe_u32 v5, v3, 23, 8
	v_cmpx_ne_u32_e32 0xff, v5
	s_cbranch_execz .LBB110_756
; %bb.755:
	v_and_b32_e32 v4, 0x400000, v3
	v_and_or_b32 v5, 0x3fffff, v3, v5
	v_lshrrev_b32_e32 v3, 23, v3
	v_cmp_ne_u32_e32 vcc_lo, 0, v4
	v_cmp_ne_u32_e64 s4, 0, v5
	s_and_b32 s4, vcc_lo, s4
	v_cndmask_b32_e64 v4, 0, 1, s4
	v_add_nc_u32_e32 v4, v3, v4
.LBB110_756:
	s_or_b32 exec_lo, exec_lo, s9
	s_mov_b32 s4, 0
	s_mov_b32 s9, -1
	global_store_byte v[1:2], v4, off
.LBB110_757:
	s_mov_b32 s10, 0
.LBB110_758:
	s_and_b32 vcc_lo, exec_lo, s10
	s_cbranch_vccz .LBB110_761
; %bb.759:
	s_cmp_eq_u32 s7, 29
	s_mov_b32 s4, -1
	s_cbranch_scc0 .LBB110_761
; %bb.760:
	v_cvt_f32_f16_e32 v3, v22
	v_mov_b32_e32 v4, 0
	s_mov_b32 s4, 0
	s_mov_b32 s9, -1
	v_cvt_u32_f32_e32 v3, v3
	global_store_dwordx2 v[1:2], v[3:4], off
.LBB110_761:
	s_mov_b32 s10, 0
.LBB110_762:
	s_and_b32 vcc_lo, exec_lo, s10
	s_cbranch_vccz .LBB110_778
; %bb.763:
	s_cmp_lt_i32 s7, 27
	s_mov_b32 s9, -1
	s_cbranch_scc1 .LBB110_769
; %bb.764:
	s_cmp_gt_i32 s7, 27
	s_cbranch_scc0 .LBB110_766
; %bb.765:
	v_cvt_f32_f16_e32 v3, v22
	s_mov_b32 s9, 0
	v_cvt_u32_f32_e32 v3, v3
	global_store_dword v[1:2], v3, off
.LBB110_766:
	s_andn2_b32 vcc_lo, exec_lo, s9
	s_cbranch_vccnz .LBB110_768
; %bb.767:
	v_cvt_u16_f16_e32 v3, v22
	global_store_short v[1:2], v3, off
.LBB110_768:
	s_mov_b32 s9, 0
.LBB110_769:
	s_andn2_b32 vcc_lo, exec_lo, s9
	s_cbranch_vccnz .LBB110_777
; %bb.770:
	v_cvt_f32_f16_e32 v3, v22
	v_mov_b32_e32 v5, 0x80
	s_mov_b32 s9, exec_lo
	v_and_b32_e32 v4, 0x7fffffff, v3
	v_cmpx_gt_u32_e32 0x43800000, v4
	s_cbranch_execz .LBB110_776
; %bb.771:
	v_cmp_lt_u32_e32 vcc_lo, 0x3bffffff, v4
	s_mov_b32 s10, 0
                                        ; implicit-def: $vgpr4
	s_and_saveexec_b32 s11, vcc_lo
	s_xor_b32 s11, exec_lo, s11
	s_cbranch_execz .LBB110_1108
; %bb.772:
	v_bfe_u32 v4, v3, 20, 1
	s_mov_b32 s10, exec_lo
	v_add3_u32 v4, v3, v4, 0x487ffff
	v_lshrrev_b32_e32 v4, 20, v4
	s_andn2_saveexec_b32 s11, s11
	s_cbranch_execnz .LBB110_1109
.LBB110_773:
	s_or_b32 exec_lo, exec_lo, s11
	v_mov_b32_e32 v5, 0
	s_and_saveexec_b32 s11, s10
.LBB110_774:
	v_lshrrev_b32_e32 v3, 24, v3
	v_and_or_b32 v5, 0x80, v3, v4
.LBB110_775:
	s_or_b32 exec_lo, exec_lo, s11
.LBB110_776:
	s_or_b32 exec_lo, exec_lo, s9
	global_store_byte v[1:2], v5, off
.LBB110_777:
	s_mov_b32 s9, -1
.LBB110_778:
	s_mov_b32 s10, 0
.LBB110_779:
	s_and_b32 vcc_lo, exec_lo, s10
	s_cbranch_vccz .LBB110_819
; %bb.780:
	s_cmp_gt_i32 s7, 22
	s_mov_b32 s8, -1
	s_cbranch_scc0 .LBB110_812
; %bb.781:
	s_cmp_lt_i32 s7, 24
	s_cbranch_scc1 .LBB110_801
; %bb.782:
	s_cmp_gt_i32 s7, 24
	s_cbranch_scc0 .LBB110_790
; %bb.783:
	v_cvt_f32_f16_e32 v3, v22
	v_mov_b32_e32 v5, 0x80
	s_mov_b32 s8, exec_lo
	v_and_b32_e32 v4, 0x7fffffff, v3
	v_cmpx_gt_u32_e32 0x47800000, v4
	s_cbranch_execz .LBB110_789
; %bb.784:
	v_cmp_lt_u32_e32 vcc_lo, 0x37ffffff, v4
	s_mov_b32 s9, 0
                                        ; implicit-def: $vgpr4
	s_and_saveexec_b32 s10, vcc_lo
	s_xor_b32 s10, exec_lo, s10
	s_cbranch_execz .LBB110_1111
; %bb.785:
	v_bfe_u32 v4, v3, 21, 1
	s_mov_b32 s9, exec_lo
	v_add3_u32 v4, v3, v4, 0x88fffff
	v_lshrrev_b32_e32 v4, 21, v4
	s_andn2_saveexec_b32 s10, s10
	s_cbranch_execnz .LBB110_1112
.LBB110_786:
	s_or_b32 exec_lo, exec_lo, s10
	v_mov_b32_e32 v5, 0
	s_and_saveexec_b32 s10, s9
.LBB110_787:
	v_lshrrev_b32_e32 v3, 24, v3
	v_and_or_b32 v5, 0x80, v3, v4
.LBB110_788:
	s_or_b32 exec_lo, exec_lo, s10
.LBB110_789:
	s_or_b32 exec_lo, exec_lo, s8
	s_mov_b32 s8, 0
	global_store_byte v[1:2], v5, off
.LBB110_790:
	s_and_b32 vcc_lo, exec_lo, s8
	s_cbranch_vccz .LBB110_800
; %bb.791:
	v_cvt_f32_f16_e32 v3, v22
	s_mov_b32 s8, exec_lo
                                        ; implicit-def: $vgpr4
	v_and_b32_e32 v5, 0x7fffffff, v3
	v_cmpx_gt_u32_e32 0x43f00000, v5
	s_xor_b32 s8, exec_lo, s8
	s_cbranch_execz .LBB110_797
; %bb.792:
	s_mov_b32 s9, exec_lo
                                        ; implicit-def: $vgpr4
	v_cmpx_lt_u32_e32 0x3c7fffff, v5
	s_xor_b32 s9, exec_lo, s9
; %bb.793:
	v_bfe_u32 v4, v3, 20, 1
	v_add3_u32 v4, v3, v4, 0x407ffff
	v_and_b32_e32 v5, 0xff00000, v4
	v_lshrrev_b32_e32 v4, 20, v4
	v_cmp_ne_u32_e32 vcc_lo, 0x7f00000, v5
	v_cndmask_b32_e32 v4, 0x7e, v4, vcc_lo
; %bb.794:
	s_andn2_saveexec_b32 s9, s9
; %bb.795:
	v_add_f32_e64 v4, 0x46800000, |v3|
; %bb.796:
	s_or_b32 exec_lo, exec_lo, s9
                                        ; implicit-def: $vgpr5
.LBB110_797:
	s_andn2_saveexec_b32 s8, s8
; %bb.798:
	v_mov_b32_e32 v4, 0x7f
	v_cmp_lt_u32_e32 vcc_lo, 0x7f800000, v5
	v_cndmask_b32_e32 v4, 0x7e, v4, vcc_lo
; %bb.799:
	s_or_b32 exec_lo, exec_lo, s8
	v_lshrrev_b32_e32 v3, 24, v3
	v_and_or_b32 v3, 0x80, v3, v4
	global_store_byte v[1:2], v3, off
.LBB110_800:
	s_mov_b32 s8, 0
.LBB110_801:
	s_andn2_b32 vcc_lo, exec_lo, s8
	s_cbranch_vccnz .LBB110_811
; %bb.802:
	v_cvt_f32_f16_e32 v3, v22
	s_mov_b32 s8, exec_lo
                                        ; implicit-def: $vgpr4
	v_and_b32_e32 v5, 0x7fffffff, v3
	v_cmpx_gt_u32_e32 0x47800000, v5
	s_xor_b32 s8, exec_lo, s8
	s_cbranch_execz .LBB110_808
; %bb.803:
	s_mov_b32 s9, exec_lo
                                        ; implicit-def: $vgpr4
	v_cmpx_lt_u32_e32 0x387fffff, v5
	s_xor_b32 s9, exec_lo, s9
; %bb.804:
	v_bfe_u32 v4, v3, 21, 1
	v_add3_u32 v4, v3, v4, 0x80fffff
	v_lshrrev_b32_e32 v4, 21, v4
; %bb.805:
	s_andn2_saveexec_b32 s9, s9
; %bb.806:
	v_add_f32_e64 v4, 0x43000000, |v3|
; %bb.807:
	s_or_b32 exec_lo, exec_lo, s9
                                        ; implicit-def: $vgpr5
.LBB110_808:
	s_andn2_saveexec_b32 s8, s8
; %bb.809:
	v_mov_b32_e32 v4, 0x7f
	v_cmp_lt_u32_e32 vcc_lo, 0x7f800000, v5
	v_cndmask_b32_e32 v4, 0x7c, v4, vcc_lo
; %bb.810:
	s_or_b32 exec_lo, exec_lo, s8
	v_lshrrev_b32_e32 v3, 24, v3
	v_and_or_b32 v3, 0x80, v3, v4
	global_store_byte v[1:2], v3, off
.LBB110_811:
	s_mov_b32 s8, 0
	s_mov_b32 s9, -1
.LBB110_812:
	s_andn2_b32 vcc_lo, exec_lo, s8
	s_mov_b32 s8, 0
	s_cbranch_vccnz .LBB110_819
; %bb.813:
	s_cmp_gt_i32 s7, 14
	s_mov_b32 s8, -1
	s_cbranch_scc0 .LBB110_817
; %bb.814:
	s_cmp_eq_u32 s7, 15
	s_mov_b32 s4, -1
	s_cbranch_scc0 .LBB110_816
; %bb.815:
	v_cvt_f32_f16_e32 v3, v22
	v_cmp_o_f16_e32 vcc_lo, v22, v22
	s_mov_b32 s4, 0
	s_mov_b32 s9, -1
	v_bfe_u32 v4, v3, 16, 1
	v_add3_u32 v3, v3, v4, 0x7fff
	v_mov_b32_e32 v4, 0x7fc0
	v_cndmask_b32_sdwa v3, v4, v3, vcc_lo dst_sel:DWORD dst_unused:UNUSED_PAD src0_sel:DWORD src1_sel:WORD_1
	global_store_short v[1:2], v3, off
.LBB110_816:
	s_mov_b32 s8, 0
.LBB110_817:
	s_and_b32 vcc_lo, exec_lo, s8
	s_mov_b32 s8, 0
	s_cbranch_vccz .LBB110_819
; %bb.818:
	s_cmp_lg_u32 s7, 11
	s_mov_b32 s8, -1
	s_cselect_b32 s4, -1, 0
.LBB110_819:
	s_and_b32 vcc_lo, exec_lo, s4
	s_cbranch_vccnz .LBB110_1110
; %bb.820:
	s_andn2_b32 vcc_lo, exec_lo, s8
	s_cbranch_vccnz .LBB110_822
.LBB110_821:
	v_and_b32_e32 v3, 0x7fff, v22
	s_mov_b32 s9, -1
	v_cmp_ne_u16_e32 vcc_lo, 0, v3
	v_cndmask_b32_e64 v3, 0, 1, vcc_lo
	global_store_byte v[1:2], v3, off
.LBB110_822:
.LBB110_823:
	s_andn2_b32 vcc_lo, exec_lo, s9
	s_cbranch_vccz .LBB110_863
	s_branch .LBB110_1057
.LBB110_824:
	s_mov_b32 s9, 0
	s_cbranch_execz .LBB110_823
; %bb.825:
	s_cmp_lt_i32 s7, 5
	s_mov_b32 s4, -1
	s_cbranch_scc1 .LBB110_846
; %bb.826:
	s_cmp_lt_i32 s7, 8
	s_cbranch_scc1 .LBB110_836
; %bb.827:
	s_cmp_lt_i32 s7, 9
	s_cbranch_scc1 .LBB110_833
; %bb.828:
	s_cmp_gt_i32 s7, 9
	s_cbranch_scc0 .LBB110_830
; %bb.829:
	v_cvt_f32_f16_e32 v3, v22
	v_mov_b32_e32 v5, 0
	s_mov_b32 s4, 0
	v_cvt_f64_f32_e32 v[3:4], v3
	v_mov_b32_e32 v6, v5
	global_store_dwordx4 v[1:2], v[3:6], off
.LBB110_830:
	s_andn2_b32 vcc_lo, exec_lo, s4
	s_cbranch_vccnz .LBB110_832
; %bb.831:
	v_cvt_f32_f16_e32 v3, v22
	v_mov_b32_e32 v4, 0
	global_store_dwordx2 v[1:2], v[3:4], off
.LBB110_832:
	s_mov_b32 s4, 0
.LBB110_833:
	s_andn2_b32 vcc_lo, exec_lo, s4
	s_cbranch_vccnz .LBB110_835
; %bb.834:
	v_and_b32_e32 v3, 0xffff, v22
	global_store_dword v[1:2], v3, off
.LBB110_835:
	s_mov_b32 s4, 0
.LBB110_836:
	s_andn2_b32 vcc_lo, exec_lo, s4
	s_cbranch_vccnz .LBB110_845
; %bb.837:
	s_cmp_lt_i32 s7, 6
	s_mov_b32 s4, -1
	s_cbranch_scc1 .LBB110_843
; %bb.838:
	s_cmp_gt_i32 s7, 6
	s_cbranch_scc0 .LBB110_840
; %bb.839:
	v_cvt_f32_f16_e32 v3, v22
	s_mov_b32 s4, 0
	v_cvt_f64_f32_e32 v[3:4], v3
	global_store_dwordx2 v[1:2], v[3:4], off
.LBB110_840:
	s_andn2_b32 vcc_lo, exec_lo, s4
	s_cbranch_vccnz .LBB110_842
; %bb.841:
	v_cvt_f32_f16_e32 v3, v22
	global_store_dword v[1:2], v3, off
.LBB110_842:
	s_mov_b32 s4, 0
.LBB110_843:
	s_andn2_b32 vcc_lo, exec_lo, s4
	s_cbranch_vccnz .LBB110_845
; %bb.844:
	global_store_short v[1:2], v22, off
.LBB110_845:
	s_mov_b32 s4, 0
.LBB110_846:
	s_andn2_b32 vcc_lo, exec_lo, s4
	s_cbranch_vccnz .LBB110_862
; %bb.847:
	s_cmp_lt_i32 s7, 2
	s_mov_b32 s4, -1
	s_cbranch_scc1 .LBB110_857
; %bb.848:
	s_cmp_lt_i32 s7, 3
	s_cbranch_scc1 .LBB110_854
; %bb.849:
	s_cmp_gt_i32 s7, 3
	s_cbranch_scc0 .LBB110_851
; %bb.850:
	v_cvt_f32_f16_e32 v3, v22
	s_mov_b32 s4, 0
	v_cvt_i32_f32_e32 v3, v3
	v_ashrrev_i32_e32 v4, 31, v3
	global_store_dwordx2 v[1:2], v[3:4], off
.LBB110_851:
	s_andn2_b32 vcc_lo, exec_lo, s4
	s_cbranch_vccnz .LBB110_853
; %bb.852:
	v_cvt_f32_f16_e32 v3, v22
	v_cvt_i32_f32_e32 v3, v3
	global_store_dword v[1:2], v3, off
.LBB110_853:
	s_mov_b32 s4, 0
.LBB110_854:
	s_andn2_b32 vcc_lo, exec_lo, s4
	s_cbranch_vccnz .LBB110_856
; %bb.855:
	v_cvt_i16_f16_e32 v3, v22
	global_store_short v[1:2], v3, off
.LBB110_856:
	s_mov_b32 s4, 0
.LBB110_857:
	s_andn2_b32 vcc_lo, exec_lo, s4
	s_cbranch_vccnz .LBB110_862
; %bb.858:
	s_cmp_gt_i32 s7, 0
	s_mov_b32 s4, -1
	s_cbranch_scc0 .LBB110_860
; %bb.859:
	v_cvt_i16_f16_e32 v3, v22
	s_mov_b32 s4, 0
	global_store_byte v[1:2], v3, off
.LBB110_860:
	s_andn2_b32 vcc_lo, exec_lo, s4
	s_cbranch_vccnz .LBB110_862
; %bb.861:
	v_cvt_f32_f16_e32 v3, v22
	v_cvt_i32_f32_e32 v3, v3
	global_store_byte v[1:2], v3, off
.LBB110_862:
.LBB110_863:
	v_add_co_u32 v1, s4, s24, v26
	v_add_co_ci_u32_e64 v2, null, s25, 0, s4
	s_cmp_lt_i32 s7, 11
	s_cbranch_scc1 .LBB110_1018
; %bb.864:
	s_mov_b32 s10, -1
	s_mov_b32 s8, 0
	s_cmp_gt_i32 s7, 25
	s_mov_b32 s9, 0
	s_mov_b32 s4, 0
	s_cbranch_scc0 .LBB110_897
; %bb.865:
	s_cmp_gt_i32 s7, 28
	s_cbranch_scc0 .LBB110_880
; %bb.866:
	s_cmp_gt_i32 s7, 43
	;; [unrolled: 3-line block ×3, first 2 shown]
	s_cbranch_scc0 .LBB110_870
; %bb.868:
	s_mov_b32 s4, -1
	s_mov_b32 s10, 0
	s_cmp_eq_u32 s7, 46
	s_cbranch_scc0 .LBB110_870
; %bb.869:
	v_cvt_f32_f16_e32 v3, v19
	v_cmp_o_f16_e32 vcc_lo, v19, v19
	s_mov_b32 s4, 0
	s_mov_b32 s9, -1
	v_bfe_u32 v4, v3, 16, 1
	v_add3_u32 v3, v3, v4, 0x7fff
	v_mov_b32_e32 v4, 0x7fc0
	v_cndmask_b32_sdwa v3, v4, v3, vcc_lo dst_sel:DWORD dst_unused:UNUSED_PAD src0_sel:DWORD src1_sel:WORD_1
	global_store_dword v[1:2], v3, off
.LBB110_870:
	s_and_b32 vcc_lo, exec_lo, s10
	s_cbranch_vccz .LBB110_875
; %bb.871:
	s_cmp_eq_u32 s7, 44
	s_mov_b32 s4, -1
	s_cbranch_scc0 .LBB110_875
; %bb.872:
	v_cvt_f32_f16_e32 v3, v19
	v_mov_b32_e32 v4, 0xff
	s_mov_b32 s9, exec_lo
	v_bfe_u32 v5, v3, 23, 8
	v_cmpx_ne_u32_e32 0xff, v5
	s_cbranch_execz .LBB110_874
; %bb.873:
	v_and_b32_e32 v4, 0x400000, v3
	v_and_or_b32 v5, 0x3fffff, v3, v5
	v_lshrrev_b32_e32 v3, 23, v3
	v_cmp_ne_u32_e32 vcc_lo, 0, v4
	v_cmp_ne_u32_e64 s4, 0, v5
	s_and_b32 s4, vcc_lo, s4
	v_cndmask_b32_e64 v4, 0, 1, s4
	v_add_nc_u32_e32 v4, v3, v4
.LBB110_874:
	s_or_b32 exec_lo, exec_lo, s9
	s_mov_b32 s4, 0
	s_mov_b32 s9, -1
	global_store_byte v[1:2], v4, off
.LBB110_875:
	s_mov_b32 s10, 0
.LBB110_876:
	s_and_b32 vcc_lo, exec_lo, s10
	s_cbranch_vccz .LBB110_879
; %bb.877:
	s_cmp_eq_u32 s7, 29
	s_mov_b32 s4, -1
	s_cbranch_scc0 .LBB110_879
; %bb.878:
	v_cvt_f32_f16_e32 v3, v19
	v_mov_b32_e32 v4, 0
	s_mov_b32 s4, 0
	s_mov_b32 s9, -1
	v_cvt_u32_f32_e32 v3, v3
	global_store_dwordx2 v[1:2], v[3:4], off
.LBB110_879:
	s_mov_b32 s10, 0
.LBB110_880:
	s_and_b32 vcc_lo, exec_lo, s10
	s_cbranch_vccz .LBB110_896
; %bb.881:
	s_cmp_lt_i32 s7, 27
	s_mov_b32 s9, -1
	s_cbranch_scc1 .LBB110_887
; %bb.882:
	s_cmp_gt_i32 s7, 27
	s_cbranch_scc0 .LBB110_884
; %bb.883:
	v_cvt_f32_f16_e32 v3, v19
	s_mov_b32 s9, 0
	v_cvt_u32_f32_e32 v3, v3
	global_store_dword v[1:2], v3, off
.LBB110_884:
	s_andn2_b32 vcc_lo, exec_lo, s9
	s_cbranch_vccnz .LBB110_886
; %bb.885:
	v_cvt_u16_f16_e32 v3, v19
	global_store_short v[1:2], v3, off
.LBB110_886:
	s_mov_b32 s9, 0
.LBB110_887:
	s_andn2_b32 vcc_lo, exec_lo, s9
	s_cbranch_vccnz .LBB110_895
; %bb.888:
	v_cvt_f32_f16_e32 v3, v19
	v_mov_b32_e32 v5, 0x80
	s_mov_b32 s9, exec_lo
	v_and_b32_e32 v4, 0x7fffffff, v3
	v_cmpx_gt_u32_e32 0x43800000, v4
	s_cbranch_execz .LBB110_894
; %bb.889:
	v_cmp_lt_u32_e32 vcc_lo, 0x3bffffff, v4
	s_mov_b32 s10, 0
                                        ; implicit-def: $vgpr4
	s_and_saveexec_b32 s11, vcc_lo
	s_xor_b32 s11, exec_lo, s11
	s_cbranch_execz .LBB110_1113
; %bb.890:
	v_bfe_u32 v4, v3, 20, 1
	s_mov_b32 s10, exec_lo
	v_add3_u32 v4, v3, v4, 0x487ffff
	v_lshrrev_b32_e32 v4, 20, v4
	s_andn2_saveexec_b32 s11, s11
	s_cbranch_execnz .LBB110_1114
.LBB110_891:
	s_or_b32 exec_lo, exec_lo, s11
	v_mov_b32_e32 v5, 0
	s_and_saveexec_b32 s11, s10
.LBB110_892:
	v_lshrrev_b32_e32 v3, 24, v3
	v_and_or_b32 v5, 0x80, v3, v4
.LBB110_893:
	s_or_b32 exec_lo, exec_lo, s11
.LBB110_894:
	s_or_b32 exec_lo, exec_lo, s9
	global_store_byte v[1:2], v5, off
.LBB110_895:
	s_mov_b32 s9, -1
.LBB110_896:
	s_mov_b32 s10, 0
.LBB110_897:
	s_and_b32 vcc_lo, exec_lo, s10
	s_cbranch_vccz .LBB110_937
; %bb.898:
	s_cmp_gt_i32 s7, 22
	s_mov_b32 s8, -1
	s_cbranch_scc0 .LBB110_930
; %bb.899:
	s_cmp_lt_i32 s7, 24
	s_cbranch_scc1 .LBB110_919
; %bb.900:
	s_cmp_gt_i32 s7, 24
	s_cbranch_scc0 .LBB110_908
; %bb.901:
	v_cvt_f32_f16_e32 v3, v19
	v_mov_b32_e32 v5, 0x80
	s_mov_b32 s8, exec_lo
	v_and_b32_e32 v4, 0x7fffffff, v3
	v_cmpx_gt_u32_e32 0x47800000, v4
	s_cbranch_execz .LBB110_907
; %bb.902:
	v_cmp_lt_u32_e32 vcc_lo, 0x37ffffff, v4
	s_mov_b32 s9, 0
                                        ; implicit-def: $vgpr4
	s_and_saveexec_b32 s10, vcc_lo
	s_xor_b32 s10, exec_lo, s10
	s_cbranch_execz .LBB110_1116
; %bb.903:
	v_bfe_u32 v4, v3, 21, 1
	s_mov_b32 s9, exec_lo
	v_add3_u32 v4, v3, v4, 0x88fffff
	v_lshrrev_b32_e32 v4, 21, v4
	s_andn2_saveexec_b32 s10, s10
	s_cbranch_execnz .LBB110_1117
.LBB110_904:
	s_or_b32 exec_lo, exec_lo, s10
	v_mov_b32_e32 v5, 0
	s_and_saveexec_b32 s10, s9
.LBB110_905:
	v_lshrrev_b32_e32 v3, 24, v3
	v_and_or_b32 v5, 0x80, v3, v4
.LBB110_906:
	s_or_b32 exec_lo, exec_lo, s10
.LBB110_907:
	s_or_b32 exec_lo, exec_lo, s8
	s_mov_b32 s8, 0
	global_store_byte v[1:2], v5, off
.LBB110_908:
	s_and_b32 vcc_lo, exec_lo, s8
	s_cbranch_vccz .LBB110_918
; %bb.909:
	v_cvt_f32_f16_e32 v3, v19
	s_mov_b32 s8, exec_lo
                                        ; implicit-def: $vgpr4
	v_and_b32_e32 v5, 0x7fffffff, v3
	v_cmpx_gt_u32_e32 0x43f00000, v5
	s_xor_b32 s8, exec_lo, s8
	s_cbranch_execz .LBB110_915
; %bb.910:
	s_mov_b32 s9, exec_lo
                                        ; implicit-def: $vgpr4
	v_cmpx_lt_u32_e32 0x3c7fffff, v5
	s_xor_b32 s9, exec_lo, s9
; %bb.911:
	v_bfe_u32 v4, v3, 20, 1
	v_add3_u32 v4, v3, v4, 0x407ffff
	v_and_b32_e32 v5, 0xff00000, v4
	v_lshrrev_b32_e32 v4, 20, v4
	v_cmp_ne_u32_e32 vcc_lo, 0x7f00000, v5
	v_cndmask_b32_e32 v4, 0x7e, v4, vcc_lo
; %bb.912:
	s_andn2_saveexec_b32 s9, s9
; %bb.913:
	v_add_f32_e64 v4, 0x46800000, |v3|
; %bb.914:
	s_or_b32 exec_lo, exec_lo, s9
                                        ; implicit-def: $vgpr5
.LBB110_915:
	s_andn2_saveexec_b32 s8, s8
; %bb.916:
	v_mov_b32_e32 v4, 0x7f
	v_cmp_lt_u32_e32 vcc_lo, 0x7f800000, v5
	v_cndmask_b32_e32 v4, 0x7e, v4, vcc_lo
; %bb.917:
	s_or_b32 exec_lo, exec_lo, s8
	v_lshrrev_b32_e32 v3, 24, v3
	v_and_or_b32 v3, 0x80, v3, v4
	global_store_byte v[1:2], v3, off
.LBB110_918:
	s_mov_b32 s8, 0
.LBB110_919:
	s_andn2_b32 vcc_lo, exec_lo, s8
	s_cbranch_vccnz .LBB110_929
; %bb.920:
	v_cvt_f32_f16_e32 v3, v19
	s_mov_b32 s8, exec_lo
                                        ; implicit-def: $vgpr4
	v_and_b32_e32 v5, 0x7fffffff, v3
	v_cmpx_gt_u32_e32 0x47800000, v5
	s_xor_b32 s8, exec_lo, s8
	s_cbranch_execz .LBB110_926
; %bb.921:
	s_mov_b32 s9, exec_lo
                                        ; implicit-def: $vgpr4
	v_cmpx_lt_u32_e32 0x387fffff, v5
	s_xor_b32 s9, exec_lo, s9
; %bb.922:
	v_bfe_u32 v4, v3, 21, 1
	v_add3_u32 v4, v3, v4, 0x80fffff
	v_lshrrev_b32_e32 v4, 21, v4
; %bb.923:
	s_andn2_saveexec_b32 s9, s9
; %bb.924:
	v_add_f32_e64 v4, 0x43000000, |v3|
; %bb.925:
	s_or_b32 exec_lo, exec_lo, s9
                                        ; implicit-def: $vgpr5
.LBB110_926:
	s_andn2_saveexec_b32 s8, s8
; %bb.927:
	v_mov_b32_e32 v4, 0x7f
	v_cmp_lt_u32_e32 vcc_lo, 0x7f800000, v5
	v_cndmask_b32_e32 v4, 0x7c, v4, vcc_lo
; %bb.928:
	s_or_b32 exec_lo, exec_lo, s8
	v_lshrrev_b32_e32 v3, 24, v3
	v_and_or_b32 v3, 0x80, v3, v4
	global_store_byte v[1:2], v3, off
.LBB110_929:
	s_mov_b32 s8, 0
	s_mov_b32 s9, -1
.LBB110_930:
	s_andn2_b32 vcc_lo, exec_lo, s8
	s_mov_b32 s8, 0
	s_cbranch_vccnz .LBB110_937
; %bb.931:
	s_cmp_gt_i32 s7, 14
	s_mov_b32 s8, -1
	s_cbranch_scc0 .LBB110_935
; %bb.932:
	s_cmp_eq_u32 s7, 15
	s_mov_b32 s4, -1
	s_cbranch_scc0 .LBB110_934
; %bb.933:
	v_cvt_f32_f16_e32 v3, v19
	v_cmp_o_f16_e32 vcc_lo, v19, v19
	s_mov_b32 s4, 0
	s_mov_b32 s9, -1
	v_bfe_u32 v4, v3, 16, 1
	v_add3_u32 v3, v3, v4, 0x7fff
	v_mov_b32_e32 v4, 0x7fc0
	v_cndmask_b32_sdwa v3, v4, v3, vcc_lo dst_sel:DWORD dst_unused:UNUSED_PAD src0_sel:DWORD src1_sel:WORD_1
	global_store_short v[1:2], v3, off
.LBB110_934:
	s_mov_b32 s8, 0
.LBB110_935:
	s_and_b32 vcc_lo, exec_lo, s8
	s_mov_b32 s8, 0
	s_cbranch_vccz .LBB110_937
; %bb.936:
	s_cmp_lg_u32 s7, 11
	s_mov_b32 s8, -1
	s_cselect_b32 s4, -1, 0
.LBB110_937:
	s_and_b32 vcc_lo, exec_lo, s4
	s_cbranch_vccnz .LBB110_1115
; %bb.938:
	s_andn2_b32 vcc_lo, exec_lo, s8
	s_cbranch_vccnz .LBB110_940
.LBB110_939:
	v_and_b32_e32 v3, 0x7fff, v19
	s_mov_b32 s9, -1
	v_cmp_ne_u16_e32 vcc_lo, 0, v3
	v_cndmask_b32_e64 v3, 0, 1, vcc_lo
	global_store_byte v[1:2], v3, off
.LBB110_940:
.LBB110_941:
	s_andn2_b32 vcc_lo, exec_lo, s9
	s_cbranch_vccnz .LBB110_1057
.LBB110_942:
	v_add_co_u32 v1, s4, s24, v24
	v_add_co_ci_u32_e64 v2, null, s25, 0, s4
	s_cmp_lt_i32 s7, 11
	s_cbranch_scc1 .LBB110_1102
; %bb.943:
	s_mov_b32 s9, -1
	s_mov_b32 s8, 0
	s_cmp_gt_i32 s7, 25
	s_mov_b32 s4, 0
	s_cbranch_scc0 .LBB110_976
; %bb.944:
	s_cmp_gt_i32 s7, 28
	s_cbranch_scc0 .LBB110_960
; %bb.945:
	s_cmp_gt_i32 s7, 43
	;; [unrolled: 3-line block ×3, first 2 shown]
	s_cbranch_scc0 .LBB110_950
; %bb.947:
	s_cmp_eq_u32 s7, 46
	s_mov_b32 s4, -1
	s_cbranch_scc0 .LBB110_949
; %bb.948:
	v_cvt_f32_f16_e32 v3, v0
	v_cmp_o_f16_e32 vcc_lo, v0, v0
	s_mov_b32 s4, 0
	v_bfe_u32 v4, v3, 16, 1
	v_add3_u32 v3, v3, v4, 0x7fff
	v_mov_b32_e32 v4, 0x7fc0
	v_cndmask_b32_sdwa v3, v4, v3, vcc_lo dst_sel:DWORD dst_unused:UNUSED_PAD src0_sel:DWORD src1_sel:WORD_1
	global_store_dword v[1:2], v3, off
.LBB110_949:
	s_mov_b32 s9, 0
.LBB110_950:
	s_and_b32 vcc_lo, exec_lo, s9
	s_cbranch_vccz .LBB110_955
; %bb.951:
	s_cmp_eq_u32 s7, 44
	s_mov_b32 s4, -1
	s_cbranch_scc0 .LBB110_955
; %bb.952:
	v_cvt_f32_f16_e32 v3, v0
	v_mov_b32_e32 v4, 0xff
	s_mov_b32 s9, exec_lo
	v_bfe_u32 v5, v3, 23, 8
	v_cmpx_ne_u32_e32 0xff, v5
	s_cbranch_execz .LBB110_954
; %bb.953:
	v_and_b32_e32 v4, 0x400000, v3
	v_and_or_b32 v5, 0x3fffff, v3, v5
	v_lshrrev_b32_e32 v3, 23, v3
	v_cmp_ne_u32_e32 vcc_lo, 0, v4
	v_cmp_ne_u32_e64 s4, 0, v5
	s_and_b32 s4, vcc_lo, s4
	v_cndmask_b32_e64 v4, 0, 1, s4
	v_add_nc_u32_e32 v4, v3, v4
.LBB110_954:
	s_or_b32 exec_lo, exec_lo, s9
	s_mov_b32 s4, 0
	global_store_byte v[1:2], v4, off
.LBB110_955:
	s_mov_b32 s9, 0
.LBB110_956:
	s_and_b32 vcc_lo, exec_lo, s9
	s_cbranch_vccz .LBB110_959
; %bb.957:
	s_cmp_eq_u32 s7, 29
	s_mov_b32 s4, -1
	s_cbranch_scc0 .LBB110_959
; %bb.958:
	v_cvt_f32_f16_e32 v3, v0
	v_mov_b32_e32 v4, 0
	s_mov_b32 s4, 0
	v_cvt_u32_f32_e32 v3, v3
	global_store_dwordx2 v[1:2], v[3:4], off
.LBB110_959:
	s_mov_b32 s9, 0
.LBB110_960:
	s_and_b32 vcc_lo, exec_lo, s9
	s_cbranch_vccz .LBB110_975
; %bb.961:
	s_cmp_lt_i32 s7, 27
	s_mov_b32 s9, -1
	s_cbranch_scc1 .LBB110_967
; %bb.962:
	s_cmp_gt_i32 s7, 27
	s_cbranch_scc0 .LBB110_964
; %bb.963:
	v_cvt_f32_f16_e32 v3, v0
	s_mov_b32 s9, 0
	v_cvt_u32_f32_e32 v3, v3
	global_store_dword v[1:2], v3, off
.LBB110_964:
	s_andn2_b32 vcc_lo, exec_lo, s9
	s_cbranch_vccnz .LBB110_966
; %bb.965:
	v_cvt_u16_f16_e32 v3, v0
	global_store_short v[1:2], v3, off
.LBB110_966:
	s_mov_b32 s9, 0
.LBB110_967:
	s_andn2_b32 vcc_lo, exec_lo, s9
	s_cbranch_vccnz .LBB110_975
; %bb.968:
	v_cvt_f32_f16_e32 v3, v0
	v_mov_b32_e32 v5, 0x80
	s_mov_b32 s9, exec_lo
	v_and_b32_e32 v4, 0x7fffffff, v3
	v_cmpx_gt_u32_e32 0x43800000, v4
	s_cbranch_execz .LBB110_974
; %bb.969:
	v_cmp_lt_u32_e32 vcc_lo, 0x3bffffff, v4
	s_mov_b32 s10, 0
                                        ; implicit-def: $vgpr4
	s_and_saveexec_b32 s11, vcc_lo
	s_xor_b32 s11, exec_lo, s11
	s_cbranch_execz .LBB110_1118
; %bb.970:
	v_bfe_u32 v4, v3, 20, 1
	s_mov_b32 s10, exec_lo
	v_add3_u32 v4, v3, v4, 0x487ffff
	v_lshrrev_b32_e32 v4, 20, v4
	s_andn2_saveexec_b32 s11, s11
	s_cbranch_execnz .LBB110_1119
.LBB110_971:
	s_or_b32 exec_lo, exec_lo, s11
	v_mov_b32_e32 v5, 0
	s_and_saveexec_b32 s11, s10
.LBB110_972:
	v_lshrrev_b32_e32 v3, 24, v3
	v_and_or_b32 v5, 0x80, v3, v4
.LBB110_973:
	s_or_b32 exec_lo, exec_lo, s11
.LBB110_974:
	s_or_b32 exec_lo, exec_lo, s9
	global_store_byte v[1:2], v5, off
.LBB110_975:
	s_mov_b32 s9, 0
.LBB110_976:
	s_and_b32 vcc_lo, exec_lo, s9
	s_cbranch_vccz .LBB110_1016
; %bb.977:
	s_cmp_gt_i32 s7, 22
	s_mov_b32 s8, -1
	s_cbranch_scc0 .LBB110_1009
; %bb.978:
	s_cmp_lt_i32 s7, 24
	s_cbranch_scc1 .LBB110_998
; %bb.979:
	s_cmp_gt_i32 s7, 24
	s_cbranch_scc0 .LBB110_987
; %bb.980:
	v_cvt_f32_f16_e32 v3, v0
	v_mov_b32_e32 v5, 0x80
	s_mov_b32 s8, exec_lo
	v_and_b32_e32 v4, 0x7fffffff, v3
	v_cmpx_gt_u32_e32 0x47800000, v4
	s_cbranch_execz .LBB110_986
; %bb.981:
	v_cmp_lt_u32_e32 vcc_lo, 0x37ffffff, v4
	s_mov_b32 s9, 0
                                        ; implicit-def: $vgpr4
	s_and_saveexec_b32 s10, vcc_lo
	s_xor_b32 s10, exec_lo, s10
	s_cbranch_execz .LBB110_1123
; %bb.982:
	v_bfe_u32 v4, v3, 21, 1
	s_mov_b32 s9, exec_lo
	v_add3_u32 v4, v3, v4, 0x88fffff
	v_lshrrev_b32_e32 v4, 21, v4
	s_andn2_saveexec_b32 s10, s10
	s_cbranch_execnz .LBB110_1124
.LBB110_983:
	s_or_b32 exec_lo, exec_lo, s10
	v_mov_b32_e32 v5, 0
	s_and_saveexec_b32 s10, s9
.LBB110_984:
	v_lshrrev_b32_e32 v3, 24, v3
	v_and_or_b32 v5, 0x80, v3, v4
.LBB110_985:
	s_or_b32 exec_lo, exec_lo, s10
.LBB110_986:
	s_or_b32 exec_lo, exec_lo, s8
	s_mov_b32 s8, 0
	global_store_byte v[1:2], v5, off
.LBB110_987:
	s_and_b32 vcc_lo, exec_lo, s8
	s_cbranch_vccz .LBB110_997
; %bb.988:
	v_cvt_f32_f16_e32 v3, v0
	s_mov_b32 s8, exec_lo
                                        ; implicit-def: $vgpr4
	v_and_b32_e32 v5, 0x7fffffff, v3
	v_cmpx_gt_u32_e32 0x43f00000, v5
	s_xor_b32 s8, exec_lo, s8
	s_cbranch_execz .LBB110_994
; %bb.989:
	s_mov_b32 s9, exec_lo
                                        ; implicit-def: $vgpr4
	v_cmpx_lt_u32_e32 0x3c7fffff, v5
	s_xor_b32 s9, exec_lo, s9
; %bb.990:
	v_bfe_u32 v4, v3, 20, 1
	v_add3_u32 v4, v3, v4, 0x407ffff
	v_and_b32_e32 v5, 0xff00000, v4
	v_lshrrev_b32_e32 v4, 20, v4
	v_cmp_ne_u32_e32 vcc_lo, 0x7f00000, v5
	v_cndmask_b32_e32 v4, 0x7e, v4, vcc_lo
; %bb.991:
	s_andn2_saveexec_b32 s9, s9
; %bb.992:
	v_add_f32_e64 v4, 0x46800000, |v3|
; %bb.993:
	s_or_b32 exec_lo, exec_lo, s9
                                        ; implicit-def: $vgpr5
.LBB110_994:
	s_andn2_saveexec_b32 s8, s8
; %bb.995:
	v_mov_b32_e32 v4, 0x7f
	v_cmp_lt_u32_e32 vcc_lo, 0x7f800000, v5
	v_cndmask_b32_e32 v4, 0x7e, v4, vcc_lo
; %bb.996:
	s_or_b32 exec_lo, exec_lo, s8
	v_lshrrev_b32_e32 v3, 24, v3
	v_and_or_b32 v3, 0x80, v3, v4
	global_store_byte v[1:2], v3, off
.LBB110_997:
	s_mov_b32 s8, 0
.LBB110_998:
	s_andn2_b32 vcc_lo, exec_lo, s8
	s_cbranch_vccnz .LBB110_1008
; %bb.999:
	v_cvt_f32_f16_e32 v3, v0
	s_mov_b32 s8, exec_lo
                                        ; implicit-def: $vgpr4
	v_and_b32_e32 v5, 0x7fffffff, v3
	v_cmpx_gt_u32_e32 0x47800000, v5
	s_xor_b32 s8, exec_lo, s8
	s_cbranch_execz .LBB110_1005
; %bb.1000:
	s_mov_b32 s9, exec_lo
                                        ; implicit-def: $vgpr4
	v_cmpx_lt_u32_e32 0x387fffff, v5
	s_xor_b32 s9, exec_lo, s9
; %bb.1001:
	v_bfe_u32 v4, v3, 21, 1
	v_add3_u32 v4, v3, v4, 0x80fffff
	v_lshrrev_b32_e32 v4, 21, v4
; %bb.1002:
	s_andn2_saveexec_b32 s9, s9
; %bb.1003:
	v_add_f32_e64 v4, 0x43000000, |v3|
; %bb.1004:
	s_or_b32 exec_lo, exec_lo, s9
                                        ; implicit-def: $vgpr5
.LBB110_1005:
	s_andn2_saveexec_b32 s8, s8
; %bb.1006:
	v_mov_b32_e32 v4, 0x7f
	v_cmp_lt_u32_e32 vcc_lo, 0x7f800000, v5
	v_cndmask_b32_e32 v4, 0x7c, v4, vcc_lo
; %bb.1007:
	s_or_b32 exec_lo, exec_lo, s8
	v_lshrrev_b32_e32 v3, 24, v3
	v_and_or_b32 v3, 0x80, v3, v4
	global_store_byte v[1:2], v3, off
.LBB110_1008:
	s_mov_b32 s8, 0
.LBB110_1009:
	s_andn2_b32 vcc_lo, exec_lo, s8
	s_mov_b32 s8, 0
	s_cbranch_vccnz .LBB110_1016
; %bb.1010:
	s_cmp_gt_i32 s7, 14
	s_mov_b32 s8, -1
	s_cbranch_scc0 .LBB110_1014
; %bb.1011:
	s_cmp_eq_u32 s7, 15
	s_mov_b32 s4, -1
	s_cbranch_scc0 .LBB110_1013
; %bb.1012:
	v_cvt_f32_f16_e32 v3, v0
	v_cmp_o_f16_e32 vcc_lo, v0, v0
	s_mov_b32 s4, 0
	v_bfe_u32 v4, v3, 16, 1
	v_add3_u32 v3, v3, v4, 0x7fff
	v_mov_b32_e32 v4, 0x7fc0
	v_cndmask_b32_sdwa v3, v4, v3, vcc_lo dst_sel:DWORD dst_unused:UNUSED_PAD src0_sel:DWORD src1_sel:WORD_1
	global_store_short v[1:2], v3, off
.LBB110_1013:
	s_mov_b32 s8, 0
.LBB110_1014:
	s_and_b32 vcc_lo, exec_lo, s8
	s_mov_b32 s8, 0
	s_cbranch_vccz .LBB110_1016
; %bb.1015:
	s_cmp_lg_u32 s7, 11
	s_mov_b32 s8, -1
	s_cselect_b32 s4, -1, 0
.LBB110_1016:
	s_and_b32 vcc_lo, exec_lo, s4
	s_cbranch_vccnz .LBB110_1120
.LBB110_1017:
	s_mov_b32 s4, 0
	s_branch .LBB110_1058
.LBB110_1018:
	s_mov_b32 s9, 0
	s_cbranch_execz .LBB110_941
; %bb.1019:
	s_cmp_lt_i32 s7, 5
	s_mov_b32 s4, -1
	s_cbranch_scc1 .LBB110_1040
; %bb.1020:
	s_cmp_lt_i32 s7, 8
	s_cbranch_scc1 .LBB110_1030
; %bb.1021:
	s_cmp_lt_i32 s7, 9
	s_cbranch_scc1 .LBB110_1027
; %bb.1022:
	s_cmp_gt_i32 s7, 9
	s_cbranch_scc0 .LBB110_1024
; %bb.1023:
	v_cvt_f32_f16_e32 v3, v19
	v_mov_b32_e32 v5, 0
	s_mov_b32 s4, 0
	v_cvt_f64_f32_e32 v[3:4], v3
	v_mov_b32_e32 v6, v5
	global_store_dwordx4 v[1:2], v[3:6], off
.LBB110_1024:
	s_andn2_b32 vcc_lo, exec_lo, s4
	s_cbranch_vccnz .LBB110_1026
; %bb.1025:
	v_cvt_f32_f16_e32 v3, v19
	v_mov_b32_e32 v4, 0
	global_store_dwordx2 v[1:2], v[3:4], off
.LBB110_1026:
	s_mov_b32 s4, 0
.LBB110_1027:
	s_andn2_b32 vcc_lo, exec_lo, s4
	s_cbranch_vccnz .LBB110_1029
; %bb.1028:
	v_and_b32_e32 v3, 0xffff, v19
	global_store_dword v[1:2], v3, off
.LBB110_1029:
	s_mov_b32 s4, 0
.LBB110_1030:
	s_andn2_b32 vcc_lo, exec_lo, s4
	s_cbranch_vccnz .LBB110_1039
; %bb.1031:
	s_cmp_lt_i32 s7, 6
	s_mov_b32 s4, -1
	s_cbranch_scc1 .LBB110_1037
; %bb.1032:
	s_cmp_gt_i32 s7, 6
	s_cbranch_scc0 .LBB110_1034
; %bb.1033:
	v_cvt_f32_f16_e32 v3, v19
	s_mov_b32 s4, 0
	v_cvt_f64_f32_e32 v[3:4], v3
	global_store_dwordx2 v[1:2], v[3:4], off
.LBB110_1034:
	s_andn2_b32 vcc_lo, exec_lo, s4
	s_cbranch_vccnz .LBB110_1036
; %bb.1035:
	v_cvt_f32_f16_e32 v3, v19
	global_store_dword v[1:2], v3, off
.LBB110_1036:
	s_mov_b32 s4, 0
.LBB110_1037:
	s_andn2_b32 vcc_lo, exec_lo, s4
	s_cbranch_vccnz .LBB110_1039
; %bb.1038:
	global_store_short v[1:2], v19, off
.LBB110_1039:
	s_mov_b32 s4, 0
.LBB110_1040:
	s_andn2_b32 vcc_lo, exec_lo, s4
	s_cbranch_vccnz .LBB110_1056
; %bb.1041:
	s_cmp_lt_i32 s7, 2
	s_mov_b32 s4, -1
	s_cbranch_scc1 .LBB110_1051
; %bb.1042:
	s_cmp_lt_i32 s7, 3
	s_cbranch_scc1 .LBB110_1048
; %bb.1043:
	s_cmp_gt_i32 s7, 3
	s_cbranch_scc0 .LBB110_1045
; %bb.1044:
	v_cvt_f32_f16_e32 v3, v19
	s_mov_b32 s4, 0
	v_cvt_i32_f32_e32 v3, v3
	v_ashrrev_i32_e32 v4, 31, v3
	global_store_dwordx2 v[1:2], v[3:4], off
.LBB110_1045:
	s_andn2_b32 vcc_lo, exec_lo, s4
	s_cbranch_vccnz .LBB110_1047
; %bb.1046:
	v_cvt_f32_f16_e32 v3, v19
	v_cvt_i32_f32_e32 v3, v3
	global_store_dword v[1:2], v3, off
.LBB110_1047:
	s_mov_b32 s4, 0
.LBB110_1048:
	s_andn2_b32 vcc_lo, exec_lo, s4
	s_cbranch_vccnz .LBB110_1050
; %bb.1049:
	v_cvt_i16_f16_e32 v3, v19
	global_store_short v[1:2], v3, off
.LBB110_1050:
	s_mov_b32 s4, 0
.LBB110_1051:
	s_andn2_b32 vcc_lo, exec_lo, s4
	s_cbranch_vccnz .LBB110_1056
; %bb.1052:
	s_cmp_gt_i32 s7, 0
	s_mov_b32 s4, -1
	s_cbranch_scc0 .LBB110_1054
; %bb.1053:
	v_cvt_i16_f16_e32 v3, v19
	s_mov_b32 s4, 0
	global_store_byte v[1:2], v3, off
.LBB110_1054:
	s_andn2_b32 vcc_lo, exec_lo, s4
	s_cbranch_vccnz .LBB110_1056
; %bb.1055:
	v_cvt_f32_f16_e32 v3, v19
	v_cvt_i32_f32_e32 v3, v3
	global_store_byte v[1:2], v3, off
.LBB110_1056:
	s_branch .LBB110_942
.LBB110_1057:
	s_mov_b32 s4, 0
	s_mov_b32 s8, 0
                                        ; implicit-def: $sgpr5
                                        ; implicit-def: $vgpr1_vgpr2
.LBB110_1058:
	s_andn2_b32 s7, s34, exec_lo
	s_and_b32 s6, s6, exec_lo
	s_and_b32 s4, s4, exec_lo
	;; [unrolled: 1-line block ×3, first 2 shown]
	s_or_b32 s34, s7, s6
.LBB110_1059:
	s_or_b32 exec_lo, exec_lo, s35
	s_and_saveexec_b32 s6, s34
	s_cbranch_execz .LBB110_1062
; %bb.1060:
	; divergent unreachable
	s_or_b32 exec_lo, exec_lo, s6
	s_and_saveexec_b32 s6, s48
	s_xor_b32 s6, exec_lo, s6
	s_cbranch_execnz .LBB110_1063
.LBB110_1061:
	s_or_b32 exec_lo, exec_lo, s6
	s_and_saveexec_b32 s6, s4
	s_cbranch_execnz .LBB110_1064
	s_branch .LBB110_1101
.LBB110_1062:
	s_or_b32 exec_lo, exec_lo, s6
	s_and_saveexec_b32 s6, s48
	s_xor_b32 s6, exec_lo, s6
	s_cbranch_execz .LBB110_1061
.LBB110_1063:
	v_and_b32_e32 v3, 0x7fff, v0
	v_cmp_ne_u16_e32 vcc_lo, 0, v3
	v_cndmask_b32_e64 v3, 0, 1, vcc_lo
	global_store_byte v[1:2], v3, off
	s_or_b32 exec_lo, exec_lo, s6
	s_and_saveexec_b32 s6, s4
	s_cbranch_execz .LBB110_1101
.LBB110_1064:
	s_sext_i32_i16 s6, s5
	s_mov_b32 s4, -1
	s_cmp_lt_i32 s6, 5
	s_cbranch_scc1 .LBB110_1085
; %bb.1065:
	s_cmp_lt_i32 s6, 8
	s_cbranch_scc1 .LBB110_1075
; %bb.1066:
	;; [unrolled: 3-line block ×3, first 2 shown]
	s_cmp_gt_i32 s6, 9
	s_cbranch_scc0 .LBB110_1069
; %bb.1068:
	v_cvt_f32_f16_e32 v3, v0
	v_mov_b32_e32 v5, 0
	s_mov_b32 s4, 0
	v_cvt_f64_f32_e32 v[3:4], v3
	v_mov_b32_e32 v6, v5
	global_store_dwordx4 v[1:2], v[3:6], off
.LBB110_1069:
	s_andn2_b32 vcc_lo, exec_lo, s4
	s_cbranch_vccnz .LBB110_1071
; %bb.1070:
	v_cvt_f32_f16_e32 v3, v0
	v_mov_b32_e32 v4, 0
	global_store_dwordx2 v[1:2], v[3:4], off
.LBB110_1071:
	s_mov_b32 s4, 0
.LBB110_1072:
	s_andn2_b32 vcc_lo, exec_lo, s4
	s_cbranch_vccnz .LBB110_1074
; %bb.1073:
	v_and_b32_e32 v3, 0xffff, v0
	global_store_dword v[1:2], v3, off
.LBB110_1074:
	s_mov_b32 s4, 0
.LBB110_1075:
	s_andn2_b32 vcc_lo, exec_lo, s4
	s_cbranch_vccnz .LBB110_1084
; %bb.1076:
	s_sext_i32_i16 s6, s5
	s_mov_b32 s4, -1
	s_cmp_lt_i32 s6, 6
	s_cbranch_scc1 .LBB110_1082
; %bb.1077:
	s_cmp_gt_i32 s6, 6
	s_cbranch_scc0 .LBB110_1079
; %bb.1078:
	v_cvt_f32_f16_e32 v3, v0
	s_mov_b32 s4, 0
	v_cvt_f64_f32_e32 v[3:4], v3
	global_store_dwordx2 v[1:2], v[3:4], off
.LBB110_1079:
	s_andn2_b32 vcc_lo, exec_lo, s4
	s_cbranch_vccnz .LBB110_1081
; %bb.1080:
	v_cvt_f32_f16_e32 v3, v0
	global_store_dword v[1:2], v3, off
.LBB110_1081:
	s_mov_b32 s4, 0
.LBB110_1082:
	s_andn2_b32 vcc_lo, exec_lo, s4
	s_cbranch_vccnz .LBB110_1084
; %bb.1083:
	global_store_short v[1:2], v0, off
.LBB110_1084:
	s_mov_b32 s4, 0
.LBB110_1085:
	s_andn2_b32 vcc_lo, exec_lo, s4
	s_cbranch_vccnz .LBB110_1101
; %bb.1086:
	s_sext_i32_i16 s6, s5
	s_mov_b32 s4, -1
	s_cmp_lt_i32 s6, 2
	s_cbranch_scc1 .LBB110_1096
; %bb.1087:
	s_cmp_lt_i32 s6, 3
	s_cbranch_scc1 .LBB110_1093
; %bb.1088:
	s_cmp_gt_i32 s6, 3
	s_cbranch_scc0 .LBB110_1090
; %bb.1089:
	v_cvt_f32_f16_e32 v3, v0
	s_mov_b32 s4, 0
	v_cvt_i32_f32_e32 v3, v3
	v_ashrrev_i32_e32 v4, 31, v3
	global_store_dwordx2 v[1:2], v[3:4], off
.LBB110_1090:
	s_andn2_b32 vcc_lo, exec_lo, s4
	s_cbranch_vccnz .LBB110_1092
; %bb.1091:
	v_cvt_f32_f16_e32 v3, v0
	v_cvt_i32_f32_e32 v3, v3
	global_store_dword v[1:2], v3, off
.LBB110_1092:
	s_mov_b32 s4, 0
.LBB110_1093:
	s_andn2_b32 vcc_lo, exec_lo, s4
	s_cbranch_vccnz .LBB110_1095
; %bb.1094:
	v_cvt_i16_f16_e32 v3, v0
	global_store_short v[1:2], v3, off
.LBB110_1095:
	s_mov_b32 s4, 0
.LBB110_1096:
	s_andn2_b32 vcc_lo, exec_lo, s4
	s_cbranch_vccnz .LBB110_1101
; %bb.1097:
	s_sext_i32_i16 s4, s5
	s_cmp_gt_i32 s4, 0
	s_mov_b32 s4, -1
	s_cbranch_scc0 .LBB110_1099
; %bb.1098:
	v_cvt_i16_f16_e32 v3, v0
	s_mov_b32 s4, 0
	global_store_byte v[1:2], v3, off
.LBB110_1099:
	s_andn2_b32 vcc_lo, exec_lo, s4
	s_cbranch_vccnz .LBB110_1101
; %bb.1100:
	v_cvt_f32_f16_e32 v0, v0
	v_cvt_i32_f32_e32 v0, v0
	global_store_byte v[1:2], v0, off
	s_endpgm
.LBB110_1101:
	s_endpgm
.LBB110_1102:
	s_mov_b32 s8, 0
	s_mov_b32 s4, -1
	s_branch .LBB110_1058
.LBB110_1103:
	s_andn2_saveexec_b32 s10, s10
	s_cbranch_execz .LBB110_655
.LBB110_1104:
	v_add_f32_e64 v4, 0x46000000, |v3|
	s_andn2_b32 s9, s9, exec_lo
	v_and_b32_e32 v4, 0xff, v4
	v_cmp_ne_u32_e32 vcc_lo, 0, v4
	s_and_b32 s11, vcc_lo, exec_lo
	s_or_b32 s9, s9, s11
	s_or_b32 exec_lo, exec_lo, s10
	v_mov_b32_e32 v5, 0
	s_and_saveexec_b32 s10, s9
	s_cbranch_execnz .LBB110_656
	s_branch .LBB110_657
.LBB110_1105:
	s_or_b32 s6, s34, exec_lo
	s_trap 2
	s_cbranch_execz .LBB110_703
	s_branch .LBB110_704
.LBB110_1106:
	s_andn2_saveexec_b32 s9, s9
	s_cbranch_execz .LBB110_668
.LBB110_1107:
	v_add_f32_e64 v4, 0x42800000, |v3|
	s_andn2_b32 s8, s8, exec_lo
	v_and_b32_e32 v4, 0xff, v4
	v_cmp_ne_u32_e32 vcc_lo, 0, v4
	s_and_b32 s10, vcc_lo, exec_lo
	s_or_b32 s8, s8, s10
	s_or_b32 exec_lo, exec_lo, s9
	v_mov_b32_e32 v5, 0
	s_and_saveexec_b32 s9, s8
	s_cbranch_execnz .LBB110_669
	s_branch .LBB110_670
.LBB110_1108:
	s_andn2_saveexec_b32 s11, s11
	s_cbranch_execz .LBB110_773
.LBB110_1109:
	v_add_f32_e64 v4, 0x46000000, |v3|
	s_andn2_b32 s10, s10, exec_lo
	v_and_b32_e32 v4, 0xff, v4
	v_cmp_ne_u32_e32 vcc_lo, 0, v4
	s_and_b32 s12, vcc_lo, exec_lo
	s_or_b32 s10, s10, s12
	s_or_b32 exec_lo, exec_lo, s11
	v_mov_b32_e32 v5, 0
	s_and_saveexec_b32 s11, s10
	s_cbranch_execnz .LBB110_774
	s_branch .LBB110_775
.LBB110_1110:
	s_or_b32 s6, s6, exec_lo
	s_trap 2
	s_cbranch_execz .LBB110_821
	s_branch .LBB110_822
.LBB110_1111:
	s_andn2_saveexec_b32 s10, s10
	s_cbranch_execz .LBB110_786
.LBB110_1112:
	v_add_f32_e64 v4, 0x42800000, |v3|
	s_andn2_b32 s9, s9, exec_lo
	v_and_b32_e32 v4, 0xff, v4
	v_cmp_ne_u32_e32 vcc_lo, 0, v4
	s_and_b32 s11, vcc_lo, exec_lo
	s_or_b32 s9, s9, s11
	s_or_b32 exec_lo, exec_lo, s10
	v_mov_b32_e32 v5, 0
	s_and_saveexec_b32 s10, s9
	s_cbranch_execnz .LBB110_787
	s_branch .LBB110_788
.LBB110_1113:
	s_andn2_saveexec_b32 s11, s11
	s_cbranch_execz .LBB110_891
.LBB110_1114:
	v_add_f32_e64 v4, 0x46000000, |v3|
	s_andn2_b32 s10, s10, exec_lo
	v_and_b32_e32 v4, 0xff, v4
	v_cmp_ne_u32_e32 vcc_lo, 0, v4
	s_and_b32 s12, vcc_lo, exec_lo
	s_or_b32 s10, s10, s12
	s_or_b32 exec_lo, exec_lo, s11
	v_mov_b32_e32 v5, 0
	s_and_saveexec_b32 s11, s10
	s_cbranch_execnz .LBB110_892
	s_branch .LBB110_893
.LBB110_1115:
	s_or_b32 s6, s6, exec_lo
	s_trap 2
	s_cbranch_execz .LBB110_939
	s_branch .LBB110_940
.LBB110_1116:
	s_andn2_saveexec_b32 s10, s10
	s_cbranch_execz .LBB110_904
.LBB110_1117:
	v_add_f32_e64 v4, 0x42800000, |v3|
	s_andn2_b32 s9, s9, exec_lo
	v_and_b32_e32 v4, 0xff, v4
	v_cmp_ne_u32_e32 vcc_lo, 0, v4
	s_and_b32 s11, vcc_lo, exec_lo
	s_or_b32 s9, s9, s11
	s_or_b32 exec_lo, exec_lo, s10
	v_mov_b32_e32 v5, 0
	s_and_saveexec_b32 s10, s9
	s_cbranch_execnz .LBB110_905
	s_branch .LBB110_906
.LBB110_1118:
	s_andn2_saveexec_b32 s11, s11
	s_cbranch_execz .LBB110_971
.LBB110_1119:
	v_add_f32_e64 v4, 0x46000000, |v3|
	s_andn2_b32 s10, s10, exec_lo
	v_and_b32_e32 v4, 0xff, v4
	v_cmp_ne_u32_e32 vcc_lo, 0, v4
	s_and_b32 s12, vcc_lo, exec_lo
	s_or_b32 s10, s10, s12
	s_or_b32 exec_lo, exec_lo, s11
	v_mov_b32_e32 v5, 0
	s_and_saveexec_b32 s11, s10
	s_cbranch_execnz .LBB110_972
	s_branch .LBB110_973
.LBB110_1120:
	s_mov_b32 s8, 0
	s_or_b32 s6, s6, exec_lo
	s_trap 2
	s_branch .LBB110_1017
.LBB110_1121:
	s_andn2_saveexec_b32 s9, s9
	s_cbranch_execz .LBB110_480
.LBB110_1122:
	v_add_f32_e64 v4, 0x46000000, |v3|
	s_andn2_b32 s8, s8, exec_lo
	v_and_b32_e32 v4, 0xff, v4
	v_cmp_ne_u32_e32 vcc_lo, 0, v4
	s_and_b32 s10, vcc_lo, exec_lo
	s_or_b32 s8, s8, s10
	s_or_b32 exec_lo, exec_lo, s9
	v_mov_b32_e32 v5, 0
	s_and_saveexec_b32 s9, s8
	s_cbranch_execnz .LBB110_481
	s_branch .LBB110_482
.LBB110_1123:
	s_andn2_saveexec_b32 s10, s10
	s_cbranch_execz .LBB110_983
.LBB110_1124:
	v_add_f32_e64 v4, 0x42800000, |v3|
	s_andn2_b32 s9, s9, exec_lo
	v_and_b32_e32 v4, 0xff, v4
	v_cmp_ne_u32_e32 vcc_lo, 0, v4
	s_and_b32 s11, vcc_lo, exec_lo
	s_or_b32 s9, s9, s11
	s_or_b32 exec_lo, exec_lo, s10
	v_mov_b32_e32 v5, 0
	s_and_saveexec_b32 s10, s9
	s_cbranch_execnz .LBB110_984
	s_branch .LBB110_985
.LBB110_1125:
	s_andn2_saveexec_b32 s10, s10
	s_cbranch_execz .LBB110_492
.LBB110_1126:
	v_add_f32_e64 v4, 0x42800000, |v3|
	s_andn2_b32 s9, s9, exec_lo
	v_and_b32_e32 v4, 0xff, v4
	v_cmp_ne_u32_e32 vcc_lo, 0, v4
	s_and_b32 s11, vcc_lo, exec_lo
	s_or_b32 s9, s9, s11
	s_or_b32 exec_lo, exec_lo, s10
	v_mov_b32_e32 v5, 0
	s_and_saveexec_b32 s10, s9
	s_cbranch_execnz .LBB110_493
	s_branch .LBB110_494
	.section	.rodata,"a",@progbits
	.p2align	6, 0x0
	.amdhsa_kernel _ZN2at6native32elementwise_kernel_manual_unrollILi128ELi4EZNS0_15gpu_kernel_implIZZZNS0_21polygamma_kernel_cudaERNS_18TensorIteratorBaseElENKUlvE_clEvENKUlvE1_clEvEUlN3c104HalfEE_EEvS4_RKT_EUlibE0_EEviT1_
		.amdhsa_group_segment_fixed_size 0
		.amdhsa_private_segment_fixed_size 0
		.amdhsa_kernarg_size 368
		.amdhsa_user_sgpr_count 6
		.amdhsa_user_sgpr_private_segment_buffer 1
		.amdhsa_user_sgpr_dispatch_ptr 0
		.amdhsa_user_sgpr_queue_ptr 0
		.amdhsa_user_sgpr_kernarg_segment_ptr 1
		.amdhsa_user_sgpr_dispatch_id 0
		.amdhsa_user_sgpr_flat_scratch_init 0
		.amdhsa_user_sgpr_private_segment_size 0
		.amdhsa_wavefront_size32 1
		.amdhsa_uses_dynamic_stack 0
		.amdhsa_system_sgpr_private_segment_wavefront_offset 0
		.amdhsa_system_sgpr_workgroup_id_x 1
		.amdhsa_system_sgpr_workgroup_id_y 0
		.amdhsa_system_sgpr_workgroup_id_z 0
		.amdhsa_system_sgpr_workgroup_info 0
		.amdhsa_system_vgpr_workitem_id 0
		.amdhsa_next_free_vgpr 32
		.amdhsa_next_free_sgpr 76
		.amdhsa_reserve_vcc 1
		.amdhsa_reserve_flat_scratch 0
		.amdhsa_float_round_mode_32 0
		.amdhsa_float_round_mode_16_64 0
		.amdhsa_float_denorm_mode_32 3
		.amdhsa_float_denorm_mode_16_64 3
		.amdhsa_dx10_clamp 1
		.amdhsa_ieee_mode 1
		.amdhsa_fp16_overflow 0
		.amdhsa_workgroup_processor_mode 1
		.amdhsa_memory_ordered 1
		.amdhsa_forward_progress 1
		.amdhsa_shared_vgpr_count 0
		.amdhsa_exception_fp_ieee_invalid_op 0
		.amdhsa_exception_fp_denorm_src 0
		.amdhsa_exception_fp_ieee_div_zero 0
		.amdhsa_exception_fp_ieee_overflow 0
		.amdhsa_exception_fp_ieee_underflow 0
		.amdhsa_exception_fp_ieee_inexact 0
		.amdhsa_exception_int_div_zero 0
	.end_amdhsa_kernel
	.section	.text._ZN2at6native32elementwise_kernel_manual_unrollILi128ELi4EZNS0_15gpu_kernel_implIZZZNS0_21polygamma_kernel_cudaERNS_18TensorIteratorBaseElENKUlvE_clEvENKUlvE1_clEvEUlN3c104HalfEE_EEvS4_RKT_EUlibE0_EEviT1_,"axG",@progbits,_ZN2at6native32elementwise_kernel_manual_unrollILi128ELi4EZNS0_15gpu_kernel_implIZZZNS0_21polygamma_kernel_cudaERNS_18TensorIteratorBaseElENKUlvE_clEvENKUlvE1_clEvEUlN3c104HalfEE_EEvS4_RKT_EUlibE0_EEviT1_,comdat
.Lfunc_end110:
	.size	_ZN2at6native32elementwise_kernel_manual_unrollILi128ELi4EZNS0_15gpu_kernel_implIZZZNS0_21polygamma_kernel_cudaERNS_18TensorIteratorBaseElENKUlvE_clEvENKUlvE1_clEvEUlN3c104HalfEE_EEvS4_RKT_EUlibE0_EEviT1_, .Lfunc_end110-_ZN2at6native32elementwise_kernel_manual_unrollILi128ELi4EZNS0_15gpu_kernel_implIZZZNS0_21polygamma_kernel_cudaERNS_18TensorIteratorBaseElENKUlvE_clEvENKUlvE1_clEvEUlN3c104HalfEE_EEvS4_RKT_EUlibE0_EEviT1_
                                        ; -- End function
	.set _ZN2at6native32elementwise_kernel_manual_unrollILi128ELi4EZNS0_15gpu_kernel_implIZZZNS0_21polygamma_kernel_cudaERNS_18TensorIteratorBaseElENKUlvE_clEvENKUlvE1_clEvEUlN3c104HalfEE_EEvS4_RKT_EUlibE0_EEviT1_.num_vgpr, max(32, .L_ZN2at6native6invokeIZZZNS0_21polygamma_kernel_cudaERNS_18TensorIteratorBaseElENKUlvE_clEvENKUlvE1_clEvEUlN3c104HalfEE_j15function_traitsIS8_EEENT1_11result_typeERKT_PrKPcPKT0_PKNS6_10ScalarTypeEi.num_vgpr)
	.set _ZN2at6native32elementwise_kernel_manual_unrollILi128ELi4EZNS0_15gpu_kernel_implIZZZNS0_21polygamma_kernel_cudaERNS_18TensorIteratorBaseElENKUlvE_clEvENKUlvE1_clEvEUlN3c104HalfEE_EEvS4_RKT_EUlibE0_EEviT1_.num_agpr, max(0, .L_ZN2at6native6invokeIZZZNS0_21polygamma_kernel_cudaERNS_18TensorIteratorBaseElENKUlvE_clEvENKUlvE1_clEvEUlN3c104HalfEE_j15function_traitsIS8_EEENT1_11result_typeERKT_PrKPcPKT0_PKNS6_10ScalarTypeEi.num_agpr)
	.set _ZN2at6native32elementwise_kernel_manual_unrollILi128ELi4EZNS0_15gpu_kernel_implIZZZNS0_21polygamma_kernel_cudaERNS_18TensorIteratorBaseElENKUlvE_clEvENKUlvE1_clEvEUlN3c104HalfEE_EEvS4_RKT_EUlibE0_EEviT1_.numbered_sgpr, max(76, .L_ZN2at6native6invokeIZZZNS0_21polygamma_kernel_cudaERNS_18TensorIteratorBaseElENKUlvE_clEvENKUlvE1_clEvEUlN3c104HalfEE_j15function_traitsIS8_EEENT1_11result_typeERKT_PrKPcPKT0_PKNS6_10ScalarTypeEi.numbered_sgpr)
	.set _ZN2at6native32elementwise_kernel_manual_unrollILi128ELi4EZNS0_15gpu_kernel_implIZZZNS0_21polygamma_kernel_cudaERNS_18TensorIteratorBaseElENKUlvE_clEvENKUlvE1_clEvEUlN3c104HalfEE_EEvS4_RKT_EUlibE0_EEviT1_.num_named_barrier, max(0, .L_ZN2at6native6invokeIZZZNS0_21polygamma_kernel_cudaERNS_18TensorIteratorBaseElENKUlvE_clEvENKUlvE1_clEvEUlN3c104HalfEE_j15function_traitsIS8_EEENT1_11result_typeERKT_PrKPcPKT0_PKNS6_10ScalarTypeEi.num_named_barrier)
	.set _ZN2at6native32elementwise_kernel_manual_unrollILi128ELi4EZNS0_15gpu_kernel_implIZZZNS0_21polygamma_kernel_cudaERNS_18TensorIteratorBaseElENKUlvE_clEvENKUlvE1_clEvEUlN3c104HalfEE_EEvS4_RKT_EUlibE0_EEviT1_.private_seg_size, 0+max(.L_ZN2at6native6invokeIZZZNS0_21polygamma_kernel_cudaERNS_18TensorIteratorBaseElENKUlvE_clEvENKUlvE1_clEvEUlN3c104HalfEE_j15function_traitsIS8_EEENT1_11result_typeERKT_PrKPcPKT0_PKNS6_10ScalarTypeEi.private_seg_size)
	.set _ZN2at6native32elementwise_kernel_manual_unrollILi128ELi4EZNS0_15gpu_kernel_implIZZZNS0_21polygamma_kernel_cudaERNS_18TensorIteratorBaseElENKUlvE_clEvENKUlvE1_clEvEUlN3c104HalfEE_EEvS4_RKT_EUlibE0_EEviT1_.uses_vcc, or(1, .L_ZN2at6native6invokeIZZZNS0_21polygamma_kernel_cudaERNS_18TensorIteratorBaseElENKUlvE_clEvENKUlvE1_clEvEUlN3c104HalfEE_j15function_traitsIS8_EEENT1_11result_typeERKT_PrKPcPKT0_PKNS6_10ScalarTypeEi.uses_vcc)
	.set _ZN2at6native32elementwise_kernel_manual_unrollILi128ELi4EZNS0_15gpu_kernel_implIZZZNS0_21polygamma_kernel_cudaERNS_18TensorIteratorBaseElENKUlvE_clEvENKUlvE1_clEvEUlN3c104HalfEE_EEvS4_RKT_EUlibE0_EEviT1_.uses_flat_scratch, or(0, .L_ZN2at6native6invokeIZZZNS0_21polygamma_kernel_cudaERNS_18TensorIteratorBaseElENKUlvE_clEvENKUlvE1_clEvEUlN3c104HalfEE_j15function_traitsIS8_EEENT1_11result_typeERKT_PrKPcPKT0_PKNS6_10ScalarTypeEi.uses_flat_scratch)
	.set _ZN2at6native32elementwise_kernel_manual_unrollILi128ELi4EZNS0_15gpu_kernel_implIZZZNS0_21polygamma_kernel_cudaERNS_18TensorIteratorBaseElENKUlvE_clEvENKUlvE1_clEvEUlN3c104HalfEE_EEvS4_RKT_EUlibE0_EEviT1_.has_dyn_sized_stack, or(0, .L_ZN2at6native6invokeIZZZNS0_21polygamma_kernel_cudaERNS_18TensorIteratorBaseElENKUlvE_clEvENKUlvE1_clEvEUlN3c104HalfEE_j15function_traitsIS8_EEENT1_11result_typeERKT_PrKPcPKT0_PKNS6_10ScalarTypeEi.has_dyn_sized_stack)
	.set _ZN2at6native32elementwise_kernel_manual_unrollILi128ELi4EZNS0_15gpu_kernel_implIZZZNS0_21polygamma_kernel_cudaERNS_18TensorIteratorBaseElENKUlvE_clEvENKUlvE1_clEvEUlN3c104HalfEE_EEvS4_RKT_EUlibE0_EEviT1_.has_recursion, or(0, .L_ZN2at6native6invokeIZZZNS0_21polygamma_kernel_cudaERNS_18TensorIteratorBaseElENKUlvE_clEvENKUlvE1_clEvEUlN3c104HalfEE_j15function_traitsIS8_EEENT1_11result_typeERKT_PrKPcPKT0_PKNS6_10ScalarTypeEi.has_recursion)
	.set _ZN2at6native32elementwise_kernel_manual_unrollILi128ELi4EZNS0_15gpu_kernel_implIZZZNS0_21polygamma_kernel_cudaERNS_18TensorIteratorBaseElENKUlvE_clEvENKUlvE1_clEvEUlN3c104HalfEE_EEvS4_RKT_EUlibE0_EEviT1_.has_indirect_call, or(0, .L_ZN2at6native6invokeIZZZNS0_21polygamma_kernel_cudaERNS_18TensorIteratorBaseElENKUlvE_clEvENKUlvE1_clEvEUlN3c104HalfEE_j15function_traitsIS8_EEENT1_11result_typeERKT_PrKPcPKT0_PKNS6_10ScalarTypeEi.has_indirect_call)
	.section	.AMDGPU.csdata,"",@progbits
; Kernel info:
; codeLenInByte = 21372
; TotalNumSgprs: 78
; NumVgprs: 32
; ScratchSize: 0
; MemoryBound: 0
; FloatMode: 240
; IeeeMode: 1
; LDSByteSize: 0 bytes/workgroup (compile time only)
; SGPRBlocks: 0
; VGPRBlocks: 3
; NumSGPRsForWavesPerEU: 78
; NumVGPRsForWavesPerEU: 32
; Occupancy: 16
; WaveLimiterHint : 1
; COMPUTE_PGM_RSRC2:SCRATCH_EN: 0
; COMPUTE_PGM_RSRC2:USER_SGPR: 6
; COMPUTE_PGM_RSRC2:TRAP_HANDLER: 0
; COMPUTE_PGM_RSRC2:TGID_X_EN: 1
; COMPUTE_PGM_RSRC2:TGID_Y_EN: 0
; COMPUTE_PGM_RSRC2:TGID_Z_EN: 0
; COMPUTE_PGM_RSRC2:TIDIG_COMP_CNT: 0
	.text
	.p2align	2                               ; -- Begin function _ZN3c104guts5applyIRZZZN2at6native21polygamma_kernel_cudaERNS2_18TensorIteratorBaseElENKUlvE_clEvENKUlvE2_clEvEUlNS_8BFloat16EE_RSt5tupleIJS8_EEEEDaOT_OT0_
	.type	_ZN3c104guts5applyIRZZZN2at6native21polygamma_kernel_cudaERNS2_18TensorIteratorBaseElENKUlvE_clEvENKUlvE2_clEvEUlNS_8BFloat16EE_RSt5tupleIJS8_EEEEDaOT_OT0_,@function
_ZN3c104guts5applyIRZZZN2at6native21polygamma_kernel_cudaERNS2_18TensorIteratorBaseElENKUlvE_clEvENKUlvE2_clEvEUlNS_8BFloat16EE_RSt5tupleIJS8_EEEEDaOT_OT0_: ; @_ZN3c104guts5applyIRZZZN2at6native21polygamma_kernel_cudaERNS2_18TensorIteratorBaseElENKUlvE_clEvENKUlvE2_clEvEUlNS_8BFloat16EE_RSt5tupleIJS8_EEEEDaOT_OT0_
; %bb.0:
	s_waitcnt vmcnt(0) expcnt(0) lgkmcnt(0)
	v_cvt_f32_i32_e32 v1, v0
	s_mov_b32 s5, exec_lo
	v_bfe_u32 v3, v1, 16, 1
	v_add3_u32 v1, v1, v3, 0x7fff
	v_and_b32_e32 v1, 0xffff0000, v1
	v_add_f32_e32 v1, 1.0, v1
	v_bfe_u32 v3, v1, 16, 1
	v_cmp_o_f32_e32 vcc_lo, v1, v1
	v_add3_u32 v3, v1, v3, 0x7fff
	v_and_b32_e32 v3, 0xffff0000, v3
	v_cndmask_b32_e32 v1, 0x7fc00000, v3, vcc_lo
                                        ; implicit-def: $vgpr3
	v_and_b32_e32 v4, 0x7fffffff, v1
	v_cmpx_ngt_f32_e64 0x3c800000, |v1|
	s_xor_b32 s5, exec_lo, s5
	s_cbranch_execz .LBB111_30
; %bb.1:
	s_mov_b32 s6, exec_lo
                                        ; implicit-def: $vgpr3
	v_cmpx_nlt_f32_e64 |v1|, 2.0
	s_xor_b32 s6, exec_lo, s6
	s_cbranch_execz .LBB111_11
; %bb.2:
	v_cmp_ngt_f32_e64 s4, 0x41000000, |v1|
                                        ; implicit-def: $vgpr3
	s_and_saveexec_b32 s7, s4
	s_xor_b32 s4, exec_lo, s7
	s_cbranch_execz .LBB111_8
; %bb.3:
	v_cmp_ngt_f32_e64 s7, 0x5c800000, |v1|
                                        ; implicit-def: $vgpr3
	s_and_saveexec_b32 s8, s7
	s_xor_b32 s7, exec_lo, s8
	s_cbranch_execz .LBB111_5
; %bb.4:
	v_cmp_gt_f32_e64 s8, 0x800000, |v1|
	v_cndmask_b32_e64 v3, 0, 32, s8
	v_ldexp_f32 v3, |v1|, v3
	v_log_f32_e32 v3, v3
	v_mul_f32_e32 v5, 0x3f317217, v3
	v_cmp_gt_f32_e64 vcc_lo, 0x7f800000, |v3|
	v_fma_f32 v6, 0x3f317217, v3, -v5
	v_fmamk_f32 v6, v3, 0x3377d1cf, v6
	v_add_f32_e32 v5, v5, v6
	v_cndmask_b32_e32 v3, v3, v5, vcc_lo
	v_cndmask_b32_e64 v5, 0, 0x41b17218, s8
	v_sub_f32_e32 v3, v3, v5
	v_fma_f32 v3, |v1|, v3, -|v1|
.LBB111_5:
	s_andn2_saveexec_b32 s7, s7
	s_cbranch_execz .LBB111_7
; %bb.6:
	v_cmp_gt_f32_e64 s8, 0x800000, |v1|
	v_rcp_f32_e64 v5, |v1|
	s_mov_b32 s9, 0xbad5c4e8
	v_cndmask_b32_e64 v3, 0, 32, s8
	v_ldexp_f32 v3, |v1|, v3
	v_mul_f32_e32 v6, v5, v5
	v_log_f32_e32 v3, v3
	v_fmaak_f32 v8, s9, v6, 0x3a5b3dd2
	v_fmaak_f32 v8, v6, v8, 0xba1c065c
	v_mul_f32_e32 v7, 0x3f317217, v3
	v_fmaak_f32 v8, v6, v8, 0x3a500cfd
	v_cmp_gt_f32_e64 vcc_lo, 0x7f800000, |v3|
	v_fma_f32 v9, 0x3f317217, v3, -v7
	v_fmaak_f32 v8, v6, v8, 0xbb360b61
	v_fmamk_f32 v9, v3, 0x3377d1cf, v9
	v_fmaak_f32 v6, v6, v8, 0x3daaaaab
	v_add_f32_e32 v7, v7, v9
	v_cndmask_b32_e32 v3, v3, v7, vcc_lo
	v_cndmask_b32_e64 v7, 0, 0x41b17218, s8
	v_sub_f32_e32 v7, v3, v7
	v_fmaak_f32 v3, v5, v6, 0x3ed67f1d
	v_add_f32_e64 v5, |v1|, -0.5
	v_add_f32_e32 v6, -1.0, v7
	v_fmac_f32_e32 v3, v5, v6
.LBB111_7:
	s_or_b32 exec_lo, exec_lo, s7
.LBB111_8:
	s_andn2_saveexec_b32 s7, s4
	s_cbranch_execz .LBB111_10
; %bb.9:
	v_cvt_i32_f32_e32 v3, v4
	s_mov_b32 s4, 0x36f5d7bd
	s_mov_b32 s8, 0x3805ff67
	v_cvt_f32_i32_e32 v5, v3
	v_cmp_lt_i32_e32 vcc_lo, 2, v3
	v_sub_f32_e64 v5, |v1|, v5
	v_add_f32_e32 v6, 2.0, v5
	v_add_f32_e32 v7, 0x40400000, v5
	v_add_f32_e32 v8, 4.0, v5
	v_add_f32_e32 v9, 0x40a00000, v5
	v_cndmask_b32_e32 v6, 1.0, v6, vcc_lo
	v_cmp_lt_i32_e32 vcc_lo, 3, v3
	v_cndmask_b32_e32 v7, 1.0, v7, vcc_lo
	v_cmp_lt_i32_e32 vcc_lo, 4, v3
	v_mul_f32_e32 v6, v6, v7
	v_cndmask_b32_e32 v8, 1.0, v8, vcc_lo
	v_cmp_lt_i32_e32 vcc_lo, 5, v3
	v_add_f32_e32 v7, 0x40c00000, v5
	v_mul_f32_e32 v6, v8, v6
	v_cndmask_b32_e32 v9, 1.0, v9, vcc_lo
	v_cmp_lt_i32_e32 vcc_lo, 6, v3
	v_fmaak_f32 v8, s8, v5, 0x3af135b4
	v_mul_f32_e32 v6, v9, v6
	v_cndmask_b32_e32 v3, 1.0, v7, vcc_lo
	v_mul_f32_e32 v3, v3, v6
	v_fmaak_f32 v6, s4, v5, 0x3a4beed6
	v_cmp_gt_f32_e32 vcc_lo, 0x800000, v3
	v_fmaak_f32 v6, v5, v6, 0x3c98bf54
	v_cndmask_b32_e64 v7, 0, 32, vcc_lo
	v_fmaak_f32 v6, v5, v6, 0x3e300f6e
	v_ldexp_f32 v3, v3, v7
	v_fmaak_f32 v7, v5, v8, 0x3cda40e4
	v_fmaak_f32 v6, v5, v6, 0x3f38d0c5
	v_log_f32_e32 v3, v3
	v_fmaak_f32 v7, v5, v7, 0x3e15dce6
	v_fmaak_f32 v6, v5, v6, 0x3fb22d3b
	;; [unrolled: 1-line block ×3, first 2 shown]
	v_fma_f32 v6, v5, v6, 1.0
	v_mul_f32_e32 v8, 0x3f317217, v3
	v_fmaak_f32 v7, v5, v7, 0x3e5c245a
	v_rcp_f32_e32 v6, v6
	v_cmp_gt_f32_e64 s4, 0x7f800000, |v3|
	v_fma_f32 v9, 0x3f317217, v3, -v8
	v_fmaak_f32 v7, v5, v7, 0xbd9e233f
	v_fmamk_f32 v9, v3, 0x3377d1cf, v9
	v_mul_f32_e32 v7, v5, v7
	v_add_f32_e32 v8, v8, v9
	v_mul_f32_e32 v6, v7, v6
	v_cndmask_b32_e64 v7, 0, 0x41b17218, vcc_lo
	v_cndmask_b32_e64 v3, v3, v8, s4
	v_fmac_f32_e32 v6, 0.5, v5
	v_sub_f32_e32 v3, v3, v7
	v_add_f32_e32 v3, v3, v6
.LBB111_10:
	s_or_b32 exec_lo, exec_lo, s7
.LBB111_11:
	s_andn2_saveexec_b32 s6, s6
	s_cbranch_execz .LBB111_29
; %bb.12:
	s_mov_b32 s7, exec_lo
                                        ; implicit-def: $vgpr3
                                        ; implicit-def: $vgpr6
                                        ; implicit-def: $vgpr5
	v_cmpx_ge_f32_e64 0x3f666666, |v1|
	s_xor_b32 s7, exec_lo, s7
	s_cbranch_execz .LBB111_14
; %bb.13:
	v_cmp_gt_f32_e64 s4, 0x800000, |v1|
	v_sub_f32_e64 v7, 1.0, |v1|
	v_cmp_gt_f32_e64 vcc_lo, 0x3f3b4a23, |v1|
	v_cndmask_b32_e64 v3, 0, 32, s4
	v_cndmask_b32_e64 v8, 0, 0x41b17218, s4
	v_ldexp_f32 v3, |v1|, v3
	v_log_f32_e32 v3, v3
	v_mul_f32_e32 v5, 0x3f317217, v3
	v_cmp_gt_f32_e64 s4, 0x7f800000, |v3|
	v_fma_f32 v6, 0x3f317217, v3, -v5
	v_fmamk_f32 v6, v3, 0x3377d1cf, v6
	v_add_f32_e32 v5, v5, v6
	v_add_f32_e64 v6, 0xbeec5b0c, |v1|
	v_cndmask_b32_e64 v3, v3, v5, s4
	v_cndmask_b32_e32 v5, v7, v6, vcc_lo
	v_cndmask_b32_e64 v6, 0, 1, vcc_lo
	v_cmp_gt_f32_e64 s4, 0x3e6d3309, |v1|
	v_sub_f32_e32 v3, v3, v8
	v_cndmask_b32_e64 v5, v5, |v1|, s4
	v_cndmask_b32_e64 v6, v6, 2, s4
	v_xor_b32_e32 v3, 0x80000000, v3
.LBB111_14:
	s_andn2_saveexec_b32 s4, s7
	s_cbranch_execz .LBB111_16
; %bb.15:
	v_sub_f32_e64 v3, 2.0, |v1|
	v_add_f32_e64 v5, 0xbfbb16c3, |v1|
	v_cmp_gt_f32_e64 vcc_lo, 0x3fdda512, |v1|
	v_add_f32_e64 v6, |v1|, -1.0
	v_cndmask_b32_e32 v5, v3, v5, vcc_lo
	v_cndmask_b32_e64 v3, v3, 1.0, vcc_lo
	v_cmp_gt_f32_e64 vcc_lo, 0x3f9d70a4, |v1|
	v_cvt_i32_f32_e32 v3, v3
	v_cndmask_b32_e32 v5, v5, v6, vcc_lo
	v_cndmask_b32_e64 v6, v3, 2, vcc_lo
	v_mov_b32_e32 v3, 0
.LBB111_16:
	s_or_b32 exec_lo, exec_lo, s4
	s_mov_b32 s4, exec_lo
	v_cmpx_lt_i32_e32 0, v6
	s_xor_b32 s4, exec_lo, s4
	s_cbranch_execz .LBB111_24
; %bb.17:
	s_mov_b32 s7, exec_lo
	v_cmpx_lt_i32_e32 1, v6
	s_xor_b32 s7, exec_lo, s7
	s_cbranch_execz .LBB111_21
; %bb.18:
	s_mov_b32 s8, exec_lo
	v_cmpx_eq_u32_e32 2, v6
	s_cbranch_execz .LBB111_20
; %bb.19:
	s_mov_b32 s9, 0x3b52d5db
	v_fmaak_f32 v6, s9, v5, 0x3dd572af
	s_mov_b32 s9, 0x3c5b3c5e
	v_fmaak_f32 v7, s9, v5, 0x3e6a7578
	v_fmaak_f32 v6, v5, v6, 0x3f44efdf
	;; [unrolled: 1-line block ×7, first 2 shown]
	v_fma_f32 v6, v5, v6, 1.0
	v_fmaak_f32 v7, v5, v7, 0xbd9e233f
	v_rcp_f32_e32 v6, v6
	v_mul_f32_e32 v7, v5, v7
	v_mul_f32_e32 v6, v7, v6
	v_fmac_f32_e32 v6, -0.5, v5
	v_add_f32_e32 v3, v3, v6
.LBB111_20:
	s_or_b32 exec_lo, exec_lo, s8
                                        ; implicit-def: $vgpr5
.LBB111_21:
	s_andn2_saveexec_b32 s7, s7
	s_cbranch_execz .LBB111_23
; %bb.22:
	v_mul_f32_e32 v6, v5, v5
	s_mov_b32 s8, 0xb9a3f927
	s_mov_b32 s9, 0x39afe9f7
	v_mul_f32_e32 v7, v5, v6
	v_fmaak_f32 v8, s8, v7, 0x3a66f867
	v_fmaak_f32 v9, s9, v7, 0xba0d3085
	s_mov_b32 s8, 0x39a57b6b
	v_fmaak_f32 v10, s8, v7, 0xbab7f476
	v_fmaak_f32 v8, v7, v8, 0xbb7177fe
	;; [unrolled: 1-line block ×9, first 2 shown]
	v_fmac_f32_e32 v8, v5, v9
	v_fmaak_f32 v5, v7, v10, 0x3ef7b95e
	v_fma_f32 v7, v7, -v8, 0xa2863e55
	v_fma_f32 v5, v6, v5, -v7
	v_add_f32_e32 v5, 0xbdf8cdce, v5
	v_add_f32_e32 v3, v3, v5
.LBB111_23:
	s_or_b32 exec_lo, exec_lo, s7
                                        ; implicit-def: $vgpr6
                                        ; implicit-def: $vgpr5
.LBB111_24:
	s_andn2_saveexec_b32 s4, s4
	s_cbranch_execz .LBB111_28
; %bb.25:
	s_mov_b32 s7, exec_lo
	v_cmpx_eq_u32_e32 0, v6
	s_cbranch_execz .LBB111_27
; %bb.26:
	v_mul_f32_e32 v6, v5, v5
	s_mov_b32 s8, 0x383c2c75
	v_fmaak_f32 v7, s8, v6, 0x38e28445
	s_mov_b32 s8, 0x37d383a2
	v_fmaak_f32 v8, s8, v6, 0x39679767
	v_fmaak_f32 v7, v6, v7, 0x3a05b634
	;; [unrolled: 1-line block ×9, first 2 shown]
	v_mul_f32_e32 v6, v6, v7
	v_fmac_f32_e32 v6, v5, v8
	v_fmac_f32_e32 v6, -0.5, v5
	v_add_f32_e32 v3, v3, v6
.LBB111_27:
	s_or_b32 exec_lo, exec_lo, s7
.LBB111_28:
	s_or_b32 exec_lo, exec_lo, s4
.LBB111_29:
	s_or_b32 exec_lo, exec_lo, s6
.LBB111_30:
	s_andn2_saveexec_b32 s4, s5
	s_cbranch_execz .LBB111_32
; %bb.31:
	v_cmp_gt_f32_e64 s5, 0x800000, |v1|
	s_mov_b32 s6, 0x3e8a8991
	v_fma_f32 v7, |v1|, s6, 0xbecd26ab
	v_cndmask_b32_e64 v3, 0, 32, s5
	v_ldexp_f32 v3, |v1|, v3
	v_log_f32_e32 v3, v3
	v_mul_f32_e32 v5, 0x3f317217, v3
	v_cmp_gt_f32_e64 vcc_lo, 0x7f800000, |v3|
	v_fma_f32 v6, 0x3f317217, v3, -v5
	v_fmamk_f32 v6, v3, 0x3377d1cf, v6
	v_add_f32_e32 v5, v5, v6
	v_fma_f32 v6, |v1|, v7, 0x3f528d33
	v_cndmask_b32_e32 v3, v3, v5, vcc_lo
	v_cndmask_b32_e64 v5, 0, 0x41b17218, s5
	v_fma_f32 v6, |v1|, v6, 0xbf13c468
	v_sub_f32_e32 v3, v3, v5
	v_fma_f32 v3, |v1|, v6, -v3
.LBB111_32:
	s_or_b32 exec_lo, exec_lo, s4
	v_cmp_le_f32_e64 s4, 0, v1
	s_mov_b32 s5, exec_lo
	v_cmpx_nle_f32_e32 0, v1
	s_xor_b32 s6, exec_lo, s5
	s_cbranch_execz .LBB111_36
; %bb.33:
	v_cmp_gt_f32_e64 s5, 0x4b000000, |v1|
	v_cmp_lt_f32_e64 s7, 0x35000000, |v1|
	s_and_b32 s5, s5, s7
	s_and_saveexec_b32 s7, s5
	s_cbranch_execz .LBB111_35
; %bb.34:
	v_mul_f32_e64 v5, |v1|, 0.5
	v_cmp_gt_f32_e64 s5, |v1|, 1.0
	s_mov_b32 s8, 0x3d4be544
	v_floor_f32_e32 v6, v5
	v_cmp_neq_f32_e32 vcc_lo, 0x7f800000, v5
	v_sub_f32_e32 v6, v5, v6
	v_min_f32_e32 v6, 0x3f7fffff, v6
	v_add_f32_e32 v6, v6, v6
	v_cndmask_b32_e32 v5, 0, v6, vcc_lo
	v_cndmask_b32_e64 v5, |v1|, v5, s5
	s_mov_b32 s5, 0x3e75aa41
	v_add_f32_e32 v6, v5, v5
	v_rndne_f32_e32 v6, v6
	v_fmac_f32_e32 v5, -0.5, v6
	v_cvt_i32_f32_e32 v6, v6
	v_mul_f32_e32 v7, v5, v5
	v_fmaak_f32 v8, s5, v7, 0xbf1f24be
	v_fmaak_f32 v9, s8, v7, 0x3e642e9d
	v_mul_f32_e32 v10, v5, v7
	v_fmaak_f32 v8, v7, v8, 0x40234736
	v_fmaak_f32 v9, v7, v9, 0xbfaad1da
	;; [unrolled: 1-line block ×4, first 2 shown]
	v_mul_f32_e32 v8, v10, v8
	v_fmaak_f32 v9, v7, v9, 0xc09de9e6
	v_and_b32_e32 v10, 1, v6
	v_lshlrev_b32_e32 v6, 30, v6
	v_fmamk_f32 v5, v5, 0x40490fdb, v8
	v_fma_f32 v7, v7, v9, 1.0
	v_cmp_eq_u32_e32 vcc_lo, 0, v10
	v_and_or_b32 v4, 0x80000000, v6, v4
	v_cndmask_b32_e32 v5, v7, v5, vcc_lo
	v_xor3_b32 v4, v4, v5, v1
	v_mul_f32_e32 v4, v1, v4
	v_frexp_mant_f32_e64 v5, |v4|
	v_frexp_exp_i32_f32_e32 v4, v4
	v_rcp_f32_e32 v5, v5
	v_sub_nc_u32_e32 v4, 2, v4
	v_mul_f32_e32 v5, 0x3f490fdb, v5
	v_ldexp_f32 v4, v5, v4
	v_cmp_gt_f32_e32 vcc_lo, 0x800000, v4
	v_cndmask_b32_e64 v5, 0, 32, vcc_lo
	v_ldexp_f32 v4, v4, v5
	v_log_f32_e32 v4, v4
	v_mul_f32_e32 v5, 0x3f317217, v4
	v_cmp_gt_f32_e64 s5, 0x7f800000, |v4|
	v_fma_f32 v6, 0x3f317217, v4, -v5
	v_fmamk_f32 v6, v4, 0x3377d1cf, v6
	v_add_f32_e32 v5, v5, v6
	v_floor_f32_e32 v6, v1
	v_cndmask_b32_e64 v4, v4, v5, s5
	v_cndmask_b32_e64 v5, 0, 0x41b17218, vcc_lo
	v_sub_f32_e32 v6, v1, v6
	v_sub_f32_e32 v4, v4, v5
	v_min_f32_e32 v5, 0x3f7fffff, v6
	v_sub_f32_e32 v3, v4, v3
	v_cmp_neq_f32_e32 vcc_lo, 0, v5
	v_cndmask_b32_e32 v3, 0x7f800000, v3, vcc_lo
.LBB111_35:
	s_or_b32 exec_lo, exec_lo, s7
.LBB111_36:
	s_andn2_saveexec_b32 s6, s6
; %bb.37:
	v_cmp_eq_f32_e32 vcc_lo, 1.0, v1
	v_cmp_eq_f32_e64 s5, 2.0, v1
	s_or_b32 s5, vcc_lo, s5
	v_cndmask_b32_e64 v3, v3, 0, s5
; %bb.38:
	s_or_b32 exec_lo, exec_lo, s6
	v_add_nc_u32_e32 v4, 1, v0
	v_mov_b32_e32 v8, 0x7f800000
	s_mov_b32 s8, exec_lo
	v_cvt_f32_i32_e32 v4, v4
	v_bfe_u32 v5, v4, 16, 1
	v_add3_u32 v4, v4, v5, 0x7fff
	v_and_b32_e32 v4, 0xffff0000, v4
	v_cmpx_neq_f32_e32 1.0, v4
	s_cbranch_execz .LBB111_66
; %bb.39:
	v_mov_b32_e32 v8, 0x7fc00000
	s_mov_b32 s9, exec_lo
	v_cmpx_ngt_f32_e32 1.0, v4
	s_cbranch_execz .LBB111_65
; %bb.40:
	v_lshlrev_b32_e32 v2, 16, v2
	s_mov_b32 s6, 0
	s_mov_b32 s7, -1
	s_mov_b32 s5, exec_lo
                                        ; implicit-def: $vgpr8
	v_cmpx_ge_f32_e32 0, v2
	s_cbranch_execz .LBB111_44
; %bb.41:
	v_floor_f32_e32 v5, v2
	v_mov_b32_e32 v8, 0x7f800000
	s_mov_b32 s7, exec_lo
	v_cmpx_neq_f32_e32 v5, v2
; %bb.42:
	v_floor_f32_e32 v5, v4
	v_mov_b32_e32 v8, 0x7fc00000
	v_cmp_eq_f32_e32 vcc_lo, v5, v4
	s_and_b32 s6, vcc_lo, exec_lo
; %bb.43:
	s_or_b32 exec_lo, exec_lo, s7
	s_orn2_b32 s7, s6, exec_lo
.LBB111_44:
	s_or_b32 exec_lo, exec_lo, s5
	s_and_saveexec_b32 s10, s7
	s_cbranch_execz .LBB111_64
; %bb.45:
	v_xor_b32_e32 v5, 0x80000000, v4
	v_cmp_o_f32_e32 vcc_lo, v4, v4
	s_mov_b32 s11, 0x3e76c4e1
	s_mov_b32 s16, 0
                                        ; implicit-def: $sgpr15
                                        ; implicit-def: $sgpr14
	v_bfe_u32 v6, v5, 16, 1
	v_add3_u32 v5, v5, v6, 0x7fff
	v_and_b32_e32 v5, 0xffff0000, v5
	v_cndmask_b32_e32 v6, 0x7fc00000, v5, vcc_lo
	v_cmp_neq_f32_e32 vcc_lo, 1.0, v2
	v_cndmask_b32_e32 v5, 1.0, v6, vcc_lo
	v_cmp_neq_f32_e32 vcc_lo, 0, v5
	v_cmp_neq_f32_e64 s12, v5, |v5|
	v_cndmask_b32_e32 v9, 1.0, v2, vcc_lo
	v_frexp_mant_f32_e64 v7, |v9|
	v_cmp_lt_f32_e64 s13, |v9|, 1.0
	v_cmp_eq_f32_e64 s7, 0, v9
	v_cmp_gt_f32_e32 vcc_lo, 0x3f2aaaab, v7
	s_xor_b32 s12, s12, s13
                                        ; implicit-def: $sgpr13
	v_cndmask_b32_e64 v8, 1.0, 2.0, vcc_lo
	v_mul_f32_e32 v7, v7, v8
	v_add_f32_e32 v8, 1.0, v7
	v_add_f32_e32 v11, -1.0, v7
	v_rcp_f32_e32 v10, v8
	v_add_f32_e32 v13, -1.0, v8
	v_sub_f32_e32 v7, v7, v13
	v_mul_f32_e32 v12, v11, v10
	v_mul_f32_e32 v14, v8, v12
	v_fma_f32 v8, v12, v8, -v14
	v_fmac_f32_e32 v8, v12, v7
	v_add_f32_e32 v7, v14, v8
	v_sub_f32_e32 v13, v11, v7
	v_sub_f32_e32 v14, v7, v14
	;; [unrolled: 1-line block ×5, first 2 shown]
	v_add_f32_e32 v7, v8, v7
	v_add_f32_e32 v7, v13, v7
	v_mul_f32_e32 v7, v10, v7
	v_add_f32_e32 v10, v12, v7
	v_sub_f32_e32 v8, v10, v12
	v_mul_f32_e32 v11, v10, v10
	v_sub_f32_e32 v12, v7, v8
	v_fma_f32 v7, v10, v10, -v11
	v_add_f32_e32 v8, v12, v12
	v_fmac_f32_e32 v7, v10, v8
	v_add_f32_e32 v13, v11, v7
	v_fmaak_f32 v8, s11, v13, 0x3e91f4c4
	v_sub_f32_e32 v11, v13, v11
	v_mul_f32_e32 v18, v10, v13
	v_fmaak_f32 v8, v13, v8, 0x3ecccdef
	v_sub_f32_e32 v11, v7, v11
	v_fma_f32 v19, v13, v10, -v18
	v_mul_f32_e32 v14, v13, v8
	v_fmac_f32_e32 v19, v13, v12
	v_ldexp_f32 v12, v12, 1
	v_fma_f32 v15, v13, v8, -v14
	v_fmac_f32_e32 v19, v11, v10
	v_fmac_f32_e32 v15, v11, v8
	v_cvt_f64_f32_e64 v[7:8], |v9|
	v_add_f32_e32 v16, v14, v15
	v_sub_f32_e32 v14, v16, v14
	v_add_f32_e32 v17, 0x3f2aaaaa, v16
	v_sub_f32_e32 v14, v15, v14
	v_add_f32_e32 v15, 0xbf2aaaaa, v17
	v_add_f32_e32 v14, 0x31739010, v14
	v_sub_f32_e32 v15, v16, v15
	v_frexp_exp_i32_f64_e32 v7, v[7:8]
	v_add_f32_e32 v13, v14, v15
	v_add_f32_e32 v14, v18, v19
	;; [unrolled: 1-line block ×3, first 2 shown]
	v_sub_f32_e32 v16, v14, v18
	v_sub_f32_e32 v8, v17, v11
	v_mul_f32_e32 v15, v14, v11
	v_sub_f32_e32 v16, v19, v16
	v_add_f32_e32 v8, v13, v8
	v_fma_f32 v13, v14, v11, -v15
	v_subrev_co_ci_u32_e64 v7, null, 0, v7, vcc_lo
	v_fmac_f32_e32 v13, v14, v8
	v_ldexp_f32 v8, v10, 1
	v_cvt_f32_i32_e32 v7, v7
	v_fmac_f32_e32 v13, v16, v11
	v_add_f32_e32 v10, v15, v13
	v_add_f32_e32 v11, v8, v10
	v_sub_f32_e32 v14, v10, v15
	v_mul_f32_e32 v15, 0x3f317218, v7
	v_sub_f32_e32 v8, v11, v8
	v_sub_f32_e32 v13, v13, v14
	v_fma_f32 v14, 0x3f317218, v7, -v15
	v_sub_f32_e32 v8, v10, v8
	v_add_f32_e32 v10, v12, v13
	v_fmac_f32_e32 v14, 0xb102e308, v7
	v_add_f32_e32 v7, v10, v8
	v_add_f32_e32 v8, v15, v14
	;; [unrolled: 1-line block ×3, first 2 shown]
	v_sub_f32_e32 v15, v8, v15
	v_add_f32_e32 v12, v8, v10
	v_sub_f32_e32 v11, v10, v11
	v_sub_f32_e32 v14, v14, v15
	;; [unrolled: 1-line block ×6, first 2 shown]
	v_add_f32_e32 v11, v14, v7
	v_sub_f32_e32 v8, v8, v16
	v_add_f32_e32 v8, v10, v8
	v_sub_f32_e32 v10, v11, v14
	;; [unrolled: 2-line block ×3, first 2 shown]
	v_sub_f32_e32 v7, v7, v10
	v_add_f32_e32 v13, v12, v8
	v_sub_f32_e32 v10, v14, v11
	v_sub_f32_e32 v11, v13, v12
	v_add_f32_e32 v7, v7, v10
	v_sub_f32_e32 v8, v8, v11
	v_add_f32_e32 v7, v7, v8
	v_add_f32_e32 v8, v13, v7
	v_sub_f32_e32 v10, v8, v13
	v_mul_f32_e32 v11, v5, v8
	v_sub_f32_e32 v7, v7, v10
	v_fma_f32 v8, v5, v8, -v11
	v_cmp_class_f32_e64 vcc_lo, v11, 0x204
	v_fmac_f32_e32 v8, v5, v7
	v_add_f32_e32 v7, v11, v8
	v_cndmask_b32_e32 v10, v7, v11, vcc_lo
	v_sub_f32_e32 v7, v7, v11
	v_cmp_eq_f32_e32 vcc_lo, 0x42b17218, v10
	v_sub_f32_e32 v7, v8, v7
	v_cndmask_b32_e64 v12, 0, 0x37000000, vcc_lo
	v_cmp_neq_f32_e64 vcc_lo, 0x7f800000, |v10|
	v_sub_f32_e32 v13, v10, v12
	v_cndmask_b32_e32 v7, 0, v7, vcc_lo
	v_trunc_f32_e32 v10, v5
	v_mul_f32_e32 v14, 0x3fb8aa3b, v13
	v_cmp_ngt_f32_e32 vcc_lo, 0xc2ce8ed0, v13
	v_add_f32_e32 v7, v12, v7
	v_fma_f32 v15, 0x3fb8aa3b, v13, -v14
	v_rndne_f32_e32 v16, v14
	v_fmac_f32_e32 v15, 0x32a5705f, v13
	v_sub_f32_e32 v14, v14, v16
	v_cvt_i32_f32_e32 v11, v16
	v_add_f32_e32 v14, v14, v15
	v_exp_f32_e32 v14, v14
	v_ldexp_f32 v8, v14, v11
	v_mul_f32_e32 v11, 0.5, v5
	v_cndmask_b32_e32 v8, 0, v8, vcc_lo
	v_cmp_nlt_f32_e32 vcc_lo, 0x42b17218, v13
	v_trunc_f32_e32 v14, v11
	v_cndmask_b32_e32 v8, 0x7f800000, v8, vcc_lo
	v_cmp_eq_f32_e32 vcc_lo, v10, v5
	v_cmp_neq_f32_e64 s5, v14, v11
	v_fma_f32 v7, v8, v7, v8
	v_cmp_class_f32_e64 s6, v8, 0x204
	s_and_b32 s5, vcc_lo, s5
	v_cndmask_b32_e64 v10, 1.0, v9, s5
	v_cndmask_b32_e64 v7, v7, v8, s6
	v_cndmask_b32_e64 v8, 0x7f800000, 0, s12
	v_cmp_gt_f32_e64 s6, 0, v5
	s_mov_b32 s12, 0
	v_bfi_b32 v7, 0x7fffffff, v7, v10
	s_xor_b32 s6, s6, s7
	v_cndmask_b32_e64 v11, 0x7f800000, 0, s6
	v_cndmask_b32_e32 v10, 0x7fc00000, v7, vcc_lo
	v_cmp_neq_f32_e64 vcc_lo, |v9|, 1.0
	v_cndmask_b32_e32 v8, 1.0, v8, vcc_lo
	v_cmp_gt_f32_e32 vcc_lo, 0, v9
	v_cndmask_b32_e32 v7, v7, v10, vcc_lo
	v_cndmask_b32_e64 v10, 0, v9, s5
	v_cmp_class_f32_e64 vcc_lo, v5, 0x204
	v_cmp_class_f32_e64 s5, v9, 0x204
	v_cndmask_b32_e32 v7, v7, v8, vcc_lo
	v_bfi_b32 v8, 0x7fffffff, v11, v10
	s_or_b32 vcc_lo, s7, s5
	v_cndmask_b32_e32 v7, v7, v8, vcc_lo
	v_cmp_o_f32_e32 vcc_lo, v9, v5
	v_cndmask_b32_e32 v5, 0x7fc00000, v7, vcc_lo
	s_branch .LBB111_47
.LBB111_46:                             ;   in Loop: Header=BB111_47 Depth=1
	s_or_b32 exec_lo, exec_lo, s5
	s_and_b32 s5, exec_lo, s15
	s_or_b32 s12, s5, s12
	s_andn2_b32 s5, s13, exec_lo
	s_and_b32 s6, s14, exec_lo
	s_or_b32 s13, s5, s6
	s_andn2_b32 exec_lo, exec_lo, s12
	s_cbranch_execz .LBB111_49
.LBB111_47:                             ; =>This Inner Loop Header: Depth=1
	v_add_f32_e32 v2, 1.0, v2
	s_or_b32 s14, s14, exec_lo
	s_or_b32 s15, s15, exec_lo
	v_cmp_neq_f32_e32 vcc_lo, 1.0, v2
	v_cndmask_b32_e32 v9, 1.0, v6, vcc_lo
	v_cmp_neq_f32_e32 vcc_lo, 0, v9
	v_cmp_neq_f32_e64 s17, v9, |v9|
	v_cndmask_b32_e32 v10, 1.0, v2, vcc_lo
	v_frexp_mant_f32_e64 v7, |v10|
	v_cmp_lt_f32_e64 s18, |v10|, 1.0
	v_cmp_eq_f32_e64 s7, 0, v10
	v_cmp_gt_f32_e32 vcc_lo, 0x3f2aaaab, v7
	s_xor_b32 s17, s17, s18
	v_cndmask_b32_e64 v8, 1.0, 2.0, vcc_lo
	v_mul_f32_e32 v7, v7, v8
	v_add_f32_e32 v8, 1.0, v7
	v_add_f32_e32 v12, -1.0, v7
	v_rcp_f32_e32 v11, v8
	v_add_f32_e32 v14, -1.0, v8
	v_sub_f32_e32 v7, v7, v14
	v_mul_f32_e32 v13, v12, v11
	v_mul_f32_e32 v15, v8, v13
	v_fma_f32 v8, v13, v8, -v15
	v_fmac_f32_e32 v8, v13, v7
	v_add_f32_e32 v7, v15, v8
	v_sub_f32_e32 v14, v12, v7
	v_sub_f32_e32 v15, v7, v15
	;; [unrolled: 1-line block ×5, first 2 shown]
	v_add_f32_e32 v7, v8, v7
	v_add_f32_e32 v7, v14, v7
	v_mul_f32_e32 v7, v11, v7
	v_add_f32_e32 v11, v13, v7
	v_sub_f32_e32 v8, v11, v13
	v_mul_f32_e32 v12, v11, v11
	v_sub_f32_e32 v13, v7, v8
	v_fma_f32 v7, v11, v11, -v12
	v_add_f32_e32 v8, v13, v13
	v_fmac_f32_e32 v7, v11, v8
	v_add_f32_e32 v14, v12, v7
	v_fmaak_f32 v8, s11, v14, 0x3e91f4c4
	v_sub_f32_e32 v12, v14, v12
	v_mul_f32_e32 v19, v11, v14
	v_fmaak_f32 v8, v14, v8, 0x3ecccdef
	v_sub_f32_e32 v12, v7, v12
	v_fma_f32 v20, v14, v11, -v19
	v_mul_f32_e32 v15, v14, v8
	v_fmac_f32_e32 v20, v14, v13
	v_ldexp_f32 v13, v13, 1
	v_fma_f32 v16, v14, v8, -v15
	v_fmac_f32_e32 v20, v12, v11
	v_fmac_f32_e32 v16, v12, v8
	v_cvt_f64_f32_e64 v[7:8], |v10|
	v_add_f32_e32 v17, v15, v16
	v_sub_f32_e32 v15, v17, v15
	v_add_f32_e32 v18, 0x3f2aaaaa, v17
	v_sub_f32_e32 v15, v16, v15
	v_add_f32_e32 v16, 0xbf2aaaaa, v18
	v_add_f32_e32 v15, 0x31739010, v15
	v_sub_f32_e32 v16, v17, v16
	v_frexp_exp_i32_f64_e32 v7, v[7:8]
	v_add_f32_e32 v14, v15, v16
	v_add_f32_e32 v15, v19, v20
	v_add_f32_e32 v12, v18, v14
	v_sub_f32_e32 v17, v15, v19
	v_sub_f32_e32 v8, v18, v12
	v_mul_f32_e32 v16, v15, v12
	v_sub_f32_e32 v17, v20, v17
	v_add_f32_e32 v8, v14, v8
	v_fma_f32 v14, v15, v12, -v16
	v_subrev_co_ci_u32_e64 v7, null, 0, v7, vcc_lo
	v_fmac_f32_e32 v14, v15, v8
	v_ldexp_f32 v8, v11, 1
	v_cvt_f32_i32_e32 v7, v7
	v_fmac_f32_e32 v14, v17, v12
	v_add_f32_e32 v11, v16, v14
	v_add_f32_e32 v12, v8, v11
	v_sub_f32_e32 v15, v11, v16
	v_mul_f32_e32 v16, 0x3f317218, v7
	v_sub_f32_e32 v8, v12, v8
	v_sub_f32_e32 v14, v14, v15
	v_fma_f32 v15, 0x3f317218, v7, -v16
	v_sub_f32_e32 v8, v11, v8
	v_add_f32_e32 v11, v13, v14
	v_fmac_f32_e32 v15, 0xb102e308, v7
	v_add_f32_e32 v7, v11, v8
	v_add_f32_e32 v8, v16, v15
	;; [unrolled: 1-line block ×3, first 2 shown]
	v_sub_f32_e32 v16, v8, v16
	v_add_f32_e32 v13, v8, v11
	v_sub_f32_e32 v12, v11, v12
	v_sub_f32_e32 v15, v15, v16
	;; [unrolled: 1-line block ×6, first 2 shown]
	v_add_f32_e32 v12, v15, v7
	v_sub_f32_e32 v8, v8, v17
	v_add_f32_e32 v8, v11, v8
	v_sub_f32_e32 v11, v12, v15
	;; [unrolled: 2-line block ×3, first 2 shown]
	v_sub_f32_e32 v7, v7, v11
	v_add_f32_e32 v14, v13, v8
	v_sub_f32_e32 v11, v15, v12
	v_sub_f32_e32 v12, v14, v13
	v_add_f32_e32 v7, v7, v11
	v_sub_f32_e32 v8, v8, v12
	v_add_f32_e32 v7, v7, v8
	v_add_f32_e32 v8, v14, v7
	v_sub_f32_e32 v11, v8, v14
	v_mul_f32_e32 v12, v9, v8
	v_sub_f32_e32 v7, v7, v11
	v_fma_f32 v8, v9, v8, -v12
	v_cmp_class_f32_e64 vcc_lo, v12, 0x204
	v_fmac_f32_e32 v8, v9, v7
	v_add_f32_e32 v7, v12, v8
	v_cndmask_b32_e32 v11, v7, v12, vcc_lo
	v_sub_f32_e32 v7, v7, v12
	v_cmp_eq_f32_e32 vcc_lo, 0x42b17218, v11
	v_sub_f32_e32 v7, v8, v7
	v_cndmask_b32_e64 v13, 0, 0x37000000, vcc_lo
	v_cmp_neq_f32_e64 vcc_lo, 0x7f800000, |v11|
	v_sub_f32_e32 v14, v11, v13
	v_cndmask_b32_e32 v7, 0, v7, vcc_lo
	v_trunc_f32_e32 v11, v9
	v_mul_f32_e32 v15, 0x3fb8aa3b, v14
	v_cmp_ngt_f32_e32 vcc_lo, 0xc2ce8ed0, v14
	v_add_f32_e32 v7, v13, v7
	v_fma_f32 v16, 0x3fb8aa3b, v14, -v15
	v_rndne_f32_e32 v17, v15
	v_fmac_f32_e32 v16, 0x32a5705f, v14
	v_sub_f32_e32 v15, v15, v17
	v_cvt_i32_f32_e32 v12, v17
	v_add_f32_e32 v15, v15, v16
	v_exp_f32_e32 v15, v15
	v_ldexp_f32 v8, v15, v12
	v_mul_f32_e32 v12, 0.5, v9
	v_cndmask_b32_e32 v8, 0, v8, vcc_lo
	v_cmp_nlt_f32_e32 vcc_lo, 0x42b17218, v14
	v_trunc_f32_e32 v15, v12
	v_cndmask_b32_e32 v8, 0x7f800000, v8, vcc_lo
	v_cmp_eq_f32_e32 vcc_lo, v11, v9
	v_cmp_neq_f32_e64 s5, v15, v12
	v_fma_f32 v7, v8, v7, v8
	v_cmp_class_f32_e64 s6, v8, 0x204
	s_and_b32 s5, vcc_lo, s5
	v_cndmask_b32_e64 v11, 1.0, v10, s5
	v_cndmask_b32_e64 v13, 0, v10, s5
	v_cndmask_b32_e64 v7, v7, v8, s6
	;; [unrolled: 1-line block ×3, first 2 shown]
	v_cmp_gt_f32_e64 s6, 0, v9
	v_cmp_class_f32_e64 s5, v10, 0x204
	v_bfi_b32 v7, 0x7fffffff, v7, v11
	s_xor_b32 s6, s6, s7
	v_cndmask_b32_e64 v11, 0x7f800000, 0, s6
	v_cndmask_b32_e32 v12, 0x7fc00000, v7, vcc_lo
	v_cmp_neq_f32_e64 vcc_lo, |v10|, 1.0
	v_bfi_b32 v11, 0x7fffffff, v11, v13
	v_cndmask_b32_e32 v8, 1.0, v8, vcc_lo
	v_cmp_gt_f32_e32 vcc_lo, 0, v10
	v_cndmask_b32_e32 v7, v7, v12, vcc_lo
	v_cmp_class_f32_e64 vcc_lo, v9, 0x204
	v_cndmask_b32_e32 v7, v7, v8, vcc_lo
	s_or_b32 vcc_lo, s7, s5
	v_cndmask_b32_e32 v7, v7, v11, vcc_lo
	v_cmp_o_f32_e32 vcc_lo, v10, v9
	v_cndmask_b32_e32 v7, 0x7fc00000, v7, vcc_lo
	v_add_f32_e32 v5, v5, v7
	v_mul_f32_e32 v8, 0xa5000000, v5
	v_mul_f32_e32 v9, 0x25000000, v5
	v_cmp_nlt_f32_e32 vcc_lo, v8, v7
	v_cmp_nlt_f32_e64 s5, v7, v9
	s_or_b32 s6, vcc_lo, s5
	s_and_saveexec_b32 s5, s6
	s_cbranch_execz .LBB111_46
; %bb.48:                               ;   in Loop: Header=BB111_47 Depth=1
	s_add_i32 s6, s16, 1
	v_cmp_nge_f32_e32 vcc_lo, 0x41100000, v2
	s_cmp_gt_u32 s16, 7
	s_mov_b32 s16, s6
	s_cselect_b32 s7, -1, 0
	s_andn2_b32 s15, s15, exec_lo
	s_and_b32 s7, s7, vcc_lo
	s_andn2_b32 s14, s14, exec_lo
	s_and_b32 s7, s7, exec_lo
	s_or_b32 s15, s15, s7
	s_branch .LBB111_46
.LBB111_49:
	s_or_b32 exec_lo, exec_lo, s12
	s_xor_b32 s5, s13, -1
                                        ; implicit-def: $vgpr8
	s_and_saveexec_b32 s6, s5
	s_xor_b32 s5, exec_lo, s6
	s_cbranch_execz .LBB111_61
; %bb.50:
	v_mul_f32_e32 v6, v2, v7
	v_add_f32_e32 v8, -1.0, v4
	s_mov_b64 s[6:7], 0
	s_mov_b32 s11, 0
                                        ; implicit-def: $sgpr12
                                        ; implicit-def: $sgpr13
                                        ; implicit-def: $sgpr14
	v_div_scale_f32 v9, null, v8, v8, v6
	v_div_scale_f32 v12, vcc_lo, v6, v8, v6
	v_rcp_f32_e32 v10, v9
	v_fma_f32 v11, -v9, v10, 1.0
	v_fmac_f32_e32 v10, v11, v10
	v_mul_f32_e32 v11, v12, v10
	v_fma_f32 v13, -v9, v11, v12
	v_fmac_f32_e32 v11, v13, v10
	v_fma_f32 v9, -v9, v11, v12
	v_div_fmas_f32 v9, v9, v10, v11
	v_div_fixup_f32 v6, v9, v8, v6
	v_mov_b32_e32 v9, 1.0
	v_mov_b32_e32 v8, 0
	v_add_f32_e32 v6, v5, v6
	v_fmac_f32_e32 v6, -0.5, v7
	s_branch .LBB111_53
.LBB111_51:                             ;   in Loop: Header=BB111_53 Depth=1
	s_or_b32 exec_lo, exec_lo, s16
	s_andn2_b32 s14, s14, exec_lo
	s_and_b32 s16, s18, exec_lo
	s_andn2_b32 s13, s13, exec_lo
	s_and_b32 s17, s17, exec_lo
	s_or_b32 s14, s14, s16
	s_or_b32 s13, s13, s17
.LBB111_52:                             ;   in Loop: Header=BB111_53 Depth=1
	s_or_b32 exec_lo, exec_lo, s15
	s_and_b32 s15, exec_lo, s13
	s_or_b32 s11, s15, s11
	s_andn2_b32 s12, s12, exec_lo
	s_and_b32 s15, s14, exec_lo
	s_or_b32 s12, s12, s15
	s_andn2_b32 exec_lo, exec_lo, s11
	s_cbranch_execz .LBB111_56
.LBB111_53:                             ; =>This Inner Loop Header: Depth=1
	v_div_scale_f32 v10, null, v2, v2, v7
	v_div_scale_f32 v13, vcc_lo, v7, v2, v7
	s_getpc_b64 s[16:17]
	s_add_u32 s16, s16, _ZZ4zetaIN3c108BFloat16ELb1EET_S2_S2_E1A@rel32@lo+4
	s_addc_u32 s17, s17, _ZZ4zetaIN3c108BFloat16ELb1EET_S2_S2_E1A@rel32@hi+12
	v_rcp_f32_e32 v11, v10
	s_add_u32 s16, s16, s6
	s_addc_u32 s17, s17, s7
	s_or_b32 s14, s14, exec_lo
	s_load_dword s15, s[16:17], 0x0
	s_or_b32 s13, s13, exec_lo
	v_fma_f32 v12, -v10, v11, 1.0
	v_fmac_f32_e32 v11, v12, v11
	v_mul_f32_e32 v12, v13, v11
	v_fma_f32 v14, -v10, v12, v13
	v_fmac_f32_e32 v12, v14, v11
	v_fma_f32 v10, -v10, v12, v13
	v_add_f32_e32 v13, v8, v4
	v_div_fmas_f32 v11, v10, v11, v12
	v_mul_f32_e32 v10, v9, v13
	v_div_fixup_f32 v11, v11, v2, v7
	v_mul_f32_e32 v7, v11, v10
	s_waitcnt lgkmcnt(0)
	v_div_scale_f32 v9, null, s15, s15, v7
	v_div_scale_f32 v14, vcc_lo, v7, s15, v7
	v_rcp_f32_e32 v12, v9
	v_fma_f32 v13, -v9, v12, 1.0
	v_fmac_f32_e32 v12, v13, v12
	v_mul_f32_e32 v13, v14, v12
	v_fma_f32 v15, -v9, v13, v14
	v_fmac_f32_e32 v13, v15, v12
	v_fma_f32 v9, -v9, v13, v14
	v_div_fmas_f32 v9, v9, v12, v13
	v_div_fixup_f32 v7, v9, s15, v7
	v_add_f32_e32 v6, v6, v7
	v_div_scale_f32 v9, null, v6, v6, v7
	v_rcp_f32_e32 v12, v9
	v_fma_f32 v13, -v9, v12, 1.0
	v_fmac_f32_e32 v12, v13, v12
	v_div_scale_f32 v13, vcc_lo, v7, v6, v7
	v_mul_f32_e32 v14, v13, v12
	v_fma_f32 v15, -v9, v14, v13
	v_fmac_f32_e32 v14, v15, v12
	v_fma_f32 v9, -v9, v14, v13
	v_div_fmas_f32 v9, v9, v12, v14
	v_div_fixup_f32 v7, v9, v6, v7
                                        ; implicit-def: $vgpr9
	v_cmp_ngt_f32_e64 s16, 0x25000000, |v7|
                                        ; implicit-def: $vgpr7
	s_and_saveexec_b32 s15, s16
	s_cbranch_execz .LBB111_52
; %bb.54:                               ;   in Loop: Header=BB111_53 Depth=1
	v_div_scale_f32 v7, null, v2, v2, v11
	v_div_scale_f32 v13, vcc_lo, v11, v2, v11
	v_add_f32_e32 v8, 1.0, v8
	v_rcp_f32_e32 v9, v7
	s_getpc_b64 s[16:17]
	s_add_u32 s16, s16, _ZZ4zetaIN3c108BFloat16ELb1EET_S2_S2_E1A@rel32@lo+8
	s_addc_u32 s17, s17, _ZZ4zetaIN3c108BFloat16ELb1EET_S2_S2_E1A@rel32@hi+16
	s_add_u32 s16, s16, s6
	s_addc_u32 s17, s17, s7
	v_add_f32_e32 v16, v8, v4
	s_load_dword s16, s[16:17], 0x0
	s_mov_b32 s17, -1
	s_mov_b32 s18, -1
	v_fma_f32 v12, -v7, v9, 1.0
	v_fmac_f32_e32 v9, v12, v9
	v_mul_f32_e32 v12, v13, v9
	v_fma_f32 v14, -v7, v12, v13
	v_fmac_f32_e32 v12, v14, v9
	v_fma_f32 v7, -v7, v12, v13
	v_div_fmas_f32 v7, v7, v9, v12
	v_div_fixup_f32 v7, v7, v2, v11
	v_div_scale_f32 v9, null, v2, v2, v7
	v_div_scale_f32 v13, vcc_lo, v7, v2, v7
	v_rcp_f32_e32 v11, v9
	v_fma_f32 v12, -v9, v11, 1.0
	v_fmac_f32_e32 v11, v12, v11
	v_add_f32_e32 v12, 1.0, v8
	v_mul_f32_e32 v14, v13, v11
	v_fma_f32 v15, -v9, v14, v13
	v_fmac_f32_e32 v14, v15, v11
	v_fma_f32 v8, -v9, v14, v13
	v_mul_f32_e32 v9, v16, v10
	v_add_f32_e32 v10, v12, v4
	v_div_fmas_f32 v8, v8, v11, v14
	v_mul_f32_e32 v10, v9, v10
	v_div_fixup_f32 v11, v8, v2, v7
	v_mul_f32_e32 v7, v11, v10
	s_waitcnt lgkmcnt(0)
	v_div_scale_f32 v8, null, s16, s16, v7
	v_div_scale_f32 v14, vcc_lo, v7, s16, v7
	v_rcp_f32_e32 v9, v8
	v_fma_f32 v13, -v8, v9, 1.0
	v_fmac_f32_e32 v9, v13, v9
	v_mul_f32_e32 v13, v14, v9
	v_fma_f32 v15, -v8, v13, v14
	v_fmac_f32_e32 v13, v15, v9
	v_fma_f32 v8, -v8, v13, v14
	v_div_fmas_f32 v8, v8, v9, v13
	v_div_fixup_f32 v7, v8, s16, v7
	v_add_f32_e32 v6, v6, v7
	v_div_scale_f32 v8, null, v6, v6, v7
	v_rcp_f32_e32 v9, v8
	v_fma_f32 v13, -v8, v9, 1.0
	v_fmac_f32_e32 v9, v13, v9
	v_div_scale_f32 v13, vcc_lo, v7, v6, v7
	v_mul_f32_e32 v14, v13, v9
	v_fma_f32 v15, -v8, v14, v13
	v_fmac_f32_e32 v14, v15, v9
	v_fma_f32 v8, -v8, v14, v13
	v_div_fmas_f32 v8, v8, v9, v14
                                        ; implicit-def: $vgpr9
	v_div_fixup_f32 v7, v8, v6, v7
                                        ; implicit-def: $vgpr8
	v_cmp_ngt_f32_e64 s19, 0x25000000, |v7|
                                        ; implicit-def: $vgpr7
	s_and_saveexec_b32 s16, s19
	s_cbranch_execz .LBB111_51
; %bb.55:                               ;   in Loop: Header=BB111_53 Depth=1
	v_div_scale_f32 v7, null, v2, v2, v11
	v_div_scale_f32 v13, vcc_lo, v11, v2, v11
	v_add_f32_e32 v12, 1.0, v12
	v_rcp_f32_e32 v8, v7
	s_add_u32 s6, s6, 8
	s_addc_u32 s7, s7, 0
	s_cmp_eq_u32 s6, 48
	s_cselect_b32 s17, -1, 0
	s_xor_b32 s18, exec_lo, -1
	s_orn2_b32 s17, s17, exec_lo
	v_fma_f32 v9, -v7, v8, 1.0
	v_fmac_f32_e32 v8, v9, v8
	v_mul_f32_e32 v9, v13, v8
	v_fma_f32 v14, -v7, v9, v13
	v_fmac_f32_e32 v9, v14, v8
	v_fma_f32 v7, -v7, v9, v13
	v_add_f32_e32 v13, v12, v4
	v_div_fmas_f32 v7, v7, v8, v9
	v_mul_f32_e32 v9, v13, v10
	v_add_f32_e32 v8, 1.0, v12
	v_div_fixup_f32 v7, v7, v2, v11
	s_branch .LBB111_51
.LBB111_56:
	s_or_b32 exec_lo, exec_lo, s11
	s_xor_b32 s6, s12, -1
                                        ; implicit-def: $vgpr8
	s_and_saveexec_b32 s7, s6
	s_xor_b32 s6, exec_lo, s7
; %bb.57:
	v_bfe_u32 v2, v6, 16, 1
	v_cmp_o_f32_e32 vcc_lo, v6, v6
	v_add3_u32 v2, v6, v2, 0x7fff
	v_and_b32_e32 v2, 0xffff0000, v2
	v_cndmask_b32_e32 v8, 0x7fc00000, v2, vcc_lo
; %bb.58:
	s_andn2_saveexec_b32 s6, s6
; %bb.59:
	v_bfe_u32 v2, v6, 16, 1
	v_cmp_o_f32_e32 vcc_lo, v6, v6
	v_add3_u32 v2, v6, v2, 0x7fff
	v_and_b32_e32 v2, 0xffff0000, v2
	v_cndmask_b32_e32 v8, 0x7fc00000, v2, vcc_lo
; %bb.60:
	s_or_b32 exec_lo, exec_lo, s6
.LBB111_61:
	s_andn2_saveexec_b32 s5, s5
; %bb.62:
	v_bfe_u32 v2, v5, 16, 1
	v_cmp_o_f32_e32 vcc_lo, v5, v5
	v_add3_u32 v2, v5, v2, 0x7fff
	v_and_b32_e32 v2, 0xffff0000, v2
	v_cndmask_b32_e32 v8, 0x7fc00000, v2, vcc_lo
; %bb.63:
	s_or_b32 exec_lo, exec_lo, s5
.LBB111_64:
	s_or_b32 exec_lo, exec_lo, s10
.LBB111_65:
	s_or_b32 exec_lo, exec_lo, s9
.LBB111_66:
	s_or_b32 exec_lo, exec_lo, s8
	v_cmp_gt_f32_e64 s5, 0x4b000000, |v1|
	v_and_b32_e32 v0, 1, v0
	s_or_b32 vcc_lo, s4, s5
	v_cmp_class_f32_e64 s4, v1, 0x264
	v_cndmask_b32_e32 v2, 0x7f800000, v3, vcc_lo
	v_cmp_u_f32_e32 vcc_lo, v1, v1
	v_cndmask_b32_e64 v2, v2, 0x7f800000, s4
	v_cndmask_b32_e32 v1, v2, v1, vcc_lo
	v_mul_f32_e32 v2, 0x3fb8aa3b, v1
	v_cmp_ngt_f32_e32 vcc_lo, 0xc2ce8ed0, v1
	v_fma_f32 v3, 0x3fb8aa3b, v1, -v2
	v_rndne_f32_e32 v4, v2
	v_fmamk_f32 v3, v1, 0x32a5705f, v3
	v_sub_f32_e32 v2, v2, v4
	v_add_f32_e32 v2, v2, v3
	v_cvt_i32_f32_e32 v3, v4
	v_exp_f32_e32 v2, v2
	v_ldexp_f32 v2, v2, v3
	v_cndmask_b32_e32 v2, 0, v2, vcc_lo
	v_cmp_eq_u32_e32 vcc_lo, 0, v0
	v_cndmask_b32_e64 v0, 1.0, -1.0, vcc_lo
	v_cmp_nlt_f32_e32 vcc_lo, 0x42b17218, v1
	v_cndmask_b32_e32 v1, 0x7f800000, v2, vcc_lo
	v_mul_f32_e32 v0, v1, v0
	v_mul_f32_e32 v0, v0, v8
	v_bfe_u32 v1, v0, 16, 1
	v_cmp_o_f32_e32 vcc_lo, v0, v0
	v_add3_u32 v0, v0, v1, 0x7fff
	v_mov_b32_e32 v1, 0x7fc0
	v_cndmask_b32_sdwa v0, v1, v0, vcc_lo dst_sel:DWORD dst_unused:UNUSED_PAD src0_sel:DWORD src1_sel:WORD_1
	s_setpc_b64 s[30:31]
.Lfunc_end111:
	.size	_ZN3c104guts5applyIRZZZN2at6native21polygamma_kernel_cudaERNS2_18TensorIteratorBaseElENKUlvE_clEvENKUlvE2_clEvEUlNS_8BFloat16EE_RSt5tupleIJS8_EEEEDaOT_OT0_, .Lfunc_end111-_ZN3c104guts5applyIRZZZN2at6native21polygamma_kernel_cudaERNS2_18TensorIteratorBaseElENKUlvE_clEvENKUlvE2_clEvEUlNS_8BFloat16EE_RSt5tupleIJS8_EEEEDaOT_OT0_
                                        ; -- End function
	.set .L_ZN3c104guts5applyIRZZZN2at6native21polygamma_kernel_cudaERNS2_18TensorIteratorBaseElENKUlvE_clEvENKUlvE2_clEvEUlNS_8BFloat16EE_RSt5tupleIJS8_EEEEDaOT_OT0_.num_vgpr, 21
	.set .L_ZN3c104guts5applyIRZZZN2at6native21polygamma_kernel_cudaERNS2_18TensorIteratorBaseElENKUlvE_clEvENKUlvE2_clEvEUlNS_8BFloat16EE_RSt5tupleIJS8_EEEEDaOT_OT0_.num_agpr, 0
	.set .L_ZN3c104guts5applyIRZZZN2at6native21polygamma_kernel_cudaERNS2_18TensorIteratorBaseElENKUlvE_clEvENKUlvE2_clEvEUlNS_8BFloat16EE_RSt5tupleIJS8_EEEEDaOT_OT0_.numbered_sgpr, 32
	.set .L_ZN3c104guts5applyIRZZZN2at6native21polygamma_kernel_cudaERNS2_18TensorIteratorBaseElENKUlvE_clEvENKUlvE2_clEvEUlNS_8BFloat16EE_RSt5tupleIJS8_EEEEDaOT_OT0_.num_named_barrier, 0
	.set .L_ZN3c104guts5applyIRZZZN2at6native21polygamma_kernel_cudaERNS2_18TensorIteratorBaseElENKUlvE_clEvENKUlvE2_clEvEUlNS_8BFloat16EE_RSt5tupleIJS8_EEEEDaOT_OT0_.private_seg_size, 0
	.set .L_ZN3c104guts5applyIRZZZN2at6native21polygamma_kernel_cudaERNS2_18TensorIteratorBaseElENKUlvE_clEvENKUlvE2_clEvEUlNS_8BFloat16EE_RSt5tupleIJS8_EEEEDaOT_OT0_.uses_vcc, 1
	.set .L_ZN3c104guts5applyIRZZZN2at6native21polygamma_kernel_cudaERNS2_18TensorIteratorBaseElENKUlvE_clEvENKUlvE2_clEvEUlNS_8BFloat16EE_RSt5tupleIJS8_EEEEDaOT_OT0_.uses_flat_scratch, 0
	.set .L_ZN3c104guts5applyIRZZZN2at6native21polygamma_kernel_cudaERNS2_18TensorIteratorBaseElENKUlvE_clEvENKUlvE2_clEvEUlNS_8BFloat16EE_RSt5tupleIJS8_EEEEDaOT_OT0_.has_dyn_sized_stack, 0
	.set .L_ZN3c104guts5applyIRZZZN2at6native21polygamma_kernel_cudaERNS2_18TensorIteratorBaseElENKUlvE_clEvENKUlvE2_clEvEUlNS_8BFloat16EE_RSt5tupleIJS8_EEEEDaOT_OT0_.has_recursion, 0
	.set .L_ZN3c104guts5applyIRZZZN2at6native21polygamma_kernel_cudaERNS2_18TensorIteratorBaseElENKUlvE_clEvENKUlvE2_clEvEUlNS_8BFloat16EE_RSt5tupleIJS8_EEEEDaOT_OT0_.has_indirect_call, 0
	.section	.AMDGPU.csdata,"",@progbits
; Function info:
; codeLenInByte = 5808
; TotalNumSgprs: 34
; NumVgprs: 21
; ScratchSize: 0
; MemoryBound: 0
	.section	.text._ZN2at6native29vectorized_elementwise_kernelILi16EZZZNS0_21polygamma_kernel_cudaERNS_18TensorIteratorBaseElENKUlvE_clEvENKUlvE2_clEvEUlN3c108BFloat16EE_St5arrayIPcLm2EEEEviT0_T1_,"axG",@progbits,_ZN2at6native29vectorized_elementwise_kernelILi16EZZZNS0_21polygamma_kernel_cudaERNS_18TensorIteratorBaseElENKUlvE_clEvENKUlvE2_clEvEUlN3c108BFloat16EE_St5arrayIPcLm2EEEEviT0_T1_,comdat
	.globl	_ZN2at6native29vectorized_elementwise_kernelILi16EZZZNS0_21polygamma_kernel_cudaERNS_18TensorIteratorBaseElENKUlvE_clEvENKUlvE2_clEvEUlN3c108BFloat16EE_St5arrayIPcLm2EEEEviT0_T1_ ; -- Begin function _ZN2at6native29vectorized_elementwise_kernelILi16EZZZNS0_21polygamma_kernel_cudaERNS_18TensorIteratorBaseElENKUlvE_clEvENKUlvE2_clEvEUlN3c108BFloat16EE_St5arrayIPcLm2EEEEviT0_T1_
	.p2align	8
	.type	_ZN2at6native29vectorized_elementwise_kernelILi16EZZZNS0_21polygamma_kernel_cudaERNS_18TensorIteratorBaseElENKUlvE_clEvENKUlvE2_clEvEUlN3c108BFloat16EE_St5arrayIPcLm2EEEEviT0_T1_,@function
_ZN2at6native29vectorized_elementwise_kernelILi16EZZZNS0_21polygamma_kernel_cudaERNS_18TensorIteratorBaseElENKUlvE_clEvENKUlvE2_clEvEUlN3c108BFloat16EE_St5arrayIPcLm2EEEEviT0_T1_: ; @_ZN2at6native29vectorized_elementwise_kernelILi16EZZZNS0_21polygamma_kernel_cudaERNS_18TensorIteratorBaseElENKUlvE_clEvENKUlvE2_clEvEUlN3c108BFloat16EE_St5arrayIPcLm2EEEEviT0_T1_
; %bb.0:
	s_add_u32 s0, s0, s7
	s_clause 0x2
	s_load_dword s7, s[4:5], 0x0
	s_load_dwordx4 s[24:27], s[4:5], 0x8
	s_load_dwordx2 s[28:29], s[4:5], 0x18
	s_addc_u32 s1, s1, 0
	s_lshl_b32 s22, s6, 11
	v_mov_b32_e32 v21, v0
	s_mov_b32 s4, -1
	s_mov_b32 s32, 0
	s_waitcnt lgkmcnt(0)
	s_sub_i32 s21, s7, s22
	s_cmpk_gt_i32 s21, 0x7ff
	s_cbranch_scc0 .LBB112_2
; %bb.1:
	s_ashr_i32 s23, s22, 31
	v_lshlrev_b32_e32 v30, 4, v21
	s_lshl_b64 s[34:35], s[22:23], 1
	v_mov_b32_e32 v0, s24
	s_add_u32 s4, s28, s34
	s_addc_u32 s5, s29, s35
	v_mov_b32_e32 v1, s25
	global_load_dwordx4 v[22:25], v30, s[4:5]
	s_getpc_b64 s[36:37]
	s_add_u32 s36, s36, _ZN3c104guts5applyIRZZZN2at6native21polygamma_kernel_cudaERNS2_18TensorIteratorBaseElENKUlvE_clEvENKUlvE2_clEvEUlNS_8BFloat16EE_RSt5tupleIJS8_EEEEDaOT_OT0_@rel32@lo+4
	s_addc_u32 s37, s37, _ZN3c104guts5applyIRZZZN2at6native21polygamma_kernel_cudaERNS2_18TensorIteratorBaseElENKUlvE_clEvENKUlvE2_clEvEUlNS_8BFloat16EE_RSt5tupleIJS8_EEEEDaOT_OT0_@rel32@hi+12
	s_waitcnt vmcnt(0)
	v_mov_b32_e32 v2, v22
	v_lshrrev_b32_e32 v26, 16, v22
	v_lshrrev_b32_e32 v27, 16, v23
	;; [unrolled: 1-line block ×4, first 2 shown]
	s_swappc_b64 s[30:31], s[36:37]
	v_mov_b32_e32 v22, v0
	v_mov_b32_e32 v0, s24
	v_mov_b32_e32 v1, s25
	v_mov_b32_e32 v2, v26
	s_swappc_b64 s[30:31], s[36:37]
	v_mov_b32_e32 v26, v0
	v_mov_b32_e32 v0, s24
	v_mov_b32_e32 v1, s25
	v_mov_b32_e32 v2, v23
	;; [unrolled: 5-line block ×7, first 2 shown]
	s_swappc_b64 s[30:31], s[36:37]
	v_perm_b32 v1, v26, v22, 0x5040100
	v_perm_b32 v2, v27, v23, 0x5040100
	;; [unrolled: 1-line block ×4, first 2 shown]
	s_add_u32 s6, s26, s34
	s_addc_u32 s7, s27, s35
	s_mov_b32 s4, 0
	global_store_dwordx4 v30, v[1:4], s[6:7]
.LBB112_2:
	s_andn2_b32 vcc_lo, exec_lo, s4
	s_cbranch_vccnz .LBB112_41
; %bb.3:
	v_cmp_gt_i32_e64 s20, s21, v21
	v_mov_b32_e32 v22, 0
	v_or_b32_e32 v31, s22, v21
	v_or_b32_e32 v33, 0x100, v21
	v_mov_b32_e32 v2, 0
	v_mov_b32_e32 v0, v21
	s_and_saveexec_b32 s4, s20
	s_cbranch_execz .LBB112_5
; %bb.4:
	v_mov_b32_e32 v32, 0
	v_lshlrev_b64 v[0:1], 1, v[31:32]
	v_add_co_u32 v0, vcc_lo, s28, v0
	v_add_co_ci_u32_e64 v1, null, s29, v1, vcc_lo
	global_load_ushort v2, v[0:1], off
	v_or_b32_e32 v0, 0x100, v21
.LBB112_5:
	s_or_b32 exec_lo, exec_lo, s4
	s_mov_b32 s4, exec_lo
	v_cmpx_gt_i32_e64 s21, v0
	s_cbranch_execz .LBB112_7
; %bb.6:
	v_add_nc_u32_e32 v3, s22, v0
	v_mov_b32_e32 v4, 0
	v_add_nc_u32_e32 v0, 0x100, v0
	v_lshlrev_b64 v[3:4], 1, v[3:4]
	v_add_co_u32 v3, vcc_lo, s28, v3
	v_add_co_ci_u32_e64 v4, null, s29, v4, vcc_lo
	global_load_ushort v22, v[3:4], off
.LBB112_7:
	s_or_b32 exec_lo, exec_lo, s4
	v_mov_b32_e32 v23, 0
	v_mov_b32_e32 v26, 0
	s_mov_b32 s4, exec_lo
	v_cmpx_gt_i32_e64 s21, v0
	s_cbranch_execz .LBB112_9
; %bb.8:
	v_add_nc_u32_e32 v3, s22, v0
	v_mov_b32_e32 v4, 0
	v_add_nc_u32_e32 v0, 0x100, v0
	v_lshlrev_b64 v[3:4], 1, v[3:4]
	v_add_co_u32 v3, vcc_lo, s28, v3
	v_add_co_ci_u32_e64 v4, null, s29, v4, vcc_lo
	global_load_ushort v26, v[3:4], off
.LBB112_9:
	s_or_b32 exec_lo, exec_lo, s4
	s_mov_b32 s4, exec_lo
	v_cmpx_gt_i32_e64 s21, v0
	s_cbranch_execz .LBB112_11
; %bb.10:
	v_add_nc_u32_e32 v3, s22, v0
	v_mov_b32_e32 v4, 0
	v_add_nc_u32_e32 v0, 0x100, v0
	v_lshlrev_b64 v[3:4], 1, v[3:4]
	v_add_co_u32 v3, vcc_lo, s28, v3
	v_add_co_ci_u32_e64 v4, null, s29, v4, vcc_lo
	global_load_ushort v23, v[3:4], off
.LBB112_11:
	s_or_b32 exec_lo, exec_lo, s4
	v_mov_b32_e32 v24, 0
	v_mov_b32_e32 v28, 0
	s_mov_b32 s4, exec_lo
	v_cmpx_gt_i32_e64 s21, v0
	s_cbranch_execz .LBB112_13
; %bb.12:
	v_add_nc_u32_e32 v3, s22, v0
	v_mov_b32_e32 v4, 0
	v_add_nc_u32_e32 v0, 0x100, v0
	v_lshlrev_b64 v[3:4], 1, v[3:4]
	v_add_co_u32 v3, vcc_lo, s28, v3
	v_add_co_ci_u32_e64 v4, null, s29, v4, vcc_lo
	global_load_ushort v28, v[3:4], off
.LBB112_13:
	s_or_b32 exec_lo, exec_lo, s4
	s_mov_b32 s4, exec_lo
	v_cmpx_gt_i32_e64 s21, v0
	s_cbranch_execz .LBB112_15
; %bb.14:
	v_add_nc_u32_e32 v3, s22, v0
	v_mov_b32_e32 v4, 0
	v_add_nc_u32_e32 v0, 0x100, v0
	v_lshlrev_b64 v[3:4], 1, v[3:4]
	v_add_co_u32 v3, vcc_lo, s28, v3
	v_add_co_ci_u32_e64 v4, null, s29, v4, vcc_lo
	global_load_ushort v24, v[3:4], off
.LBB112_15:
	s_or_b32 exec_lo, exec_lo, s4
	v_mov_b32_e32 v25, 0
	v_mov_b32_e32 v30, 0
	s_mov_b32 s4, exec_lo
	v_cmpx_gt_i32_e64 s21, v0
	s_cbranch_execz .LBB112_42
; %bb.16:
	v_add_nc_u32_e32 v3, s22, v0
	v_mov_b32_e32 v4, 0
	v_add_nc_u32_e32 v0, 0x100, v0
	v_lshlrev_b64 v[3:4], 1, v[3:4]
	v_add_co_u32 v3, vcc_lo, s28, v3
	v_add_co_ci_u32_e64 v4, null, s29, v4, vcc_lo
	global_load_ushort v30, v[3:4], off
	s_or_b32 exec_lo, exec_lo, s4
	s_mov_b32 s4, exec_lo
	v_cmpx_gt_i32_e64 s21, v0
	s_cbranch_execnz .LBB112_43
.LBB112_17:
	s_or_b32 exec_lo, exec_lo, s4
                                        ; implicit-def: $vgpr27
	s_and_saveexec_b32 s23, s20
	s_cbranch_execz .LBB112_19
.LBB112_18:
	v_mov_b32_e32 v0, s24
	v_mov_b32_e32 v1, s25
	s_getpc_b64 s[4:5]
	s_add_u32 s4, s4, _ZN3c104guts5applyIRZZZN2at6native21polygamma_kernel_cudaERNS2_18TensorIteratorBaseElENKUlvE_clEvENKUlvE2_clEvEUlNS_8BFloat16EE_RSt5tupleIJS8_EEEEDaOT_OT0_@rel32@lo+4
	s_addc_u32 s5, s5, _ZN3c104guts5applyIRZZZN2at6native21polygamma_kernel_cudaERNS2_18TensorIteratorBaseElENKUlvE_clEvENKUlvE2_clEvEUlNS_8BFloat16EE_RSt5tupleIJS8_EEEEDaOT_OT0_@rel32@hi+12
	s_swappc_b64 s[30:31], s[4:5]
	v_mov_b32_e32 v27, v0
.LBB112_19:
	s_or_b32 exec_lo, exec_lo, s23
	s_mov_b32 s23, exec_lo
                                        ; implicit-def: $vgpr29
	v_cmpx_gt_i32_e64 s21, v33
	s_cbranch_execz .LBB112_21
; %bb.20:
	v_mov_b32_e32 v0, s24
	v_mov_b32_e32 v1, s25
	s_waitcnt vmcnt(0)
	v_mov_b32_e32 v2, v22
	s_getpc_b64 s[4:5]
	s_add_u32 s4, s4, _ZN3c104guts5applyIRZZZN2at6native21polygamma_kernel_cudaERNS2_18TensorIteratorBaseElENKUlvE_clEvENKUlvE2_clEvEUlNS_8BFloat16EE_RSt5tupleIJS8_EEEEDaOT_OT0_@rel32@lo+4
	s_addc_u32 s5, s5, _ZN3c104guts5applyIRZZZN2at6native21polygamma_kernel_cudaERNS2_18TensorIteratorBaseElENKUlvE_clEvENKUlvE2_clEvEUlNS_8BFloat16EE_RSt5tupleIJS8_EEEEDaOT_OT0_@rel32@hi+12
	s_swappc_b64 s[30:31], s[4:5]
	v_mov_b32_e32 v29, v0
.LBB112_21:
	s_or_b32 exec_lo, exec_lo, s23
	v_or_b32_e32 v0, 0x200, v21
	s_mov_b32 s23, exec_lo
                                        ; implicit-def: $vgpr22
	v_cmpx_gt_i32_e64 s21, v0
	s_cbranch_execz .LBB112_23
; %bb.22:
	v_mov_b32_e32 v0, s24
	v_mov_b32_e32 v1, s25
	s_waitcnt vmcnt(0)
	v_mov_b32_e32 v2, v26
	s_getpc_b64 s[4:5]
	s_add_u32 s4, s4, _ZN3c104guts5applyIRZZZN2at6native21polygamma_kernel_cudaERNS2_18TensorIteratorBaseElENKUlvE_clEvENKUlvE2_clEvEUlNS_8BFloat16EE_RSt5tupleIJS8_EEEEDaOT_OT0_@rel32@lo+4
	s_addc_u32 s5, s5, _ZN3c104guts5applyIRZZZN2at6native21polygamma_kernel_cudaERNS2_18TensorIteratorBaseElENKUlvE_clEvENKUlvE2_clEvEUlNS_8BFloat16EE_RSt5tupleIJS8_EEEEDaOT_OT0_@rel32@hi+12
	s_swappc_b64 s[30:31], s[4:5]
	v_mov_b32_e32 v22, v0
.LBB112_23:
	s_or_b32 exec_lo, exec_lo, s23
	v_or_b32_e32 v0, 0x300, v21
	s_mov_b32 s23, exec_lo
                                        ; implicit-def: $vgpr26
	v_cmpx_gt_i32_e64 s21, v0
	s_cbranch_execz .LBB112_25
; %bb.24:
	v_mov_b32_e32 v0, s24
	v_mov_b32_e32 v1, s25
	s_waitcnt vmcnt(0)
	v_mov_b32_e32 v2, v23
	s_getpc_b64 s[4:5]
	s_add_u32 s4, s4, _ZN3c104guts5applyIRZZZN2at6native21polygamma_kernel_cudaERNS2_18TensorIteratorBaseElENKUlvE_clEvENKUlvE2_clEvEUlNS_8BFloat16EE_RSt5tupleIJS8_EEEEDaOT_OT0_@rel32@lo+4
	s_addc_u32 s5, s5, _ZN3c104guts5applyIRZZZN2at6native21polygamma_kernel_cudaERNS2_18TensorIteratorBaseElENKUlvE_clEvENKUlvE2_clEvEUlNS_8BFloat16EE_RSt5tupleIJS8_EEEEDaOT_OT0_@rel32@hi+12
	s_swappc_b64 s[30:31], s[4:5]
	v_mov_b32_e32 v26, v0
.LBB112_25:
	s_or_b32 exec_lo, exec_lo, s23
	v_or_b32_e32 v0, 0x400, v21
	s_mov_b32 s23, exec_lo
                                        ; implicit-def: $vgpr23
	v_cmpx_gt_i32_e64 s21, v0
	s_cbranch_execz .LBB112_27
; %bb.26:
	v_mov_b32_e32 v0, s24
	v_mov_b32_e32 v1, s25
	s_waitcnt vmcnt(0)
	v_mov_b32_e32 v2, v28
	s_getpc_b64 s[4:5]
	s_add_u32 s4, s4, _ZN3c104guts5applyIRZZZN2at6native21polygamma_kernel_cudaERNS2_18TensorIteratorBaseElENKUlvE_clEvENKUlvE2_clEvEUlNS_8BFloat16EE_RSt5tupleIJS8_EEEEDaOT_OT0_@rel32@lo+4
	s_addc_u32 s5, s5, _ZN3c104guts5applyIRZZZN2at6native21polygamma_kernel_cudaERNS2_18TensorIteratorBaseElENKUlvE_clEvENKUlvE2_clEvEUlNS_8BFloat16EE_RSt5tupleIJS8_EEEEDaOT_OT0_@rel32@hi+12
	s_swappc_b64 s[30:31], s[4:5]
	v_mov_b32_e32 v23, v0
.LBB112_27:
	s_or_b32 exec_lo, exec_lo, s23
	v_or_b32_e32 v0, 0x500, v21
	s_mov_b32 s23, exec_lo
                                        ; implicit-def: $vgpr28
	v_cmpx_gt_i32_e64 s21, v0
	s_cbranch_execz .LBB112_29
; %bb.28:
	v_mov_b32_e32 v0, s24
	v_mov_b32_e32 v1, s25
	s_waitcnt vmcnt(0)
	v_mov_b32_e32 v2, v24
	s_getpc_b64 s[4:5]
	s_add_u32 s4, s4, _ZN3c104guts5applyIRZZZN2at6native21polygamma_kernel_cudaERNS2_18TensorIteratorBaseElENKUlvE_clEvENKUlvE2_clEvEUlNS_8BFloat16EE_RSt5tupleIJS8_EEEEDaOT_OT0_@rel32@lo+4
	s_addc_u32 s5, s5, _ZN3c104guts5applyIRZZZN2at6native21polygamma_kernel_cudaERNS2_18TensorIteratorBaseElENKUlvE_clEvENKUlvE2_clEvEUlNS_8BFloat16EE_RSt5tupleIJS8_EEEEDaOT_OT0_@rel32@hi+12
	s_swappc_b64 s[30:31], s[4:5]
	v_mov_b32_e32 v28, v0
.LBB112_29:
	s_or_b32 exec_lo, exec_lo, s23
	v_or_b32_e32 v0, 0x600, v21
	s_mov_b32 s23, exec_lo
                                        ; implicit-def: $vgpr24
	v_cmpx_gt_i32_e64 s21, v0
	s_cbranch_execz .LBB112_31
; %bb.30:
	v_mov_b32_e32 v0, s24
	v_mov_b32_e32 v1, s25
	s_waitcnt vmcnt(0)
	v_mov_b32_e32 v2, v30
	s_getpc_b64 s[4:5]
	s_add_u32 s4, s4, _ZN3c104guts5applyIRZZZN2at6native21polygamma_kernel_cudaERNS2_18TensorIteratorBaseElENKUlvE_clEvENKUlvE2_clEvEUlNS_8BFloat16EE_RSt5tupleIJS8_EEEEDaOT_OT0_@rel32@lo+4
	s_addc_u32 s5, s5, _ZN3c104guts5applyIRZZZN2at6native21polygamma_kernel_cudaERNS2_18TensorIteratorBaseElENKUlvE_clEvENKUlvE2_clEvEUlNS_8BFloat16EE_RSt5tupleIJS8_EEEEDaOT_OT0_@rel32@hi+12
	s_swappc_b64 s[30:31], s[4:5]
	v_mov_b32_e32 v24, v0
.LBB112_31:
	s_or_b32 exec_lo, exec_lo, s23
	v_or_b32_e32 v0, 0x700, v21
	v_cmp_gt_i32_e32 vcc_lo, s21, v0
                                        ; implicit-def: $vgpr0
	s_and_saveexec_b32 s23, vcc_lo
	s_cbranch_execz .LBB112_44
; %bb.32:
	v_mov_b32_e32 v0, s24
	v_mov_b32_e32 v1, s25
	s_waitcnt vmcnt(0)
	v_mov_b32_e32 v2, v25
	s_getpc_b64 s[4:5]
	s_add_u32 s4, s4, _ZN3c104guts5applyIRZZZN2at6native21polygamma_kernel_cudaERNS2_18TensorIteratorBaseElENKUlvE_clEvENKUlvE2_clEvEUlNS_8BFloat16EE_RSt5tupleIJS8_EEEEDaOT_OT0_@rel32@lo+4
	s_addc_u32 s5, s5, _ZN3c104guts5applyIRZZZN2at6native21polygamma_kernel_cudaERNS2_18TensorIteratorBaseElENKUlvE_clEvENKUlvE2_clEvEUlNS_8BFloat16EE_RSt5tupleIJS8_EEEEDaOT_OT0_@rel32@hi+12
	s_swappc_b64 s[30:31], s[4:5]
	s_or_b32 exec_lo, exec_lo, s23
	s_and_saveexec_b32 s4, s20
	s_xor_b32 s4, exec_lo, s4
	s_cbranch_execnz .LBB112_45
.LBB112_33:
	s_or_b32 exec_lo, exec_lo, s4
	s_mov_b32 s4, exec_lo
	v_cmpx_gt_i32_e64 s21, v21
	s_cbranch_execz .LBB112_46
.LBB112_34:
	v_add_nc_u32_e32 v1, s22, v21
	s_waitcnt vmcnt(0)
	v_mov_b32_e32 v2, 0
	v_add_nc_u32_e32 v21, 0x100, v21
	v_lshlrev_b64 v[1:2], 1, v[1:2]
	v_add_co_u32 v1, vcc_lo, s26, v1
	v_add_co_ci_u32_e64 v2, null, s27, v2, vcc_lo
	global_store_short v[1:2], v29, off
	s_or_b32 exec_lo, exec_lo, s4
	s_mov_b32 s4, exec_lo
	v_cmpx_gt_i32_e64 s21, v21
	s_cbranch_execnz .LBB112_47
.LBB112_35:
	s_or_b32 exec_lo, exec_lo, s4
	s_mov_b32 s4, exec_lo
	v_cmpx_gt_i32_e64 s21, v21
	s_cbranch_execz .LBB112_48
.LBB112_36:
	v_add_nc_u32_e32 v1, s22, v21
	s_waitcnt vmcnt(0)
	v_mov_b32_e32 v2, 0
	v_add_nc_u32_e32 v21, 0x100, v21
	v_lshlrev_b64 v[1:2], 1, v[1:2]
	v_add_co_u32 v1, vcc_lo, s26, v1
	v_add_co_ci_u32_e64 v2, null, s27, v2, vcc_lo
	global_store_short v[1:2], v26, off
	s_or_b32 exec_lo, exec_lo, s4
	s_mov_b32 s4, exec_lo
	v_cmpx_gt_i32_e64 s21, v21
	s_cbranch_execnz .LBB112_49
.LBB112_37:
	s_or_b32 exec_lo, exec_lo, s4
	s_mov_b32 s4, exec_lo
	v_cmpx_gt_i32_e64 s21, v21
	s_cbranch_execz .LBB112_50
.LBB112_38:
	v_add_nc_u32_e32 v1, s22, v21
	s_waitcnt vmcnt(0)
	v_mov_b32_e32 v2, 0
	v_add_nc_u32_e32 v21, 0x100, v21
	v_lshlrev_b64 v[1:2], 1, v[1:2]
	v_add_co_u32 v1, vcc_lo, s26, v1
	v_add_co_ci_u32_e64 v2, null, s27, v2, vcc_lo
	global_store_short v[1:2], v28, off
	s_or_b32 exec_lo, exec_lo, s4
	s_mov_b32 s4, exec_lo
	v_cmpx_gt_i32_e64 s21, v21
	s_cbranch_execnz .LBB112_51
.LBB112_39:
	s_or_b32 exec_lo, exec_lo, s4
	s_mov_b32 s4, exec_lo
	v_cmpx_gt_i32_e64 s21, v21
	s_cbranch_execz .LBB112_41
.LBB112_40:
	v_add_nc_u32_e32 v1, s22, v21
	s_waitcnt vmcnt(0)
	v_mov_b32_e32 v2, 0
	v_lshlrev_b64 v[1:2], 1, v[1:2]
	v_add_co_u32 v1, vcc_lo, s26, v1
	v_add_co_ci_u32_e64 v2, null, s27, v2, vcc_lo
	global_store_short v[1:2], v0, off
.LBB112_41:
	s_endpgm
.LBB112_42:
	s_or_b32 exec_lo, exec_lo, s4
	s_mov_b32 s4, exec_lo
	v_cmpx_gt_i32_e64 s21, v0
	s_cbranch_execz .LBB112_17
.LBB112_43:
	v_add_nc_u32_e32 v0, s22, v0
	v_mov_b32_e32 v1, 0
	v_lshlrev_b64 v[0:1], 1, v[0:1]
	v_add_co_u32 v0, vcc_lo, s28, v0
	v_add_co_ci_u32_e64 v1, null, s29, v1, vcc_lo
	global_load_ushort v25, v[0:1], off
	s_or_b32 exec_lo, exec_lo, s4
                                        ; implicit-def: $vgpr27
	s_and_saveexec_b32 s23, s20
	s_cbranch_execz .LBB112_19
	s_branch .LBB112_18
.LBB112_44:
	s_or_b32 exec_lo, exec_lo, s23
	s_and_saveexec_b32 s4, s20
	s_xor_b32 s4, exec_lo, s4
	s_cbranch_execz .LBB112_33
.LBB112_45:
	v_mov_b32_e32 v32, 0
	v_mov_b32_e32 v21, v33
	s_waitcnt vmcnt(0)
	v_lshlrev_b64 v[1:2], 1, v[31:32]
	v_add_co_u32 v1, vcc_lo, s26, v1
	v_add_co_ci_u32_e64 v2, null, s27, v2, vcc_lo
	global_store_short v[1:2], v27, off
	s_or_b32 exec_lo, exec_lo, s4
	s_mov_b32 s4, exec_lo
	v_cmpx_gt_i32_e64 s21, v21
	s_cbranch_execnz .LBB112_34
.LBB112_46:
	s_or_b32 exec_lo, exec_lo, s4
	s_mov_b32 s4, exec_lo
	v_cmpx_gt_i32_e64 s21, v21
	s_cbranch_execz .LBB112_35
.LBB112_47:
	v_add_nc_u32_e32 v1, s22, v21
	s_waitcnt vmcnt(0)
	v_mov_b32_e32 v2, 0
	v_add_nc_u32_e32 v21, 0x100, v21
	v_lshlrev_b64 v[1:2], 1, v[1:2]
	v_add_co_u32 v1, vcc_lo, s26, v1
	v_add_co_ci_u32_e64 v2, null, s27, v2, vcc_lo
	global_store_short v[1:2], v22, off
	s_or_b32 exec_lo, exec_lo, s4
	s_mov_b32 s4, exec_lo
	v_cmpx_gt_i32_e64 s21, v21
	s_cbranch_execnz .LBB112_36
.LBB112_48:
	s_or_b32 exec_lo, exec_lo, s4
	s_mov_b32 s4, exec_lo
	v_cmpx_gt_i32_e64 s21, v21
	s_cbranch_execz .LBB112_37
.LBB112_49:
	v_add_nc_u32_e32 v1, s22, v21
	s_waitcnt vmcnt(0)
	v_mov_b32_e32 v2, 0
	v_add_nc_u32_e32 v21, 0x100, v21
	v_lshlrev_b64 v[1:2], 1, v[1:2]
	v_add_co_u32 v1, vcc_lo, s26, v1
	v_add_co_ci_u32_e64 v2, null, s27, v2, vcc_lo
	global_store_short v[1:2], v23, off
	s_or_b32 exec_lo, exec_lo, s4
	s_mov_b32 s4, exec_lo
	v_cmpx_gt_i32_e64 s21, v21
	s_cbranch_execnz .LBB112_38
.LBB112_50:
	s_or_b32 exec_lo, exec_lo, s4
	s_mov_b32 s4, exec_lo
	v_cmpx_gt_i32_e64 s21, v21
	s_cbranch_execz .LBB112_39
.LBB112_51:
	v_add_nc_u32_e32 v1, s22, v21
	s_waitcnt vmcnt(0)
	v_mov_b32_e32 v2, 0
	v_add_nc_u32_e32 v21, 0x100, v21
	v_lshlrev_b64 v[1:2], 1, v[1:2]
	v_add_co_u32 v1, vcc_lo, s26, v1
	v_add_co_ci_u32_e64 v2, null, s27, v2, vcc_lo
	global_store_short v[1:2], v24, off
	s_or_b32 exec_lo, exec_lo, s4
	s_mov_b32 s4, exec_lo
	v_cmpx_gt_i32_e64 s21, v21
	s_cbranch_execnz .LBB112_40
	s_branch .LBB112_41
	.section	.rodata,"a",@progbits
	.p2align	6, 0x0
	.amdhsa_kernel _ZN2at6native29vectorized_elementwise_kernelILi16EZZZNS0_21polygamma_kernel_cudaERNS_18TensorIteratorBaseElENKUlvE_clEvENKUlvE2_clEvEUlN3c108BFloat16EE_St5arrayIPcLm2EEEEviT0_T1_
		.amdhsa_group_segment_fixed_size 0
		.amdhsa_private_segment_fixed_size 0
		.amdhsa_kernarg_size 32
		.amdhsa_user_sgpr_count 6
		.amdhsa_user_sgpr_private_segment_buffer 1
		.amdhsa_user_sgpr_dispatch_ptr 0
		.amdhsa_user_sgpr_queue_ptr 0
		.amdhsa_user_sgpr_kernarg_segment_ptr 1
		.amdhsa_user_sgpr_dispatch_id 0
		.amdhsa_user_sgpr_flat_scratch_init 0
		.amdhsa_user_sgpr_private_segment_size 0
		.amdhsa_wavefront_size32 1
		.amdhsa_uses_dynamic_stack 0
		.amdhsa_system_sgpr_private_segment_wavefront_offset 0
		.amdhsa_system_sgpr_workgroup_id_x 1
		.amdhsa_system_sgpr_workgroup_id_y 0
		.amdhsa_system_sgpr_workgroup_id_z 0
		.amdhsa_system_sgpr_workgroup_info 0
		.amdhsa_system_vgpr_workitem_id 0
		.amdhsa_next_free_vgpr 34
		.amdhsa_next_free_sgpr 38
		.amdhsa_reserve_vcc 1
		.amdhsa_reserve_flat_scratch 0
		.amdhsa_float_round_mode_32 0
		.amdhsa_float_round_mode_16_64 0
		.amdhsa_float_denorm_mode_32 3
		.amdhsa_float_denorm_mode_16_64 3
		.amdhsa_dx10_clamp 1
		.amdhsa_ieee_mode 1
		.amdhsa_fp16_overflow 0
		.amdhsa_workgroup_processor_mode 1
		.amdhsa_memory_ordered 1
		.amdhsa_forward_progress 1
		.amdhsa_shared_vgpr_count 0
		.amdhsa_exception_fp_ieee_invalid_op 0
		.amdhsa_exception_fp_denorm_src 0
		.amdhsa_exception_fp_ieee_div_zero 0
		.amdhsa_exception_fp_ieee_overflow 0
		.amdhsa_exception_fp_ieee_underflow 0
		.amdhsa_exception_fp_ieee_inexact 0
		.amdhsa_exception_int_div_zero 0
	.end_amdhsa_kernel
	.section	.text._ZN2at6native29vectorized_elementwise_kernelILi16EZZZNS0_21polygamma_kernel_cudaERNS_18TensorIteratorBaseElENKUlvE_clEvENKUlvE2_clEvEUlN3c108BFloat16EE_St5arrayIPcLm2EEEEviT0_T1_,"axG",@progbits,_ZN2at6native29vectorized_elementwise_kernelILi16EZZZNS0_21polygamma_kernel_cudaERNS_18TensorIteratorBaseElENKUlvE_clEvENKUlvE2_clEvEUlN3c108BFloat16EE_St5arrayIPcLm2EEEEviT0_T1_,comdat
.Lfunc_end112:
	.size	_ZN2at6native29vectorized_elementwise_kernelILi16EZZZNS0_21polygamma_kernel_cudaERNS_18TensorIteratorBaseElENKUlvE_clEvENKUlvE2_clEvEUlN3c108BFloat16EE_St5arrayIPcLm2EEEEviT0_T1_, .Lfunc_end112-_ZN2at6native29vectorized_elementwise_kernelILi16EZZZNS0_21polygamma_kernel_cudaERNS_18TensorIteratorBaseElENKUlvE_clEvENKUlvE2_clEvEUlN3c108BFloat16EE_St5arrayIPcLm2EEEEviT0_T1_
                                        ; -- End function
	.set _ZN2at6native29vectorized_elementwise_kernelILi16EZZZNS0_21polygamma_kernel_cudaERNS_18TensorIteratorBaseElENKUlvE_clEvENKUlvE2_clEvEUlN3c108BFloat16EE_St5arrayIPcLm2EEEEviT0_T1_.num_vgpr, max(34, .L_ZN3c104guts5applyIRZZZN2at6native21polygamma_kernel_cudaERNS2_18TensorIteratorBaseElENKUlvE_clEvENKUlvE2_clEvEUlNS_8BFloat16EE_RSt5tupleIJS8_EEEEDaOT_OT0_.num_vgpr)
	.set _ZN2at6native29vectorized_elementwise_kernelILi16EZZZNS0_21polygamma_kernel_cudaERNS_18TensorIteratorBaseElENKUlvE_clEvENKUlvE2_clEvEUlN3c108BFloat16EE_St5arrayIPcLm2EEEEviT0_T1_.num_agpr, max(0, .L_ZN3c104guts5applyIRZZZN2at6native21polygamma_kernel_cudaERNS2_18TensorIteratorBaseElENKUlvE_clEvENKUlvE2_clEvEUlNS_8BFloat16EE_RSt5tupleIJS8_EEEEDaOT_OT0_.num_agpr)
	.set _ZN2at6native29vectorized_elementwise_kernelILi16EZZZNS0_21polygamma_kernel_cudaERNS_18TensorIteratorBaseElENKUlvE_clEvENKUlvE2_clEvEUlN3c108BFloat16EE_St5arrayIPcLm2EEEEviT0_T1_.numbered_sgpr, max(38, .L_ZN3c104guts5applyIRZZZN2at6native21polygamma_kernel_cudaERNS2_18TensorIteratorBaseElENKUlvE_clEvENKUlvE2_clEvEUlNS_8BFloat16EE_RSt5tupleIJS8_EEEEDaOT_OT0_.numbered_sgpr)
	.set _ZN2at6native29vectorized_elementwise_kernelILi16EZZZNS0_21polygamma_kernel_cudaERNS_18TensorIteratorBaseElENKUlvE_clEvENKUlvE2_clEvEUlN3c108BFloat16EE_St5arrayIPcLm2EEEEviT0_T1_.num_named_barrier, max(0, .L_ZN3c104guts5applyIRZZZN2at6native21polygamma_kernel_cudaERNS2_18TensorIteratorBaseElENKUlvE_clEvENKUlvE2_clEvEUlNS_8BFloat16EE_RSt5tupleIJS8_EEEEDaOT_OT0_.num_named_barrier)
	.set _ZN2at6native29vectorized_elementwise_kernelILi16EZZZNS0_21polygamma_kernel_cudaERNS_18TensorIteratorBaseElENKUlvE_clEvENKUlvE2_clEvEUlN3c108BFloat16EE_St5arrayIPcLm2EEEEviT0_T1_.private_seg_size, 0+max(.L_ZN3c104guts5applyIRZZZN2at6native21polygamma_kernel_cudaERNS2_18TensorIteratorBaseElENKUlvE_clEvENKUlvE2_clEvEUlNS_8BFloat16EE_RSt5tupleIJS8_EEEEDaOT_OT0_.private_seg_size)
	.set _ZN2at6native29vectorized_elementwise_kernelILi16EZZZNS0_21polygamma_kernel_cudaERNS_18TensorIteratorBaseElENKUlvE_clEvENKUlvE2_clEvEUlN3c108BFloat16EE_St5arrayIPcLm2EEEEviT0_T1_.uses_vcc, or(1, .L_ZN3c104guts5applyIRZZZN2at6native21polygamma_kernel_cudaERNS2_18TensorIteratorBaseElENKUlvE_clEvENKUlvE2_clEvEUlNS_8BFloat16EE_RSt5tupleIJS8_EEEEDaOT_OT0_.uses_vcc)
	.set _ZN2at6native29vectorized_elementwise_kernelILi16EZZZNS0_21polygamma_kernel_cudaERNS_18TensorIteratorBaseElENKUlvE_clEvENKUlvE2_clEvEUlN3c108BFloat16EE_St5arrayIPcLm2EEEEviT0_T1_.uses_flat_scratch, or(0, .L_ZN3c104guts5applyIRZZZN2at6native21polygamma_kernel_cudaERNS2_18TensorIteratorBaseElENKUlvE_clEvENKUlvE2_clEvEUlNS_8BFloat16EE_RSt5tupleIJS8_EEEEDaOT_OT0_.uses_flat_scratch)
	.set _ZN2at6native29vectorized_elementwise_kernelILi16EZZZNS0_21polygamma_kernel_cudaERNS_18TensorIteratorBaseElENKUlvE_clEvENKUlvE2_clEvEUlN3c108BFloat16EE_St5arrayIPcLm2EEEEviT0_T1_.has_dyn_sized_stack, or(0, .L_ZN3c104guts5applyIRZZZN2at6native21polygamma_kernel_cudaERNS2_18TensorIteratorBaseElENKUlvE_clEvENKUlvE2_clEvEUlNS_8BFloat16EE_RSt5tupleIJS8_EEEEDaOT_OT0_.has_dyn_sized_stack)
	.set _ZN2at6native29vectorized_elementwise_kernelILi16EZZZNS0_21polygamma_kernel_cudaERNS_18TensorIteratorBaseElENKUlvE_clEvENKUlvE2_clEvEUlN3c108BFloat16EE_St5arrayIPcLm2EEEEviT0_T1_.has_recursion, or(0, .L_ZN3c104guts5applyIRZZZN2at6native21polygamma_kernel_cudaERNS2_18TensorIteratorBaseElENKUlvE_clEvENKUlvE2_clEvEUlNS_8BFloat16EE_RSt5tupleIJS8_EEEEDaOT_OT0_.has_recursion)
	.set _ZN2at6native29vectorized_elementwise_kernelILi16EZZZNS0_21polygamma_kernel_cudaERNS_18TensorIteratorBaseElENKUlvE_clEvENKUlvE2_clEvEUlN3c108BFloat16EE_St5arrayIPcLm2EEEEviT0_T1_.has_indirect_call, or(0, .L_ZN3c104guts5applyIRZZZN2at6native21polygamma_kernel_cudaERNS2_18TensorIteratorBaseElENKUlvE_clEvENKUlvE2_clEvEUlNS_8BFloat16EE_RSt5tupleIJS8_EEEEDaOT_OT0_.has_indirect_call)
	.section	.AMDGPU.csdata,"",@progbits
; Kernel info:
; codeLenInByte = 2236
; TotalNumSgprs: 40
; NumVgprs: 34
; ScratchSize: 0
; MemoryBound: 0
; FloatMode: 240
; IeeeMode: 1
; LDSByteSize: 0 bytes/workgroup (compile time only)
; SGPRBlocks: 0
; VGPRBlocks: 4
; NumSGPRsForWavesPerEU: 40
; NumVGPRsForWavesPerEU: 34
; Occupancy: 16
; WaveLimiterHint : 0
; COMPUTE_PGM_RSRC2:SCRATCH_EN: 0
; COMPUTE_PGM_RSRC2:USER_SGPR: 6
; COMPUTE_PGM_RSRC2:TRAP_HANDLER: 0
; COMPUTE_PGM_RSRC2:TGID_X_EN: 1
; COMPUTE_PGM_RSRC2:TGID_Y_EN: 0
; COMPUTE_PGM_RSRC2:TGID_Z_EN: 0
; COMPUTE_PGM_RSRC2:TIDIG_COMP_CNT: 0
	.section	.text._ZN2at6native29vectorized_elementwise_kernelILi8EZZZNS0_21polygamma_kernel_cudaERNS_18TensorIteratorBaseElENKUlvE_clEvENKUlvE2_clEvEUlN3c108BFloat16EE_St5arrayIPcLm2EEEEviT0_T1_,"axG",@progbits,_ZN2at6native29vectorized_elementwise_kernelILi8EZZZNS0_21polygamma_kernel_cudaERNS_18TensorIteratorBaseElENKUlvE_clEvENKUlvE2_clEvEUlN3c108BFloat16EE_St5arrayIPcLm2EEEEviT0_T1_,comdat
	.globl	_ZN2at6native29vectorized_elementwise_kernelILi8EZZZNS0_21polygamma_kernel_cudaERNS_18TensorIteratorBaseElENKUlvE_clEvENKUlvE2_clEvEUlN3c108BFloat16EE_St5arrayIPcLm2EEEEviT0_T1_ ; -- Begin function _ZN2at6native29vectorized_elementwise_kernelILi8EZZZNS0_21polygamma_kernel_cudaERNS_18TensorIteratorBaseElENKUlvE_clEvENKUlvE2_clEvEUlN3c108BFloat16EE_St5arrayIPcLm2EEEEviT0_T1_
	.p2align	8
	.type	_ZN2at6native29vectorized_elementwise_kernelILi8EZZZNS0_21polygamma_kernel_cudaERNS_18TensorIteratorBaseElENKUlvE_clEvENKUlvE2_clEvEUlN3c108BFloat16EE_St5arrayIPcLm2EEEEviT0_T1_,@function
_ZN2at6native29vectorized_elementwise_kernelILi8EZZZNS0_21polygamma_kernel_cudaERNS_18TensorIteratorBaseElENKUlvE_clEvENKUlvE2_clEvEUlN3c108BFloat16EE_St5arrayIPcLm2EEEEviT0_T1_: ; @_ZN2at6native29vectorized_elementwise_kernelILi8EZZZNS0_21polygamma_kernel_cudaERNS_18TensorIteratorBaseElENKUlvE_clEvENKUlvE2_clEvEUlN3c108BFloat16EE_St5arrayIPcLm2EEEEviT0_T1_
; %bb.0:
	s_add_u32 s0, s0, s7
	s_clause 0x2
	s_load_dword s7, s[4:5], 0x0
	s_load_dwordx4 s[24:27], s[4:5], 0x8
	s_load_dwordx2 s[28:29], s[4:5], 0x18
	s_addc_u32 s1, s1, 0
	s_lshl_b32 s22, s6, 11
	v_mov_b32_e32 v21, v0
	s_mov_b32 s4, -1
	s_mov_b32 s32, 0
	s_waitcnt lgkmcnt(0)
	s_sub_i32 s21, s7, s22
	s_cmpk_gt_i32 s21, 0x7ff
	s_cbranch_scc0 .LBB113_2
; %bb.1:
	s_ashr_i32 s23, s22, 31
	v_lshlrev_b32_e32 v30, 4, v21
	s_lshl_b64 s[34:35], s[22:23], 1
	v_mov_b32_e32 v0, s24
	s_add_u32 s4, s28, s34
	s_addc_u32 s5, s29, s35
	v_mov_b32_e32 v1, s25
	global_load_dwordx4 v[22:25], v30, s[4:5]
	s_getpc_b64 s[36:37]
	s_add_u32 s36, s36, _ZN3c104guts5applyIRZZZN2at6native21polygamma_kernel_cudaERNS2_18TensorIteratorBaseElENKUlvE_clEvENKUlvE2_clEvEUlNS_8BFloat16EE_RSt5tupleIJS8_EEEEDaOT_OT0_@rel32@lo+4
	s_addc_u32 s37, s37, _ZN3c104guts5applyIRZZZN2at6native21polygamma_kernel_cudaERNS2_18TensorIteratorBaseElENKUlvE_clEvENKUlvE2_clEvEUlNS_8BFloat16EE_RSt5tupleIJS8_EEEEDaOT_OT0_@rel32@hi+12
	s_waitcnt vmcnt(0)
	v_mov_b32_e32 v2, v22
	v_lshrrev_b32_e32 v26, 16, v22
	v_lshrrev_b32_e32 v27, 16, v23
	;; [unrolled: 1-line block ×4, first 2 shown]
	s_swappc_b64 s[30:31], s[36:37]
	v_mov_b32_e32 v22, v0
	v_mov_b32_e32 v0, s24
	v_mov_b32_e32 v1, s25
	v_mov_b32_e32 v2, v26
	s_swappc_b64 s[30:31], s[36:37]
	v_mov_b32_e32 v26, v0
	v_mov_b32_e32 v0, s24
	v_mov_b32_e32 v1, s25
	v_mov_b32_e32 v2, v23
	;; [unrolled: 5-line block ×7, first 2 shown]
	s_swappc_b64 s[30:31], s[36:37]
	v_perm_b32 v1, v26, v22, 0x5040100
	v_perm_b32 v2, v27, v23, 0x5040100
	;; [unrolled: 1-line block ×4, first 2 shown]
	s_add_u32 s6, s26, s34
	s_addc_u32 s7, s27, s35
	s_mov_b32 s4, 0
	global_store_dwordx4 v30, v[1:4], s[6:7]
.LBB113_2:
	s_andn2_b32 vcc_lo, exec_lo, s4
	s_cbranch_vccnz .LBB113_41
; %bb.3:
	v_cmp_gt_i32_e64 s20, s21, v21
	v_mov_b32_e32 v22, 0
	v_or_b32_e32 v31, s22, v21
	v_or_b32_e32 v33, 0x100, v21
	v_mov_b32_e32 v2, 0
	v_mov_b32_e32 v0, v21
	s_and_saveexec_b32 s4, s20
	s_cbranch_execz .LBB113_5
; %bb.4:
	v_mov_b32_e32 v32, 0
	v_lshlrev_b64 v[0:1], 1, v[31:32]
	v_add_co_u32 v0, vcc_lo, s28, v0
	v_add_co_ci_u32_e64 v1, null, s29, v1, vcc_lo
	global_load_ushort v2, v[0:1], off
	v_or_b32_e32 v0, 0x100, v21
.LBB113_5:
	s_or_b32 exec_lo, exec_lo, s4
	s_mov_b32 s4, exec_lo
	v_cmpx_gt_i32_e64 s21, v0
	s_cbranch_execz .LBB113_7
; %bb.6:
	v_add_nc_u32_e32 v3, s22, v0
	v_mov_b32_e32 v4, 0
	v_add_nc_u32_e32 v0, 0x100, v0
	v_lshlrev_b64 v[3:4], 1, v[3:4]
	v_add_co_u32 v3, vcc_lo, s28, v3
	v_add_co_ci_u32_e64 v4, null, s29, v4, vcc_lo
	global_load_ushort v22, v[3:4], off
.LBB113_7:
	s_or_b32 exec_lo, exec_lo, s4
	v_mov_b32_e32 v23, 0
	v_mov_b32_e32 v26, 0
	s_mov_b32 s4, exec_lo
	v_cmpx_gt_i32_e64 s21, v0
	s_cbranch_execz .LBB113_9
; %bb.8:
	v_add_nc_u32_e32 v3, s22, v0
	v_mov_b32_e32 v4, 0
	v_add_nc_u32_e32 v0, 0x100, v0
	v_lshlrev_b64 v[3:4], 1, v[3:4]
	v_add_co_u32 v3, vcc_lo, s28, v3
	v_add_co_ci_u32_e64 v4, null, s29, v4, vcc_lo
	global_load_ushort v26, v[3:4], off
.LBB113_9:
	s_or_b32 exec_lo, exec_lo, s4
	s_mov_b32 s4, exec_lo
	v_cmpx_gt_i32_e64 s21, v0
	s_cbranch_execz .LBB113_11
; %bb.10:
	v_add_nc_u32_e32 v3, s22, v0
	v_mov_b32_e32 v4, 0
	v_add_nc_u32_e32 v0, 0x100, v0
	v_lshlrev_b64 v[3:4], 1, v[3:4]
	v_add_co_u32 v3, vcc_lo, s28, v3
	v_add_co_ci_u32_e64 v4, null, s29, v4, vcc_lo
	global_load_ushort v23, v[3:4], off
.LBB113_11:
	s_or_b32 exec_lo, exec_lo, s4
	v_mov_b32_e32 v24, 0
	v_mov_b32_e32 v28, 0
	s_mov_b32 s4, exec_lo
	v_cmpx_gt_i32_e64 s21, v0
	s_cbranch_execz .LBB113_13
; %bb.12:
	v_add_nc_u32_e32 v3, s22, v0
	v_mov_b32_e32 v4, 0
	v_add_nc_u32_e32 v0, 0x100, v0
	v_lshlrev_b64 v[3:4], 1, v[3:4]
	v_add_co_u32 v3, vcc_lo, s28, v3
	v_add_co_ci_u32_e64 v4, null, s29, v4, vcc_lo
	global_load_ushort v28, v[3:4], off
.LBB113_13:
	s_or_b32 exec_lo, exec_lo, s4
	s_mov_b32 s4, exec_lo
	v_cmpx_gt_i32_e64 s21, v0
	s_cbranch_execz .LBB113_15
; %bb.14:
	v_add_nc_u32_e32 v3, s22, v0
	v_mov_b32_e32 v4, 0
	v_add_nc_u32_e32 v0, 0x100, v0
	v_lshlrev_b64 v[3:4], 1, v[3:4]
	v_add_co_u32 v3, vcc_lo, s28, v3
	v_add_co_ci_u32_e64 v4, null, s29, v4, vcc_lo
	global_load_ushort v24, v[3:4], off
.LBB113_15:
	s_or_b32 exec_lo, exec_lo, s4
	v_mov_b32_e32 v25, 0
	v_mov_b32_e32 v30, 0
	s_mov_b32 s4, exec_lo
	v_cmpx_gt_i32_e64 s21, v0
	s_cbranch_execz .LBB113_42
; %bb.16:
	v_add_nc_u32_e32 v3, s22, v0
	v_mov_b32_e32 v4, 0
	v_add_nc_u32_e32 v0, 0x100, v0
	v_lshlrev_b64 v[3:4], 1, v[3:4]
	v_add_co_u32 v3, vcc_lo, s28, v3
	v_add_co_ci_u32_e64 v4, null, s29, v4, vcc_lo
	global_load_ushort v30, v[3:4], off
	s_or_b32 exec_lo, exec_lo, s4
	s_mov_b32 s4, exec_lo
	v_cmpx_gt_i32_e64 s21, v0
	s_cbranch_execnz .LBB113_43
.LBB113_17:
	s_or_b32 exec_lo, exec_lo, s4
                                        ; implicit-def: $vgpr27
	s_and_saveexec_b32 s23, s20
	s_cbranch_execz .LBB113_19
.LBB113_18:
	v_mov_b32_e32 v0, s24
	v_mov_b32_e32 v1, s25
	s_getpc_b64 s[4:5]
	s_add_u32 s4, s4, _ZN3c104guts5applyIRZZZN2at6native21polygamma_kernel_cudaERNS2_18TensorIteratorBaseElENKUlvE_clEvENKUlvE2_clEvEUlNS_8BFloat16EE_RSt5tupleIJS8_EEEEDaOT_OT0_@rel32@lo+4
	s_addc_u32 s5, s5, _ZN3c104guts5applyIRZZZN2at6native21polygamma_kernel_cudaERNS2_18TensorIteratorBaseElENKUlvE_clEvENKUlvE2_clEvEUlNS_8BFloat16EE_RSt5tupleIJS8_EEEEDaOT_OT0_@rel32@hi+12
	s_swappc_b64 s[30:31], s[4:5]
	v_mov_b32_e32 v27, v0
.LBB113_19:
	s_or_b32 exec_lo, exec_lo, s23
	s_mov_b32 s23, exec_lo
                                        ; implicit-def: $vgpr29
	v_cmpx_gt_i32_e64 s21, v33
	s_cbranch_execz .LBB113_21
; %bb.20:
	v_mov_b32_e32 v0, s24
	v_mov_b32_e32 v1, s25
	s_waitcnt vmcnt(0)
	v_mov_b32_e32 v2, v22
	s_getpc_b64 s[4:5]
	s_add_u32 s4, s4, _ZN3c104guts5applyIRZZZN2at6native21polygamma_kernel_cudaERNS2_18TensorIteratorBaseElENKUlvE_clEvENKUlvE2_clEvEUlNS_8BFloat16EE_RSt5tupleIJS8_EEEEDaOT_OT0_@rel32@lo+4
	s_addc_u32 s5, s5, _ZN3c104guts5applyIRZZZN2at6native21polygamma_kernel_cudaERNS2_18TensorIteratorBaseElENKUlvE_clEvENKUlvE2_clEvEUlNS_8BFloat16EE_RSt5tupleIJS8_EEEEDaOT_OT0_@rel32@hi+12
	s_swappc_b64 s[30:31], s[4:5]
	v_mov_b32_e32 v29, v0
.LBB113_21:
	s_or_b32 exec_lo, exec_lo, s23
	v_or_b32_e32 v0, 0x200, v21
	s_mov_b32 s23, exec_lo
                                        ; implicit-def: $vgpr22
	v_cmpx_gt_i32_e64 s21, v0
	s_cbranch_execz .LBB113_23
; %bb.22:
	v_mov_b32_e32 v0, s24
	v_mov_b32_e32 v1, s25
	s_waitcnt vmcnt(0)
	v_mov_b32_e32 v2, v26
	s_getpc_b64 s[4:5]
	s_add_u32 s4, s4, _ZN3c104guts5applyIRZZZN2at6native21polygamma_kernel_cudaERNS2_18TensorIteratorBaseElENKUlvE_clEvENKUlvE2_clEvEUlNS_8BFloat16EE_RSt5tupleIJS8_EEEEDaOT_OT0_@rel32@lo+4
	s_addc_u32 s5, s5, _ZN3c104guts5applyIRZZZN2at6native21polygamma_kernel_cudaERNS2_18TensorIteratorBaseElENKUlvE_clEvENKUlvE2_clEvEUlNS_8BFloat16EE_RSt5tupleIJS8_EEEEDaOT_OT0_@rel32@hi+12
	s_swappc_b64 s[30:31], s[4:5]
	v_mov_b32_e32 v22, v0
.LBB113_23:
	s_or_b32 exec_lo, exec_lo, s23
	v_or_b32_e32 v0, 0x300, v21
	s_mov_b32 s23, exec_lo
                                        ; implicit-def: $vgpr26
	v_cmpx_gt_i32_e64 s21, v0
	s_cbranch_execz .LBB113_25
; %bb.24:
	v_mov_b32_e32 v0, s24
	v_mov_b32_e32 v1, s25
	s_waitcnt vmcnt(0)
	v_mov_b32_e32 v2, v23
	s_getpc_b64 s[4:5]
	s_add_u32 s4, s4, _ZN3c104guts5applyIRZZZN2at6native21polygamma_kernel_cudaERNS2_18TensorIteratorBaseElENKUlvE_clEvENKUlvE2_clEvEUlNS_8BFloat16EE_RSt5tupleIJS8_EEEEDaOT_OT0_@rel32@lo+4
	s_addc_u32 s5, s5, _ZN3c104guts5applyIRZZZN2at6native21polygamma_kernel_cudaERNS2_18TensorIteratorBaseElENKUlvE_clEvENKUlvE2_clEvEUlNS_8BFloat16EE_RSt5tupleIJS8_EEEEDaOT_OT0_@rel32@hi+12
	s_swappc_b64 s[30:31], s[4:5]
	v_mov_b32_e32 v26, v0
.LBB113_25:
	s_or_b32 exec_lo, exec_lo, s23
	v_or_b32_e32 v0, 0x400, v21
	s_mov_b32 s23, exec_lo
                                        ; implicit-def: $vgpr23
	v_cmpx_gt_i32_e64 s21, v0
	s_cbranch_execz .LBB113_27
; %bb.26:
	v_mov_b32_e32 v0, s24
	v_mov_b32_e32 v1, s25
	s_waitcnt vmcnt(0)
	v_mov_b32_e32 v2, v28
	s_getpc_b64 s[4:5]
	s_add_u32 s4, s4, _ZN3c104guts5applyIRZZZN2at6native21polygamma_kernel_cudaERNS2_18TensorIteratorBaseElENKUlvE_clEvENKUlvE2_clEvEUlNS_8BFloat16EE_RSt5tupleIJS8_EEEEDaOT_OT0_@rel32@lo+4
	s_addc_u32 s5, s5, _ZN3c104guts5applyIRZZZN2at6native21polygamma_kernel_cudaERNS2_18TensorIteratorBaseElENKUlvE_clEvENKUlvE2_clEvEUlNS_8BFloat16EE_RSt5tupleIJS8_EEEEDaOT_OT0_@rel32@hi+12
	s_swappc_b64 s[30:31], s[4:5]
	v_mov_b32_e32 v23, v0
.LBB113_27:
	s_or_b32 exec_lo, exec_lo, s23
	v_or_b32_e32 v0, 0x500, v21
	s_mov_b32 s23, exec_lo
                                        ; implicit-def: $vgpr28
	v_cmpx_gt_i32_e64 s21, v0
	s_cbranch_execz .LBB113_29
; %bb.28:
	v_mov_b32_e32 v0, s24
	v_mov_b32_e32 v1, s25
	s_waitcnt vmcnt(0)
	v_mov_b32_e32 v2, v24
	s_getpc_b64 s[4:5]
	s_add_u32 s4, s4, _ZN3c104guts5applyIRZZZN2at6native21polygamma_kernel_cudaERNS2_18TensorIteratorBaseElENKUlvE_clEvENKUlvE2_clEvEUlNS_8BFloat16EE_RSt5tupleIJS8_EEEEDaOT_OT0_@rel32@lo+4
	s_addc_u32 s5, s5, _ZN3c104guts5applyIRZZZN2at6native21polygamma_kernel_cudaERNS2_18TensorIteratorBaseElENKUlvE_clEvENKUlvE2_clEvEUlNS_8BFloat16EE_RSt5tupleIJS8_EEEEDaOT_OT0_@rel32@hi+12
	s_swappc_b64 s[30:31], s[4:5]
	v_mov_b32_e32 v28, v0
.LBB113_29:
	s_or_b32 exec_lo, exec_lo, s23
	v_or_b32_e32 v0, 0x600, v21
	s_mov_b32 s23, exec_lo
                                        ; implicit-def: $vgpr24
	v_cmpx_gt_i32_e64 s21, v0
	s_cbranch_execz .LBB113_31
; %bb.30:
	v_mov_b32_e32 v0, s24
	v_mov_b32_e32 v1, s25
	s_waitcnt vmcnt(0)
	v_mov_b32_e32 v2, v30
	s_getpc_b64 s[4:5]
	s_add_u32 s4, s4, _ZN3c104guts5applyIRZZZN2at6native21polygamma_kernel_cudaERNS2_18TensorIteratorBaseElENKUlvE_clEvENKUlvE2_clEvEUlNS_8BFloat16EE_RSt5tupleIJS8_EEEEDaOT_OT0_@rel32@lo+4
	s_addc_u32 s5, s5, _ZN3c104guts5applyIRZZZN2at6native21polygamma_kernel_cudaERNS2_18TensorIteratorBaseElENKUlvE_clEvENKUlvE2_clEvEUlNS_8BFloat16EE_RSt5tupleIJS8_EEEEDaOT_OT0_@rel32@hi+12
	s_swappc_b64 s[30:31], s[4:5]
	v_mov_b32_e32 v24, v0
.LBB113_31:
	s_or_b32 exec_lo, exec_lo, s23
	v_or_b32_e32 v0, 0x700, v21
	v_cmp_gt_i32_e32 vcc_lo, s21, v0
                                        ; implicit-def: $vgpr0
	s_and_saveexec_b32 s23, vcc_lo
	s_cbranch_execz .LBB113_44
; %bb.32:
	v_mov_b32_e32 v0, s24
	v_mov_b32_e32 v1, s25
	s_waitcnt vmcnt(0)
	v_mov_b32_e32 v2, v25
	s_getpc_b64 s[4:5]
	s_add_u32 s4, s4, _ZN3c104guts5applyIRZZZN2at6native21polygamma_kernel_cudaERNS2_18TensorIteratorBaseElENKUlvE_clEvENKUlvE2_clEvEUlNS_8BFloat16EE_RSt5tupleIJS8_EEEEDaOT_OT0_@rel32@lo+4
	s_addc_u32 s5, s5, _ZN3c104guts5applyIRZZZN2at6native21polygamma_kernel_cudaERNS2_18TensorIteratorBaseElENKUlvE_clEvENKUlvE2_clEvEUlNS_8BFloat16EE_RSt5tupleIJS8_EEEEDaOT_OT0_@rel32@hi+12
	s_swappc_b64 s[30:31], s[4:5]
	s_or_b32 exec_lo, exec_lo, s23
	s_and_saveexec_b32 s4, s20
	s_xor_b32 s4, exec_lo, s4
	s_cbranch_execnz .LBB113_45
.LBB113_33:
	s_or_b32 exec_lo, exec_lo, s4
	s_mov_b32 s4, exec_lo
	v_cmpx_gt_i32_e64 s21, v21
	s_cbranch_execz .LBB113_46
.LBB113_34:
	v_add_nc_u32_e32 v1, s22, v21
	s_waitcnt vmcnt(0)
	v_mov_b32_e32 v2, 0
	v_add_nc_u32_e32 v21, 0x100, v21
	v_lshlrev_b64 v[1:2], 1, v[1:2]
	v_add_co_u32 v1, vcc_lo, s26, v1
	v_add_co_ci_u32_e64 v2, null, s27, v2, vcc_lo
	global_store_short v[1:2], v29, off
	s_or_b32 exec_lo, exec_lo, s4
	s_mov_b32 s4, exec_lo
	v_cmpx_gt_i32_e64 s21, v21
	s_cbranch_execnz .LBB113_47
.LBB113_35:
	s_or_b32 exec_lo, exec_lo, s4
	s_mov_b32 s4, exec_lo
	v_cmpx_gt_i32_e64 s21, v21
	s_cbranch_execz .LBB113_48
.LBB113_36:
	v_add_nc_u32_e32 v1, s22, v21
	s_waitcnt vmcnt(0)
	v_mov_b32_e32 v2, 0
	v_add_nc_u32_e32 v21, 0x100, v21
	v_lshlrev_b64 v[1:2], 1, v[1:2]
	v_add_co_u32 v1, vcc_lo, s26, v1
	v_add_co_ci_u32_e64 v2, null, s27, v2, vcc_lo
	global_store_short v[1:2], v26, off
	s_or_b32 exec_lo, exec_lo, s4
	s_mov_b32 s4, exec_lo
	v_cmpx_gt_i32_e64 s21, v21
	s_cbranch_execnz .LBB113_49
.LBB113_37:
	s_or_b32 exec_lo, exec_lo, s4
	s_mov_b32 s4, exec_lo
	v_cmpx_gt_i32_e64 s21, v21
	s_cbranch_execz .LBB113_50
.LBB113_38:
	v_add_nc_u32_e32 v1, s22, v21
	s_waitcnt vmcnt(0)
	v_mov_b32_e32 v2, 0
	v_add_nc_u32_e32 v21, 0x100, v21
	v_lshlrev_b64 v[1:2], 1, v[1:2]
	v_add_co_u32 v1, vcc_lo, s26, v1
	v_add_co_ci_u32_e64 v2, null, s27, v2, vcc_lo
	global_store_short v[1:2], v28, off
	s_or_b32 exec_lo, exec_lo, s4
	s_mov_b32 s4, exec_lo
	v_cmpx_gt_i32_e64 s21, v21
	s_cbranch_execnz .LBB113_51
.LBB113_39:
	s_or_b32 exec_lo, exec_lo, s4
	s_mov_b32 s4, exec_lo
	v_cmpx_gt_i32_e64 s21, v21
	s_cbranch_execz .LBB113_41
.LBB113_40:
	v_add_nc_u32_e32 v1, s22, v21
	s_waitcnt vmcnt(0)
	v_mov_b32_e32 v2, 0
	v_lshlrev_b64 v[1:2], 1, v[1:2]
	v_add_co_u32 v1, vcc_lo, s26, v1
	v_add_co_ci_u32_e64 v2, null, s27, v2, vcc_lo
	global_store_short v[1:2], v0, off
.LBB113_41:
	s_endpgm
.LBB113_42:
	s_or_b32 exec_lo, exec_lo, s4
	s_mov_b32 s4, exec_lo
	v_cmpx_gt_i32_e64 s21, v0
	s_cbranch_execz .LBB113_17
.LBB113_43:
	v_add_nc_u32_e32 v0, s22, v0
	v_mov_b32_e32 v1, 0
	v_lshlrev_b64 v[0:1], 1, v[0:1]
	v_add_co_u32 v0, vcc_lo, s28, v0
	v_add_co_ci_u32_e64 v1, null, s29, v1, vcc_lo
	global_load_ushort v25, v[0:1], off
	s_or_b32 exec_lo, exec_lo, s4
                                        ; implicit-def: $vgpr27
	s_and_saveexec_b32 s23, s20
	s_cbranch_execz .LBB113_19
	s_branch .LBB113_18
.LBB113_44:
	s_or_b32 exec_lo, exec_lo, s23
	s_and_saveexec_b32 s4, s20
	s_xor_b32 s4, exec_lo, s4
	s_cbranch_execz .LBB113_33
.LBB113_45:
	v_mov_b32_e32 v32, 0
	v_mov_b32_e32 v21, v33
	s_waitcnt vmcnt(0)
	v_lshlrev_b64 v[1:2], 1, v[31:32]
	v_add_co_u32 v1, vcc_lo, s26, v1
	v_add_co_ci_u32_e64 v2, null, s27, v2, vcc_lo
	global_store_short v[1:2], v27, off
	s_or_b32 exec_lo, exec_lo, s4
	s_mov_b32 s4, exec_lo
	v_cmpx_gt_i32_e64 s21, v21
	s_cbranch_execnz .LBB113_34
.LBB113_46:
	s_or_b32 exec_lo, exec_lo, s4
	s_mov_b32 s4, exec_lo
	v_cmpx_gt_i32_e64 s21, v21
	s_cbranch_execz .LBB113_35
.LBB113_47:
	v_add_nc_u32_e32 v1, s22, v21
	s_waitcnt vmcnt(0)
	v_mov_b32_e32 v2, 0
	v_add_nc_u32_e32 v21, 0x100, v21
	v_lshlrev_b64 v[1:2], 1, v[1:2]
	v_add_co_u32 v1, vcc_lo, s26, v1
	v_add_co_ci_u32_e64 v2, null, s27, v2, vcc_lo
	global_store_short v[1:2], v22, off
	s_or_b32 exec_lo, exec_lo, s4
	s_mov_b32 s4, exec_lo
	v_cmpx_gt_i32_e64 s21, v21
	s_cbranch_execnz .LBB113_36
.LBB113_48:
	s_or_b32 exec_lo, exec_lo, s4
	s_mov_b32 s4, exec_lo
	v_cmpx_gt_i32_e64 s21, v21
	s_cbranch_execz .LBB113_37
.LBB113_49:
	v_add_nc_u32_e32 v1, s22, v21
	s_waitcnt vmcnt(0)
	v_mov_b32_e32 v2, 0
	v_add_nc_u32_e32 v21, 0x100, v21
	v_lshlrev_b64 v[1:2], 1, v[1:2]
	v_add_co_u32 v1, vcc_lo, s26, v1
	v_add_co_ci_u32_e64 v2, null, s27, v2, vcc_lo
	global_store_short v[1:2], v23, off
	s_or_b32 exec_lo, exec_lo, s4
	s_mov_b32 s4, exec_lo
	v_cmpx_gt_i32_e64 s21, v21
	s_cbranch_execnz .LBB113_38
.LBB113_50:
	s_or_b32 exec_lo, exec_lo, s4
	s_mov_b32 s4, exec_lo
	v_cmpx_gt_i32_e64 s21, v21
	s_cbranch_execz .LBB113_39
.LBB113_51:
	v_add_nc_u32_e32 v1, s22, v21
	s_waitcnt vmcnt(0)
	v_mov_b32_e32 v2, 0
	v_add_nc_u32_e32 v21, 0x100, v21
	v_lshlrev_b64 v[1:2], 1, v[1:2]
	v_add_co_u32 v1, vcc_lo, s26, v1
	v_add_co_ci_u32_e64 v2, null, s27, v2, vcc_lo
	global_store_short v[1:2], v24, off
	s_or_b32 exec_lo, exec_lo, s4
	s_mov_b32 s4, exec_lo
	v_cmpx_gt_i32_e64 s21, v21
	s_cbranch_execnz .LBB113_40
	s_branch .LBB113_41
	.section	.rodata,"a",@progbits
	.p2align	6, 0x0
	.amdhsa_kernel _ZN2at6native29vectorized_elementwise_kernelILi8EZZZNS0_21polygamma_kernel_cudaERNS_18TensorIteratorBaseElENKUlvE_clEvENKUlvE2_clEvEUlN3c108BFloat16EE_St5arrayIPcLm2EEEEviT0_T1_
		.amdhsa_group_segment_fixed_size 0
		.amdhsa_private_segment_fixed_size 0
		.amdhsa_kernarg_size 32
		.amdhsa_user_sgpr_count 6
		.amdhsa_user_sgpr_private_segment_buffer 1
		.amdhsa_user_sgpr_dispatch_ptr 0
		.amdhsa_user_sgpr_queue_ptr 0
		.amdhsa_user_sgpr_kernarg_segment_ptr 1
		.amdhsa_user_sgpr_dispatch_id 0
		.amdhsa_user_sgpr_flat_scratch_init 0
		.amdhsa_user_sgpr_private_segment_size 0
		.amdhsa_wavefront_size32 1
		.amdhsa_uses_dynamic_stack 0
		.amdhsa_system_sgpr_private_segment_wavefront_offset 0
		.amdhsa_system_sgpr_workgroup_id_x 1
		.amdhsa_system_sgpr_workgroup_id_y 0
		.amdhsa_system_sgpr_workgroup_id_z 0
		.amdhsa_system_sgpr_workgroup_info 0
		.amdhsa_system_vgpr_workitem_id 0
		.amdhsa_next_free_vgpr 34
		.amdhsa_next_free_sgpr 38
		.amdhsa_reserve_vcc 1
		.amdhsa_reserve_flat_scratch 0
		.amdhsa_float_round_mode_32 0
		.amdhsa_float_round_mode_16_64 0
		.amdhsa_float_denorm_mode_32 3
		.amdhsa_float_denorm_mode_16_64 3
		.amdhsa_dx10_clamp 1
		.amdhsa_ieee_mode 1
		.amdhsa_fp16_overflow 0
		.amdhsa_workgroup_processor_mode 1
		.amdhsa_memory_ordered 1
		.amdhsa_forward_progress 1
		.amdhsa_shared_vgpr_count 0
		.amdhsa_exception_fp_ieee_invalid_op 0
		.amdhsa_exception_fp_denorm_src 0
		.amdhsa_exception_fp_ieee_div_zero 0
		.amdhsa_exception_fp_ieee_overflow 0
		.amdhsa_exception_fp_ieee_underflow 0
		.amdhsa_exception_fp_ieee_inexact 0
		.amdhsa_exception_int_div_zero 0
	.end_amdhsa_kernel
	.section	.text._ZN2at6native29vectorized_elementwise_kernelILi8EZZZNS0_21polygamma_kernel_cudaERNS_18TensorIteratorBaseElENKUlvE_clEvENKUlvE2_clEvEUlN3c108BFloat16EE_St5arrayIPcLm2EEEEviT0_T1_,"axG",@progbits,_ZN2at6native29vectorized_elementwise_kernelILi8EZZZNS0_21polygamma_kernel_cudaERNS_18TensorIteratorBaseElENKUlvE_clEvENKUlvE2_clEvEUlN3c108BFloat16EE_St5arrayIPcLm2EEEEviT0_T1_,comdat
.Lfunc_end113:
	.size	_ZN2at6native29vectorized_elementwise_kernelILi8EZZZNS0_21polygamma_kernel_cudaERNS_18TensorIteratorBaseElENKUlvE_clEvENKUlvE2_clEvEUlN3c108BFloat16EE_St5arrayIPcLm2EEEEviT0_T1_, .Lfunc_end113-_ZN2at6native29vectorized_elementwise_kernelILi8EZZZNS0_21polygamma_kernel_cudaERNS_18TensorIteratorBaseElENKUlvE_clEvENKUlvE2_clEvEUlN3c108BFloat16EE_St5arrayIPcLm2EEEEviT0_T1_
                                        ; -- End function
	.set _ZN2at6native29vectorized_elementwise_kernelILi8EZZZNS0_21polygamma_kernel_cudaERNS_18TensorIteratorBaseElENKUlvE_clEvENKUlvE2_clEvEUlN3c108BFloat16EE_St5arrayIPcLm2EEEEviT0_T1_.num_vgpr, max(34, .L_ZN3c104guts5applyIRZZZN2at6native21polygamma_kernel_cudaERNS2_18TensorIteratorBaseElENKUlvE_clEvENKUlvE2_clEvEUlNS_8BFloat16EE_RSt5tupleIJS8_EEEEDaOT_OT0_.num_vgpr)
	.set _ZN2at6native29vectorized_elementwise_kernelILi8EZZZNS0_21polygamma_kernel_cudaERNS_18TensorIteratorBaseElENKUlvE_clEvENKUlvE2_clEvEUlN3c108BFloat16EE_St5arrayIPcLm2EEEEviT0_T1_.num_agpr, max(0, .L_ZN3c104guts5applyIRZZZN2at6native21polygamma_kernel_cudaERNS2_18TensorIteratorBaseElENKUlvE_clEvENKUlvE2_clEvEUlNS_8BFloat16EE_RSt5tupleIJS8_EEEEDaOT_OT0_.num_agpr)
	.set _ZN2at6native29vectorized_elementwise_kernelILi8EZZZNS0_21polygamma_kernel_cudaERNS_18TensorIteratorBaseElENKUlvE_clEvENKUlvE2_clEvEUlN3c108BFloat16EE_St5arrayIPcLm2EEEEviT0_T1_.numbered_sgpr, max(38, .L_ZN3c104guts5applyIRZZZN2at6native21polygamma_kernel_cudaERNS2_18TensorIteratorBaseElENKUlvE_clEvENKUlvE2_clEvEUlNS_8BFloat16EE_RSt5tupleIJS8_EEEEDaOT_OT0_.numbered_sgpr)
	.set _ZN2at6native29vectorized_elementwise_kernelILi8EZZZNS0_21polygamma_kernel_cudaERNS_18TensorIteratorBaseElENKUlvE_clEvENKUlvE2_clEvEUlN3c108BFloat16EE_St5arrayIPcLm2EEEEviT0_T1_.num_named_barrier, max(0, .L_ZN3c104guts5applyIRZZZN2at6native21polygamma_kernel_cudaERNS2_18TensorIteratorBaseElENKUlvE_clEvENKUlvE2_clEvEUlNS_8BFloat16EE_RSt5tupleIJS8_EEEEDaOT_OT0_.num_named_barrier)
	.set _ZN2at6native29vectorized_elementwise_kernelILi8EZZZNS0_21polygamma_kernel_cudaERNS_18TensorIteratorBaseElENKUlvE_clEvENKUlvE2_clEvEUlN3c108BFloat16EE_St5arrayIPcLm2EEEEviT0_T1_.private_seg_size, 0+max(.L_ZN3c104guts5applyIRZZZN2at6native21polygamma_kernel_cudaERNS2_18TensorIteratorBaseElENKUlvE_clEvENKUlvE2_clEvEUlNS_8BFloat16EE_RSt5tupleIJS8_EEEEDaOT_OT0_.private_seg_size)
	.set _ZN2at6native29vectorized_elementwise_kernelILi8EZZZNS0_21polygamma_kernel_cudaERNS_18TensorIteratorBaseElENKUlvE_clEvENKUlvE2_clEvEUlN3c108BFloat16EE_St5arrayIPcLm2EEEEviT0_T1_.uses_vcc, or(1, .L_ZN3c104guts5applyIRZZZN2at6native21polygamma_kernel_cudaERNS2_18TensorIteratorBaseElENKUlvE_clEvENKUlvE2_clEvEUlNS_8BFloat16EE_RSt5tupleIJS8_EEEEDaOT_OT0_.uses_vcc)
	.set _ZN2at6native29vectorized_elementwise_kernelILi8EZZZNS0_21polygamma_kernel_cudaERNS_18TensorIteratorBaseElENKUlvE_clEvENKUlvE2_clEvEUlN3c108BFloat16EE_St5arrayIPcLm2EEEEviT0_T1_.uses_flat_scratch, or(0, .L_ZN3c104guts5applyIRZZZN2at6native21polygamma_kernel_cudaERNS2_18TensorIteratorBaseElENKUlvE_clEvENKUlvE2_clEvEUlNS_8BFloat16EE_RSt5tupleIJS8_EEEEDaOT_OT0_.uses_flat_scratch)
	.set _ZN2at6native29vectorized_elementwise_kernelILi8EZZZNS0_21polygamma_kernel_cudaERNS_18TensorIteratorBaseElENKUlvE_clEvENKUlvE2_clEvEUlN3c108BFloat16EE_St5arrayIPcLm2EEEEviT0_T1_.has_dyn_sized_stack, or(0, .L_ZN3c104guts5applyIRZZZN2at6native21polygamma_kernel_cudaERNS2_18TensorIteratorBaseElENKUlvE_clEvENKUlvE2_clEvEUlNS_8BFloat16EE_RSt5tupleIJS8_EEEEDaOT_OT0_.has_dyn_sized_stack)
	.set _ZN2at6native29vectorized_elementwise_kernelILi8EZZZNS0_21polygamma_kernel_cudaERNS_18TensorIteratorBaseElENKUlvE_clEvENKUlvE2_clEvEUlN3c108BFloat16EE_St5arrayIPcLm2EEEEviT0_T1_.has_recursion, or(0, .L_ZN3c104guts5applyIRZZZN2at6native21polygamma_kernel_cudaERNS2_18TensorIteratorBaseElENKUlvE_clEvENKUlvE2_clEvEUlNS_8BFloat16EE_RSt5tupleIJS8_EEEEDaOT_OT0_.has_recursion)
	.set _ZN2at6native29vectorized_elementwise_kernelILi8EZZZNS0_21polygamma_kernel_cudaERNS_18TensorIteratorBaseElENKUlvE_clEvENKUlvE2_clEvEUlN3c108BFloat16EE_St5arrayIPcLm2EEEEviT0_T1_.has_indirect_call, or(0, .L_ZN3c104guts5applyIRZZZN2at6native21polygamma_kernel_cudaERNS2_18TensorIteratorBaseElENKUlvE_clEvENKUlvE2_clEvEUlNS_8BFloat16EE_RSt5tupleIJS8_EEEEDaOT_OT0_.has_indirect_call)
	.section	.AMDGPU.csdata,"",@progbits
; Kernel info:
; codeLenInByte = 2236
; TotalNumSgprs: 40
; NumVgprs: 34
; ScratchSize: 0
; MemoryBound: 0
; FloatMode: 240
; IeeeMode: 1
; LDSByteSize: 0 bytes/workgroup (compile time only)
; SGPRBlocks: 0
; VGPRBlocks: 4
; NumSGPRsForWavesPerEU: 40
; NumVGPRsForWavesPerEU: 34
; Occupancy: 16
; WaveLimiterHint : 0
; COMPUTE_PGM_RSRC2:SCRATCH_EN: 0
; COMPUTE_PGM_RSRC2:USER_SGPR: 6
; COMPUTE_PGM_RSRC2:TRAP_HANDLER: 0
; COMPUTE_PGM_RSRC2:TGID_X_EN: 1
; COMPUTE_PGM_RSRC2:TGID_Y_EN: 0
; COMPUTE_PGM_RSRC2:TGID_Z_EN: 0
; COMPUTE_PGM_RSRC2:TIDIG_COMP_CNT: 0
	.section	.text._ZN2at6native29vectorized_elementwise_kernelILi4EZZZNS0_21polygamma_kernel_cudaERNS_18TensorIteratorBaseElENKUlvE_clEvENKUlvE2_clEvEUlN3c108BFloat16EE_St5arrayIPcLm2EEEEviT0_T1_,"axG",@progbits,_ZN2at6native29vectorized_elementwise_kernelILi4EZZZNS0_21polygamma_kernel_cudaERNS_18TensorIteratorBaseElENKUlvE_clEvENKUlvE2_clEvEUlN3c108BFloat16EE_St5arrayIPcLm2EEEEviT0_T1_,comdat
	.globl	_ZN2at6native29vectorized_elementwise_kernelILi4EZZZNS0_21polygamma_kernel_cudaERNS_18TensorIteratorBaseElENKUlvE_clEvENKUlvE2_clEvEUlN3c108BFloat16EE_St5arrayIPcLm2EEEEviT0_T1_ ; -- Begin function _ZN2at6native29vectorized_elementwise_kernelILi4EZZZNS0_21polygamma_kernel_cudaERNS_18TensorIteratorBaseElENKUlvE_clEvENKUlvE2_clEvEUlN3c108BFloat16EE_St5arrayIPcLm2EEEEviT0_T1_
	.p2align	8
	.type	_ZN2at6native29vectorized_elementwise_kernelILi4EZZZNS0_21polygamma_kernel_cudaERNS_18TensorIteratorBaseElENKUlvE_clEvENKUlvE2_clEvEUlN3c108BFloat16EE_St5arrayIPcLm2EEEEviT0_T1_,@function
_ZN2at6native29vectorized_elementwise_kernelILi4EZZZNS0_21polygamma_kernel_cudaERNS_18TensorIteratorBaseElENKUlvE_clEvENKUlvE2_clEvEUlN3c108BFloat16EE_St5arrayIPcLm2EEEEviT0_T1_: ; @_ZN2at6native29vectorized_elementwise_kernelILi4EZZZNS0_21polygamma_kernel_cudaERNS_18TensorIteratorBaseElENKUlvE_clEvENKUlvE2_clEvEUlN3c108BFloat16EE_St5arrayIPcLm2EEEEviT0_T1_
; %bb.0:
	s_add_u32 s0, s0, s7
	s_clause 0x2
	s_load_dword s7, s[4:5], 0x0
	s_load_dwordx4 s[24:27], s[4:5], 0x8
	s_load_dwordx2 s[28:29], s[4:5], 0x18
	s_addc_u32 s1, s1, 0
	s_lshl_b32 s22, s6, 11
	v_mov_b32_e32 v21, v0
	s_mov_b32 s23, -1
	s_mov_b32 s32, 0
	s_waitcnt lgkmcnt(0)
	s_sub_i32 s33, s7, s22
	s_cmpk_gt_i32 s33, 0x7ff
	s_cbranch_scc0 .LBB114_2
; %bb.1:
	s_ashr_i32 s23, s22, 31
	v_lshlrev_b32_e32 v26, 3, v21
	s_lshl_b64 s[20:21], s[22:23], 1
	s_mov_b32 s23, 0
	s_add_u32 s4, s28, s20
	s_addc_u32 s5, s29, s21
	v_add_co_u32 v0, s6, s4, v26
	v_add_co_ci_u32_e64 v1, null, s5, 0, s6
	global_load_dwordx2 v[22:23], v26, s[4:5]
	v_add_co_u32 v0, vcc_lo, 0x800, v0
	v_add_co_ci_u32_e64 v1, null, 0, v1, vcc_lo
	s_getpc_b64 s[34:35]
	s_add_u32 s34, s34, _ZN3c104guts5applyIRZZZN2at6native21polygamma_kernel_cudaERNS2_18TensorIteratorBaseElENKUlvE_clEvENKUlvE2_clEvEUlNS_8BFloat16EE_RSt5tupleIJS8_EEEEDaOT_OT0_@rel32@lo+4
	s_addc_u32 s35, s35, _ZN3c104guts5applyIRZZZN2at6native21polygamma_kernel_cudaERNS2_18TensorIteratorBaseElENKUlvE_clEvENKUlvE2_clEvEUlNS_8BFloat16EE_RSt5tupleIJS8_EEEEDaOT_OT0_@rel32@hi+12
	global_load_dwordx2 v[24:25], v[0:1], off
	v_mov_b32_e32 v0, s24
	v_mov_b32_e32 v1, s25
	s_waitcnt vmcnt(1)
	v_mov_b32_e32 v2, v22
	s_swappc_b64 s[30:31], s[34:35]
	v_lshrrev_b32_e32 v2, 16, v22
	v_and_b32_e32 v22, 0xffff, v0
	v_mov_b32_e32 v0, s24
	v_mov_b32_e32 v1, s25
	s_swappc_b64 s[30:31], s[34:35]
	v_lshlrev_b32_e32 v0, 16, v0
	v_mov_b32_e32 v1, s25
	v_mov_b32_e32 v2, v23
	v_or_b32_e32 v22, v0, v22
	v_mov_b32_e32 v0, s24
	s_swappc_b64 s[30:31], s[34:35]
	v_lshrrev_b32_e32 v2, 16, v23
	v_and_b32_e32 v23, 0xffff, v0
	v_mov_b32_e32 v0, s24
	v_mov_b32_e32 v1, s25
	s_swappc_b64 s[30:31], s[34:35]
	v_lshlrev_b32_e32 v0, 16, v0
	v_mov_b32_e32 v1, s25
	v_mov_b32_e32 v2, v24
	v_or3_b32 v22, v22, 0, 0
	v_or3_b32 v23, 0, v23, v0
	v_mov_b32_e32 v0, s24
	s_swappc_b64 s[30:31], s[34:35]
	v_lshrrev_b32_e32 v2, 16, v24
	v_and_b32_e32 v24, 0xffff, v0
	v_mov_b32_e32 v0, s24
	v_mov_b32_e32 v1, s25
	s_swappc_b64 s[30:31], s[34:35]
	v_lshlrev_b32_e32 v0, 16, v0
	v_mov_b32_e32 v1, s25
	v_mov_b32_e32 v2, v25
	v_or_b32_e32 v24, v0, v24
	v_mov_b32_e32 v0, s24
	s_swappc_b64 s[30:31], s[34:35]
	v_lshrrev_b32_e32 v2, 16, v25
	v_and_b32_e32 v25, 0xffff, v0
	v_mov_b32_e32 v0, s24
	v_mov_b32_e32 v1, s25
	s_swappc_b64 s[30:31], s[34:35]
	s_add_u32 s4, s26, s20
	s_addc_u32 s5, s27, s21
	v_add_co_u32 v3, s6, s4, v26
	v_lshlrev_b32_e32 v0, 16, v0
	v_add_co_ci_u32_e64 v4, null, s5, 0, s6
	v_add_co_u32 v3, vcc_lo, 0x800, v3
	v_or3_b32 v1, v24, 0, 0
	v_or3_b32 v2, 0, v25, v0
	v_add_co_ci_u32_e64 v4, null, 0, v4, vcc_lo
	global_store_dwordx2 v26, v[22:23], s[4:5]
	global_store_dwordx2 v[3:4], v[1:2], off
.LBB114_2:
	s_andn2_b32 vcc_lo, exec_lo, s23
	s_cbranch_vccnz .LBB114_41
; %bb.3:
	v_cmp_gt_i32_e64 s20, s33, v21
	v_mov_b32_e32 v22, 0
	v_or_b32_e32 v31, s22, v21
	v_or_b32_e32 v33, 0x100, v21
	v_mov_b32_e32 v2, 0
	v_mov_b32_e32 v0, v21
	s_and_saveexec_b32 s4, s20
	s_cbranch_execz .LBB114_5
; %bb.4:
	v_mov_b32_e32 v32, 0
	v_lshlrev_b64 v[0:1], 1, v[31:32]
	v_add_co_u32 v0, vcc_lo, s28, v0
	v_add_co_ci_u32_e64 v1, null, s29, v1, vcc_lo
	global_load_ushort v2, v[0:1], off
	v_or_b32_e32 v0, 0x100, v21
.LBB114_5:
	s_or_b32 exec_lo, exec_lo, s4
	s_mov_b32 s4, exec_lo
	v_cmpx_gt_i32_e64 s33, v0
	s_cbranch_execz .LBB114_7
; %bb.6:
	v_add_nc_u32_e32 v3, s22, v0
	v_mov_b32_e32 v4, 0
	v_add_nc_u32_e32 v0, 0x100, v0
	v_lshlrev_b64 v[3:4], 1, v[3:4]
	v_add_co_u32 v3, vcc_lo, s28, v3
	v_add_co_ci_u32_e64 v4, null, s29, v4, vcc_lo
	global_load_ushort v22, v[3:4], off
.LBB114_7:
	s_or_b32 exec_lo, exec_lo, s4
	v_mov_b32_e32 v23, 0
	v_mov_b32_e32 v26, 0
	s_mov_b32 s4, exec_lo
	v_cmpx_gt_i32_e64 s33, v0
	s_cbranch_execz .LBB114_9
; %bb.8:
	v_add_nc_u32_e32 v3, s22, v0
	v_mov_b32_e32 v4, 0
	v_add_nc_u32_e32 v0, 0x100, v0
	v_lshlrev_b64 v[3:4], 1, v[3:4]
	v_add_co_u32 v3, vcc_lo, s28, v3
	v_add_co_ci_u32_e64 v4, null, s29, v4, vcc_lo
	global_load_ushort v26, v[3:4], off
.LBB114_9:
	s_or_b32 exec_lo, exec_lo, s4
	s_mov_b32 s4, exec_lo
	v_cmpx_gt_i32_e64 s33, v0
	s_cbranch_execz .LBB114_11
; %bb.10:
	v_add_nc_u32_e32 v3, s22, v0
	v_mov_b32_e32 v4, 0
	v_add_nc_u32_e32 v0, 0x100, v0
	v_lshlrev_b64 v[3:4], 1, v[3:4]
	v_add_co_u32 v3, vcc_lo, s28, v3
	v_add_co_ci_u32_e64 v4, null, s29, v4, vcc_lo
	global_load_ushort v23, v[3:4], off
.LBB114_11:
	s_or_b32 exec_lo, exec_lo, s4
	v_mov_b32_e32 v24, 0
	v_mov_b32_e32 v28, 0
	s_mov_b32 s4, exec_lo
	v_cmpx_gt_i32_e64 s33, v0
	s_cbranch_execz .LBB114_13
; %bb.12:
	v_add_nc_u32_e32 v3, s22, v0
	v_mov_b32_e32 v4, 0
	v_add_nc_u32_e32 v0, 0x100, v0
	v_lshlrev_b64 v[3:4], 1, v[3:4]
	v_add_co_u32 v3, vcc_lo, s28, v3
	v_add_co_ci_u32_e64 v4, null, s29, v4, vcc_lo
	global_load_ushort v28, v[3:4], off
.LBB114_13:
	s_or_b32 exec_lo, exec_lo, s4
	s_mov_b32 s4, exec_lo
	v_cmpx_gt_i32_e64 s33, v0
	s_cbranch_execz .LBB114_15
; %bb.14:
	v_add_nc_u32_e32 v3, s22, v0
	v_mov_b32_e32 v4, 0
	v_add_nc_u32_e32 v0, 0x100, v0
	v_lshlrev_b64 v[3:4], 1, v[3:4]
	v_add_co_u32 v3, vcc_lo, s28, v3
	v_add_co_ci_u32_e64 v4, null, s29, v4, vcc_lo
	global_load_ushort v24, v[3:4], off
.LBB114_15:
	s_or_b32 exec_lo, exec_lo, s4
	v_mov_b32_e32 v25, 0
	v_mov_b32_e32 v30, 0
	s_mov_b32 s4, exec_lo
	v_cmpx_gt_i32_e64 s33, v0
	s_cbranch_execz .LBB114_42
; %bb.16:
	v_add_nc_u32_e32 v3, s22, v0
	v_mov_b32_e32 v4, 0
	v_add_nc_u32_e32 v0, 0x100, v0
	v_lshlrev_b64 v[3:4], 1, v[3:4]
	v_add_co_u32 v3, vcc_lo, s28, v3
	v_add_co_ci_u32_e64 v4, null, s29, v4, vcc_lo
	global_load_ushort v30, v[3:4], off
	s_or_b32 exec_lo, exec_lo, s4
	s_mov_b32 s4, exec_lo
	v_cmpx_gt_i32_e64 s33, v0
	s_cbranch_execnz .LBB114_43
.LBB114_17:
	s_or_b32 exec_lo, exec_lo, s4
                                        ; implicit-def: $vgpr27
	s_and_saveexec_b32 s21, s20
	s_cbranch_execz .LBB114_19
.LBB114_18:
	v_mov_b32_e32 v0, s24
	v_mov_b32_e32 v1, s25
	s_getpc_b64 s[4:5]
	s_add_u32 s4, s4, _ZN3c104guts5applyIRZZZN2at6native21polygamma_kernel_cudaERNS2_18TensorIteratorBaseElENKUlvE_clEvENKUlvE2_clEvEUlNS_8BFloat16EE_RSt5tupleIJS8_EEEEDaOT_OT0_@rel32@lo+4
	s_addc_u32 s5, s5, _ZN3c104guts5applyIRZZZN2at6native21polygamma_kernel_cudaERNS2_18TensorIteratorBaseElENKUlvE_clEvENKUlvE2_clEvEUlNS_8BFloat16EE_RSt5tupleIJS8_EEEEDaOT_OT0_@rel32@hi+12
	s_swappc_b64 s[30:31], s[4:5]
	v_mov_b32_e32 v27, v0
.LBB114_19:
	s_or_b32 exec_lo, exec_lo, s21
	s_mov_b32 s21, exec_lo
                                        ; implicit-def: $vgpr29
	v_cmpx_gt_i32_e64 s33, v33
	s_cbranch_execz .LBB114_21
; %bb.20:
	v_mov_b32_e32 v0, s24
	v_mov_b32_e32 v1, s25
	s_waitcnt vmcnt(0)
	v_mov_b32_e32 v2, v22
	s_getpc_b64 s[4:5]
	s_add_u32 s4, s4, _ZN3c104guts5applyIRZZZN2at6native21polygamma_kernel_cudaERNS2_18TensorIteratorBaseElENKUlvE_clEvENKUlvE2_clEvEUlNS_8BFloat16EE_RSt5tupleIJS8_EEEEDaOT_OT0_@rel32@lo+4
	s_addc_u32 s5, s5, _ZN3c104guts5applyIRZZZN2at6native21polygamma_kernel_cudaERNS2_18TensorIteratorBaseElENKUlvE_clEvENKUlvE2_clEvEUlNS_8BFloat16EE_RSt5tupleIJS8_EEEEDaOT_OT0_@rel32@hi+12
	s_swappc_b64 s[30:31], s[4:5]
	v_mov_b32_e32 v29, v0
.LBB114_21:
	s_or_b32 exec_lo, exec_lo, s21
	v_or_b32_e32 v0, 0x200, v21
	s_mov_b32 s21, exec_lo
                                        ; implicit-def: $vgpr22
	v_cmpx_gt_i32_e64 s33, v0
	s_cbranch_execz .LBB114_23
; %bb.22:
	v_mov_b32_e32 v0, s24
	v_mov_b32_e32 v1, s25
	s_waitcnt vmcnt(0)
	v_mov_b32_e32 v2, v26
	s_getpc_b64 s[4:5]
	s_add_u32 s4, s4, _ZN3c104guts5applyIRZZZN2at6native21polygamma_kernel_cudaERNS2_18TensorIteratorBaseElENKUlvE_clEvENKUlvE2_clEvEUlNS_8BFloat16EE_RSt5tupleIJS8_EEEEDaOT_OT0_@rel32@lo+4
	s_addc_u32 s5, s5, _ZN3c104guts5applyIRZZZN2at6native21polygamma_kernel_cudaERNS2_18TensorIteratorBaseElENKUlvE_clEvENKUlvE2_clEvEUlNS_8BFloat16EE_RSt5tupleIJS8_EEEEDaOT_OT0_@rel32@hi+12
	s_swappc_b64 s[30:31], s[4:5]
	v_mov_b32_e32 v22, v0
.LBB114_23:
	s_or_b32 exec_lo, exec_lo, s21
	v_or_b32_e32 v0, 0x300, v21
	s_mov_b32 s21, exec_lo
                                        ; implicit-def: $vgpr26
	v_cmpx_gt_i32_e64 s33, v0
	s_cbranch_execz .LBB114_25
; %bb.24:
	v_mov_b32_e32 v0, s24
	v_mov_b32_e32 v1, s25
	s_waitcnt vmcnt(0)
	v_mov_b32_e32 v2, v23
	s_getpc_b64 s[4:5]
	s_add_u32 s4, s4, _ZN3c104guts5applyIRZZZN2at6native21polygamma_kernel_cudaERNS2_18TensorIteratorBaseElENKUlvE_clEvENKUlvE2_clEvEUlNS_8BFloat16EE_RSt5tupleIJS8_EEEEDaOT_OT0_@rel32@lo+4
	s_addc_u32 s5, s5, _ZN3c104guts5applyIRZZZN2at6native21polygamma_kernel_cudaERNS2_18TensorIteratorBaseElENKUlvE_clEvENKUlvE2_clEvEUlNS_8BFloat16EE_RSt5tupleIJS8_EEEEDaOT_OT0_@rel32@hi+12
	s_swappc_b64 s[30:31], s[4:5]
	v_mov_b32_e32 v26, v0
.LBB114_25:
	s_or_b32 exec_lo, exec_lo, s21
	v_or_b32_e32 v0, 0x400, v21
	s_mov_b32 s21, exec_lo
                                        ; implicit-def: $vgpr23
	v_cmpx_gt_i32_e64 s33, v0
	s_cbranch_execz .LBB114_27
; %bb.26:
	v_mov_b32_e32 v0, s24
	v_mov_b32_e32 v1, s25
	s_waitcnt vmcnt(0)
	v_mov_b32_e32 v2, v28
	s_getpc_b64 s[4:5]
	s_add_u32 s4, s4, _ZN3c104guts5applyIRZZZN2at6native21polygamma_kernel_cudaERNS2_18TensorIteratorBaseElENKUlvE_clEvENKUlvE2_clEvEUlNS_8BFloat16EE_RSt5tupleIJS8_EEEEDaOT_OT0_@rel32@lo+4
	s_addc_u32 s5, s5, _ZN3c104guts5applyIRZZZN2at6native21polygamma_kernel_cudaERNS2_18TensorIteratorBaseElENKUlvE_clEvENKUlvE2_clEvEUlNS_8BFloat16EE_RSt5tupleIJS8_EEEEDaOT_OT0_@rel32@hi+12
	s_swappc_b64 s[30:31], s[4:5]
	v_mov_b32_e32 v23, v0
.LBB114_27:
	s_or_b32 exec_lo, exec_lo, s21
	v_or_b32_e32 v0, 0x500, v21
	s_mov_b32 s21, exec_lo
                                        ; implicit-def: $vgpr28
	v_cmpx_gt_i32_e64 s33, v0
	s_cbranch_execz .LBB114_29
; %bb.28:
	v_mov_b32_e32 v0, s24
	v_mov_b32_e32 v1, s25
	s_waitcnt vmcnt(0)
	v_mov_b32_e32 v2, v24
	s_getpc_b64 s[4:5]
	s_add_u32 s4, s4, _ZN3c104guts5applyIRZZZN2at6native21polygamma_kernel_cudaERNS2_18TensorIteratorBaseElENKUlvE_clEvENKUlvE2_clEvEUlNS_8BFloat16EE_RSt5tupleIJS8_EEEEDaOT_OT0_@rel32@lo+4
	s_addc_u32 s5, s5, _ZN3c104guts5applyIRZZZN2at6native21polygamma_kernel_cudaERNS2_18TensorIteratorBaseElENKUlvE_clEvENKUlvE2_clEvEUlNS_8BFloat16EE_RSt5tupleIJS8_EEEEDaOT_OT0_@rel32@hi+12
	s_swappc_b64 s[30:31], s[4:5]
	v_mov_b32_e32 v28, v0
.LBB114_29:
	s_or_b32 exec_lo, exec_lo, s21
	v_or_b32_e32 v0, 0x600, v21
	s_mov_b32 s21, exec_lo
                                        ; implicit-def: $vgpr24
	v_cmpx_gt_i32_e64 s33, v0
	s_cbranch_execz .LBB114_31
; %bb.30:
	v_mov_b32_e32 v0, s24
	v_mov_b32_e32 v1, s25
	s_waitcnt vmcnt(0)
	v_mov_b32_e32 v2, v30
	s_getpc_b64 s[4:5]
	s_add_u32 s4, s4, _ZN3c104guts5applyIRZZZN2at6native21polygamma_kernel_cudaERNS2_18TensorIteratorBaseElENKUlvE_clEvENKUlvE2_clEvEUlNS_8BFloat16EE_RSt5tupleIJS8_EEEEDaOT_OT0_@rel32@lo+4
	s_addc_u32 s5, s5, _ZN3c104guts5applyIRZZZN2at6native21polygamma_kernel_cudaERNS2_18TensorIteratorBaseElENKUlvE_clEvENKUlvE2_clEvEUlNS_8BFloat16EE_RSt5tupleIJS8_EEEEDaOT_OT0_@rel32@hi+12
	s_swappc_b64 s[30:31], s[4:5]
	v_mov_b32_e32 v24, v0
.LBB114_31:
	s_or_b32 exec_lo, exec_lo, s21
	v_or_b32_e32 v0, 0x700, v21
	v_cmp_gt_i32_e32 vcc_lo, s33, v0
                                        ; implicit-def: $vgpr0
	s_and_saveexec_b32 s21, vcc_lo
	s_cbranch_execz .LBB114_44
; %bb.32:
	v_mov_b32_e32 v0, s24
	v_mov_b32_e32 v1, s25
	s_waitcnt vmcnt(0)
	v_mov_b32_e32 v2, v25
	s_getpc_b64 s[4:5]
	s_add_u32 s4, s4, _ZN3c104guts5applyIRZZZN2at6native21polygamma_kernel_cudaERNS2_18TensorIteratorBaseElENKUlvE_clEvENKUlvE2_clEvEUlNS_8BFloat16EE_RSt5tupleIJS8_EEEEDaOT_OT0_@rel32@lo+4
	s_addc_u32 s5, s5, _ZN3c104guts5applyIRZZZN2at6native21polygamma_kernel_cudaERNS2_18TensorIteratorBaseElENKUlvE_clEvENKUlvE2_clEvEUlNS_8BFloat16EE_RSt5tupleIJS8_EEEEDaOT_OT0_@rel32@hi+12
	s_swappc_b64 s[30:31], s[4:5]
	s_or_b32 exec_lo, exec_lo, s21
	s_and_saveexec_b32 s4, s20
	s_xor_b32 s4, exec_lo, s4
	s_cbranch_execnz .LBB114_45
.LBB114_33:
	s_or_b32 exec_lo, exec_lo, s4
	s_mov_b32 s4, exec_lo
	v_cmpx_gt_i32_e64 s33, v21
	s_cbranch_execz .LBB114_46
.LBB114_34:
	v_add_nc_u32_e32 v1, s22, v21
	s_waitcnt vmcnt(0)
	v_mov_b32_e32 v2, 0
	v_add_nc_u32_e32 v21, 0x100, v21
	v_lshlrev_b64 v[1:2], 1, v[1:2]
	v_add_co_u32 v1, vcc_lo, s26, v1
	v_add_co_ci_u32_e64 v2, null, s27, v2, vcc_lo
	global_store_short v[1:2], v29, off
	s_or_b32 exec_lo, exec_lo, s4
	s_mov_b32 s4, exec_lo
	v_cmpx_gt_i32_e64 s33, v21
	s_cbranch_execnz .LBB114_47
.LBB114_35:
	s_or_b32 exec_lo, exec_lo, s4
	s_mov_b32 s4, exec_lo
	v_cmpx_gt_i32_e64 s33, v21
	s_cbranch_execz .LBB114_48
.LBB114_36:
	v_add_nc_u32_e32 v1, s22, v21
	s_waitcnt vmcnt(0)
	v_mov_b32_e32 v2, 0
	v_add_nc_u32_e32 v21, 0x100, v21
	v_lshlrev_b64 v[1:2], 1, v[1:2]
	v_add_co_u32 v1, vcc_lo, s26, v1
	v_add_co_ci_u32_e64 v2, null, s27, v2, vcc_lo
	global_store_short v[1:2], v26, off
	s_or_b32 exec_lo, exec_lo, s4
	s_mov_b32 s4, exec_lo
	v_cmpx_gt_i32_e64 s33, v21
	s_cbranch_execnz .LBB114_49
.LBB114_37:
	s_or_b32 exec_lo, exec_lo, s4
	s_mov_b32 s4, exec_lo
	v_cmpx_gt_i32_e64 s33, v21
	s_cbranch_execz .LBB114_50
.LBB114_38:
	v_add_nc_u32_e32 v1, s22, v21
	s_waitcnt vmcnt(0)
	v_mov_b32_e32 v2, 0
	v_add_nc_u32_e32 v21, 0x100, v21
	v_lshlrev_b64 v[1:2], 1, v[1:2]
	v_add_co_u32 v1, vcc_lo, s26, v1
	v_add_co_ci_u32_e64 v2, null, s27, v2, vcc_lo
	global_store_short v[1:2], v28, off
	s_or_b32 exec_lo, exec_lo, s4
	s_mov_b32 s4, exec_lo
	v_cmpx_gt_i32_e64 s33, v21
	s_cbranch_execnz .LBB114_51
.LBB114_39:
	s_or_b32 exec_lo, exec_lo, s4
	s_mov_b32 s4, exec_lo
	v_cmpx_gt_i32_e64 s33, v21
	s_cbranch_execz .LBB114_41
.LBB114_40:
	v_add_nc_u32_e32 v1, s22, v21
	s_waitcnt vmcnt(0)
	v_mov_b32_e32 v2, 0
	v_lshlrev_b64 v[1:2], 1, v[1:2]
	v_add_co_u32 v1, vcc_lo, s26, v1
	v_add_co_ci_u32_e64 v2, null, s27, v2, vcc_lo
	global_store_short v[1:2], v0, off
.LBB114_41:
	s_endpgm
.LBB114_42:
	s_or_b32 exec_lo, exec_lo, s4
	s_mov_b32 s4, exec_lo
	v_cmpx_gt_i32_e64 s33, v0
	s_cbranch_execz .LBB114_17
.LBB114_43:
	v_add_nc_u32_e32 v0, s22, v0
	v_mov_b32_e32 v1, 0
	v_lshlrev_b64 v[0:1], 1, v[0:1]
	v_add_co_u32 v0, vcc_lo, s28, v0
	v_add_co_ci_u32_e64 v1, null, s29, v1, vcc_lo
	global_load_ushort v25, v[0:1], off
	s_or_b32 exec_lo, exec_lo, s4
                                        ; implicit-def: $vgpr27
	s_and_saveexec_b32 s21, s20
	s_cbranch_execz .LBB114_19
	s_branch .LBB114_18
.LBB114_44:
	s_or_b32 exec_lo, exec_lo, s21
	s_and_saveexec_b32 s4, s20
	s_xor_b32 s4, exec_lo, s4
	s_cbranch_execz .LBB114_33
.LBB114_45:
	v_mov_b32_e32 v32, 0
	v_mov_b32_e32 v21, v33
	s_waitcnt vmcnt(0)
	v_lshlrev_b64 v[1:2], 1, v[31:32]
	v_add_co_u32 v1, vcc_lo, s26, v1
	v_add_co_ci_u32_e64 v2, null, s27, v2, vcc_lo
	global_store_short v[1:2], v27, off
	s_or_b32 exec_lo, exec_lo, s4
	s_mov_b32 s4, exec_lo
	v_cmpx_gt_i32_e64 s33, v21
	s_cbranch_execnz .LBB114_34
.LBB114_46:
	s_or_b32 exec_lo, exec_lo, s4
	s_mov_b32 s4, exec_lo
	v_cmpx_gt_i32_e64 s33, v21
	s_cbranch_execz .LBB114_35
.LBB114_47:
	v_add_nc_u32_e32 v1, s22, v21
	s_waitcnt vmcnt(0)
	v_mov_b32_e32 v2, 0
	v_add_nc_u32_e32 v21, 0x100, v21
	v_lshlrev_b64 v[1:2], 1, v[1:2]
	v_add_co_u32 v1, vcc_lo, s26, v1
	v_add_co_ci_u32_e64 v2, null, s27, v2, vcc_lo
	global_store_short v[1:2], v22, off
	s_or_b32 exec_lo, exec_lo, s4
	s_mov_b32 s4, exec_lo
	v_cmpx_gt_i32_e64 s33, v21
	s_cbranch_execnz .LBB114_36
.LBB114_48:
	s_or_b32 exec_lo, exec_lo, s4
	s_mov_b32 s4, exec_lo
	v_cmpx_gt_i32_e64 s33, v21
	s_cbranch_execz .LBB114_37
.LBB114_49:
	v_add_nc_u32_e32 v1, s22, v21
	s_waitcnt vmcnt(0)
	v_mov_b32_e32 v2, 0
	v_add_nc_u32_e32 v21, 0x100, v21
	v_lshlrev_b64 v[1:2], 1, v[1:2]
	v_add_co_u32 v1, vcc_lo, s26, v1
	v_add_co_ci_u32_e64 v2, null, s27, v2, vcc_lo
	global_store_short v[1:2], v23, off
	s_or_b32 exec_lo, exec_lo, s4
	s_mov_b32 s4, exec_lo
	v_cmpx_gt_i32_e64 s33, v21
	s_cbranch_execnz .LBB114_38
.LBB114_50:
	s_or_b32 exec_lo, exec_lo, s4
	s_mov_b32 s4, exec_lo
	v_cmpx_gt_i32_e64 s33, v21
	s_cbranch_execz .LBB114_39
.LBB114_51:
	v_add_nc_u32_e32 v1, s22, v21
	s_waitcnt vmcnt(0)
	v_mov_b32_e32 v2, 0
	v_add_nc_u32_e32 v21, 0x100, v21
	v_lshlrev_b64 v[1:2], 1, v[1:2]
	v_add_co_u32 v1, vcc_lo, s26, v1
	v_add_co_ci_u32_e64 v2, null, s27, v2, vcc_lo
	global_store_short v[1:2], v24, off
	s_or_b32 exec_lo, exec_lo, s4
	s_mov_b32 s4, exec_lo
	v_cmpx_gt_i32_e64 s33, v21
	s_cbranch_execnz .LBB114_40
	s_branch .LBB114_41
	.section	.rodata,"a",@progbits
	.p2align	6, 0x0
	.amdhsa_kernel _ZN2at6native29vectorized_elementwise_kernelILi4EZZZNS0_21polygamma_kernel_cudaERNS_18TensorIteratorBaseElENKUlvE_clEvENKUlvE2_clEvEUlN3c108BFloat16EE_St5arrayIPcLm2EEEEviT0_T1_
		.amdhsa_group_segment_fixed_size 0
		.amdhsa_private_segment_fixed_size 0
		.amdhsa_kernarg_size 32
		.amdhsa_user_sgpr_count 6
		.amdhsa_user_sgpr_private_segment_buffer 1
		.amdhsa_user_sgpr_dispatch_ptr 0
		.amdhsa_user_sgpr_queue_ptr 0
		.amdhsa_user_sgpr_kernarg_segment_ptr 1
		.amdhsa_user_sgpr_dispatch_id 0
		.amdhsa_user_sgpr_flat_scratch_init 0
		.amdhsa_user_sgpr_private_segment_size 0
		.amdhsa_wavefront_size32 1
		.amdhsa_uses_dynamic_stack 0
		.amdhsa_system_sgpr_private_segment_wavefront_offset 0
		.amdhsa_system_sgpr_workgroup_id_x 1
		.amdhsa_system_sgpr_workgroup_id_y 0
		.amdhsa_system_sgpr_workgroup_id_z 0
		.amdhsa_system_sgpr_workgroup_info 0
		.amdhsa_system_vgpr_workitem_id 0
		.amdhsa_next_free_vgpr 34
		.amdhsa_next_free_sgpr 36
		.amdhsa_reserve_vcc 1
		.amdhsa_reserve_flat_scratch 0
		.amdhsa_float_round_mode_32 0
		.amdhsa_float_round_mode_16_64 0
		.amdhsa_float_denorm_mode_32 3
		.amdhsa_float_denorm_mode_16_64 3
		.amdhsa_dx10_clamp 1
		.amdhsa_ieee_mode 1
		.amdhsa_fp16_overflow 0
		.amdhsa_workgroup_processor_mode 1
		.amdhsa_memory_ordered 1
		.amdhsa_forward_progress 1
		.amdhsa_shared_vgpr_count 0
		.amdhsa_exception_fp_ieee_invalid_op 0
		.amdhsa_exception_fp_denorm_src 0
		.amdhsa_exception_fp_ieee_div_zero 0
		.amdhsa_exception_fp_ieee_overflow 0
		.amdhsa_exception_fp_ieee_underflow 0
		.amdhsa_exception_fp_ieee_inexact 0
		.amdhsa_exception_int_div_zero 0
	.end_amdhsa_kernel
	.section	.text._ZN2at6native29vectorized_elementwise_kernelILi4EZZZNS0_21polygamma_kernel_cudaERNS_18TensorIteratorBaseElENKUlvE_clEvENKUlvE2_clEvEUlN3c108BFloat16EE_St5arrayIPcLm2EEEEviT0_T1_,"axG",@progbits,_ZN2at6native29vectorized_elementwise_kernelILi4EZZZNS0_21polygamma_kernel_cudaERNS_18TensorIteratorBaseElENKUlvE_clEvENKUlvE2_clEvEUlN3c108BFloat16EE_St5arrayIPcLm2EEEEviT0_T1_,comdat
.Lfunc_end114:
	.size	_ZN2at6native29vectorized_elementwise_kernelILi4EZZZNS0_21polygamma_kernel_cudaERNS_18TensorIteratorBaseElENKUlvE_clEvENKUlvE2_clEvEUlN3c108BFloat16EE_St5arrayIPcLm2EEEEviT0_T1_, .Lfunc_end114-_ZN2at6native29vectorized_elementwise_kernelILi4EZZZNS0_21polygamma_kernel_cudaERNS_18TensorIteratorBaseElENKUlvE_clEvENKUlvE2_clEvEUlN3c108BFloat16EE_St5arrayIPcLm2EEEEviT0_T1_
                                        ; -- End function
	.set _ZN2at6native29vectorized_elementwise_kernelILi4EZZZNS0_21polygamma_kernel_cudaERNS_18TensorIteratorBaseElENKUlvE_clEvENKUlvE2_clEvEUlN3c108BFloat16EE_St5arrayIPcLm2EEEEviT0_T1_.num_vgpr, max(34, .L_ZN3c104guts5applyIRZZZN2at6native21polygamma_kernel_cudaERNS2_18TensorIteratorBaseElENKUlvE_clEvENKUlvE2_clEvEUlNS_8BFloat16EE_RSt5tupleIJS8_EEEEDaOT_OT0_.num_vgpr)
	.set _ZN2at6native29vectorized_elementwise_kernelILi4EZZZNS0_21polygamma_kernel_cudaERNS_18TensorIteratorBaseElENKUlvE_clEvENKUlvE2_clEvEUlN3c108BFloat16EE_St5arrayIPcLm2EEEEviT0_T1_.num_agpr, max(0, .L_ZN3c104guts5applyIRZZZN2at6native21polygamma_kernel_cudaERNS2_18TensorIteratorBaseElENKUlvE_clEvENKUlvE2_clEvEUlNS_8BFloat16EE_RSt5tupleIJS8_EEEEDaOT_OT0_.num_agpr)
	.set _ZN2at6native29vectorized_elementwise_kernelILi4EZZZNS0_21polygamma_kernel_cudaERNS_18TensorIteratorBaseElENKUlvE_clEvENKUlvE2_clEvEUlN3c108BFloat16EE_St5arrayIPcLm2EEEEviT0_T1_.numbered_sgpr, max(36, .L_ZN3c104guts5applyIRZZZN2at6native21polygamma_kernel_cudaERNS2_18TensorIteratorBaseElENKUlvE_clEvENKUlvE2_clEvEUlNS_8BFloat16EE_RSt5tupleIJS8_EEEEDaOT_OT0_.numbered_sgpr)
	.set _ZN2at6native29vectorized_elementwise_kernelILi4EZZZNS0_21polygamma_kernel_cudaERNS_18TensorIteratorBaseElENKUlvE_clEvENKUlvE2_clEvEUlN3c108BFloat16EE_St5arrayIPcLm2EEEEviT0_T1_.num_named_barrier, max(0, .L_ZN3c104guts5applyIRZZZN2at6native21polygamma_kernel_cudaERNS2_18TensorIteratorBaseElENKUlvE_clEvENKUlvE2_clEvEUlNS_8BFloat16EE_RSt5tupleIJS8_EEEEDaOT_OT0_.num_named_barrier)
	.set _ZN2at6native29vectorized_elementwise_kernelILi4EZZZNS0_21polygamma_kernel_cudaERNS_18TensorIteratorBaseElENKUlvE_clEvENKUlvE2_clEvEUlN3c108BFloat16EE_St5arrayIPcLm2EEEEviT0_T1_.private_seg_size, 0+max(.L_ZN3c104guts5applyIRZZZN2at6native21polygamma_kernel_cudaERNS2_18TensorIteratorBaseElENKUlvE_clEvENKUlvE2_clEvEUlNS_8BFloat16EE_RSt5tupleIJS8_EEEEDaOT_OT0_.private_seg_size)
	.set _ZN2at6native29vectorized_elementwise_kernelILi4EZZZNS0_21polygamma_kernel_cudaERNS_18TensorIteratorBaseElENKUlvE_clEvENKUlvE2_clEvEUlN3c108BFloat16EE_St5arrayIPcLm2EEEEviT0_T1_.uses_vcc, or(1, .L_ZN3c104guts5applyIRZZZN2at6native21polygamma_kernel_cudaERNS2_18TensorIteratorBaseElENKUlvE_clEvENKUlvE2_clEvEUlNS_8BFloat16EE_RSt5tupleIJS8_EEEEDaOT_OT0_.uses_vcc)
	.set _ZN2at6native29vectorized_elementwise_kernelILi4EZZZNS0_21polygamma_kernel_cudaERNS_18TensorIteratorBaseElENKUlvE_clEvENKUlvE2_clEvEUlN3c108BFloat16EE_St5arrayIPcLm2EEEEviT0_T1_.uses_flat_scratch, or(0, .L_ZN3c104guts5applyIRZZZN2at6native21polygamma_kernel_cudaERNS2_18TensorIteratorBaseElENKUlvE_clEvENKUlvE2_clEvEUlNS_8BFloat16EE_RSt5tupleIJS8_EEEEDaOT_OT0_.uses_flat_scratch)
	.set _ZN2at6native29vectorized_elementwise_kernelILi4EZZZNS0_21polygamma_kernel_cudaERNS_18TensorIteratorBaseElENKUlvE_clEvENKUlvE2_clEvEUlN3c108BFloat16EE_St5arrayIPcLm2EEEEviT0_T1_.has_dyn_sized_stack, or(0, .L_ZN3c104guts5applyIRZZZN2at6native21polygamma_kernel_cudaERNS2_18TensorIteratorBaseElENKUlvE_clEvENKUlvE2_clEvEUlNS_8BFloat16EE_RSt5tupleIJS8_EEEEDaOT_OT0_.has_dyn_sized_stack)
	.set _ZN2at6native29vectorized_elementwise_kernelILi4EZZZNS0_21polygamma_kernel_cudaERNS_18TensorIteratorBaseElENKUlvE_clEvENKUlvE2_clEvEUlN3c108BFloat16EE_St5arrayIPcLm2EEEEviT0_T1_.has_recursion, or(0, .L_ZN3c104guts5applyIRZZZN2at6native21polygamma_kernel_cudaERNS2_18TensorIteratorBaseElENKUlvE_clEvENKUlvE2_clEvEUlNS_8BFloat16EE_RSt5tupleIJS8_EEEEDaOT_OT0_.has_recursion)
	.set _ZN2at6native29vectorized_elementwise_kernelILi4EZZZNS0_21polygamma_kernel_cudaERNS_18TensorIteratorBaseElENKUlvE_clEvENKUlvE2_clEvEUlN3c108BFloat16EE_St5arrayIPcLm2EEEEviT0_T1_.has_indirect_call, or(0, .L_ZN3c104guts5applyIRZZZN2at6native21polygamma_kernel_cudaERNS2_18TensorIteratorBaseElENKUlvE_clEvENKUlvE2_clEvEUlNS_8BFloat16EE_RSt5tupleIJS8_EEEEDaOT_OT0_.has_indirect_call)
	.section	.AMDGPU.csdata,"",@progbits
; Kernel info:
; codeLenInByte = 2320
; TotalNumSgprs: 38
; NumVgprs: 34
; ScratchSize: 0
; MemoryBound: 0
; FloatMode: 240
; IeeeMode: 1
; LDSByteSize: 0 bytes/workgroup (compile time only)
; SGPRBlocks: 0
; VGPRBlocks: 4
; NumSGPRsForWavesPerEU: 38
; NumVGPRsForWavesPerEU: 34
; Occupancy: 16
; WaveLimiterHint : 0
; COMPUTE_PGM_RSRC2:SCRATCH_EN: 0
; COMPUTE_PGM_RSRC2:USER_SGPR: 6
; COMPUTE_PGM_RSRC2:TRAP_HANDLER: 0
; COMPUTE_PGM_RSRC2:TGID_X_EN: 1
; COMPUTE_PGM_RSRC2:TGID_Y_EN: 0
; COMPUTE_PGM_RSRC2:TGID_Z_EN: 0
; COMPUTE_PGM_RSRC2:TIDIG_COMP_CNT: 0
	.section	.text._ZN2at6native29vectorized_elementwise_kernelILi2EZZZNS0_21polygamma_kernel_cudaERNS_18TensorIteratorBaseElENKUlvE_clEvENKUlvE2_clEvEUlN3c108BFloat16EE_St5arrayIPcLm2EEEEviT0_T1_,"axG",@progbits,_ZN2at6native29vectorized_elementwise_kernelILi2EZZZNS0_21polygamma_kernel_cudaERNS_18TensorIteratorBaseElENKUlvE_clEvENKUlvE2_clEvEUlN3c108BFloat16EE_St5arrayIPcLm2EEEEviT0_T1_,comdat
	.globl	_ZN2at6native29vectorized_elementwise_kernelILi2EZZZNS0_21polygamma_kernel_cudaERNS_18TensorIteratorBaseElENKUlvE_clEvENKUlvE2_clEvEUlN3c108BFloat16EE_St5arrayIPcLm2EEEEviT0_T1_ ; -- Begin function _ZN2at6native29vectorized_elementwise_kernelILi2EZZZNS0_21polygamma_kernel_cudaERNS_18TensorIteratorBaseElENKUlvE_clEvENKUlvE2_clEvEUlN3c108BFloat16EE_St5arrayIPcLm2EEEEviT0_T1_
	.p2align	8
	.type	_ZN2at6native29vectorized_elementwise_kernelILi2EZZZNS0_21polygamma_kernel_cudaERNS_18TensorIteratorBaseElENKUlvE_clEvENKUlvE2_clEvEUlN3c108BFloat16EE_St5arrayIPcLm2EEEEviT0_T1_,@function
_ZN2at6native29vectorized_elementwise_kernelILi2EZZZNS0_21polygamma_kernel_cudaERNS_18TensorIteratorBaseElENKUlvE_clEvENKUlvE2_clEvEUlN3c108BFloat16EE_St5arrayIPcLm2EEEEviT0_T1_: ; @_ZN2at6native29vectorized_elementwise_kernelILi2EZZZNS0_21polygamma_kernel_cudaERNS_18TensorIteratorBaseElENKUlvE_clEvENKUlvE2_clEvEUlN3c108BFloat16EE_St5arrayIPcLm2EEEEviT0_T1_
; %bb.0:
	s_add_u32 s0, s0, s7
	s_clause 0x2
	s_load_dword s7, s[4:5], 0x0
	s_load_dwordx4 s[24:27], s[4:5], 0x8
	s_load_dwordx2 s[28:29], s[4:5], 0x18
	s_addc_u32 s1, s1, 0
	s_lshl_b32 s22, s6, 11
	v_mov_b32_e32 v21, v0
	s_mov_b32 s23, -1
	s_mov_b32 s32, 0
	s_waitcnt lgkmcnt(0)
	s_sub_i32 s33, s7, s22
	s_cmpk_gt_i32 s33, 0x7ff
	s_cbranch_scc0 .LBB115_2
; %bb.1:
	s_ashr_i32 s23, s22, 31
	v_lshlrev_b32_e32 v27, 2, v21
	s_lshl_b64 s[20:21], s[22:23], 1
	s_mov_b32 s23, 0
	s_add_u32 s4, s28, s20
	s_addc_u32 s5, s29, s21
	v_add_co_u32 v0, s6, s4, v27
	v_add_co_ci_u32_e64 v1, null, s5, 0, s6
	s_getpc_b64 s[34:35]
	s_add_u32 s34, s34, _ZN3c104guts5applyIRZZZN2at6native21polygamma_kernel_cudaERNS2_18TensorIteratorBaseElENKUlvE_clEvENKUlvE2_clEvEUlNS_8BFloat16EE_RSt5tupleIJS8_EEEEDaOT_OT0_@rel32@lo+4
	s_addc_u32 s35, s35, _ZN3c104guts5applyIRZZZN2at6native21polygamma_kernel_cudaERNS2_18TensorIteratorBaseElENKUlvE_clEvENKUlvE2_clEvEUlNS_8BFloat16EE_RSt5tupleIJS8_EEEEDaOT_OT0_@rel32@hi+12
	v_add_co_u32 v0, vcc_lo, 0x800, v0
	v_add_co_ci_u32_e64 v1, null, 0, v1, vcc_lo
	s_clause 0x3
	global_load_dword v22, v27, s[4:5]
	global_load_dword v23, v27, s[4:5] offset:1024
	global_load_dword v24, v[0:1], off
	global_load_dword v25, v[0:1], off offset:1024
	v_mov_b32_e32 v0, s24
	v_mov_b32_e32 v1, s25
	s_waitcnt vmcnt(3)
	v_mov_b32_e32 v2, v22
	s_swappc_b64 s[30:31], s[34:35]
	v_mov_b32_e32 v26, v0
	v_lshrrev_b32_e32 v2, 16, v22
	v_mov_b32_e32 v0, s24
	v_mov_b32_e32 v1, s25
	s_swappc_b64 s[30:31], s[34:35]
	v_lshlrev_b32_e32 v0, 16, v0
	v_mov_b32_e32 v1, s25
	v_mov_b32_e32 v2, v23
	v_or_b32_sdwa v26, v0, v26 dst_sel:DWORD dst_unused:UNUSED_PAD src0_sel:DWORD src1_sel:WORD_0
	v_mov_b32_e32 v0, s24
	s_swappc_b64 s[30:31], s[34:35]
	v_mov_b32_e32 v22, v0
	v_lshrrev_b32_e32 v2, 16, v23
	v_mov_b32_e32 v0, s24
	v_mov_b32_e32 v1, s25
	s_swappc_b64 s[30:31], s[34:35]
	v_lshlrev_b32_e32 v0, 16, v0
	v_mov_b32_e32 v1, s25
	v_mov_b32_e32 v2, v24
	v_or_b32_sdwa v23, v0, v22 dst_sel:DWORD dst_unused:UNUSED_PAD src0_sel:DWORD src1_sel:WORD_0
	v_mov_b32_e32 v0, s24
	s_swappc_b64 s[30:31], s[34:35]
	v_mov_b32_e32 v22, v0
	v_lshrrev_b32_e32 v2, 16, v24
	v_mov_b32_e32 v0, s24
	v_mov_b32_e32 v1, s25
	s_swappc_b64 s[30:31], s[34:35]
	v_lshlrev_b32_e32 v0, 16, v0
	v_mov_b32_e32 v1, s25
	v_mov_b32_e32 v2, v25
	v_or_b32_sdwa v24, v0, v22 dst_sel:DWORD dst_unused:UNUSED_PAD src0_sel:DWORD src1_sel:WORD_0
	v_mov_b32_e32 v0, s24
	s_swappc_b64 s[30:31], s[34:35]
	v_mov_b32_e32 v22, v0
	v_lshrrev_b32_e32 v2, 16, v25
	v_mov_b32_e32 v0, s24
	v_mov_b32_e32 v1, s25
	s_swappc_b64 s[30:31], s[34:35]
	s_add_u32 s4, s26, s20
	s_addc_u32 s5, s27, s21
	v_add_co_u32 v1, s6, s4, v27
	v_add_co_ci_u32_e64 v2, null, s5, 0, s6
	v_lshlrev_b32_e32 v3, 16, v0
	v_add_co_u32 v0, vcc_lo, 0x800, v1
	v_add_co_ci_u32_e64 v1, null, 0, v2, vcc_lo
	v_or_b32_sdwa v2, v3, v22 dst_sel:DWORD dst_unused:UNUSED_PAD src0_sel:DWORD src1_sel:WORD_0
	global_store_dword v27, v26, s[4:5]
	global_store_dword v27, v23, s[4:5] offset:1024
	global_store_dword v[0:1], v24, off
	global_store_dword v[0:1], v2, off offset:1024
.LBB115_2:
	s_andn2_b32 vcc_lo, exec_lo, s23
	s_cbranch_vccnz .LBB115_41
; %bb.3:
	v_cmp_gt_i32_e64 s20, s33, v21
	v_mov_b32_e32 v22, 0
	v_or_b32_e32 v31, s22, v21
	v_or_b32_e32 v33, 0x100, v21
	v_mov_b32_e32 v2, 0
	v_mov_b32_e32 v0, v21
	s_and_saveexec_b32 s4, s20
	s_cbranch_execz .LBB115_5
; %bb.4:
	v_mov_b32_e32 v32, 0
	v_lshlrev_b64 v[0:1], 1, v[31:32]
	v_add_co_u32 v0, vcc_lo, s28, v0
	v_add_co_ci_u32_e64 v1, null, s29, v1, vcc_lo
	global_load_ushort v2, v[0:1], off
	v_or_b32_e32 v0, 0x100, v21
.LBB115_5:
	s_or_b32 exec_lo, exec_lo, s4
	s_mov_b32 s4, exec_lo
	v_cmpx_gt_i32_e64 s33, v0
	s_cbranch_execz .LBB115_7
; %bb.6:
	v_add_nc_u32_e32 v3, s22, v0
	v_mov_b32_e32 v4, 0
	v_add_nc_u32_e32 v0, 0x100, v0
	v_lshlrev_b64 v[3:4], 1, v[3:4]
	v_add_co_u32 v3, vcc_lo, s28, v3
	v_add_co_ci_u32_e64 v4, null, s29, v4, vcc_lo
	global_load_ushort v22, v[3:4], off
.LBB115_7:
	s_or_b32 exec_lo, exec_lo, s4
	v_mov_b32_e32 v23, 0
	v_mov_b32_e32 v26, 0
	s_mov_b32 s4, exec_lo
	v_cmpx_gt_i32_e64 s33, v0
	s_cbranch_execz .LBB115_9
; %bb.8:
	v_add_nc_u32_e32 v3, s22, v0
	v_mov_b32_e32 v4, 0
	v_add_nc_u32_e32 v0, 0x100, v0
	v_lshlrev_b64 v[3:4], 1, v[3:4]
	v_add_co_u32 v3, vcc_lo, s28, v3
	v_add_co_ci_u32_e64 v4, null, s29, v4, vcc_lo
	global_load_ushort v26, v[3:4], off
.LBB115_9:
	s_or_b32 exec_lo, exec_lo, s4
	s_mov_b32 s4, exec_lo
	v_cmpx_gt_i32_e64 s33, v0
	s_cbranch_execz .LBB115_11
; %bb.10:
	v_add_nc_u32_e32 v3, s22, v0
	v_mov_b32_e32 v4, 0
	v_add_nc_u32_e32 v0, 0x100, v0
	v_lshlrev_b64 v[3:4], 1, v[3:4]
	v_add_co_u32 v3, vcc_lo, s28, v3
	v_add_co_ci_u32_e64 v4, null, s29, v4, vcc_lo
	global_load_ushort v23, v[3:4], off
.LBB115_11:
	s_or_b32 exec_lo, exec_lo, s4
	v_mov_b32_e32 v24, 0
	v_mov_b32_e32 v28, 0
	s_mov_b32 s4, exec_lo
	v_cmpx_gt_i32_e64 s33, v0
	s_cbranch_execz .LBB115_13
; %bb.12:
	v_add_nc_u32_e32 v3, s22, v0
	v_mov_b32_e32 v4, 0
	v_add_nc_u32_e32 v0, 0x100, v0
	v_lshlrev_b64 v[3:4], 1, v[3:4]
	v_add_co_u32 v3, vcc_lo, s28, v3
	v_add_co_ci_u32_e64 v4, null, s29, v4, vcc_lo
	global_load_ushort v28, v[3:4], off
.LBB115_13:
	s_or_b32 exec_lo, exec_lo, s4
	s_mov_b32 s4, exec_lo
	v_cmpx_gt_i32_e64 s33, v0
	s_cbranch_execz .LBB115_15
; %bb.14:
	v_add_nc_u32_e32 v3, s22, v0
	v_mov_b32_e32 v4, 0
	v_add_nc_u32_e32 v0, 0x100, v0
	v_lshlrev_b64 v[3:4], 1, v[3:4]
	v_add_co_u32 v3, vcc_lo, s28, v3
	v_add_co_ci_u32_e64 v4, null, s29, v4, vcc_lo
	global_load_ushort v24, v[3:4], off
.LBB115_15:
	s_or_b32 exec_lo, exec_lo, s4
	v_mov_b32_e32 v25, 0
	v_mov_b32_e32 v30, 0
	s_mov_b32 s4, exec_lo
	v_cmpx_gt_i32_e64 s33, v0
	s_cbranch_execz .LBB115_42
; %bb.16:
	v_add_nc_u32_e32 v3, s22, v0
	v_mov_b32_e32 v4, 0
	v_add_nc_u32_e32 v0, 0x100, v0
	v_lshlrev_b64 v[3:4], 1, v[3:4]
	v_add_co_u32 v3, vcc_lo, s28, v3
	v_add_co_ci_u32_e64 v4, null, s29, v4, vcc_lo
	global_load_ushort v30, v[3:4], off
	s_or_b32 exec_lo, exec_lo, s4
	s_mov_b32 s4, exec_lo
	v_cmpx_gt_i32_e64 s33, v0
	s_cbranch_execnz .LBB115_43
.LBB115_17:
	s_or_b32 exec_lo, exec_lo, s4
                                        ; implicit-def: $vgpr27
	s_and_saveexec_b32 s21, s20
	s_cbranch_execz .LBB115_19
.LBB115_18:
	v_mov_b32_e32 v0, s24
	v_mov_b32_e32 v1, s25
	s_getpc_b64 s[4:5]
	s_add_u32 s4, s4, _ZN3c104guts5applyIRZZZN2at6native21polygamma_kernel_cudaERNS2_18TensorIteratorBaseElENKUlvE_clEvENKUlvE2_clEvEUlNS_8BFloat16EE_RSt5tupleIJS8_EEEEDaOT_OT0_@rel32@lo+4
	s_addc_u32 s5, s5, _ZN3c104guts5applyIRZZZN2at6native21polygamma_kernel_cudaERNS2_18TensorIteratorBaseElENKUlvE_clEvENKUlvE2_clEvEUlNS_8BFloat16EE_RSt5tupleIJS8_EEEEDaOT_OT0_@rel32@hi+12
	s_swappc_b64 s[30:31], s[4:5]
	v_mov_b32_e32 v27, v0
.LBB115_19:
	s_or_b32 exec_lo, exec_lo, s21
	s_mov_b32 s21, exec_lo
                                        ; implicit-def: $vgpr29
	v_cmpx_gt_i32_e64 s33, v33
	s_cbranch_execz .LBB115_21
; %bb.20:
	v_mov_b32_e32 v0, s24
	v_mov_b32_e32 v1, s25
	s_waitcnt vmcnt(0)
	v_mov_b32_e32 v2, v22
	s_getpc_b64 s[4:5]
	s_add_u32 s4, s4, _ZN3c104guts5applyIRZZZN2at6native21polygamma_kernel_cudaERNS2_18TensorIteratorBaseElENKUlvE_clEvENKUlvE2_clEvEUlNS_8BFloat16EE_RSt5tupleIJS8_EEEEDaOT_OT0_@rel32@lo+4
	s_addc_u32 s5, s5, _ZN3c104guts5applyIRZZZN2at6native21polygamma_kernel_cudaERNS2_18TensorIteratorBaseElENKUlvE_clEvENKUlvE2_clEvEUlNS_8BFloat16EE_RSt5tupleIJS8_EEEEDaOT_OT0_@rel32@hi+12
	s_swappc_b64 s[30:31], s[4:5]
	v_mov_b32_e32 v29, v0
.LBB115_21:
	s_or_b32 exec_lo, exec_lo, s21
	v_or_b32_e32 v0, 0x200, v21
	s_mov_b32 s21, exec_lo
                                        ; implicit-def: $vgpr22
	v_cmpx_gt_i32_e64 s33, v0
	s_cbranch_execz .LBB115_23
; %bb.22:
	v_mov_b32_e32 v0, s24
	v_mov_b32_e32 v1, s25
	s_waitcnt vmcnt(0)
	v_mov_b32_e32 v2, v26
	s_getpc_b64 s[4:5]
	s_add_u32 s4, s4, _ZN3c104guts5applyIRZZZN2at6native21polygamma_kernel_cudaERNS2_18TensorIteratorBaseElENKUlvE_clEvENKUlvE2_clEvEUlNS_8BFloat16EE_RSt5tupleIJS8_EEEEDaOT_OT0_@rel32@lo+4
	s_addc_u32 s5, s5, _ZN3c104guts5applyIRZZZN2at6native21polygamma_kernel_cudaERNS2_18TensorIteratorBaseElENKUlvE_clEvENKUlvE2_clEvEUlNS_8BFloat16EE_RSt5tupleIJS8_EEEEDaOT_OT0_@rel32@hi+12
	s_swappc_b64 s[30:31], s[4:5]
	v_mov_b32_e32 v22, v0
.LBB115_23:
	s_or_b32 exec_lo, exec_lo, s21
	v_or_b32_e32 v0, 0x300, v21
	s_mov_b32 s21, exec_lo
                                        ; implicit-def: $vgpr26
	v_cmpx_gt_i32_e64 s33, v0
	s_cbranch_execz .LBB115_25
; %bb.24:
	v_mov_b32_e32 v0, s24
	v_mov_b32_e32 v1, s25
	s_waitcnt vmcnt(0)
	v_mov_b32_e32 v2, v23
	s_getpc_b64 s[4:5]
	s_add_u32 s4, s4, _ZN3c104guts5applyIRZZZN2at6native21polygamma_kernel_cudaERNS2_18TensorIteratorBaseElENKUlvE_clEvENKUlvE2_clEvEUlNS_8BFloat16EE_RSt5tupleIJS8_EEEEDaOT_OT0_@rel32@lo+4
	s_addc_u32 s5, s5, _ZN3c104guts5applyIRZZZN2at6native21polygamma_kernel_cudaERNS2_18TensorIteratorBaseElENKUlvE_clEvENKUlvE2_clEvEUlNS_8BFloat16EE_RSt5tupleIJS8_EEEEDaOT_OT0_@rel32@hi+12
	s_swappc_b64 s[30:31], s[4:5]
	v_mov_b32_e32 v26, v0
.LBB115_25:
	s_or_b32 exec_lo, exec_lo, s21
	v_or_b32_e32 v0, 0x400, v21
	s_mov_b32 s21, exec_lo
                                        ; implicit-def: $vgpr23
	v_cmpx_gt_i32_e64 s33, v0
	s_cbranch_execz .LBB115_27
; %bb.26:
	v_mov_b32_e32 v0, s24
	v_mov_b32_e32 v1, s25
	s_waitcnt vmcnt(0)
	v_mov_b32_e32 v2, v28
	s_getpc_b64 s[4:5]
	s_add_u32 s4, s4, _ZN3c104guts5applyIRZZZN2at6native21polygamma_kernel_cudaERNS2_18TensorIteratorBaseElENKUlvE_clEvENKUlvE2_clEvEUlNS_8BFloat16EE_RSt5tupleIJS8_EEEEDaOT_OT0_@rel32@lo+4
	s_addc_u32 s5, s5, _ZN3c104guts5applyIRZZZN2at6native21polygamma_kernel_cudaERNS2_18TensorIteratorBaseElENKUlvE_clEvENKUlvE2_clEvEUlNS_8BFloat16EE_RSt5tupleIJS8_EEEEDaOT_OT0_@rel32@hi+12
	s_swappc_b64 s[30:31], s[4:5]
	v_mov_b32_e32 v23, v0
.LBB115_27:
	s_or_b32 exec_lo, exec_lo, s21
	v_or_b32_e32 v0, 0x500, v21
	s_mov_b32 s21, exec_lo
                                        ; implicit-def: $vgpr28
	v_cmpx_gt_i32_e64 s33, v0
	s_cbranch_execz .LBB115_29
; %bb.28:
	v_mov_b32_e32 v0, s24
	v_mov_b32_e32 v1, s25
	s_waitcnt vmcnt(0)
	v_mov_b32_e32 v2, v24
	s_getpc_b64 s[4:5]
	s_add_u32 s4, s4, _ZN3c104guts5applyIRZZZN2at6native21polygamma_kernel_cudaERNS2_18TensorIteratorBaseElENKUlvE_clEvENKUlvE2_clEvEUlNS_8BFloat16EE_RSt5tupleIJS8_EEEEDaOT_OT0_@rel32@lo+4
	s_addc_u32 s5, s5, _ZN3c104guts5applyIRZZZN2at6native21polygamma_kernel_cudaERNS2_18TensorIteratorBaseElENKUlvE_clEvENKUlvE2_clEvEUlNS_8BFloat16EE_RSt5tupleIJS8_EEEEDaOT_OT0_@rel32@hi+12
	s_swappc_b64 s[30:31], s[4:5]
	v_mov_b32_e32 v28, v0
.LBB115_29:
	s_or_b32 exec_lo, exec_lo, s21
	v_or_b32_e32 v0, 0x600, v21
	s_mov_b32 s21, exec_lo
                                        ; implicit-def: $vgpr24
	v_cmpx_gt_i32_e64 s33, v0
	s_cbranch_execz .LBB115_31
; %bb.30:
	v_mov_b32_e32 v0, s24
	v_mov_b32_e32 v1, s25
	s_waitcnt vmcnt(0)
	v_mov_b32_e32 v2, v30
	s_getpc_b64 s[4:5]
	s_add_u32 s4, s4, _ZN3c104guts5applyIRZZZN2at6native21polygamma_kernel_cudaERNS2_18TensorIteratorBaseElENKUlvE_clEvENKUlvE2_clEvEUlNS_8BFloat16EE_RSt5tupleIJS8_EEEEDaOT_OT0_@rel32@lo+4
	s_addc_u32 s5, s5, _ZN3c104guts5applyIRZZZN2at6native21polygamma_kernel_cudaERNS2_18TensorIteratorBaseElENKUlvE_clEvENKUlvE2_clEvEUlNS_8BFloat16EE_RSt5tupleIJS8_EEEEDaOT_OT0_@rel32@hi+12
	s_swappc_b64 s[30:31], s[4:5]
	v_mov_b32_e32 v24, v0
.LBB115_31:
	s_or_b32 exec_lo, exec_lo, s21
	v_or_b32_e32 v0, 0x700, v21
	v_cmp_gt_i32_e32 vcc_lo, s33, v0
                                        ; implicit-def: $vgpr0
	s_and_saveexec_b32 s21, vcc_lo
	s_cbranch_execz .LBB115_44
; %bb.32:
	v_mov_b32_e32 v0, s24
	v_mov_b32_e32 v1, s25
	s_waitcnt vmcnt(0)
	v_mov_b32_e32 v2, v25
	s_getpc_b64 s[4:5]
	s_add_u32 s4, s4, _ZN3c104guts5applyIRZZZN2at6native21polygamma_kernel_cudaERNS2_18TensorIteratorBaseElENKUlvE_clEvENKUlvE2_clEvEUlNS_8BFloat16EE_RSt5tupleIJS8_EEEEDaOT_OT0_@rel32@lo+4
	s_addc_u32 s5, s5, _ZN3c104guts5applyIRZZZN2at6native21polygamma_kernel_cudaERNS2_18TensorIteratorBaseElENKUlvE_clEvENKUlvE2_clEvEUlNS_8BFloat16EE_RSt5tupleIJS8_EEEEDaOT_OT0_@rel32@hi+12
	s_swappc_b64 s[30:31], s[4:5]
	s_or_b32 exec_lo, exec_lo, s21
	s_and_saveexec_b32 s4, s20
	s_xor_b32 s4, exec_lo, s4
	s_cbranch_execnz .LBB115_45
.LBB115_33:
	s_or_b32 exec_lo, exec_lo, s4
	s_mov_b32 s4, exec_lo
	v_cmpx_gt_i32_e64 s33, v21
	s_cbranch_execz .LBB115_46
.LBB115_34:
	v_add_nc_u32_e32 v1, s22, v21
	s_waitcnt vmcnt(0)
	v_mov_b32_e32 v2, 0
	v_add_nc_u32_e32 v21, 0x100, v21
	v_lshlrev_b64 v[1:2], 1, v[1:2]
	v_add_co_u32 v1, vcc_lo, s26, v1
	v_add_co_ci_u32_e64 v2, null, s27, v2, vcc_lo
	global_store_short v[1:2], v29, off
	s_or_b32 exec_lo, exec_lo, s4
	s_mov_b32 s4, exec_lo
	v_cmpx_gt_i32_e64 s33, v21
	s_cbranch_execnz .LBB115_47
.LBB115_35:
	s_or_b32 exec_lo, exec_lo, s4
	s_mov_b32 s4, exec_lo
	v_cmpx_gt_i32_e64 s33, v21
	s_cbranch_execz .LBB115_48
.LBB115_36:
	v_add_nc_u32_e32 v1, s22, v21
	s_waitcnt vmcnt(0)
	v_mov_b32_e32 v2, 0
	v_add_nc_u32_e32 v21, 0x100, v21
	v_lshlrev_b64 v[1:2], 1, v[1:2]
	v_add_co_u32 v1, vcc_lo, s26, v1
	v_add_co_ci_u32_e64 v2, null, s27, v2, vcc_lo
	global_store_short v[1:2], v26, off
	s_or_b32 exec_lo, exec_lo, s4
	s_mov_b32 s4, exec_lo
	v_cmpx_gt_i32_e64 s33, v21
	s_cbranch_execnz .LBB115_49
.LBB115_37:
	s_or_b32 exec_lo, exec_lo, s4
	s_mov_b32 s4, exec_lo
	v_cmpx_gt_i32_e64 s33, v21
	s_cbranch_execz .LBB115_50
.LBB115_38:
	v_add_nc_u32_e32 v1, s22, v21
	s_waitcnt vmcnt(0)
	v_mov_b32_e32 v2, 0
	v_add_nc_u32_e32 v21, 0x100, v21
	v_lshlrev_b64 v[1:2], 1, v[1:2]
	v_add_co_u32 v1, vcc_lo, s26, v1
	v_add_co_ci_u32_e64 v2, null, s27, v2, vcc_lo
	global_store_short v[1:2], v28, off
	s_or_b32 exec_lo, exec_lo, s4
	s_mov_b32 s4, exec_lo
	v_cmpx_gt_i32_e64 s33, v21
	s_cbranch_execnz .LBB115_51
.LBB115_39:
	s_or_b32 exec_lo, exec_lo, s4
	s_mov_b32 s4, exec_lo
	v_cmpx_gt_i32_e64 s33, v21
	s_cbranch_execz .LBB115_41
.LBB115_40:
	v_add_nc_u32_e32 v1, s22, v21
	s_waitcnt vmcnt(0)
	v_mov_b32_e32 v2, 0
	v_lshlrev_b64 v[1:2], 1, v[1:2]
	v_add_co_u32 v1, vcc_lo, s26, v1
	v_add_co_ci_u32_e64 v2, null, s27, v2, vcc_lo
	global_store_short v[1:2], v0, off
.LBB115_41:
	s_endpgm
.LBB115_42:
	s_or_b32 exec_lo, exec_lo, s4
	s_mov_b32 s4, exec_lo
	v_cmpx_gt_i32_e64 s33, v0
	s_cbranch_execz .LBB115_17
.LBB115_43:
	v_add_nc_u32_e32 v0, s22, v0
	v_mov_b32_e32 v1, 0
	v_lshlrev_b64 v[0:1], 1, v[0:1]
	v_add_co_u32 v0, vcc_lo, s28, v0
	v_add_co_ci_u32_e64 v1, null, s29, v1, vcc_lo
	global_load_ushort v25, v[0:1], off
	s_or_b32 exec_lo, exec_lo, s4
                                        ; implicit-def: $vgpr27
	s_and_saveexec_b32 s21, s20
	s_cbranch_execz .LBB115_19
	s_branch .LBB115_18
.LBB115_44:
	s_or_b32 exec_lo, exec_lo, s21
	s_and_saveexec_b32 s4, s20
	s_xor_b32 s4, exec_lo, s4
	s_cbranch_execz .LBB115_33
.LBB115_45:
	v_mov_b32_e32 v32, 0
	v_mov_b32_e32 v21, v33
	s_waitcnt vmcnt(0)
	v_lshlrev_b64 v[1:2], 1, v[31:32]
	v_add_co_u32 v1, vcc_lo, s26, v1
	v_add_co_ci_u32_e64 v2, null, s27, v2, vcc_lo
	global_store_short v[1:2], v27, off
	s_or_b32 exec_lo, exec_lo, s4
	s_mov_b32 s4, exec_lo
	v_cmpx_gt_i32_e64 s33, v21
	s_cbranch_execnz .LBB115_34
.LBB115_46:
	s_or_b32 exec_lo, exec_lo, s4
	s_mov_b32 s4, exec_lo
	v_cmpx_gt_i32_e64 s33, v21
	s_cbranch_execz .LBB115_35
.LBB115_47:
	v_add_nc_u32_e32 v1, s22, v21
	s_waitcnt vmcnt(0)
	v_mov_b32_e32 v2, 0
	v_add_nc_u32_e32 v21, 0x100, v21
	v_lshlrev_b64 v[1:2], 1, v[1:2]
	v_add_co_u32 v1, vcc_lo, s26, v1
	v_add_co_ci_u32_e64 v2, null, s27, v2, vcc_lo
	global_store_short v[1:2], v22, off
	s_or_b32 exec_lo, exec_lo, s4
	s_mov_b32 s4, exec_lo
	v_cmpx_gt_i32_e64 s33, v21
	s_cbranch_execnz .LBB115_36
.LBB115_48:
	s_or_b32 exec_lo, exec_lo, s4
	s_mov_b32 s4, exec_lo
	v_cmpx_gt_i32_e64 s33, v21
	s_cbranch_execz .LBB115_37
.LBB115_49:
	v_add_nc_u32_e32 v1, s22, v21
	s_waitcnt vmcnt(0)
	v_mov_b32_e32 v2, 0
	v_add_nc_u32_e32 v21, 0x100, v21
	v_lshlrev_b64 v[1:2], 1, v[1:2]
	v_add_co_u32 v1, vcc_lo, s26, v1
	v_add_co_ci_u32_e64 v2, null, s27, v2, vcc_lo
	global_store_short v[1:2], v23, off
	s_or_b32 exec_lo, exec_lo, s4
	s_mov_b32 s4, exec_lo
	v_cmpx_gt_i32_e64 s33, v21
	s_cbranch_execnz .LBB115_38
.LBB115_50:
	s_or_b32 exec_lo, exec_lo, s4
	s_mov_b32 s4, exec_lo
	v_cmpx_gt_i32_e64 s33, v21
	s_cbranch_execz .LBB115_39
.LBB115_51:
	v_add_nc_u32_e32 v1, s22, v21
	s_waitcnt vmcnt(0)
	v_mov_b32_e32 v2, 0
	v_add_nc_u32_e32 v21, 0x100, v21
	v_lshlrev_b64 v[1:2], 1, v[1:2]
	v_add_co_u32 v1, vcc_lo, s26, v1
	v_add_co_ci_u32_e64 v2, null, s27, v2, vcc_lo
	global_store_short v[1:2], v24, off
	s_or_b32 exec_lo, exec_lo, s4
	s_mov_b32 s4, exec_lo
	v_cmpx_gt_i32_e64 s33, v21
	s_cbranch_execnz .LBB115_40
	s_branch .LBB115_41
	.section	.rodata,"a",@progbits
	.p2align	6, 0x0
	.amdhsa_kernel _ZN2at6native29vectorized_elementwise_kernelILi2EZZZNS0_21polygamma_kernel_cudaERNS_18TensorIteratorBaseElENKUlvE_clEvENKUlvE2_clEvEUlN3c108BFloat16EE_St5arrayIPcLm2EEEEviT0_T1_
		.amdhsa_group_segment_fixed_size 0
		.amdhsa_private_segment_fixed_size 0
		.amdhsa_kernarg_size 32
		.amdhsa_user_sgpr_count 6
		.amdhsa_user_sgpr_private_segment_buffer 1
		.amdhsa_user_sgpr_dispatch_ptr 0
		.amdhsa_user_sgpr_queue_ptr 0
		.amdhsa_user_sgpr_kernarg_segment_ptr 1
		.amdhsa_user_sgpr_dispatch_id 0
		.amdhsa_user_sgpr_flat_scratch_init 0
		.amdhsa_user_sgpr_private_segment_size 0
		.amdhsa_wavefront_size32 1
		.amdhsa_uses_dynamic_stack 0
		.amdhsa_system_sgpr_private_segment_wavefront_offset 0
		.amdhsa_system_sgpr_workgroup_id_x 1
		.amdhsa_system_sgpr_workgroup_id_y 0
		.amdhsa_system_sgpr_workgroup_id_z 0
		.amdhsa_system_sgpr_workgroup_info 0
		.amdhsa_system_vgpr_workitem_id 0
		.amdhsa_next_free_vgpr 34
		.amdhsa_next_free_sgpr 36
		.amdhsa_reserve_vcc 1
		.amdhsa_reserve_flat_scratch 0
		.amdhsa_float_round_mode_32 0
		.amdhsa_float_round_mode_16_64 0
		.amdhsa_float_denorm_mode_32 3
		.amdhsa_float_denorm_mode_16_64 3
		.amdhsa_dx10_clamp 1
		.amdhsa_ieee_mode 1
		.amdhsa_fp16_overflow 0
		.amdhsa_workgroup_processor_mode 1
		.amdhsa_memory_ordered 1
		.amdhsa_forward_progress 1
		.amdhsa_shared_vgpr_count 0
		.amdhsa_exception_fp_ieee_invalid_op 0
		.amdhsa_exception_fp_denorm_src 0
		.amdhsa_exception_fp_ieee_div_zero 0
		.amdhsa_exception_fp_ieee_overflow 0
		.amdhsa_exception_fp_ieee_underflow 0
		.amdhsa_exception_fp_ieee_inexact 0
		.amdhsa_exception_int_div_zero 0
	.end_amdhsa_kernel
	.section	.text._ZN2at6native29vectorized_elementwise_kernelILi2EZZZNS0_21polygamma_kernel_cudaERNS_18TensorIteratorBaseElENKUlvE_clEvENKUlvE2_clEvEUlN3c108BFloat16EE_St5arrayIPcLm2EEEEviT0_T1_,"axG",@progbits,_ZN2at6native29vectorized_elementwise_kernelILi2EZZZNS0_21polygamma_kernel_cudaERNS_18TensorIteratorBaseElENKUlvE_clEvENKUlvE2_clEvEUlN3c108BFloat16EE_St5arrayIPcLm2EEEEviT0_T1_,comdat
.Lfunc_end115:
	.size	_ZN2at6native29vectorized_elementwise_kernelILi2EZZZNS0_21polygamma_kernel_cudaERNS_18TensorIteratorBaseElENKUlvE_clEvENKUlvE2_clEvEUlN3c108BFloat16EE_St5arrayIPcLm2EEEEviT0_T1_, .Lfunc_end115-_ZN2at6native29vectorized_elementwise_kernelILi2EZZZNS0_21polygamma_kernel_cudaERNS_18TensorIteratorBaseElENKUlvE_clEvENKUlvE2_clEvEUlN3c108BFloat16EE_St5arrayIPcLm2EEEEviT0_T1_
                                        ; -- End function
	.set _ZN2at6native29vectorized_elementwise_kernelILi2EZZZNS0_21polygamma_kernel_cudaERNS_18TensorIteratorBaseElENKUlvE_clEvENKUlvE2_clEvEUlN3c108BFloat16EE_St5arrayIPcLm2EEEEviT0_T1_.num_vgpr, max(34, .L_ZN3c104guts5applyIRZZZN2at6native21polygamma_kernel_cudaERNS2_18TensorIteratorBaseElENKUlvE_clEvENKUlvE2_clEvEUlNS_8BFloat16EE_RSt5tupleIJS8_EEEEDaOT_OT0_.num_vgpr)
	.set _ZN2at6native29vectorized_elementwise_kernelILi2EZZZNS0_21polygamma_kernel_cudaERNS_18TensorIteratorBaseElENKUlvE_clEvENKUlvE2_clEvEUlN3c108BFloat16EE_St5arrayIPcLm2EEEEviT0_T1_.num_agpr, max(0, .L_ZN3c104guts5applyIRZZZN2at6native21polygamma_kernel_cudaERNS2_18TensorIteratorBaseElENKUlvE_clEvENKUlvE2_clEvEUlNS_8BFloat16EE_RSt5tupleIJS8_EEEEDaOT_OT0_.num_agpr)
	.set _ZN2at6native29vectorized_elementwise_kernelILi2EZZZNS0_21polygamma_kernel_cudaERNS_18TensorIteratorBaseElENKUlvE_clEvENKUlvE2_clEvEUlN3c108BFloat16EE_St5arrayIPcLm2EEEEviT0_T1_.numbered_sgpr, max(36, .L_ZN3c104guts5applyIRZZZN2at6native21polygamma_kernel_cudaERNS2_18TensorIteratorBaseElENKUlvE_clEvENKUlvE2_clEvEUlNS_8BFloat16EE_RSt5tupleIJS8_EEEEDaOT_OT0_.numbered_sgpr)
	.set _ZN2at6native29vectorized_elementwise_kernelILi2EZZZNS0_21polygamma_kernel_cudaERNS_18TensorIteratorBaseElENKUlvE_clEvENKUlvE2_clEvEUlN3c108BFloat16EE_St5arrayIPcLm2EEEEviT0_T1_.num_named_barrier, max(0, .L_ZN3c104guts5applyIRZZZN2at6native21polygamma_kernel_cudaERNS2_18TensorIteratorBaseElENKUlvE_clEvENKUlvE2_clEvEUlNS_8BFloat16EE_RSt5tupleIJS8_EEEEDaOT_OT0_.num_named_barrier)
	.set _ZN2at6native29vectorized_elementwise_kernelILi2EZZZNS0_21polygamma_kernel_cudaERNS_18TensorIteratorBaseElENKUlvE_clEvENKUlvE2_clEvEUlN3c108BFloat16EE_St5arrayIPcLm2EEEEviT0_T1_.private_seg_size, 0+max(.L_ZN3c104guts5applyIRZZZN2at6native21polygamma_kernel_cudaERNS2_18TensorIteratorBaseElENKUlvE_clEvENKUlvE2_clEvEUlNS_8BFloat16EE_RSt5tupleIJS8_EEEEDaOT_OT0_.private_seg_size)
	.set _ZN2at6native29vectorized_elementwise_kernelILi2EZZZNS0_21polygamma_kernel_cudaERNS_18TensorIteratorBaseElENKUlvE_clEvENKUlvE2_clEvEUlN3c108BFloat16EE_St5arrayIPcLm2EEEEviT0_T1_.uses_vcc, or(1, .L_ZN3c104guts5applyIRZZZN2at6native21polygamma_kernel_cudaERNS2_18TensorIteratorBaseElENKUlvE_clEvENKUlvE2_clEvEUlNS_8BFloat16EE_RSt5tupleIJS8_EEEEDaOT_OT0_.uses_vcc)
	.set _ZN2at6native29vectorized_elementwise_kernelILi2EZZZNS0_21polygamma_kernel_cudaERNS_18TensorIteratorBaseElENKUlvE_clEvENKUlvE2_clEvEUlN3c108BFloat16EE_St5arrayIPcLm2EEEEviT0_T1_.uses_flat_scratch, or(0, .L_ZN3c104guts5applyIRZZZN2at6native21polygamma_kernel_cudaERNS2_18TensorIteratorBaseElENKUlvE_clEvENKUlvE2_clEvEUlNS_8BFloat16EE_RSt5tupleIJS8_EEEEDaOT_OT0_.uses_flat_scratch)
	.set _ZN2at6native29vectorized_elementwise_kernelILi2EZZZNS0_21polygamma_kernel_cudaERNS_18TensorIteratorBaseElENKUlvE_clEvENKUlvE2_clEvEUlN3c108BFloat16EE_St5arrayIPcLm2EEEEviT0_T1_.has_dyn_sized_stack, or(0, .L_ZN3c104guts5applyIRZZZN2at6native21polygamma_kernel_cudaERNS2_18TensorIteratorBaseElENKUlvE_clEvENKUlvE2_clEvEUlNS_8BFloat16EE_RSt5tupleIJS8_EEEEDaOT_OT0_.has_dyn_sized_stack)
	.set _ZN2at6native29vectorized_elementwise_kernelILi2EZZZNS0_21polygamma_kernel_cudaERNS_18TensorIteratorBaseElENKUlvE_clEvENKUlvE2_clEvEUlN3c108BFloat16EE_St5arrayIPcLm2EEEEviT0_T1_.has_recursion, or(0, .L_ZN3c104guts5applyIRZZZN2at6native21polygamma_kernel_cudaERNS2_18TensorIteratorBaseElENKUlvE_clEvENKUlvE2_clEvEUlNS_8BFloat16EE_RSt5tupleIJS8_EEEEDaOT_OT0_.has_recursion)
	.set _ZN2at6native29vectorized_elementwise_kernelILi2EZZZNS0_21polygamma_kernel_cudaERNS_18TensorIteratorBaseElENKUlvE_clEvENKUlvE2_clEvEUlN3c108BFloat16EE_St5arrayIPcLm2EEEEviT0_T1_.has_indirect_call, or(0, .L_ZN3c104guts5applyIRZZZN2at6native21polygamma_kernel_cudaERNS2_18TensorIteratorBaseElENKUlvE_clEvENKUlvE2_clEvEUlNS_8BFloat16EE_RSt5tupleIJS8_EEEEDaOT_OT0_.has_indirect_call)
	.section	.AMDGPU.csdata,"",@progbits
; Kernel info:
; codeLenInByte = 2332
; TotalNumSgprs: 38
; NumVgprs: 34
; ScratchSize: 0
; MemoryBound: 0
; FloatMode: 240
; IeeeMode: 1
; LDSByteSize: 0 bytes/workgroup (compile time only)
; SGPRBlocks: 0
; VGPRBlocks: 4
; NumSGPRsForWavesPerEU: 38
; NumVGPRsForWavesPerEU: 34
; Occupancy: 16
; WaveLimiterHint : 0
; COMPUTE_PGM_RSRC2:SCRATCH_EN: 0
; COMPUTE_PGM_RSRC2:USER_SGPR: 6
; COMPUTE_PGM_RSRC2:TRAP_HANDLER: 0
; COMPUTE_PGM_RSRC2:TGID_X_EN: 1
; COMPUTE_PGM_RSRC2:TGID_Y_EN: 0
; COMPUTE_PGM_RSRC2:TGID_Z_EN: 0
; COMPUTE_PGM_RSRC2:TIDIG_COMP_CNT: 0
	.section	.text._ZN2at6native27unrolled_elementwise_kernelIZZZNS0_21polygamma_kernel_cudaERNS_18TensorIteratorBaseElENKUlvE_clEvENKUlvE2_clEvEUlN3c108BFloat16EE_St5arrayIPcLm2EELi4E23TrivialOffsetCalculatorILi1EjESD_NS0_6memory15LoadWithoutCastENSE_16StoreWithoutCastEEEviT_T0_T2_T3_T4_T5_,"axG",@progbits,_ZN2at6native27unrolled_elementwise_kernelIZZZNS0_21polygamma_kernel_cudaERNS_18TensorIteratorBaseElENKUlvE_clEvENKUlvE2_clEvEUlN3c108BFloat16EE_St5arrayIPcLm2EELi4E23TrivialOffsetCalculatorILi1EjESD_NS0_6memory15LoadWithoutCastENSE_16StoreWithoutCastEEEviT_T0_T2_T3_T4_T5_,comdat
	.globl	_ZN2at6native27unrolled_elementwise_kernelIZZZNS0_21polygamma_kernel_cudaERNS_18TensorIteratorBaseElENKUlvE_clEvENKUlvE2_clEvEUlN3c108BFloat16EE_St5arrayIPcLm2EELi4E23TrivialOffsetCalculatorILi1EjESD_NS0_6memory15LoadWithoutCastENSE_16StoreWithoutCastEEEviT_T0_T2_T3_T4_T5_ ; -- Begin function _ZN2at6native27unrolled_elementwise_kernelIZZZNS0_21polygamma_kernel_cudaERNS_18TensorIteratorBaseElENKUlvE_clEvENKUlvE2_clEvEUlN3c108BFloat16EE_St5arrayIPcLm2EELi4E23TrivialOffsetCalculatorILi1EjESD_NS0_6memory15LoadWithoutCastENSE_16StoreWithoutCastEEEviT_T0_T2_T3_T4_T5_
	.p2align	8
	.type	_ZN2at6native27unrolled_elementwise_kernelIZZZNS0_21polygamma_kernel_cudaERNS_18TensorIteratorBaseElENKUlvE_clEvENKUlvE2_clEvEUlN3c108BFloat16EE_St5arrayIPcLm2EELi4E23TrivialOffsetCalculatorILi1EjESD_NS0_6memory15LoadWithoutCastENSE_16StoreWithoutCastEEEviT_T0_T2_T3_T4_T5_,@function
_ZN2at6native27unrolled_elementwise_kernelIZZZNS0_21polygamma_kernel_cudaERNS_18TensorIteratorBaseElENKUlvE_clEvENKUlvE2_clEvEUlN3c108BFloat16EE_St5arrayIPcLm2EELi4E23TrivialOffsetCalculatorILi1EjESD_NS0_6memory15LoadWithoutCastENSE_16StoreWithoutCastEEEviT_T0_T2_T3_T4_T5_: ; @_ZN2at6native27unrolled_elementwise_kernelIZZZNS0_21polygamma_kernel_cudaERNS_18TensorIteratorBaseElENKUlvE_clEvENKUlvE2_clEvEUlN3c108BFloat16EE_St5arrayIPcLm2EELi4E23TrivialOffsetCalculatorILi1EjESD_NS0_6memory15LoadWithoutCastENSE_16StoreWithoutCastEEEviT_T0_T2_T3_T4_T5_
; %bb.0:
	s_add_u32 s0, s0, s7
	s_clause 0x1
	s_load_dword s7, s[4:5], 0x0
	s_load_dwordx2 s[8:9], s[4:5], 0x18
	v_mov_b32_e32 v21, v0
	s_addc_u32 s1, s1, 0
	s_lshl_b32 s21, s6, 10
	v_mov_b32_e32 v22, 0
	v_mov_b32_e32 v2, 0
	v_or_b32_e32 v27, s21, v21
	v_or_b32_e32 v29, 0x100, v21
	s_mov_b32 s32, 0
	s_waitcnt lgkmcnt(0)
	s_sub_i32 s22, s7, s21
	v_cmp_gt_i32_e64 s20, s22, v21
	s_and_saveexec_b32 s6, s20
	s_cbranch_execz .LBB116_2
; %bb.1:
	v_mov_b32_e32 v28, 0
	v_lshlrev_b64 v[0:1], 1, v[27:28]
	v_add_co_u32 v0, vcc_lo, s8, v0
	v_add_co_ci_u32_e64 v1, null, s9, v1, vcc_lo
	global_load_ushort v2, v[0:1], off
	v_or_b32_e32 v0, 0x100, v21
.LBB116_2:
	s_or_b32 exec_lo, exec_lo, s6
	s_load_dwordx4 s[24:27], s[4:5], 0x8
	s_mov_b32 s4, exec_lo
	v_cmpx_gt_i32_e64 s22, v0
	s_cbranch_execz .LBB116_4
; %bb.3:
	v_add_nc_u32_e32 v3, s21, v0
	v_mov_b32_e32 v4, 0
	v_add_nc_u32_e32 v0, 0x100, v0
	v_lshlrev_b64 v[3:4], 1, v[3:4]
	v_add_co_u32 v3, vcc_lo, s8, v3
	v_add_co_ci_u32_e64 v4, null, s9, v4, vcc_lo
	global_load_ushort v22, v[3:4], off
.LBB116_4:
	s_or_b32 exec_lo, exec_lo, s4
	v_mov_b32_e32 v23, 0
	v_mov_b32_e32 v26, 0
	s_mov_b32 s4, exec_lo
	v_cmpx_gt_i32_e64 s22, v0
	s_cbranch_execz .LBB116_18
; %bb.5:
	v_add_nc_u32_e32 v3, s21, v0
	v_mov_b32_e32 v4, 0
	v_add_nc_u32_e32 v0, 0x100, v0
	v_lshlrev_b64 v[3:4], 1, v[3:4]
	v_add_co_u32 v3, vcc_lo, s8, v3
	v_add_co_ci_u32_e64 v4, null, s9, v4, vcc_lo
	global_load_ushort v26, v[3:4], off
	s_or_b32 exec_lo, exec_lo, s4
	s_mov_b32 s4, exec_lo
	v_cmpx_gt_i32_e64 s22, v0
	s_cbranch_execnz .LBB116_19
.LBB116_6:
	s_or_b32 exec_lo, exec_lo, s4
                                        ; implicit-def: $vgpr25
	s_and_saveexec_b32 s23, s20
	s_cbranch_execz .LBB116_8
.LBB116_7:
	s_waitcnt lgkmcnt(0)
	v_mov_b32_e32 v0, s24
	v_mov_b32_e32 v1, s25
	s_getpc_b64 s[4:5]
	s_add_u32 s4, s4, _ZN3c104guts5applyIRZZZN2at6native21polygamma_kernel_cudaERNS2_18TensorIteratorBaseElENKUlvE_clEvENKUlvE2_clEvEUlNS_8BFloat16EE_RSt5tupleIJS8_EEEEDaOT_OT0_@rel32@lo+4
	s_addc_u32 s5, s5, _ZN3c104guts5applyIRZZZN2at6native21polygamma_kernel_cudaERNS2_18TensorIteratorBaseElENKUlvE_clEvENKUlvE2_clEvEUlNS_8BFloat16EE_RSt5tupleIJS8_EEEEDaOT_OT0_@rel32@hi+12
	s_swappc_b64 s[30:31], s[4:5]
	v_mov_b32_e32 v25, v0
.LBB116_8:
	s_or_b32 exec_lo, exec_lo, s23
	s_mov_b32 s23, exec_lo
                                        ; implicit-def: $vgpr24
	v_cmpx_gt_i32_e64 s22, v29
	s_cbranch_execz .LBB116_10
; %bb.9:
	s_waitcnt lgkmcnt(0)
	v_mov_b32_e32 v0, s24
	v_mov_b32_e32 v1, s25
	s_waitcnt vmcnt(0)
	v_mov_b32_e32 v2, v22
	s_getpc_b64 s[4:5]
	s_add_u32 s4, s4, _ZN3c104guts5applyIRZZZN2at6native21polygamma_kernel_cudaERNS2_18TensorIteratorBaseElENKUlvE_clEvENKUlvE2_clEvEUlNS_8BFloat16EE_RSt5tupleIJS8_EEEEDaOT_OT0_@rel32@lo+4
	s_addc_u32 s5, s5, _ZN3c104guts5applyIRZZZN2at6native21polygamma_kernel_cudaERNS2_18TensorIteratorBaseElENKUlvE_clEvENKUlvE2_clEvEUlNS_8BFloat16EE_RSt5tupleIJS8_EEEEDaOT_OT0_@rel32@hi+12
	s_swappc_b64 s[30:31], s[4:5]
	v_mov_b32_e32 v24, v0
.LBB116_10:
	s_or_b32 exec_lo, exec_lo, s23
	v_or_b32_e32 v0, 0x200, v21
	s_mov_b32 s23, exec_lo
                                        ; implicit-def: $vgpr22
	v_cmpx_gt_i32_e64 s22, v0
	s_cbranch_execz .LBB116_12
; %bb.11:
	s_waitcnt lgkmcnt(0)
	v_mov_b32_e32 v0, s24
	v_mov_b32_e32 v1, s25
	s_waitcnt vmcnt(0)
	v_mov_b32_e32 v2, v26
	s_getpc_b64 s[4:5]
	s_add_u32 s4, s4, _ZN3c104guts5applyIRZZZN2at6native21polygamma_kernel_cudaERNS2_18TensorIteratorBaseElENKUlvE_clEvENKUlvE2_clEvEUlNS_8BFloat16EE_RSt5tupleIJS8_EEEEDaOT_OT0_@rel32@lo+4
	s_addc_u32 s5, s5, _ZN3c104guts5applyIRZZZN2at6native21polygamma_kernel_cudaERNS2_18TensorIteratorBaseElENKUlvE_clEvENKUlvE2_clEvEUlNS_8BFloat16EE_RSt5tupleIJS8_EEEEDaOT_OT0_@rel32@hi+12
	s_swappc_b64 s[30:31], s[4:5]
	v_mov_b32_e32 v22, v0
.LBB116_12:
	s_or_b32 exec_lo, exec_lo, s23
	v_or_b32_e32 v0, 0x300, v21
	v_cmp_gt_i32_e32 vcc_lo, s22, v0
                                        ; implicit-def: $vgpr0
	s_and_saveexec_b32 s23, vcc_lo
	s_cbranch_execz .LBB116_20
; %bb.13:
	s_waitcnt lgkmcnt(0)
	v_mov_b32_e32 v0, s24
	v_mov_b32_e32 v1, s25
	s_waitcnt vmcnt(0)
	v_mov_b32_e32 v2, v23
	s_getpc_b64 s[4:5]
	s_add_u32 s4, s4, _ZN3c104guts5applyIRZZZN2at6native21polygamma_kernel_cudaERNS2_18TensorIteratorBaseElENKUlvE_clEvENKUlvE2_clEvEUlNS_8BFloat16EE_RSt5tupleIJS8_EEEEDaOT_OT0_@rel32@lo+4
	s_addc_u32 s5, s5, _ZN3c104guts5applyIRZZZN2at6native21polygamma_kernel_cudaERNS2_18TensorIteratorBaseElENKUlvE_clEvENKUlvE2_clEvEUlNS_8BFloat16EE_RSt5tupleIJS8_EEEEDaOT_OT0_@rel32@hi+12
	s_swappc_b64 s[30:31], s[4:5]
	s_or_b32 exec_lo, exec_lo, s23
	s_and_saveexec_b32 s4, s20
	s_xor_b32 s4, exec_lo, s4
	s_cbranch_execnz .LBB116_21
.LBB116_14:
	s_or_b32 exec_lo, exec_lo, s4
	s_mov_b32 s4, exec_lo
	v_cmpx_gt_i32_e64 s22, v21
	s_cbranch_execz .LBB116_22
.LBB116_15:
	v_add_nc_u32_e32 v1, s21, v21
	s_waitcnt vmcnt(0)
	v_mov_b32_e32 v2, 0
	v_add_nc_u32_e32 v21, 0x100, v21
	v_lshlrev_b64 v[1:2], 1, v[1:2]
	s_waitcnt lgkmcnt(0)
	v_add_co_u32 v1, vcc_lo, s26, v1
	v_add_co_ci_u32_e64 v2, null, s27, v2, vcc_lo
	global_store_short v[1:2], v24, off
	s_or_b32 exec_lo, exec_lo, s4
	s_mov_b32 s4, exec_lo
	v_cmpx_gt_i32_e64 s22, v21
	s_cbranch_execnz .LBB116_23
.LBB116_16:
	s_or_b32 exec_lo, exec_lo, s4
	s_mov_b32 s4, exec_lo
	v_cmpx_gt_i32_e64 s22, v21
	s_cbranch_execz .LBB116_24
.LBB116_17:
	v_add_nc_u32_e32 v1, s21, v21
	s_waitcnt vmcnt(0)
	v_mov_b32_e32 v2, 0
	v_lshlrev_b64 v[1:2], 1, v[1:2]
	s_waitcnt lgkmcnt(0)
	v_add_co_u32 v1, vcc_lo, s26, v1
	v_add_co_ci_u32_e64 v2, null, s27, v2, vcc_lo
	global_store_short v[1:2], v0, off
	s_endpgm
.LBB116_18:
	s_or_b32 exec_lo, exec_lo, s4
	s_mov_b32 s4, exec_lo
	v_cmpx_gt_i32_e64 s22, v0
	s_cbranch_execz .LBB116_6
.LBB116_19:
	v_add_nc_u32_e32 v0, s21, v0
	v_mov_b32_e32 v1, 0
	v_lshlrev_b64 v[0:1], 1, v[0:1]
	v_add_co_u32 v0, vcc_lo, s8, v0
	v_add_co_ci_u32_e64 v1, null, s9, v1, vcc_lo
	global_load_ushort v23, v[0:1], off
	s_or_b32 exec_lo, exec_lo, s4
                                        ; implicit-def: $vgpr25
	s_and_saveexec_b32 s23, s20
	s_cbranch_execz .LBB116_8
	s_branch .LBB116_7
.LBB116_20:
	s_or_b32 exec_lo, exec_lo, s23
	s_and_saveexec_b32 s4, s20
	s_xor_b32 s4, exec_lo, s4
	s_cbranch_execz .LBB116_14
.LBB116_21:
	v_mov_b32_e32 v28, 0
	v_mov_b32_e32 v21, v29
	s_waitcnt vmcnt(0)
	v_lshlrev_b64 v[1:2], 1, v[27:28]
	s_waitcnt lgkmcnt(0)
	v_add_co_u32 v1, vcc_lo, s26, v1
	v_add_co_ci_u32_e64 v2, null, s27, v2, vcc_lo
	global_store_short v[1:2], v25, off
	s_or_b32 exec_lo, exec_lo, s4
	s_mov_b32 s4, exec_lo
	v_cmpx_gt_i32_e64 s22, v21
	s_cbranch_execnz .LBB116_15
.LBB116_22:
	s_or_b32 exec_lo, exec_lo, s4
	s_mov_b32 s4, exec_lo
	v_cmpx_gt_i32_e64 s22, v21
	s_cbranch_execz .LBB116_16
.LBB116_23:
	v_add_nc_u32_e32 v1, s21, v21
	s_waitcnt vmcnt(0)
	v_mov_b32_e32 v2, 0
	v_add_nc_u32_e32 v21, 0x100, v21
	v_lshlrev_b64 v[1:2], 1, v[1:2]
	s_waitcnt lgkmcnt(0)
	v_add_co_u32 v1, vcc_lo, s26, v1
	v_add_co_ci_u32_e64 v2, null, s27, v2, vcc_lo
	global_store_short v[1:2], v22, off
	s_or_b32 exec_lo, exec_lo, s4
	s_mov_b32 s4, exec_lo
	v_cmpx_gt_i32_e64 s22, v21
	s_cbranch_execnz .LBB116_17
.LBB116_24:
	s_endpgm
	.section	.rodata,"a",@progbits
	.p2align	6, 0x0
	.amdhsa_kernel _ZN2at6native27unrolled_elementwise_kernelIZZZNS0_21polygamma_kernel_cudaERNS_18TensorIteratorBaseElENKUlvE_clEvENKUlvE2_clEvEUlN3c108BFloat16EE_St5arrayIPcLm2EELi4E23TrivialOffsetCalculatorILi1EjESD_NS0_6memory15LoadWithoutCastENSE_16StoreWithoutCastEEEviT_T0_T2_T3_T4_T5_
		.amdhsa_group_segment_fixed_size 0
		.amdhsa_private_segment_fixed_size 0
		.amdhsa_kernarg_size 36
		.amdhsa_user_sgpr_count 6
		.amdhsa_user_sgpr_private_segment_buffer 1
		.amdhsa_user_sgpr_dispatch_ptr 0
		.amdhsa_user_sgpr_queue_ptr 0
		.amdhsa_user_sgpr_kernarg_segment_ptr 1
		.amdhsa_user_sgpr_dispatch_id 0
		.amdhsa_user_sgpr_flat_scratch_init 0
		.amdhsa_user_sgpr_private_segment_size 0
		.amdhsa_wavefront_size32 1
		.amdhsa_uses_dynamic_stack 0
		.amdhsa_system_sgpr_private_segment_wavefront_offset 0
		.amdhsa_system_sgpr_workgroup_id_x 1
		.amdhsa_system_sgpr_workgroup_id_y 0
		.amdhsa_system_sgpr_workgroup_id_z 0
		.amdhsa_system_sgpr_workgroup_info 0
		.amdhsa_system_vgpr_workitem_id 0
		.amdhsa_next_free_vgpr 30
		.amdhsa_next_free_sgpr 33
		.amdhsa_reserve_vcc 1
		.amdhsa_reserve_flat_scratch 0
		.amdhsa_float_round_mode_32 0
		.amdhsa_float_round_mode_16_64 0
		.amdhsa_float_denorm_mode_32 3
		.amdhsa_float_denorm_mode_16_64 3
		.amdhsa_dx10_clamp 1
		.amdhsa_ieee_mode 1
		.amdhsa_fp16_overflow 0
		.amdhsa_workgroup_processor_mode 1
		.amdhsa_memory_ordered 1
		.amdhsa_forward_progress 1
		.amdhsa_shared_vgpr_count 0
		.amdhsa_exception_fp_ieee_invalid_op 0
		.amdhsa_exception_fp_denorm_src 0
		.amdhsa_exception_fp_ieee_div_zero 0
		.amdhsa_exception_fp_ieee_overflow 0
		.amdhsa_exception_fp_ieee_underflow 0
		.amdhsa_exception_fp_ieee_inexact 0
		.amdhsa_exception_int_div_zero 0
	.end_amdhsa_kernel
	.section	.text._ZN2at6native27unrolled_elementwise_kernelIZZZNS0_21polygamma_kernel_cudaERNS_18TensorIteratorBaseElENKUlvE_clEvENKUlvE2_clEvEUlN3c108BFloat16EE_St5arrayIPcLm2EELi4E23TrivialOffsetCalculatorILi1EjESD_NS0_6memory15LoadWithoutCastENSE_16StoreWithoutCastEEEviT_T0_T2_T3_T4_T5_,"axG",@progbits,_ZN2at6native27unrolled_elementwise_kernelIZZZNS0_21polygamma_kernel_cudaERNS_18TensorIteratorBaseElENKUlvE_clEvENKUlvE2_clEvEUlN3c108BFloat16EE_St5arrayIPcLm2EELi4E23TrivialOffsetCalculatorILi1EjESD_NS0_6memory15LoadWithoutCastENSE_16StoreWithoutCastEEEviT_T0_T2_T3_T4_T5_,comdat
.Lfunc_end116:
	.size	_ZN2at6native27unrolled_elementwise_kernelIZZZNS0_21polygamma_kernel_cudaERNS_18TensorIteratorBaseElENKUlvE_clEvENKUlvE2_clEvEUlN3c108BFloat16EE_St5arrayIPcLm2EELi4E23TrivialOffsetCalculatorILi1EjESD_NS0_6memory15LoadWithoutCastENSE_16StoreWithoutCastEEEviT_T0_T2_T3_T4_T5_, .Lfunc_end116-_ZN2at6native27unrolled_elementwise_kernelIZZZNS0_21polygamma_kernel_cudaERNS_18TensorIteratorBaseElENKUlvE_clEvENKUlvE2_clEvEUlN3c108BFloat16EE_St5arrayIPcLm2EELi4E23TrivialOffsetCalculatorILi1EjESD_NS0_6memory15LoadWithoutCastENSE_16StoreWithoutCastEEEviT_T0_T2_T3_T4_T5_
                                        ; -- End function
	.set _ZN2at6native27unrolled_elementwise_kernelIZZZNS0_21polygamma_kernel_cudaERNS_18TensorIteratorBaseElENKUlvE_clEvENKUlvE2_clEvEUlN3c108BFloat16EE_St5arrayIPcLm2EELi4E23TrivialOffsetCalculatorILi1EjESD_NS0_6memory15LoadWithoutCastENSE_16StoreWithoutCastEEEviT_T0_T2_T3_T4_T5_.num_vgpr, max(30, .L_ZN3c104guts5applyIRZZZN2at6native21polygamma_kernel_cudaERNS2_18TensorIteratorBaseElENKUlvE_clEvENKUlvE2_clEvEUlNS_8BFloat16EE_RSt5tupleIJS8_EEEEDaOT_OT0_.num_vgpr)
	.set _ZN2at6native27unrolled_elementwise_kernelIZZZNS0_21polygamma_kernel_cudaERNS_18TensorIteratorBaseElENKUlvE_clEvENKUlvE2_clEvEUlN3c108BFloat16EE_St5arrayIPcLm2EELi4E23TrivialOffsetCalculatorILi1EjESD_NS0_6memory15LoadWithoutCastENSE_16StoreWithoutCastEEEviT_T0_T2_T3_T4_T5_.num_agpr, max(0, .L_ZN3c104guts5applyIRZZZN2at6native21polygamma_kernel_cudaERNS2_18TensorIteratorBaseElENKUlvE_clEvENKUlvE2_clEvEUlNS_8BFloat16EE_RSt5tupleIJS8_EEEEDaOT_OT0_.num_agpr)
	.set _ZN2at6native27unrolled_elementwise_kernelIZZZNS0_21polygamma_kernel_cudaERNS_18TensorIteratorBaseElENKUlvE_clEvENKUlvE2_clEvEUlN3c108BFloat16EE_St5arrayIPcLm2EELi4E23TrivialOffsetCalculatorILi1EjESD_NS0_6memory15LoadWithoutCastENSE_16StoreWithoutCastEEEviT_T0_T2_T3_T4_T5_.numbered_sgpr, max(33, .L_ZN3c104guts5applyIRZZZN2at6native21polygamma_kernel_cudaERNS2_18TensorIteratorBaseElENKUlvE_clEvENKUlvE2_clEvEUlNS_8BFloat16EE_RSt5tupleIJS8_EEEEDaOT_OT0_.numbered_sgpr)
	.set _ZN2at6native27unrolled_elementwise_kernelIZZZNS0_21polygamma_kernel_cudaERNS_18TensorIteratorBaseElENKUlvE_clEvENKUlvE2_clEvEUlN3c108BFloat16EE_St5arrayIPcLm2EELi4E23TrivialOffsetCalculatorILi1EjESD_NS0_6memory15LoadWithoutCastENSE_16StoreWithoutCastEEEviT_T0_T2_T3_T4_T5_.num_named_barrier, max(0, .L_ZN3c104guts5applyIRZZZN2at6native21polygamma_kernel_cudaERNS2_18TensorIteratorBaseElENKUlvE_clEvENKUlvE2_clEvEUlNS_8BFloat16EE_RSt5tupleIJS8_EEEEDaOT_OT0_.num_named_barrier)
	.set _ZN2at6native27unrolled_elementwise_kernelIZZZNS0_21polygamma_kernel_cudaERNS_18TensorIteratorBaseElENKUlvE_clEvENKUlvE2_clEvEUlN3c108BFloat16EE_St5arrayIPcLm2EELi4E23TrivialOffsetCalculatorILi1EjESD_NS0_6memory15LoadWithoutCastENSE_16StoreWithoutCastEEEviT_T0_T2_T3_T4_T5_.private_seg_size, 0+max(.L_ZN3c104guts5applyIRZZZN2at6native21polygamma_kernel_cudaERNS2_18TensorIteratorBaseElENKUlvE_clEvENKUlvE2_clEvEUlNS_8BFloat16EE_RSt5tupleIJS8_EEEEDaOT_OT0_.private_seg_size)
	.set _ZN2at6native27unrolled_elementwise_kernelIZZZNS0_21polygamma_kernel_cudaERNS_18TensorIteratorBaseElENKUlvE_clEvENKUlvE2_clEvEUlN3c108BFloat16EE_St5arrayIPcLm2EELi4E23TrivialOffsetCalculatorILi1EjESD_NS0_6memory15LoadWithoutCastENSE_16StoreWithoutCastEEEviT_T0_T2_T3_T4_T5_.uses_vcc, or(1, .L_ZN3c104guts5applyIRZZZN2at6native21polygamma_kernel_cudaERNS2_18TensorIteratorBaseElENKUlvE_clEvENKUlvE2_clEvEUlNS_8BFloat16EE_RSt5tupleIJS8_EEEEDaOT_OT0_.uses_vcc)
	.set _ZN2at6native27unrolled_elementwise_kernelIZZZNS0_21polygamma_kernel_cudaERNS_18TensorIteratorBaseElENKUlvE_clEvENKUlvE2_clEvEUlN3c108BFloat16EE_St5arrayIPcLm2EELi4E23TrivialOffsetCalculatorILi1EjESD_NS0_6memory15LoadWithoutCastENSE_16StoreWithoutCastEEEviT_T0_T2_T3_T4_T5_.uses_flat_scratch, or(0, .L_ZN3c104guts5applyIRZZZN2at6native21polygamma_kernel_cudaERNS2_18TensorIteratorBaseElENKUlvE_clEvENKUlvE2_clEvEUlNS_8BFloat16EE_RSt5tupleIJS8_EEEEDaOT_OT0_.uses_flat_scratch)
	.set _ZN2at6native27unrolled_elementwise_kernelIZZZNS0_21polygamma_kernel_cudaERNS_18TensorIteratorBaseElENKUlvE_clEvENKUlvE2_clEvEUlN3c108BFloat16EE_St5arrayIPcLm2EELi4E23TrivialOffsetCalculatorILi1EjESD_NS0_6memory15LoadWithoutCastENSE_16StoreWithoutCastEEEviT_T0_T2_T3_T4_T5_.has_dyn_sized_stack, or(0, .L_ZN3c104guts5applyIRZZZN2at6native21polygamma_kernel_cudaERNS2_18TensorIteratorBaseElENKUlvE_clEvENKUlvE2_clEvEUlNS_8BFloat16EE_RSt5tupleIJS8_EEEEDaOT_OT0_.has_dyn_sized_stack)
	.set _ZN2at6native27unrolled_elementwise_kernelIZZZNS0_21polygamma_kernel_cudaERNS_18TensorIteratorBaseElENKUlvE_clEvENKUlvE2_clEvEUlN3c108BFloat16EE_St5arrayIPcLm2EELi4E23TrivialOffsetCalculatorILi1EjESD_NS0_6memory15LoadWithoutCastENSE_16StoreWithoutCastEEEviT_T0_T2_T3_T4_T5_.has_recursion, or(0, .L_ZN3c104guts5applyIRZZZN2at6native21polygamma_kernel_cudaERNS2_18TensorIteratorBaseElENKUlvE_clEvENKUlvE2_clEvEUlNS_8BFloat16EE_RSt5tupleIJS8_EEEEDaOT_OT0_.has_recursion)
	.set _ZN2at6native27unrolled_elementwise_kernelIZZZNS0_21polygamma_kernel_cudaERNS_18TensorIteratorBaseElENKUlvE_clEvENKUlvE2_clEvEUlN3c108BFloat16EE_St5arrayIPcLm2EELi4E23TrivialOffsetCalculatorILi1EjESD_NS0_6memory15LoadWithoutCastENSE_16StoreWithoutCastEEEviT_T0_T2_T3_T4_T5_.has_indirect_call, or(0, .L_ZN3c104guts5applyIRZZZN2at6native21polygamma_kernel_cudaERNS2_18TensorIteratorBaseElENKUlvE_clEvENKUlvE2_clEvEUlNS_8BFloat16EE_RSt5tupleIJS8_EEEEDaOT_OT0_.has_indirect_call)
	.section	.AMDGPU.csdata,"",@progbits
; Kernel info:
; codeLenInByte = 1008
; TotalNumSgprs: 35
; NumVgprs: 30
; ScratchSize: 0
; MemoryBound: 0
; FloatMode: 240
; IeeeMode: 1
; LDSByteSize: 0 bytes/workgroup (compile time only)
; SGPRBlocks: 0
; VGPRBlocks: 3
; NumSGPRsForWavesPerEU: 35
; NumVGPRsForWavesPerEU: 30
; Occupancy: 16
; WaveLimiterHint : 0
; COMPUTE_PGM_RSRC2:SCRATCH_EN: 0
; COMPUTE_PGM_RSRC2:USER_SGPR: 6
; COMPUTE_PGM_RSRC2:TRAP_HANDLER: 0
; COMPUTE_PGM_RSRC2:TGID_X_EN: 1
; COMPUTE_PGM_RSRC2:TGID_Y_EN: 0
; COMPUTE_PGM_RSRC2:TGID_Z_EN: 0
; COMPUTE_PGM_RSRC2:TIDIG_COMP_CNT: 0
	.text
	.p2align	2                               ; -- Begin function _ZN2at6native6invokeIZZZNS0_21polygamma_kernel_cudaERNS_18TensorIteratorBaseElENKUlvE_clEvENKUlvE2_clEvEUlN3c108BFloat16EE_j15function_traitsIS8_EEENT1_11result_typeERKT_PrKPcPKT0_i
	.type	_ZN2at6native6invokeIZZZNS0_21polygamma_kernel_cudaERNS_18TensorIteratorBaseElENKUlvE_clEvENKUlvE2_clEvEUlN3c108BFloat16EE_j15function_traitsIS8_EEENT1_11result_typeERKT_PrKPcPKT0_i,@function
_ZN2at6native6invokeIZZZNS0_21polygamma_kernel_cudaERNS_18TensorIteratorBaseElENKUlvE_clEvENKUlvE2_clEvEUlN3c108BFloat16EE_j15function_traitsIS8_EEENT1_11result_typeERKT_PrKPcPKT0_i: ; @_ZN2at6native6invokeIZZZNS0_21polygamma_kernel_cudaERNS_18TensorIteratorBaseElENKUlvE_clEvENKUlvE2_clEvEUlN3c108BFloat16EE_j15function_traitsIS8_EEENT1_11result_typeERKT_PrKPcPKT0_i
; %bb.0:
	s_waitcnt vmcnt(0) expcnt(0) lgkmcnt(0)
	v_add_co_u32 v1, vcc_lo, v2, v4
	v_add_co_ci_u32_e64 v2, null, 0, v3, vcc_lo
	s_mov_b32 s5, exec_lo
	flat_load_ushort v4, v[1:2]
	v_cvt_f32_i32_e32 v1, v0
	v_bfe_u32 v2, v1, 16, 1
	v_add3_u32 v1, v1, v2, 0x7fff
	v_and_b32_e32 v1, 0xffff0000, v1
	v_add_f32_e32 v1, 1.0, v1
	v_bfe_u32 v2, v1, 16, 1
	v_cmp_o_f32_e32 vcc_lo, v1, v1
	v_add3_u32 v2, v1, v2, 0x7fff
	v_and_b32_e32 v2, 0xffff0000, v2
	v_cndmask_b32_e32 v1, 0x7fc00000, v2, vcc_lo
                                        ; implicit-def: $vgpr2
	v_and_b32_e32 v3, 0x7fffffff, v1
	v_cmpx_ngt_f32_e64 0x3c800000, |v1|
	s_xor_b32 s5, exec_lo, s5
	s_cbranch_execz .LBB117_30
; %bb.1:
	s_mov_b32 s6, exec_lo
                                        ; implicit-def: $vgpr2
	v_cmpx_nlt_f32_e64 |v1|, 2.0
	s_xor_b32 s6, exec_lo, s6
	s_cbranch_execz .LBB117_11
; %bb.2:
	v_cmp_ngt_f32_e64 s4, 0x41000000, |v1|
                                        ; implicit-def: $vgpr2
	s_and_saveexec_b32 s7, s4
	s_xor_b32 s4, exec_lo, s7
	s_cbranch_execz .LBB117_8
; %bb.3:
	v_cmp_ngt_f32_e64 s7, 0x5c800000, |v1|
                                        ; implicit-def: $vgpr2
	s_and_saveexec_b32 s8, s7
	s_xor_b32 s7, exec_lo, s8
	s_cbranch_execz .LBB117_5
; %bb.4:
	v_cmp_gt_f32_e64 s8, 0x800000, |v1|
	v_cndmask_b32_e64 v2, 0, 32, s8
	v_ldexp_f32 v2, |v1|, v2
	v_log_f32_e32 v2, v2
	v_mul_f32_e32 v5, 0x3f317217, v2
	v_cmp_gt_f32_e64 vcc_lo, 0x7f800000, |v2|
	v_fma_f32 v6, 0x3f317217, v2, -v5
	v_fmamk_f32 v6, v2, 0x3377d1cf, v6
	v_add_f32_e32 v5, v5, v6
	v_cndmask_b32_e32 v2, v2, v5, vcc_lo
	v_cndmask_b32_e64 v5, 0, 0x41b17218, s8
	v_sub_f32_e32 v2, v2, v5
	v_fma_f32 v2, |v1|, v2, -|v1|
.LBB117_5:
	s_andn2_saveexec_b32 s7, s7
	s_cbranch_execz .LBB117_7
; %bb.6:
	v_cmp_gt_f32_e64 s8, 0x800000, |v1|
	v_rcp_f32_e64 v5, |v1|
	s_mov_b32 s9, 0xbad5c4e8
	v_cndmask_b32_e64 v2, 0, 32, s8
	v_ldexp_f32 v2, |v1|, v2
	v_mul_f32_e32 v6, v5, v5
	v_log_f32_e32 v2, v2
	v_fmaak_f32 v8, s9, v6, 0x3a5b3dd2
	v_fmaak_f32 v8, v6, v8, 0xba1c065c
	v_mul_f32_e32 v7, 0x3f317217, v2
	v_fmaak_f32 v8, v6, v8, 0x3a500cfd
	v_cmp_gt_f32_e64 vcc_lo, 0x7f800000, |v2|
	v_fma_f32 v9, 0x3f317217, v2, -v7
	v_fmaak_f32 v8, v6, v8, 0xbb360b61
	v_fmamk_f32 v9, v2, 0x3377d1cf, v9
	v_fmaak_f32 v6, v6, v8, 0x3daaaaab
	v_add_f32_e32 v7, v7, v9
	v_cndmask_b32_e32 v2, v2, v7, vcc_lo
	v_cndmask_b32_e64 v7, 0, 0x41b17218, s8
	v_sub_f32_e32 v7, v2, v7
	v_fmaak_f32 v2, v5, v6, 0x3ed67f1d
	v_add_f32_e64 v5, |v1|, -0.5
	v_add_f32_e32 v6, -1.0, v7
	v_fmac_f32_e32 v2, v5, v6
.LBB117_7:
	s_or_b32 exec_lo, exec_lo, s7
.LBB117_8:
	s_andn2_saveexec_b32 s7, s4
	s_cbranch_execz .LBB117_10
; %bb.9:
	v_cvt_i32_f32_e32 v2, v3
	s_mov_b32 s4, 0x36f5d7bd
	s_mov_b32 s8, 0x3805ff67
	v_cvt_f32_i32_e32 v5, v2
	v_cmp_lt_i32_e32 vcc_lo, 2, v2
	v_sub_f32_e64 v5, |v1|, v5
	v_add_f32_e32 v6, 2.0, v5
	v_add_f32_e32 v7, 0x40400000, v5
	v_add_f32_e32 v8, 4.0, v5
	v_add_f32_e32 v9, 0x40a00000, v5
	v_cndmask_b32_e32 v6, 1.0, v6, vcc_lo
	v_cmp_lt_i32_e32 vcc_lo, 3, v2
	v_cndmask_b32_e32 v7, 1.0, v7, vcc_lo
	v_cmp_lt_i32_e32 vcc_lo, 4, v2
	v_mul_f32_e32 v6, v6, v7
	v_cndmask_b32_e32 v8, 1.0, v8, vcc_lo
	v_cmp_lt_i32_e32 vcc_lo, 5, v2
	v_add_f32_e32 v7, 0x40c00000, v5
	v_mul_f32_e32 v6, v8, v6
	v_cndmask_b32_e32 v9, 1.0, v9, vcc_lo
	v_cmp_lt_i32_e32 vcc_lo, 6, v2
	v_fmaak_f32 v8, s8, v5, 0x3af135b4
	v_mul_f32_e32 v6, v9, v6
	v_cndmask_b32_e32 v2, 1.0, v7, vcc_lo
	v_mul_f32_e32 v2, v2, v6
	v_fmaak_f32 v6, s4, v5, 0x3a4beed6
	v_cmp_gt_f32_e32 vcc_lo, 0x800000, v2
	v_fmaak_f32 v6, v5, v6, 0x3c98bf54
	v_cndmask_b32_e64 v7, 0, 32, vcc_lo
	v_fmaak_f32 v6, v5, v6, 0x3e300f6e
	v_ldexp_f32 v2, v2, v7
	v_fmaak_f32 v7, v5, v8, 0x3cda40e4
	v_fmaak_f32 v6, v5, v6, 0x3f38d0c5
	v_log_f32_e32 v2, v2
	v_fmaak_f32 v7, v5, v7, 0x3e15dce6
	v_fmaak_f32 v6, v5, v6, 0x3fb22d3b
	;; [unrolled: 1-line block ×3, first 2 shown]
	v_fma_f32 v6, v5, v6, 1.0
	v_mul_f32_e32 v8, 0x3f317217, v2
	v_fmaak_f32 v7, v5, v7, 0x3e5c245a
	v_rcp_f32_e32 v6, v6
	v_cmp_gt_f32_e64 s4, 0x7f800000, |v2|
	v_fma_f32 v9, 0x3f317217, v2, -v8
	v_fmaak_f32 v7, v5, v7, 0xbd9e233f
	v_fmamk_f32 v9, v2, 0x3377d1cf, v9
	v_mul_f32_e32 v7, v5, v7
	v_add_f32_e32 v8, v8, v9
	v_mul_f32_e32 v6, v7, v6
	v_cndmask_b32_e64 v7, 0, 0x41b17218, vcc_lo
	v_cndmask_b32_e64 v2, v2, v8, s4
	v_fmac_f32_e32 v6, 0.5, v5
	v_sub_f32_e32 v2, v2, v7
	v_add_f32_e32 v2, v2, v6
.LBB117_10:
	s_or_b32 exec_lo, exec_lo, s7
.LBB117_11:
	s_andn2_saveexec_b32 s6, s6
	s_cbranch_execz .LBB117_29
; %bb.12:
	s_mov_b32 s7, exec_lo
                                        ; implicit-def: $vgpr2
                                        ; implicit-def: $vgpr6
                                        ; implicit-def: $vgpr5
	v_cmpx_ge_f32_e64 0x3f666666, |v1|
	s_xor_b32 s7, exec_lo, s7
	s_cbranch_execz .LBB117_14
; %bb.13:
	v_cmp_gt_f32_e64 s4, 0x800000, |v1|
	v_sub_f32_e64 v7, 1.0, |v1|
	v_cmp_gt_f32_e64 vcc_lo, 0x3f3b4a23, |v1|
	v_cndmask_b32_e64 v2, 0, 32, s4
	v_cndmask_b32_e64 v8, 0, 0x41b17218, s4
	v_ldexp_f32 v2, |v1|, v2
	v_log_f32_e32 v2, v2
	v_mul_f32_e32 v5, 0x3f317217, v2
	v_cmp_gt_f32_e64 s4, 0x7f800000, |v2|
	v_fma_f32 v6, 0x3f317217, v2, -v5
	v_fmamk_f32 v6, v2, 0x3377d1cf, v6
	v_add_f32_e32 v5, v5, v6
	v_add_f32_e64 v6, 0xbeec5b0c, |v1|
	v_cndmask_b32_e64 v2, v2, v5, s4
	v_cndmask_b32_e32 v5, v7, v6, vcc_lo
	v_cndmask_b32_e64 v6, 0, 1, vcc_lo
	v_cmp_gt_f32_e64 s4, 0x3e6d3309, |v1|
	v_sub_f32_e32 v2, v2, v8
	v_cndmask_b32_e64 v5, v5, |v1|, s4
	v_cndmask_b32_e64 v6, v6, 2, s4
	v_xor_b32_e32 v2, 0x80000000, v2
.LBB117_14:
	s_andn2_saveexec_b32 s4, s7
	s_cbranch_execz .LBB117_16
; %bb.15:
	v_sub_f32_e64 v2, 2.0, |v1|
	v_add_f32_e64 v5, 0xbfbb16c3, |v1|
	v_cmp_gt_f32_e64 vcc_lo, 0x3fdda512, |v1|
	v_add_f32_e64 v6, |v1|, -1.0
	v_cndmask_b32_e32 v5, v2, v5, vcc_lo
	v_cndmask_b32_e64 v2, v2, 1.0, vcc_lo
	v_cmp_gt_f32_e64 vcc_lo, 0x3f9d70a4, |v1|
	v_cvt_i32_f32_e32 v2, v2
	v_cndmask_b32_e32 v5, v5, v6, vcc_lo
	v_cndmask_b32_e64 v6, v2, 2, vcc_lo
	v_mov_b32_e32 v2, 0
.LBB117_16:
	s_or_b32 exec_lo, exec_lo, s4
	s_mov_b32 s4, exec_lo
	v_cmpx_lt_i32_e32 0, v6
	s_xor_b32 s4, exec_lo, s4
	s_cbranch_execz .LBB117_24
; %bb.17:
	s_mov_b32 s7, exec_lo
	v_cmpx_lt_i32_e32 1, v6
	s_xor_b32 s7, exec_lo, s7
	s_cbranch_execz .LBB117_21
; %bb.18:
	s_mov_b32 s8, exec_lo
	v_cmpx_eq_u32_e32 2, v6
	s_cbranch_execz .LBB117_20
; %bb.19:
	s_mov_b32 s9, 0x3b52d5db
	v_fmaak_f32 v6, s9, v5, 0x3dd572af
	s_mov_b32 s9, 0x3c5b3c5e
	v_fmaak_f32 v7, s9, v5, 0x3e6a7578
	v_fmaak_f32 v6, v5, v6, 0x3f44efdf
	;; [unrolled: 1-line block ×7, first 2 shown]
	v_fma_f32 v6, v5, v6, 1.0
	v_fmaak_f32 v7, v5, v7, 0xbd9e233f
	v_rcp_f32_e32 v6, v6
	v_mul_f32_e32 v7, v5, v7
	v_mul_f32_e32 v6, v7, v6
	v_fmac_f32_e32 v6, -0.5, v5
	v_add_f32_e32 v2, v2, v6
.LBB117_20:
	s_or_b32 exec_lo, exec_lo, s8
                                        ; implicit-def: $vgpr5
.LBB117_21:
	s_andn2_saveexec_b32 s7, s7
	s_cbranch_execz .LBB117_23
; %bb.22:
	v_mul_f32_e32 v6, v5, v5
	s_mov_b32 s8, 0xb9a3f927
	s_mov_b32 s9, 0x39afe9f7
	v_mul_f32_e32 v7, v5, v6
	v_fmaak_f32 v8, s8, v7, 0x3a66f867
	v_fmaak_f32 v9, s9, v7, 0xba0d3085
	s_mov_b32 s8, 0x39a57b6b
	v_fmaak_f32 v10, s8, v7, 0xbab7f476
	v_fmaak_f32 v8, v7, v8, 0xbb7177fe
	;; [unrolled: 1-line block ×9, first 2 shown]
	v_fmac_f32_e32 v8, v5, v9
	v_fmaak_f32 v5, v7, v10, 0x3ef7b95e
	v_fma_f32 v7, v7, -v8, 0xa2863e55
	v_fma_f32 v5, v6, v5, -v7
	v_add_f32_e32 v5, 0xbdf8cdce, v5
	v_add_f32_e32 v2, v2, v5
.LBB117_23:
	s_or_b32 exec_lo, exec_lo, s7
                                        ; implicit-def: $vgpr6
                                        ; implicit-def: $vgpr5
.LBB117_24:
	s_andn2_saveexec_b32 s4, s4
	s_cbranch_execz .LBB117_28
; %bb.25:
	s_mov_b32 s7, exec_lo
	v_cmpx_eq_u32_e32 0, v6
	s_cbranch_execz .LBB117_27
; %bb.26:
	v_mul_f32_e32 v6, v5, v5
	s_mov_b32 s8, 0x383c2c75
	v_fmaak_f32 v7, s8, v6, 0x38e28445
	s_mov_b32 s8, 0x37d383a2
	v_fmaak_f32 v8, s8, v6, 0x39679767
	v_fmaak_f32 v7, v6, v7, 0x3a05b634
	;; [unrolled: 1-line block ×9, first 2 shown]
	v_mul_f32_e32 v6, v6, v7
	v_fmac_f32_e32 v6, v5, v8
	v_fmac_f32_e32 v6, -0.5, v5
	v_add_f32_e32 v2, v2, v6
.LBB117_27:
	s_or_b32 exec_lo, exec_lo, s7
.LBB117_28:
	s_or_b32 exec_lo, exec_lo, s4
.LBB117_29:
	s_or_b32 exec_lo, exec_lo, s6
.LBB117_30:
	s_andn2_saveexec_b32 s4, s5
	s_cbranch_execz .LBB117_32
; %bb.31:
	v_cmp_gt_f32_e64 s5, 0x800000, |v1|
	s_mov_b32 s6, 0x3e8a8991
	v_fma_f32 v7, |v1|, s6, 0xbecd26ab
	v_cndmask_b32_e64 v2, 0, 32, s5
	v_ldexp_f32 v2, |v1|, v2
	v_log_f32_e32 v2, v2
	v_mul_f32_e32 v5, 0x3f317217, v2
	v_cmp_gt_f32_e64 vcc_lo, 0x7f800000, |v2|
	v_fma_f32 v6, 0x3f317217, v2, -v5
	v_fmamk_f32 v6, v2, 0x3377d1cf, v6
	v_add_f32_e32 v5, v5, v6
	v_fma_f32 v6, |v1|, v7, 0x3f528d33
	v_cndmask_b32_e32 v2, v2, v5, vcc_lo
	v_cndmask_b32_e64 v5, 0, 0x41b17218, s5
	v_fma_f32 v6, |v1|, v6, 0xbf13c468
	v_sub_f32_e32 v2, v2, v5
	v_fma_f32 v2, |v1|, v6, -v2
.LBB117_32:
	s_or_b32 exec_lo, exec_lo, s4
	v_cmp_le_f32_e64 s4, 0, v1
	s_mov_b32 s5, exec_lo
	v_cmpx_nle_f32_e32 0, v1
	s_xor_b32 s6, exec_lo, s5
	s_cbranch_execz .LBB117_36
; %bb.33:
	v_cmp_gt_f32_e64 s5, 0x4b000000, |v1|
	v_cmp_lt_f32_e64 s7, 0x35000000, |v1|
	s_and_b32 s5, s5, s7
	s_and_saveexec_b32 s7, s5
	s_cbranch_execz .LBB117_35
; %bb.34:
	v_mul_f32_e64 v5, |v1|, 0.5
	v_cmp_gt_f32_e64 s5, |v1|, 1.0
	s_mov_b32 s8, 0x3d4be544
	v_floor_f32_e32 v6, v5
	v_cmp_neq_f32_e32 vcc_lo, 0x7f800000, v5
	v_sub_f32_e32 v6, v5, v6
	v_min_f32_e32 v6, 0x3f7fffff, v6
	v_add_f32_e32 v6, v6, v6
	v_cndmask_b32_e32 v5, 0, v6, vcc_lo
	v_cndmask_b32_e64 v5, |v1|, v5, s5
	s_mov_b32 s5, 0x3e75aa41
	v_add_f32_e32 v6, v5, v5
	v_rndne_f32_e32 v6, v6
	v_fmac_f32_e32 v5, -0.5, v6
	v_cvt_i32_f32_e32 v6, v6
	v_mul_f32_e32 v7, v5, v5
	v_fmaak_f32 v8, s5, v7, 0xbf1f24be
	v_fmaak_f32 v9, s8, v7, 0x3e642e9d
	v_mul_f32_e32 v10, v5, v7
	v_fmaak_f32 v8, v7, v8, 0x40234736
	v_fmaak_f32 v9, v7, v9, 0xbfaad1da
	v_fmaak_f32 v8, v7, v8, 0xc0a55e0e
	v_fmaak_f32 v9, v7, v9, 0x4081e0d3
	v_mul_f32_e32 v8, v10, v8
	v_fmaak_f32 v9, v7, v9, 0xc09de9e6
	v_and_b32_e32 v10, 1, v6
	v_lshlrev_b32_e32 v6, 30, v6
	v_fmamk_f32 v5, v5, 0x40490fdb, v8
	v_fma_f32 v7, v7, v9, 1.0
	v_cmp_eq_u32_e32 vcc_lo, 0, v10
	v_and_or_b32 v3, 0x80000000, v6, v3
	v_cndmask_b32_e32 v5, v7, v5, vcc_lo
	v_xor3_b32 v3, v3, v5, v1
	v_mul_f32_e32 v3, v1, v3
	v_frexp_mant_f32_e64 v5, |v3|
	v_frexp_exp_i32_f32_e32 v3, v3
	v_rcp_f32_e32 v5, v5
	v_sub_nc_u32_e32 v3, 2, v3
	v_mul_f32_e32 v5, 0x3f490fdb, v5
	v_ldexp_f32 v3, v5, v3
	v_cmp_gt_f32_e32 vcc_lo, 0x800000, v3
	v_cndmask_b32_e64 v5, 0, 32, vcc_lo
	v_ldexp_f32 v3, v3, v5
	v_log_f32_e32 v3, v3
	v_mul_f32_e32 v5, 0x3f317217, v3
	v_cmp_gt_f32_e64 s5, 0x7f800000, |v3|
	v_fma_f32 v6, 0x3f317217, v3, -v5
	v_fmamk_f32 v6, v3, 0x3377d1cf, v6
	v_add_f32_e32 v5, v5, v6
	v_floor_f32_e32 v6, v1
	v_cndmask_b32_e64 v3, v3, v5, s5
	v_cndmask_b32_e64 v5, 0, 0x41b17218, vcc_lo
	v_sub_f32_e32 v6, v1, v6
	v_sub_f32_e32 v3, v3, v5
	v_min_f32_e32 v5, 0x3f7fffff, v6
	v_sub_f32_e32 v2, v3, v2
	v_cmp_neq_f32_e32 vcc_lo, 0, v5
	v_cndmask_b32_e32 v2, 0x7f800000, v2, vcc_lo
.LBB117_35:
	s_or_b32 exec_lo, exec_lo, s7
.LBB117_36:
	s_andn2_saveexec_b32 s6, s6
; %bb.37:
	v_cmp_eq_f32_e32 vcc_lo, 1.0, v1
	v_cmp_eq_f32_e64 s5, 2.0, v1
	s_or_b32 s5, vcc_lo, s5
	v_cndmask_b32_e64 v2, v2, 0, s5
; %bb.38:
	s_or_b32 exec_lo, exec_lo, s6
	v_add_nc_u32_e32 v3, 1, v0
	v_mov_b32_e32 v8, 0x7f800000
	s_mov_b32 s8, exec_lo
	v_cvt_f32_i32_e32 v3, v3
	v_bfe_u32 v5, v3, 16, 1
	v_add3_u32 v3, v3, v5, 0x7fff
	v_and_b32_e32 v3, 0xffff0000, v3
	v_cmpx_neq_f32_e32 1.0, v3
	s_cbranch_execz .LBB117_66
; %bb.39:
	v_mov_b32_e32 v8, 0x7fc00000
	s_mov_b32 s9, exec_lo
	v_cmpx_ngt_f32_e32 1.0, v3
	s_cbranch_execz .LBB117_65
; %bb.40:
	s_waitcnt vmcnt(0) lgkmcnt(0)
	v_lshlrev_b32_e32 v4, 16, v4
	s_mov_b32 s6, 0
	s_mov_b32 s7, -1
	s_mov_b32 s5, exec_lo
                                        ; implicit-def: $vgpr8
	v_cmpx_ge_f32_e32 0, v4
	s_cbranch_execz .LBB117_44
; %bb.41:
	v_floor_f32_e32 v5, v4
	v_mov_b32_e32 v8, 0x7f800000
	s_mov_b32 s7, exec_lo
	v_cmpx_neq_f32_e32 v5, v4
; %bb.42:
	v_floor_f32_e32 v5, v3
	v_mov_b32_e32 v8, 0x7fc00000
	v_cmp_eq_f32_e32 vcc_lo, v5, v3
	s_and_b32 s6, vcc_lo, exec_lo
; %bb.43:
	s_or_b32 exec_lo, exec_lo, s7
	s_orn2_b32 s7, s6, exec_lo
.LBB117_44:
	s_or_b32 exec_lo, exec_lo, s5
	s_and_saveexec_b32 s10, s7
	s_cbranch_execz .LBB117_64
; %bb.45:
	v_xor_b32_e32 v5, 0x80000000, v3
	v_cmp_o_f32_e32 vcc_lo, v3, v3
	s_mov_b32 s11, 0x3e76c4e1
	s_mov_b32 s16, 0
                                        ; implicit-def: $sgpr15
                                        ; implicit-def: $sgpr14
	v_bfe_u32 v6, v5, 16, 1
	v_add3_u32 v5, v5, v6, 0x7fff
	v_and_b32_e32 v5, 0xffff0000, v5
	v_cndmask_b32_e32 v6, 0x7fc00000, v5, vcc_lo
	v_cmp_neq_f32_e32 vcc_lo, 1.0, v4
	v_cndmask_b32_e32 v5, 1.0, v6, vcc_lo
	v_cmp_neq_f32_e32 vcc_lo, 0, v5
	v_cmp_neq_f32_e64 s12, v5, |v5|
	v_cndmask_b32_e32 v9, 1.0, v4, vcc_lo
	v_frexp_mant_f32_e64 v7, |v9|
	v_cmp_lt_f32_e64 s13, |v9|, 1.0
	v_cmp_eq_f32_e64 s7, 0, v9
	v_cmp_gt_f32_e32 vcc_lo, 0x3f2aaaab, v7
	s_xor_b32 s12, s12, s13
                                        ; implicit-def: $sgpr13
	v_cndmask_b32_e64 v8, 1.0, 2.0, vcc_lo
	v_mul_f32_e32 v7, v7, v8
	v_add_f32_e32 v8, 1.0, v7
	v_add_f32_e32 v11, -1.0, v7
	v_rcp_f32_e32 v10, v8
	v_add_f32_e32 v13, -1.0, v8
	v_sub_f32_e32 v7, v7, v13
	v_mul_f32_e32 v12, v11, v10
	v_mul_f32_e32 v14, v8, v12
	v_fma_f32 v8, v12, v8, -v14
	v_fmac_f32_e32 v8, v12, v7
	v_add_f32_e32 v7, v14, v8
	v_sub_f32_e32 v13, v11, v7
	v_sub_f32_e32 v14, v7, v14
	;; [unrolled: 1-line block ×5, first 2 shown]
	v_add_f32_e32 v7, v8, v7
	v_add_f32_e32 v7, v13, v7
	v_mul_f32_e32 v7, v10, v7
	v_add_f32_e32 v10, v12, v7
	v_sub_f32_e32 v8, v10, v12
	v_mul_f32_e32 v11, v10, v10
	v_sub_f32_e32 v12, v7, v8
	v_fma_f32 v7, v10, v10, -v11
	v_add_f32_e32 v8, v12, v12
	v_fmac_f32_e32 v7, v10, v8
	v_add_f32_e32 v13, v11, v7
	v_fmaak_f32 v8, s11, v13, 0x3e91f4c4
	v_sub_f32_e32 v11, v13, v11
	v_mul_f32_e32 v18, v10, v13
	v_fmaak_f32 v8, v13, v8, 0x3ecccdef
	v_sub_f32_e32 v11, v7, v11
	v_fma_f32 v19, v13, v10, -v18
	v_mul_f32_e32 v14, v13, v8
	v_fmac_f32_e32 v19, v13, v12
	v_ldexp_f32 v12, v12, 1
	v_fma_f32 v15, v13, v8, -v14
	v_fmac_f32_e32 v19, v11, v10
	v_fmac_f32_e32 v15, v11, v8
	v_cvt_f64_f32_e64 v[7:8], |v9|
	v_add_f32_e32 v16, v14, v15
	v_sub_f32_e32 v14, v16, v14
	v_add_f32_e32 v17, 0x3f2aaaaa, v16
	v_sub_f32_e32 v14, v15, v14
	v_add_f32_e32 v15, 0xbf2aaaaa, v17
	v_add_f32_e32 v14, 0x31739010, v14
	v_sub_f32_e32 v15, v16, v15
	v_frexp_exp_i32_f64_e32 v7, v[7:8]
	v_add_f32_e32 v13, v14, v15
	v_add_f32_e32 v14, v18, v19
	;; [unrolled: 1-line block ×3, first 2 shown]
	v_sub_f32_e32 v16, v14, v18
	v_sub_f32_e32 v8, v17, v11
	v_mul_f32_e32 v15, v14, v11
	v_sub_f32_e32 v16, v19, v16
	v_add_f32_e32 v8, v13, v8
	v_fma_f32 v13, v14, v11, -v15
	v_subrev_co_ci_u32_e64 v7, null, 0, v7, vcc_lo
	v_fmac_f32_e32 v13, v14, v8
	v_ldexp_f32 v8, v10, 1
	v_cvt_f32_i32_e32 v7, v7
	v_fmac_f32_e32 v13, v16, v11
	v_add_f32_e32 v10, v15, v13
	v_add_f32_e32 v11, v8, v10
	v_sub_f32_e32 v14, v10, v15
	v_mul_f32_e32 v15, 0x3f317218, v7
	v_sub_f32_e32 v8, v11, v8
	v_sub_f32_e32 v13, v13, v14
	v_fma_f32 v14, 0x3f317218, v7, -v15
	v_sub_f32_e32 v8, v10, v8
	v_add_f32_e32 v10, v12, v13
	v_fmac_f32_e32 v14, 0xb102e308, v7
	v_add_f32_e32 v7, v10, v8
	v_add_f32_e32 v8, v15, v14
	;; [unrolled: 1-line block ×3, first 2 shown]
	v_sub_f32_e32 v15, v8, v15
	v_add_f32_e32 v12, v8, v10
	v_sub_f32_e32 v11, v10, v11
	v_sub_f32_e32 v14, v14, v15
	;; [unrolled: 1-line block ×6, first 2 shown]
	v_add_f32_e32 v11, v14, v7
	v_sub_f32_e32 v8, v8, v16
	v_add_f32_e32 v8, v10, v8
	v_sub_f32_e32 v10, v11, v14
	;; [unrolled: 2-line block ×3, first 2 shown]
	v_sub_f32_e32 v7, v7, v10
	v_add_f32_e32 v13, v12, v8
	v_sub_f32_e32 v10, v14, v11
	v_sub_f32_e32 v11, v13, v12
	v_add_f32_e32 v7, v7, v10
	v_sub_f32_e32 v8, v8, v11
	v_add_f32_e32 v7, v7, v8
	v_add_f32_e32 v8, v13, v7
	v_sub_f32_e32 v10, v8, v13
	v_mul_f32_e32 v11, v5, v8
	v_sub_f32_e32 v7, v7, v10
	v_fma_f32 v8, v5, v8, -v11
	v_cmp_class_f32_e64 vcc_lo, v11, 0x204
	v_fmac_f32_e32 v8, v5, v7
	v_add_f32_e32 v7, v11, v8
	v_cndmask_b32_e32 v10, v7, v11, vcc_lo
	v_sub_f32_e32 v7, v7, v11
	v_cmp_eq_f32_e32 vcc_lo, 0x42b17218, v10
	v_sub_f32_e32 v7, v8, v7
	v_cndmask_b32_e64 v12, 0, 0x37000000, vcc_lo
	v_cmp_neq_f32_e64 vcc_lo, 0x7f800000, |v10|
	v_sub_f32_e32 v13, v10, v12
	v_cndmask_b32_e32 v7, 0, v7, vcc_lo
	v_trunc_f32_e32 v10, v5
	v_mul_f32_e32 v14, 0x3fb8aa3b, v13
	v_cmp_ngt_f32_e32 vcc_lo, 0xc2ce8ed0, v13
	v_add_f32_e32 v7, v12, v7
	v_fma_f32 v15, 0x3fb8aa3b, v13, -v14
	v_rndne_f32_e32 v16, v14
	v_fmac_f32_e32 v15, 0x32a5705f, v13
	v_sub_f32_e32 v14, v14, v16
	v_cvt_i32_f32_e32 v11, v16
	v_add_f32_e32 v14, v14, v15
	v_exp_f32_e32 v14, v14
	v_ldexp_f32 v8, v14, v11
	v_mul_f32_e32 v11, 0.5, v5
	v_cndmask_b32_e32 v8, 0, v8, vcc_lo
	v_cmp_nlt_f32_e32 vcc_lo, 0x42b17218, v13
	v_trunc_f32_e32 v14, v11
	v_cndmask_b32_e32 v8, 0x7f800000, v8, vcc_lo
	v_cmp_eq_f32_e32 vcc_lo, v10, v5
	v_cmp_neq_f32_e64 s5, v14, v11
	v_fma_f32 v7, v8, v7, v8
	v_cmp_class_f32_e64 s6, v8, 0x204
	s_and_b32 s5, vcc_lo, s5
	v_cndmask_b32_e64 v10, 1.0, v9, s5
	v_cndmask_b32_e64 v7, v7, v8, s6
	v_cndmask_b32_e64 v8, 0x7f800000, 0, s12
	v_cmp_gt_f32_e64 s6, 0, v5
	s_mov_b32 s12, 0
	v_bfi_b32 v7, 0x7fffffff, v7, v10
	s_xor_b32 s6, s6, s7
	v_cndmask_b32_e64 v11, 0x7f800000, 0, s6
	v_cndmask_b32_e32 v10, 0x7fc00000, v7, vcc_lo
	v_cmp_neq_f32_e64 vcc_lo, |v9|, 1.0
	v_cndmask_b32_e32 v8, 1.0, v8, vcc_lo
	v_cmp_gt_f32_e32 vcc_lo, 0, v9
	v_cndmask_b32_e32 v7, v7, v10, vcc_lo
	v_cndmask_b32_e64 v10, 0, v9, s5
	v_cmp_class_f32_e64 vcc_lo, v5, 0x204
	v_cmp_class_f32_e64 s5, v9, 0x204
	v_cndmask_b32_e32 v7, v7, v8, vcc_lo
	v_bfi_b32 v8, 0x7fffffff, v11, v10
	s_or_b32 vcc_lo, s7, s5
	v_cndmask_b32_e32 v7, v7, v8, vcc_lo
	v_cmp_o_f32_e32 vcc_lo, v9, v5
	v_cndmask_b32_e32 v5, 0x7fc00000, v7, vcc_lo
	s_branch .LBB117_47
.LBB117_46:                             ;   in Loop: Header=BB117_47 Depth=1
	s_or_b32 exec_lo, exec_lo, s5
	s_and_b32 s5, exec_lo, s15
	s_or_b32 s12, s5, s12
	s_andn2_b32 s5, s13, exec_lo
	s_and_b32 s6, s14, exec_lo
	s_or_b32 s13, s5, s6
	s_andn2_b32 exec_lo, exec_lo, s12
	s_cbranch_execz .LBB117_49
.LBB117_47:                             ; =>This Inner Loop Header: Depth=1
	v_add_f32_e32 v4, 1.0, v4
	s_or_b32 s14, s14, exec_lo
	s_or_b32 s15, s15, exec_lo
	v_cmp_neq_f32_e32 vcc_lo, 1.0, v4
	v_cndmask_b32_e32 v9, 1.0, v6, vcc_lo
	v_cmp_neq_f32_e32 vcc_lo, 0, v9
	v_cmp_neq_f32_e64 s17, v9, |v9|
	v_cndmask_b32_e32 v10, 1.0, v4, vcc_lo
	v_frexp_mant_f32_e64 v7, |v10|
	v_cmp_lt_f32_e64 s18, |v10|, 1.0
	v_cmp_eq_f32_e64 s7, 0, v10
	v_cmp_gt_f32_e32 vcc_lo, 0x3f2aaaab, v7
	s_xor_b32 s17, s17, s18
	v_cndmask_b32_e64 v8, 1.0, 2.0, vcc_lo
	v_mul_f32_e32 v7, v7, v8
	v_add_f32_e32 v8, 1.0, v7
	v_add_f32_e32 v12, -1.0, v7
	v_rcp_f32_e32 v11, v8
	v_add_f32_e32 v14, -1.0, v8
	v_sub_f32_e32 v7, v7, v14
	v_mul_f32_e32 v13, v12, v11
	v_mul_f32_e32 v15, v8, v13
	v_fma_f32 v8, v13, v8, -v15
	v_fmac_f32_e32 v8, v13, v7
	v_add_f32_e32 v7, v15, v8
	v_sub_f32_e32 v14, v12, v7
	v_sub_f32_e32 v15, v7, v15
	;; [unrolled: 1-line block ×5, first 2 shown]
	v_add_f32_e32 v7, v8, v7
	v_add_f32_e32 v7, v14, v7
	v_mul_f32_e32 v7, v11, v7
	v_add_f32_e32 v11, v13, v7
	v_sub_f32_e32 v8, v11, v13
	v_mul_f32_e32 v12, v11, v11
	v_sub_f32_e32 v13, v7, v8
	v_fma_f32 v7, v11, v11, -v12
	v_add_f32_e32 v8, v13, v13
	v_fmac_f32_e32 v7, v11, v8
	v_add_f32_e32 v14, v12, v7
	v_fmaak_f32 v8, s11, v14, 0x3e91f4c4
	v_sub_f32_e32 v12, v14, v12
	v_mul_f32_e32 v19, v11, v14
	v_fmaak_f32 v8, v14, v8, 0x3ecccdef
	v_sub_f32_e32 v12, v7, v12
	v_fma_f32 v20, v14, v11, -v19
	v_mul_f32_e32 v15, v14, v8
	v_fmac_f32_e32 v20, v14, v13
	v_ldexp_f32 v13, v13, 1
	v_fma_f32 v16, v14, v8, -v15
	v_fmac_f32_e32 v20, v12, v11
	v_fmac_f32_e32 v16, v12, v8
	v_cvt_f64_f32_e64 v[7:8], |v10|
	v_add_f32_e32 v17, v15, v16
	v_sub_f32_e32 v15, v17, v15
	v_add_f32_e32 v18, 0x3f2aaaaa, v17
	v_sub_f32_e32 v15, v16, v15
	v_add_f32_e32 v16, 0xbf2aaaaa, v18
	v_add_f32_e32 v15, 0x31739010, v15
	v_sub_f32_e32 v16, v17, v16
	v_frexp_exp_i32_f64_e32 v7, v[7:8]
	v_add_f32_e32 v14, v15, v16
	v_add_f32_e32 v15, v19, v20
	;; [unrolled: 1-line block ×3, first 2 shown]
	v_sub_f32_e32 v17, v15, v19
	v_sub_f32_e32 v8, v18, v12
	v_mul_f32_e32 v16, v15, v12
	v_sub_f32_e32 v17, v20, v17
	v_add_f32_e32 v8, v14, v8
	v_fma_f32 v14, v15, v12, -v16
	v_subrev_co_ci_u32_e64 v7, null, 0, v7, vcc_lo
	v_fmac_f32_e32 v14, v15, v8
	v_ldexp_f32 v8, v11, 1
	v_cvt_f32_i32_e32 v7, v7
	v_fmac_f32_e32 v14, v17, v12
	v_add_f32_e32 v11, v16, v14
	v_add_f32_e32 v12, v8, v11
	v_sub_f32_e32 v15, v11, v16
	v_mul_f32_e32 v16, 0x3f317218, v7
	v_sub_f32_e32 v8, v12, v8
	v_sub_f32_e32 v14, v14, v15
	v_fma_f32 v15, 0x3f317218, v7, -v16
	v_sub_f32_e32 v8, v11, v8
	v_add_f32_e32 v11, v13, v14
	v_fmac_f32_e32 v15, 0xb102e308, v7
	v_add_f32_e32 v7, v11, v8
	v_add_f32_e32 v8, v16, v15
	;; [unrolled: 1-line block ×3, first 2 shown]
	v_sub_f32_e32 v16, v8, v16
	v_add_f32_e32 v13, v8, v11
	v_sub_f32_e32 v12, v11, v12
	v_sub_f32_e32 v15, v15, v16
	;; [unrolled: 1-line block ×6, first 2 shown]
	v_add_f32_e32 v12, v15, v7
	v_sub_f32_e32 v8, v8, v17
	v_add_f32_e32 v8, v11, v8
	v_sub_f32_e32 v11, v12, v15
	;; [unrolled: 2-line block ×3, first 2 shown]
	v_sub_f32_e32 v7, v7, v11
	v_add_f32_e32 v14, v13, v8
	v_sub_f32_e32 v11, v15, v12
	v_sub_f32_e32 v12, v14, v13
	v_add_f32_e32 v7, v7, v11
	v_sub_f32_e32 v8, v8, v12
	v_add_f32_e32 v7, v7, v8
	v_add_f32_e32 v8, v14, v7
	v_sub_f32_e32 v11, v8, v14
	v_mul_f32_e32 v12, v9, v8
	v_sub_f32_e32 v7, v7, v11
	v_fma_f32 v8, v9, v8, -v12
	v_cmp_class_f32_e64 vcc_lo, v12, 0x204
	v_fmac_f32_e32 v8, v9, v7
	v_add_f32_e32 v7, v12, v8
	v_cndmask_b32_e32 v11, v7, v12, vcc_lo
	v_sub_f32_e32 v7, v7, v12
	v_cmp_eq_f32_e32 vcc_lo, 0x42b17218, v11
	v_sub_f32_e32 v7, v8, v7
	v_cndmask_b32_e64 v13, 0, 0x37000000, vcc_lo
	v_cmp_neq_f32_e64 vcc_lo, 0x7f800000, |v11|
	v_sub_f32_e32 v14, v11, v13
	v_cndmask_b32_e32 v7, 0, v7, vcc_lo
	v_trunc_f32_e32 v11, v9
	v_mul_f32_e32 v15, 0x3fb8aa3b, v14
	v_cmp_ngt_f32_e32 vcc_lo, 0xc2ce8ed0, v14
	v_add_f32_e32 v7, v13, v7
	v_fma_f32 v16, 0x3fb8aa3b, v14, -v15
	v_rndne_f32_e32 v17, v15
	v_fmac_f32_e32 v16, 0x32a5705f, v14
	v_sub_f32_e32 v15, v15, v17
	v_cvt_i32_f32_e32 v12, v17
	v_add_f32_e32 v15, v15, v16
	v_exp_f32_e32 v15, v15
	v_ldexp_f32 v8, v15, v12
	v_mul_f32_e32 v12, 0.5, v9
	v_cndmask_b32_e32 v8, 0, v8, vcc_lo
	v_cmp_nlt_f32_e32 vcc_lo, 0x42b17218, v14
	v_trunc_f32_e32 v15, v12
	v_cndmask_b32_e32 v8, 0x7f800000, v8, vcc_lo
	v_cmp_eq_f32_e32 vcc_lo, v11, v9
	v_cmp_neq_f32_e64 s5, v15, v12
	v_fma_f32 v7, v8, v7, v8
	v_cmp_class_f32_e64 s6, v8, 0x204
	s_and_b32 s5, vcc_lo, s5
	v_cndmask_b32_e64 v11, 1.0, v10, s5
	v_cndmask_b32_e64 v13, 0, v10, s5
	v_cndmask_b32_e64 v7, v7, v8, s6
	;; [unrolled: 1-line block ×3, first 2 shown]
	v_cmp_gt_f32_e64 s6, 0, v9
	v_cmp_class_f32_e64 s5, v10, 0x204
	v_bfi_b32 v7, 0x7fffffff, v7, v11
	s_xor_b32 s6, s6, s7
	v_cndmask_b32_e64 v11, 0x7f800000, 0, s6
	v_cndmask_b32_e32 v12, 0x7fc00000, v7, vcc_lo
	v_cmp_neq_f32_e64 vcc_lo, |v10|, 1.0
	v_bfi_b32 v11, 0x7fffffff, v11, v13
	v_cndmask_b32_e32 v8, 1.0, v8, vcc_lo
	v_cmp_gt_f32_e32 vcc_lo, 0, v10
	v_cndmask_b32_e32 v7, v7, v12, vcc_lo
	v_cmp_class_f32_e64 vcc_lo, v9, 0x204
	v_cndmask_b32_e32 v7, v7, v8, vcc_lo
	s_or_b32 vcc_lo, s7, s5
	v_cndmask_b32_e32 v7, v7, v11, vcc_lo
	v_cmp_o_f32_e32 vcc_lo, v10, v9
	v_cndmask_b32_e32 v7, 0x7fc00000, v7, vcc_lo
	v_add_f32_e32 v5, v5, v7
	v_mul_f32_e32 v8, 0xa5000000, v5
	v_mul_f32_e32 v9, 0x25000000, v5
	v_cmp_nlt_f32_e32 vcc_lo, v8, v7
	v_cmp_nlt_f32_e64 s5, v7, v9
	s_or_b32 s6, vcc_lo, s5
	s_and_saveexec_b32 s5, s6
	s_cbranch_execz .LBB117_46
; %bb.48:                               ;   in Loop: Header=BB117_47 Depth=1
	s_add_i32 s6, s16, 1
	v_cmp_nge_f32_e32 vcc_lo, 0x41100000, v4
	s_cmp_gt_u32 s16, 7
	s_mov_b32 s16, s6
	s_cselect_b32 s7, -1, 0
	s_andn2_b32 s15, s15, exec_lo
	s_and_b32 s7, s7, vcc_lo
	s_andn2_b32 s14, s14, exec_lo
	s_and_b32 s7, s7, exec_lo
	s_or_b32 s15, s15, s7
	s_branch .LBB117_46
.LBB117_49:
	s_or_b32 exec_lo, exec_lo, s12
	s_xor_b32 s5, s13, -1
                                        ; implicit-def: $vgpr8
	s_and_saveexec_b32 s6, s5
	s_xor_b32 s5, exec_lo, s6
	s_cbranch_execz .LBB117_61
; %bb.50:
	v_mul_f32_e32 v6, v4, v7
	v_add_f32_e32 v8, -1.0, v3
	s_mov_b64 s[6:7], 0
	s_mov_b32 s11, 0
                                        ; implicit-def: $sgpr12
                                        ; implicit-def: $sgpr13
                                        ; implicit-def: $sgpr14
	v_div_scale_f32 v9, null, v8, v8, v6
	v_div_scale_f32 v12, vcc_lo, v6, v8, v6
	v_rcp_f32_e32 v10, v9
	v_fma_f32 v11, -v9, v10, 1.0
	v_fmac_f32_e32 v10, v11, v10
	v_mul_f32_e32 v11, v12, v10
	v_fma_f32 v13, -v9, v11, v12
	v_fmac_f32_e32 v11, v13, v10
	v_fma_f32 v9, -v9, v11, v12
	v_div_fmas_f32 v9, v9, v10, v11
	v_div_fixup_f32 v6, v9, v8, v6
	v_mov_b32_e32 v9, 1.0
	v_mov_b32_e32 v8, 0
	v_add_f32_e32 v6, v5, v6
	v_fmac_f32_e32 v6, -0.5, v7
	s_branch .LBB117_53
.LBB117_51:                             ;   in Loop: Header=BB117_53 Depth=1
	s_or_b32 exec_lo, exec_lo, s16
	s_andn2_b32 s14, s14, exec_lo
	s_and_b32 s16, s18, exec_lo
	s_andn2_b32 s13, s13, exec_lo
	s_and_b32 s17, s17, exec_lo
	s_or_b32 s14, s14, s16
	s_or_b32 s13, s13, s17
.LBB117_52:                             ;   in Loop: Header=BB117_53 Depth=1
	s_or_b32 exec_lo, exec_lo, s15
	s_and_b32 s15, exec_lo, s13
	s_or_b32 s11, s15, s11
	s_andn2_b32 s12, s12, exec_lo
	s_and_b32 s15, s14, exec_lo
	s_or_b32 s12, s12, s15
	s_andn2_b32 exec_lo, exec_lo, s11
	s_cbranch_execz .LBB117_56
.LBB117_53:                             ; =>This Inner Loop Header: Depth=1
	v_div_scale_f32 v10, null, v4, v4, v7
	v_div_scale_f32 v13, vcc_lo, v7, v4, v7
	s_getpc_b64 s[16:17]
	s_add_u32 s16, s16, _ZZ4zetaIN3c108BFloat16ELb1EET_S2_S2_E1A@rel32@lo+4
	s_addc_u32 s17, s17, _ZZ4zetaIN3c108BFloat16ELb1EET_S2_S2_E1A@rel32@hi+12
	v_rcp_f32_e32 v11, v10
	s_add_u32 s16, s16, s6
	s_addc_u32 s17, s17, s7
	s_or_b32 s14, s14, exec_lo
	s_load_dword s15, s[16:17], 0x0
	s_or_b32 s13, s13, exec_lo
	v_fma_f32 v12, -v10, v11, 1.0
	v_fmac_f32_e32 v11, v12, v11
	v_mul_f32_e32 v12, v13, v11
	v_fma_f32 v14, -v10, v12, v13
	v_fmac_f32_e32 v12, v14, v11
	v_fma_f32 v10, -v10, v12, v13
	v_add_f32_e32 v13, v8, v3
	v_div_fmas_f32 v11, v10, v11, v12
	v_mul_f32_e32 v10, v9, v13
	v_div_fixup_f32 v11, v11, v4, v7
	v_mul_f32_e32 v7, v11, v10
	s_waitcnt lgkmcnt(0)
	v_div_scale_f32 v9, null, s15, s15, v7
	v_div_scale_f32 v14, vcc_lo, v7, s15, v7
	v_rcp_f32_e32 v12, v9
	v_fma_f32 v13, -v9, v12, 1.0
	v_fmac_f32_e32 v12, v13, v12
	v_mul_f32_e32 v13, v14, v12
	v_fma_f32 v15, -v9, v13, v14
	v_fmac_f32_e32 v13, v15, v12
	v_fma_f32 v9, -v9, v13, v14
	v_div_fmas_f32 v9, v9, v12, v13
	v_div_fixup_f32 v7, v9, s15, v7
	v_add_f32_e32 v6, v6, v7
	v_div_scale_f32 v9, null, v6, v6, v7
	v_rcp_f32_e32 v12, v9
	v_fma_f32 v13, -v9, v12, 1.0
	v_fmac_f32_e32 v12, v13, v12
	v_div_scale_f32 v13, vcc_lo, v7, v6, v7
	v_mul_f32_e32 v14, v13, v12
	v_fma_f32 v15, -v9, v14, v13
	v_fmac_f32_e32 v14, v15, v12
	v_fma_f32 v9, -v9, v14, v13
	v_div_fmas_f32 v9, v9, v12, v14
	v_div_fixup_f32 v7, v9, v6, v7
                                        ; implicit-def: $vgpr9
	v_cmp_ngt_f32_e64 s16, 0x25000000, |v7|
                                        ; implicit-def: $vgpr7
	s_and_saveexec_b32 s15, s16
	s_cbranch_execz .LBB117_52
; %bb.54:                               ;   in Loop: Header=BB117_53 Depth=1
	v_div_scale_f32 v7, null, v4, v4, v11
	v_div_scale_f32 v13, vcc_lo, v11, v4, v11
	v_add_f32_e32 v8, 1.0, v8
	v_rcp_f32_e32 v9, v7
	s_getpc_b64 s[16:17]
	s_add_u32 s16, s16, _ZZ4zetaIN3c108BFloat16ELb1EET_S2_S2_E1A@rel32@lo+8
	s_addc_u32 s17, s17, _ZZ4zetaIN3c108BFloat16ELb1EET_S2_S2_E1A@rel32@hi+16
	s_add_u32 s16, s16, s6
	s_addc_u32 s17, s17, s7
	v_add_f32_e32 v16, v8, v3
	s_load_dword s16, s[16:17], 0x0
	s_mov_b32 s17, -1
	s_mov_b32 s18, -1
	v_fma_f32 v12, -v7, v9, 1.0
	v_fmac_f32_e32 v9, v12, v9
	v_mul_f32_e32 v12, v13, v9
	v_fma_f32 v14, -v7, v12, v13
	v_fmac_f32_e32 v12, v14, v9
	v_fma_f32 v7, -v7, v12, v13
	v_div_fmas_f32 v7, v7, v9, v12
	v_div_fixup_f32 v7, v7, v4, v11
	v_div_scale_f32 v9, null, v4, v4, v7
	v_div_scale_f32 v13, vcc_lo, v7, v4, v7
	v_rcp_f32_e32 v11, v9
	v_fma_f32 v12, -v9, v11, 1.0
	v_fmac_f32_e32 v11, v12, v11
	v_add_f32_e32 v12, 1.0, v8
	v_mul_f32_e32 v14, v13, v11
	v_fma_f32 v15, -v9, v14, v13
	v_fmac_f32_e32 v14, v15, v11
	v_fma_f32 v8, -v9, v14, v13
	v_mul_f32_e32 v9, v16, v10
	v_add_f32_e32 v10, v12, v3
	v_div_fmas_f32 v8, v8, v11, v14
	v_mul_f32_e32 v10, v9, v10
	v_div_fixup_f32 v11, v8, v4, v7
	v_mul_f32_e32 v7, v11, v10
	s_waitcnt lgkmcnt(0)
	v_div_scale_f32 v8, null, s16, s16, v7
	v_div_scale_f32 v14, vcc_lo, v7, s16, v7
	v_rcp_f32_e32 v9, v8
	v_fma_f32 v13, -v8, v9, 1.0
	v_fmac_f32_e32 v9, v13, v9
	v_mul_f32_e32 v13, v14, v9
	v_fma_f32 v15, -v8, v13, v14
	v_fmac_f32_e32 v13, v15, v9
	v_fma_f32 v8, -v8, v13, v14
	v_div_fmas_f32 v8, v8, v9, v13
	v_div_fixup_f32 v7, v8, s16, v7
	v_add_f32_e32 v6, v6, v7
	v_div_scale_f32 v8, null, v6, v6, v7
	v_rcp_f32_e32 v9, v8
	v_fma_f32 v13, -v8, v9, 1.0
	v_fmac_f32_e32 v9, v13, v9
	v_div_scale_f32 v13, vcc_lo, v7, v6, v7
	v_mul_f32_e32 v14, v13, v9
	v_fma_f32 v15, -v8, v14, v13
	v_fmac_f32_e32 v14, v15, v9
	v_fma_f32 v8, -v8, v14, v13
	v_div_fmas_f32 v8, v8, v9, v14
                                        ; implicit-def: $vgpr9
	v_div_fixup_f32 v7, v8, v6, v7
                                        ; implicit-def: $vgpr8
	v_cmp_ngt_f32_e64 s19, 0x25000000, |v7|
                                        ; implicit-def: $vgpr7
	s_and_saveexec_b32 s16, s19
	s_cbranch_execz .LBB117_51
; %bb.55:                               ;   in Loop: Header=BB117_53 Depth=1
	v_div_scale_f32 v7, null, v4, v4, v11
	v_div_scale_f32 v13, vcc_lo, v11, v4, v11
	v_add_f32_e32 v12, 1.0, v12
	v_rcp_f32_e32 v8, v7
	s_add_u32 s6, s6, 8
	s_addc_u32 s7, s7, 0
	s_cmp_eq_u32 s6, 48
	s_cselect_b32 s17, -1, 0
	s_xor_b32 s18, exec_lo, -1
	s_orn2_b32 s17, s17, exec_lo
	v_fma_f32 v9, -v7, v8, 1.0
	v_fmac_f32_e32 v8, v9, v8
	v_mul_f32_e32 v9, v13, v8
	v_fma_f32 v14, -v7, v9, v13
	v_fmac_f32_e32 v9, v14, v8
	v_fma_f32 v7, -v7, v9, v13
	v_add_f32_e32 v13, v12, v3
	v_div_fmas_f32 v7, v7, v8, v9
	v_mul_f32_e32 v9, v13, v10
	v_add_f32_e32 v8, 1.0, v12
	v_div_fixup_f32 v7, v7, v4, v11
	s_branch .LBB117_51
.LBB117_56:
	s_or_b32 exec_lo, exec_lo, s11
	s_xor_b32 s6, s12, -1
                                        ; implicit-def: $vgpr8
	s_and_saveexec_b32 s7, s6
	s_xor_b32 s6, exec_lo, s7
; %bb.57:
	v_bfe_u32 v3, v6, 16, 1
	v_cmp_o_f32_e32 vcc_lo, v6, v6
	v_add3_u32 v3, v6, v3, 0x7fff
	v_and_b32_e32 v3, 0xffff0000, v3
	v_cndmask_b32_e32 v8, 0x7fc00000, v3, vcc_lo
; %bb.58:
	s_andn2_saveexec_b32 s6, s6
; %bb.59:
	v_bfe_u32 v3, v6, 16, 1
	v_cmp_o_f32_e32 vcc_lo, v6, v6
	v_add3_u32 v3, v6, v3, 0x7fff
	v_and_b32_e32 v3, 0xffff0000, v3
	v_cndmask_b32_e32 v8, 0x7fc00000, v3, vcc_lo
; %bb.60:
	s_or_b32 exec_lo, exec_lo, s6
.LBB117_61:
	s_andn2_saveexec_b32 s5, s5
; %bb.62:
	v_bfe_u32 v3, v5, 16, 1
	v_cmp_o_f32_e32 vcc_lo, v5, v5
	v_add3_u32 v3, v5, v3, 0x7fff
	v_and_b32_e32 v3, 0xffff0000, v3
	v_cndmask_b32_e32 v8, 0x7fc00000, v3, vcc_lo
; %bb.63:
	s_or_b32 exec_lo, exec_lo, s5
.LBB117_64:
	s_or_b32 exec_lo, exec_lo, s10
.LBB117_65:
	s_or_b32 exec_lo, exec_lo, s9
.LBB117_66:
	s_or_b32 exec_lo, exec_lo, s8
	v_cmp_gt_f32_e64 s5, 0x4b000000, |v1|
	v_and_b32_e32 v0, 1, v0
	s_or_b32 vcc_lo, s4, s5
	v_cmp_class_f32_e64 s4, v1, 0x264
	v_cndmask_b32_e32 v2, 0x7f800000, v2, vcc_lo
	v_cmp_u_f32_e32 vcc_lo, v1, v1
	v_cndmask_b32_e64 v2, v2, 0x7f800000, s4
	v_cndmask_b32_e32 v1, v2, v1, vcc_lo
	v_mul_f32_e32 v2, 0x3fb8aa3b, v1
	v_cmp_ngt_f32_e32 vcc_lo, 0xc2ce8ed0, v1
	v_fma_f32 v3, 0x3fb8aa3b, v1, -v2
	s_waitcnt vmcnt(0) lgkmcnt(0)
	v_rndne_f32_e32 v4, v2
	v_fmamk_f32 v3, v1, 0x32a5705f, v3
	v_sub_f32_e32 v2, v2, v4
	v_add_f32_e32 v2, v2, v3
	v_cvt_i32_f32_e32 v3, v4
	v_exp_f32_e32 v2, v2
	v_ldexp_f32 v2, v2, v3
	v_cndmask_b32_e32 v2, 0, v2, vcc_lo
	v_cmp_eq_u32_e32 vcc_lo, 0, v0
	v_cndmask_b32_e64 v0, 1.0, -1.0, vcc_lo
	v_cmp_nlt_f32_e32 vcc_lo, 0x42b17218, v1
	v_cndmask_b32_e32 v1, 0x7f800000, v2, vcc_lo
	v_mul_f32_e32 v0, v1, v0
	v_mul_f32_e32 v0, v0, v8
	v_bfe_u32 v1, v0, 16, 1
	v_cmp_o_f32_e32 vcc_lo, v0, v0
	v_add3_u32 v0, v0, v1, 0x7fff
	v_mov_b32_e32 v1, 0x7fc0
	v_cndmask_b32_sdwa v0, v1, v0, vcc_lo dst_sel:DWORD dst_unused:UNUSED_PAD src0_sel:DWORD src1_sel:WORD_1
	s_setpc_b64 s[30:31]
.Lfunc_end117:
	.size	_ZN2at6native6invokeIZZZNS0_21polygamma_kernel_cudaERNS_18TensorIteratorBaseElENKUlvE_clEvENKUlvE2_clEvEUlN3c108BFloat16EE_j15function_traitsIS8_EEENT1_11result_typeERKT_PrKPcPKT0_i, .Lfunc_end117-_ZN2at6native6invokeIZZZNS0_21polygamma_kernel_cudaERNS_18TensorIteratorBaseElENKUlvE_clEvENKUlvE2_clEvEUlN3c108BFloat16EE_j15function_traitsIS8_EEENT1_11result_typeERKT_PrKPcPKT0_i
                                        ; -- End function
	.set .L_ZN2at6native6invokeIZZZNS0_21polygamma_kernel_cudaERNS_18TensorIteratorBaseElENKUlvE_clEvENKUlvE2_clEvEUlN3c108BFloat16EE_j15function_traitsIS8_EEENT1_11result_typeERKT_PrKPcPKT0_i.num_vgpr, 21
	.set .L_ZN2at6native6invokeIZZZNS0_21polygamma_kernel_cudaERNS_18TensorIteratorBaseElENKUlvE_clEvENKUlvE2_clEvEUlN3c108BFloat16EE_j15function_traitsIS8_EEENT1_11result_typeERKT_PrKPcPKT0_i.num_agpr, 0
	.set .L_ZN2at6native6invokeIZZZNS0_21polygamma_kernel_cudaERNS_18TensorIteratorBaseElENKUlvE_clEvENKUlvE2_clEvEUlN3c108BFloat16EE_j15function_traitsIS8_EEENT1_11result_typeERKT_PrKPcPKT0_i.numbered_sgpr, 32
	.set .L_ZN2at6native6invokeIZZZNS0_21polygamma_kernel_cudaERNS_18TensorIteratorBaseElENKUlvE_clEvENKUlvE2_clEvEUlN3c108BFloat16EE_j15function_traitsIS8_EEENT1_11result_typeERKT_PrKPcPKT0_i.num_named_barrier, 0
	.set .L_ZN2at6native6invokeIZZZNS0_21polygamma_kernel_cudaERNS_18TensorIteratorBaseElENKUlvE_clEvENKUlvE2_clEvEUlN3c108BFloat16EE_j15function_traitsIS8_EEENT1_11result_typeERKT_PrKPcPKT0_i.private_seg_size, 0
	.set .L_ZN2at6native6invokeIZZZNS0_21polygamma_kernel_cudaERNS_18TensorIteratorBaseElENKUlvE_clEvENKUlvE2_clEvEUlN3c108BFloat16EE_j15function_traitsIS8_EEENT1_11result_typeERKT_PrKPcPKT0_i.uses_vcc, 1
	.set .L_ZN2at6native6invokeIZZZNS0_21polygamma_kernel_cudaERNS_18TensorIteratorBaseElENKUlvE_clEvENKUlvE2_clEvEUlN3c108BFloat16EE_j15function_traitsIS8_EEENT1_11result_typeERKT_PrKPcPKT0_i.uses_flat_scratch, 0
	.set .L_ZN2at6native6invokeIZZZNS0_21polygamma_kernel_cudaERNS_18TensorIteratorBaseElENKUlvE_clEvENKUlvE2_clEvEUlN3c108BFloat16EE_j15function_traitsIS8_EEENT1_11result_typeERKT_PrKPcPKT0_i.has_dyn_sized_stack, 0
	.set .L_ZN2at6native6invokeIZZZNS0_21polygamma_kernel_cudaERNS_18TensorIteratorBaseElENKUlvE_clEvENKUlvE2_clEvEUlN3c108BFloat16EE_j15function_traitsIS8_EEENT1_11result_typeERKT_PrKPcPKT0_i.has_recursion, 0
	.set .L_ZN2at6native6invokeIZZZNS0_21polygamma_kernel_cudaERNS_18TensorIteratorBaseElENKUlvE_clEvENKUlvE2_clEvEUlN3c108BFloat16EE_j15function_traitsIS8_EEENT1_11result_typeERKT_PrKPcPKT0_i.has_indirect_call, 0
	.section	.AMDGPU.csdata,"",@progbits
; Function info:
; codeLenInByte = 5840
; TotalNumSgprs: 34
; NumVgprs: 21
; ScratchSize: 0
; MemoryBound: 0
	.section	.text._ZN2at6native32elementwise_kernel_manual_unrollILi128ELi8EZNS0_22gpu_kernel_impl_nocastIZZZNS0_21polygamma_kernel_cudaERNS_18TensorIteratorBaseElENKUlvE_clEvENKUlvE2_clEvEUlN3c108BFloat16EE_EEvS4_RKT_EUlibE_EEviT1_,"axG",@progbits,_ZN2at6native32elementwise_kernel_manual_unrollILi128ELi8EZNS0_22gpu_kernel_impl_nocastIZZZNS0_21polygamma_kernel_cudaERNS_18TensorIteratorBaseElENKUlvE_clEvENKUlvE2_clEvEUlN3c108BFloat16EE_EEvS4_RKT_EUlibE_EEviT1_,comdat
	.globl	_ZN2at6native32elementwise_kernel_manual_unrollILi128ELi8EZNS0_22gpu_kernel_impl_nocastIZZZNS0_21polygamma_kernel_cudaERNS_18TensorIteratorBaseElENKUlvE_clEvENKUlvE2_clEvEUlN3c108BFloat16EE_EEvS4_RKT_EUlibE_EEviT1_ ; -- Begin function _ZN2at6native32elementwise_kernel_manual_unrollILi128ELi8EZNS0_22gpu_kernel_impl_nocastIZZZNS0_21polygamma_kernel_cudaERNS_18TensorIteratorBaseElENKUlvE_clEvENKUlvE2_clEvEUlN3c108BFloat16EE_EEvS4_RKT_EUlibE_EEviT1_
	.p2align	8
	.type	_ZN2at6native32elementwise_kernel_manual_unrollILi128ELi8EZNS0_22gpu_kernel_impl_nocastIZZZNS0_21polygamma_kernel_cudaERNS_18TensorIteratorBaseElENKUlvE_clEvENKUlvE2_clEvEUlN3c108BFloat16EE_EEvS4_RKT_EUlibE_EEviT1_,@function
_ZN2at6native32elementwise_kernel_manual_unrollILi128ELi8EZNS0_22gpu_kernel_impl_nocastIZZZNS0_21polygamma_kernel_cudaERNS_18TensorIteratorBaseElENKUlvE_clEvENKUlvE2_clEvEUlN3c108BFloat16EE_EEvS4_RKT_EUlibE_EEviT1_: ; @_ZN2at6native32elementwise_kernel_manual_unrollILi128ELi8EZNS0_22gpu_kernel_impl_nocastIZZZNS0_21polygamma_kernel_cudaERNS_18TensorIteratorBaseElENKUlvE_clEvENKUlvE2_clEvEUlN3c108BFloat16EE_EEvS4_RKT_EUlibE_EEviT1_
; %bb.0:
	s_clause 0x1
	s_load_dword s33, s[4:5], 0x8
	s_load_dword s48, s[4:5], 0x0
	v_lshl_or_b32 v27, s6, 10, v0
	s_add_u32 s0, s0, s7
	s_addc_u32 s1, s1, 0
	s_add_u32 s28, s4, 8
	s_addc_u32 s29, s5, 0
	v_or_b32_e32 v0, 0x380, v27
	s_mov_b32 s32, 0
	s_mov_b32 s4, exec_lo
	s_waitcnt lgkmcnt(0)
	s_add_i32 s44, s33, -1
	s_cmp_gt_u32 s44, 1
	s_cselect_b32 s45, -1, 0
	v_cmpx_le_i32_e64 s48, v0
	s_xor_b32 s46, exec_lo, s4
	s_cbranch_execz .LBB118_7
; %bb.1:
	s_clause 0x4
	s_load_dwordx4 s[24:27], s[28:29], 0x4
	s_load_dwordx2 s[40:41], s[28:29], 0x14
	s_load_dwordx2 s[34:35], s[28:29], 0x158
	s_load_dwordx4 s[36:39], s[28:29], 0xc4
	s_load_dwordx4 s[20:23], s[28:29], 0x148
	s_cmp_lg_u32 s33, 0
	s_mov_b32 s51, exec_lo
	s_cselect_b32 s50, -1, 0
	s_add_u32 s42, s28, 0xc4
	s_addc_u32 s43, s29, 0
	s_min_u32 s49, s44, 15
	s_cmp_gt_u32 s33, 1
	s_cselect_b32 s47, -1, 0
	v_cmpx_gt_i32_e64 s48, v27
	s_cbranch_execz .LBB118_14
; %bb.2:
	s_andn2_b32 vcc_lo, exec_lo, s45
	s_cbranch_vccnz .LBB118_21
; %bb.3:
	s_andn2_b32 vcc_lo, exec_lo, s50
	s_cbranch_vccnz .LBB118_129
; %bb.4:
	s_add_i32 s9, s49, 1
	s_cmp_eq_u32 s44, 2
	s_cbranch_scc1 .LBB118_131
; %bb.5:
	v_mov_b32_e32 v4, 0
	v_mov_b32_e32 v21, 0
	;; [unrolled: 1-line block ×3, first 2 shown]
	s_and_b32 s8, s9, 28
	s_mov_b32 s10, 0
	s_mov_b64 s[4:5], s[28:29]
	s_mov_b64 s[6:7], s[42:43]
.LBB118_6:                              ; =>This Inner Loop Header: Depth=1
	s_clause 0x1
	s_load_dwordx8 s[12:19], s[4:5], 0x4
	s_load_dwordx4 s[60:63], s[4:5], 0x24
	s_load_dwordx8 s[52:59], s[6:7], 0x0
	s_add_u32 s4, s4, 48
	s_addc_u32 s5, s5, 0
	s_add_i32 s10, s10, 4
	s_add_u32 s6, s6, 32
	s_addc_u32 s7, s7, 0
	s_cmp_lg_u32 s8, s10
	s_waitcnt lgkmcnt(0)
	v_mul_hi_u32 v1, s13, v0
	v_add_nc_u32_e32 v1, v0, v1
	v_lshrrev_b32_e32 v1, s14, v1
	v_mul_hi_u32 v2, s16, v1
	v_mul_lo_u32 v5, v1, s12
	v_add_nc_u32_e32 v2, v1, v2
	v_sub_nc_u32_e32 v0, v0, v5
	v_lshrrev_b32_e32 v2, s17, v2
	v_mul_lo_u32 v5, v0, s52
	v_mul_lo_u32 v7, v0, s53
	v_mul_hi_u32 v3, s19, v2
	v_add_nc_u32_e32 v3, v2, v3
	v_lshrrev_b32_e32 v3, s60, v3
	v_mul_hi_u32 v6, s62, v3
	v_mul_lo_u32 v8, v3, s18
	v_add_nc_u32_e32 v0, v3, v6
	v_mul_lo_u32 v6, v2, s15
	v_sub_nc_u32_e32 v2, v2, v8
	v_lshrrev_b32_e32 v0, s63, v0
	v_mul_lo_u32 v8, v2, s56
	v_mul_lo_u32 v2, v2, s57
	v_sub_nc_u32_e32 v1, v1, v6
	v_mul_lo_u32 v9, v0, s61
	v_mul_lo_u32 v6, v1, s54
	;; [unrolled: 1-line block ×3, first 2 shown]
	v_sub_nc_u32_e32 v3, v3, v9
	v_add3_u32 v5, v5, v21, v6
	v_mul_lo_u32 v9, v3, s58
	v_mul_lo_u32 v3, v3, s59
	v_add3_u32 v1, v7, v4, v1
	v_add3_u32 v21, v8, v5, v9
	;; [unrolled: 1-line block ×3, first 2 shown]
	s_cbranch_scc1 .LBB118_6
	s_branch .LBB118_132
.LBB118_7:
	s_andn2_saveexec_b32 s4, s46
	s_cbranch_execz .LBB118_221
.LBB118_8:
	v_cndmask_b32_e64 v1, 0, 1, s45
	s_andn2_b32 vcc_lo, exec_lo, s45
	s_cbranch_vccnz .LBB118_20
; %bb.9:
	s_cmp_lg_u32 s33, 0
	s_mov_b32 s8, 0
	s_cbranch_scc0 .LBB118_23
; %bb.10:
	s_min_u32 s10, s44, 15
	s_add_i32 s10, s10, 1
	s_cmp_eq_u32 s44, 2
	s_cbranch_scc1 .LBB118_24
; %bb.11:
	v_mov_b32_e32 v4, 0
	v_mov_b32_e32 v29, 0
	;; [unrolled: 1-line block ×3, first 2 shown]
	s_and_b32 s9, s10, 28
	s_add_u32 s4, s28, 0xc4
	s_addc_u32 s5, s29, 0
	s_mov_b32 s11, 0
	s_mov_b64 s[6:7], s[28:29]
.LBB118_12:                             ; =>This Inner Loop Header: Depth=1
	s_load_dwordx8 s[12:19], s[6:7], 0x4
	s_waitcnt lgkmcnt(0)
	s_load_dwordx4 s[36:39], s[6:7], 0x24
	s_load_dwordx8 s[20:27], s[4:5], 0x0
	s_add_u32 s6, s6, 48
	s_addc_u32 s7, s7, 0
	s_add_i32 s11, s11, 4
	s_add_u32 s4, s4, 32
	s_addc_u32 s5, s5, 0
	s_cmp_lg_u32 s9, s11
	v_mul_hi_u32 v3, s13, v2
	v_add_nc_u32_e32 v3, v2, v3
	v_lshrrev_b32_e32 v3, s14, v3
	v_mul_hi_u32 v5, s16, v3
	v_mul_lo_u32 v7, v3, s12
	v_add_nc_u32_e32 v5, v3, v5
	v_sub_nc_u32_e32 v2, v2, v7
	v_lshrrev_b32_e32 v5, s17, v5
	s_waitcnt lgkmcnt(0)
	v_mul_lo_u32 v7, v2, s20
	v_mul_lo_u32 v9, v2, s21
	v_mul_hi_u32 v6, s19, v5
	v_add_nc_u32_e32 v6, v5, v6
	v_lshrrev_b32_e32 v6, s36, v6
	v_mul_hi_u32 v8, s38, v6
	v_mul_lo_u32 v10, v6, s18
	v_add_nc_u32_e32 v2, v6, v8
	v_mul_lo_u32 v8, v5, s15
	v_sub_nc_u32_e32 v5, v5, v10
	v_lshrrev_b32_e32 v2, s39, v2
	v_mul_lo_u32 v10, v5, s24
	v_mul_lo_u32 v5, v5, s25
	v_sub_nc_u32_e32 v3, v3, v8
	v_mul_lo_u32 v11, v2, s37
	v_mul_lo_u32 v8, v3, s22
	;; [unrolled: 1-line block ×3, first 2 shown]
	v_sub_nc_u32_e32 v6, v6, v11
	v_add3_u32 v7, v7, v29, v8
	v_mul_lo_u32 v11, v6, s26
	v_mul_lo_u32 v6, v6, s27
	v_add3_u32 v3, v9, v4, v3
	v_add3_u32 v29, v10, v7, v11
	;; [unrolled: 1-line block ×3, first 2 shown]
	s_cbranch_scc1 .LBB118_12
; %bb.13:
	s_and_b32 s10, s10, 3
	s_cmp_eq_u32 s10, 0
	s_cbranch_scc0 .LBB118_25
	s_branch .LBB118_27
.LBB118_14:
	s_or_b32 exec_lo, exec_lo, s51
	s_mov_b32 s51, exec_lo
	v_cmpx_gt_i32_e64 s48, v27
	s_cbranch_execz .LBB118_139
.LBB118_15:
	s_andn2_b32 vcc_lo, exec_lo, s45
	s_cbranch_vccnz .LBB118_22
; %bb.16:
	s_andn2_b32 vcc_lo, exec_lo, s50
	s_cbranch_vccnz .LBB118_130
; %bb.17:
	s_add_i32 s9, s49, 1
	s_cmp_eq_u32 s44, 2
	s_cbranch_scc1 .LBB118_147
; %bb.18:
	v_mov_b32_e32 v4, 0
	v_mov_b32_e32 v21, 0
	;; [unrolled: 1-line block ×3, first 2 shown]
	s_and_b32 s8, s9, 28
	s_mov_b32 s10, 0
	s_mov_b64 s[4:5], s[28:29]
	s_mov_b64 s[6:7], s[42:43]
.LBB118_19:                             ; =>This Inner Loop Header: Depth=1
	s_clause 0x1
	s_load_dwordx8 s[12:19], s[4:5], 0x4
	s_load_dwordx4 s[60:63], s[4:5], 0x24
	s_load_dwordx8 s[52:59], s[6:7], 0x0
	s_add_u32 s4, s4, 48
	s_addc_u32 s5, s5, 0
	s_add_i32 s10, s10, 4
	s_add_u32 s6, s6, 32
	s_addc_u32 s7, s7, 0
	s_cmp_eq_u32 s8, s10
	s_waitcnt lgkmcnt(0)
	v_mul_hi_u32 v1, s13, v0
	v_add_nc_u32_e32 v1, v0, v1
	v_lshrrev_b32_e32 v1, s14, v1
	v_mul_hi_u32 v2, s16, v1
	v_mul_lo_u32 v5, v1, s12
	v_add_nc_u32_e32 v2, v1, v2
	v_sub_nc_u32_e32 v0, v0, v5
	v_lshrrev_b32_e32 v2, s17, v2
	v_mul_lo_u32 v5, v0, s52
	v_mul_lo_u32 v7, v0, s53
	v_mul_hi_u32 v3, s19, v2
	v_add_nc_u32_e32 v3, v2, v3
	v_lshrrev_b32_e32 v3, s60, v3
	v_mul_hi_u32 v6, s62, v3
	v_mul_lo_u32 v8, v3, s18
	v_add_nc_u32_e32 v0, v3, v6
	v_mul_lo_u32 v6, v2, s15
	v_sub_nc_u32_e32 v2, v2, v8
	v_lshrrev_b32_e32 v0, s63, v0
	v_mul_lo_u32 v8, v2, s56
	v_mul_lo_u32 v2, v2, s57
	v_sub_nc_u32_e32 v1, v1, v6
	v_mul_lo_u32 v9, v0, s61
	v_mul_lo_u32 v6, v1, s54
	;; [unrolled: 1-line block ×3, first 2 shown]
	v_sub_nc_u32_e32 v3, v3, v9
	v_add3_u32 v5, v5, v21, v6
	v_mul_lo_u32 v9, v3, s58
	v_mul_lo_u32 v3, v3, s59
	v_add3_u32 v1, v7, v4, v1
	v_add3_u32 v21, v8, v5, v9
	;; [unrolled: 1-line block ×3, first 2 shown]
	s_cbranch_scc0 .LBB118_19
	s_branch .LBB118_148
.LBB118_20:
	s_mov_b32 s8, -1
                                        ; implicit-def: $vgpr29
                                        ; implicit-def: $vgpr4
	s_branch .LBB118_27
.LBB118_21:
                                        ; implicit-def: $vgpr21
                                        ; implicit-def: $vgpr4
	s_branch .LBB118_136
.LBB118_22:
                                        ; implicit-def: $vgpr21
                                        ; implicit-def: $vgpr4
	s_branch .LBB118_152
.LBB118_23:
	v_mov_b32_e32 v29, 0
	v_mov_b32_e32 v4, 0
	s_branch .LBB118_27
.LBB118_24:
	v_mov_b32_e32 v29, 0
	v_mov_b32_e32 v4, 0
	;; [unrolled: 1-line block ×3, first 2 shown]
	s_mov_b32 s9, 0
	s_and_b32 s10, s10, 3
	s_cmp_eq_u32 s10, 0
	s_cbranch_scc1 .LBB118_27
.LBB118_25:
	s_lshl_b32 s4, s9, 3
	s_mul_i32 s6, s9, 12
	s_add_u32 s4, s28, s4
	s_addc_u32 s5, s29, 0
	s_add_u32 s4, s4, 0xc4
	s_addc_u32 s5, s5, 0
	;; [unrolled: 2-line block ×3, first 2 shown]
	.p2align	6
.LBB118_26:                             ; =>This Inner Loop Header: Depth=1
	s_clause 0x1
	s_load_dwordx2 s[12:13], s[6:7], 0x4
	s_load_dword s9, s[6:7], 0xc
	s_load_dwordx2 s[14:15], s[4:5], 0x0
	s_add_u32 s6, s6, 12
	s_addc_u32 s7, s7, 0
	s_add_u32 s4, s4, 8
	s_addc_u32 s5, s5, 0
	s_add_i32 s10, s10, -1
	s_cmp_lg_u32 s10, 0
	s_waitcnt lgkmcnt(0)
	v_mul_hi_u32 v3, s13, v2
	v_add_nc_u32_e32 v3, v2, v3
	v_lshrrev_b32_e32 v3, s9, v3
	v_mul_lo_u32 v5, v3, s12
	v_sub_nc_u32_e32 v2, v2, v5
	v_mad_u64_u32 v[29:30], null, v2, s14, v[29:30]
	v_mad_u64_u32 v[4:5], null, v2, s15, v[4:5]
	v_mov_b32_e32 v2, v3
	s_cbranch_scc1 .LBB118_26
.LBB118_27:
	s_andn2_b32 vcc_lo, exec_lo, s8
	s_cbranch_vccnz .LBB118_30
; %bb.28:
	s_clause 0x1
	s_load_dwordx4 s[4:7], s[28:29], 0x4
	s_load_dwordx2 s[8:9], s[28:29], 0xc4
	s_cmp_lt_u32 s33, 2
	s_waitcnt lgkmcnt(0)
	v_mul_hi_u32 v2, s5, v27
	v_add_nc_u32_e32 v2, v27, v2
	v_lshrrev_b32_e32 v2, s6, v2
	v_mul_lo_u32 v3, v2, s4
	v_sub_nc_u32_e32 v3, v27, v3
	v_mul_lo_u32 v29, v3, s8
	v_mul_lo_u32 v4, v3, s9
	s_cbranch_scc1 .LBB118_30
; %bb.29:
	s_clause 0x1
	s_load_dwordx4 s[4:7], s[28:29], 0x10
	s_load_dwordx2 s[8:9], s[28:29], 0xcc
	s_waitcnt lgkmcnt(0)
	v_mul_hi_u32 v3, s5, v2
	v_add_nc_u32_e32 v3, v2, v3
	v_lshrrev_b32_e32 v3, s6, v3
	v_mul_lo_u32 v3, v3, s4
	v_sub_nc_u32_e32 v2, v2, v3
	v_mad_u64_u32 v[29:30], null, v2, s8, v[29:30]
	v_mad_u64_u32 v[4:5], null, v2, s9, v[4:5]
.LBB118_30:
	v_cmp_ne_u32_e32 vcc_lo, 1, v1
	v_add_nc_u32_e32 v2, 0x80, v27
	s_cbranch_vccnz .LBB118_36
; %bb.31:
	s_cmp_lg_u32 s33, 0
	s_mov_b32 s8, 0
	s_cbranch_scc0 .LBB118_37
; %bb.32:
	s_min_u32 s10, s44, 15
	s_add_i32 s10, s10, 1
	s_cmp_eq_u32 s44, 2
	s_cbranch_scc1 .LBB118_38
; %bb.33:
	v_mov_b32_e32 v21, 0
	v_mov_b32_e32 v30, 0
	;; [unrolled: 1-line block ×3, first 2 shown]
	s_and_b32 s9, s10, 28
	s_add_u32 s4, s28, 0xc4
	s_addc_u32 s5, s29, 0
	s_mov_b32 s11, 0
	s_mov_b64 s[6:7], s[28:29]
.LBB118_34:                             ; =>This Inner Loop Header: Depth=1
	s_load_dwordx8 s[12:19], s[6:7], 0x4
	s_waitcnt lgkmcnt(0)
	s_load_dwordx4 s[36:39], s[6:7], 0x24
	s_load_dwordx8 s[20:27], s[4:5], 0x0
	s_add_u32 s6, s6, 48
	s_addc_u32 s7, s7, 0
	s_add_i32 s11, s11, 4
	s_add_u32 s4, s4, 32
	s_addc_u32 s5, s5, 0
	s_cmp_lg_u32 s9, s11
	v_mul_hi_u32 v5, s13, v3
	v_add_nc_u32_e32 v5, v3, v5
	v_lshrrev_b32_e32 v5, s14, v5
	v_mul_hi_u32 v6, s16, v5
	v_mul_lo_u32 v8, v5, s12
	v_add_nc_u32_e32 v6, v5, v6
	v_sub_nc_u32_e32 v3, v3, v8
	v_lshrrev_b32_e32 v6, s17, v6
	s_waitcnt lgkmcnt(0)
	v_mul_lo_u32 v8, v3, s20
	v_mul_lo_u32 v10, v3, s21
	v_mul_hi_u32 v7, s19, v6
	v_add_nc_u32_e32 v7, v6, v7
	v_lshrrev_b32_e32 v7, s36, v7
	v_mul_hi_u32 v9, s38, v7
	v_mul_lo_u32 v11, v7, s18
	v_add_nc_u32_e32 v3, v7, v9
	v_mul_lo_u32 v9, v6, s15
	v_sub_nc_u32_e32 v6, v6, v11
	v_lshrrev_b32_e32 v3, s39, v3
	v_mul_lo_u32 v11, v6, s24
	v_mul_lo_u32 v6, v6, s25
	v_sub_nc_u32_e32 v5, v5, v9
	v_mul_lo_u32 v12, v3, s37
	v_mul_lo_u32 v9, v5, s22
	v_mul_lo_u32 v5, v5, s23
	v_sub_nc_u32_e32 v7, v7, v12
	v_add3_u32 v8, v8, v30, v9
	v_mul_lo_u32 v12, v7, s26
	v_mul_lo_u32 v7, v7, s27
	v_add3_u32 v5, v10, v21, v5
	v_add3_u32 v30, v11, v8, v12
	;; [unrolled: 1-line block ×3, first 2 shown]
	s_cbranch_scc1 .LBB118_34
; %bb.35:
	s_and_b32 s10, s10, 3
	s_cmp_eq_u32 s10, 0
	s_cbranch_scc0 .LBB118_39
	s_branch .LBB118_41
.LBB118_36:
	s_mov_b32 s8, -1
                                        ; implicit-def: $vgpr30
                                        ; implicit-def: $vgpr21
	s_branch .LBB118_41
.LBB118_37:
	v_mov_b32_e32 v30, 0
	v_mov_b32_e32 v21, 0
	s_branch .LBB118_41
.LBB118_38:
	v_mov_b32_e32 v30, 0
	v_mov_b32_e32 v21, 0
	;; [unrolled: 1-line block ×3, first 2 shown]
	s_mov_b32 s9, 0
	s_and_b32 s10, s10, 3
	s_cmp_eq_u32 s10, 0
	s_cbranch_scc1 .LBB118_41
.LBB118_39:
	s_lshl_b32 s4, s9, 3
	s_mul_i32 s6, s9, 12
	s_add_u32 s4, s28, s4
	s_addc_u32 s5, s29, 0
	s_add_u32 s4, s4, 0xc4
	s_addc_u32 s5, s5, 0
	;; [unrolled: 2-line block ×3, first 2 shown]
	.p2align	6
.LBB118_40:                             ; =>This Inner Loop Header: Depth=1
	s_clause 0x1
	s_load_dwordx2 s[12:13], s[6:7], 0x4
	s_load_dword s9, s[6:7], 0xc
	s_load_dwordx2 s[14:15], s[4:5], 0x0
	s_add_u32 s6, s6, 12
	s_addc_u32 s7, s7, 0
	s_add_u32 s4, s4, 8
	s_addc_u32 s5, s5, 0
	s_add_i32 s10, s10, -1
	s_cmp_lg_u32 s10, 0
	s_waitcnt lgkmcnt(0)
	v_mul_hi_u32 v5, s13, v3
	v_add_nc_u32_e32 v5, v3, v5
	v_lshrrev_b32_e32 v5, s9, v5
	v_mul_lo_u32 v6, v5, s12
	v_sub_nc_u32_e32 v3, v3, v6
	v_mad_u64_u32 v[30:31], null, v3, s14, v[30:31]
	v_mad_u64_u32 v[21:22], null, v3, s15, v[21:22]
	v_mov_b32_e32 v3, v5
	s_cbranch_scc1 .LBB118_40
.LBB118_41:
	s_andn2_b32 vcc_lo, exec_lo, s8
	s_cbranch_vccnz .LBB118_44
; %bb.42:
	s_clause 0x1
	s_load_dwordx4 s[4:7], s[28:29], 0x4
	s_load_dwordx2 s[8:9], s[28:29], 0xc4
	s_cmp_lt_u32 s33, 2
	s_waitcnt lgkmcnt(0)
	v_mul_hi_u32 v3, s5, v2
	v_add_nc_u32_e32 v3, v2, v3
	v_lshrrev_b32_e32 v3, s6, v3
	v_mul_lo_u32 v5, v3, s4
	v_sub_nc_u32_e32 v2, v2, v5
	v_mul_lo_u32 v30, v2, s8
	v_mul_lo_u32 v21, v2, s9
	s_cbranch_scc1 .LBB118_44
; %bb.43:
	s_clause 0x1
	s_load_dwordx4 s[4:7], s[28:29], 0x10
	s_load_dwordx2 s[8:9], s[28:29], 0xcc
	s_waitcnt lgkmcnt(0)
	v_mul_hi_u32 v2, s5, v3
	v_add_nc_u32_e32 v2, v3, v2
	v_lshrrev_b32_e32 v2, s6, v2
	v_mul_lo_u32 v2, v2, s4
	v_sub_nc_u32_e32 v2, v3, v2
	v_mad_u64_u32 v[30:31], null, v2, s8, v[30:31]
	v_mad_u64_u32 v[21:22], null, v2, s9, v[21:22]
.LBB118_44:
	v_cmp_ne_u32_e32 vcc_lo, 1, v1
	v_add_nc_u32_e32 v2, 0x100, v27
	s_cbranch_vccnz .LBB118_50
; %bb.45:
	s_cmp_lg_u32 s33, 0
	s_mov_b32 s8, 0
	s_cbranch_scc0 .LBB118_51
; %bb.46:
	s_min_u32 s10, s44, 15
	s_add_i32 s10, s10, 1
	s_cmp_eq_u32 s44, 2
	s_cbranch_scc1 .LBB118_52
; %bb.47:
	v_mov_b32_e32 v22, 0
	v_mov_b32_e32 v31, 0
	;; [unrolled: 1-line block ×3, first 2 shown]
	s_and_b32 s9, s10, 28
	s_add_u32 s4, s28, 0xc4
	s_addc_u32 s5, s29, 0
	s_mov_b32 s11, 0
	s_mov_b64 s[6:7], s[28:29]
.LBB118_48:                             ; =>This Inner Loop Header: Depth=1
	s_load_dwordx8 s[12:19], s[6:7], 0x4
	s_waitcnt lgkmcnt(0)
	s_load_dwordx4 s[36:39], s[6:7], 0x24
	s_load_dwordx8 s[20:27], s[4:5], 0x0
	s_add_u32 s6, s6, 48
	s_addc_u32 s7, s7, 0
	s_add_i32 s11, s11, 4
	s_add_u32 s4, s4, 32
	s_addc_u32 s5, s5, 0
	s_cmp_lg_u32 s9, s11
	v_mul_hi_u32 v5, s13, v3
	v_add_nc_u32_e32 v5, v3, v5
	v_lshrrev_b32_e32 v5, s14, v5
	v_mul_hi_u32 v6, s16, v5
	v_mul_lo_u32 v8, v5, s12
	v_add_nc_u32_e32 v6, v5, v6
	v_sub_nc_u32_e32 v3, v3, v8
	v_lshrrev_b32_e32 v6, s17, v6
	s_waitcnt lgkmcnt(0)
	v_mul_lo_u32 v8, v3, s20
	v_mul_lo_u32 v10, v3, s21
	v_mul_hi_u32 v7, s19, v6
	v_add_nc_u32_e32 v7, v6, v7
	v_lshrrev_b32_e32 v7, s36, v7
	v_mul_hi_u32 v9, s38, v7
	v_mul_lo_u32 v11, v7, s18
	v_add_nc_u32_e32 v3, v7, v9
	v_mul_lo_u32 v9, v6, s15
	v_sub_nc_u32_e32 v6, v6, v11
	v_lshrrev_b32_e32 v3, s39, v3
	v_mul_lo_u32 v11, v6, s24
	v_mul_lo_u32 v6, v6, s25
	v_sub_nc_u32_e32 v5, v5, v9
	v_mul_lo_u32 v12, v3, s37
	v_mul_lo_u32 v9, v5, s22
	;; [unrolled: 1-line block ×3, first 2 shown]
	v_sub_nc_u32_e32 v7, v7, v12
	v_add3_u32 v8, v8, v31, v9
	v_mul_lo_u32 v12, v7, s26
	v_mul_lo_u32 v7, v7, s27
	v_add3_u32 v5, v10, v22, v5
	v_add3_u32 v31, v11, v8, v12
	;; [unrolled: 1-line block ×3, first 2 shown]
	s_cbranch_scc1 .LBB118_48
; %bb.49:
	s_and_b32 s10, s10, 3
	s_cmp_eq_u32 s10, 0
	s_cbranch_scc0 .LBB118_53
	s_branch .LBB118_55
.LBB118_50:
	s_mov_b32 s8, -1
                                        ; implicit-def: $vgpr31
                                        ; implicit-def: $vgpr22
	s_branch .LBB118_55
.LBB118_51:
	v_mov_b32_e32 v31, 0
	v_mov_b32_e32 v22, 0
	s_branch .LBB118_55
.LBB118_52:
	v_mov_b32_e32 v31, 0
	v_mov_b32_e32 v22, 0
	;; [unrolled: 1-line block ×3, first 2 shown]
	s_mov_b32 s9, 0
	s_and_b32 s10, s10, 3
	s_cmp_eq_u32 s10, 0
	s_cbranch_scc1 .LBB118_55
.LBB118_53:
	s_lshl_b32 s4, s9, 3
	s_mul_i32 s6, s9, 12
	s_add_u32 s4, s28, s4
	s_addc_u32 s5, s29, 0
	s_add_u32 s4, s4, 0xc4
	s_addc_u32 s5, s5, 0
	;; [unrolled: 2-line block ×3, first 2 shown]
	.p2align	6
.LBB118_54:                             ; =>This Inner Loop Header: Depth=1
	s_clause 0x1
	s_load_dwordx2 s[12:13], s[6:7], 0x4
	s_load_dword s9, s[6:7], 0xc
	s_load_dwordx2 s[14:15], s[4:5], 0x0
	s_add_u32 s6, s6, 12
	s_addc_u32 s7, s7, 0
	s_add_u32 s4, s4, 8
	s_addc_u32 s5, s5, 0
	s_add_i32 s10, s10, -1
	s_cmp_lg_u32 s10, 0
	s_waitcnt lgkmcnt(0)
	v_mul_hi_u32 v5, s13, v3
	v_add_nc_u32_e32 v5, v3, v5
	v_lshrrev_b32_e32 v5, s9, v5
	v_mul_lo_u32 v6, v5, s12
	v_sub_nc_u32_e32 v3, v3, v6
	v_mad_u64_u32 v[31:32], null, v3, s14, v[31:32]
	v_mad_u64_u32 v[22:23], null, v3, s15, v[22:23]
	v_mov_b32_e32 v3, v5
	s_cbranch_scc1 .LBB118_54
.LBB118_55:
	s_andn2_b32 vcc_lo, exec_lo, s8
	s_cbranch_vccnz .LBB118_58
; %bb.56:
	s_clause 0x1
	s_load_dwordx4 s[4:7], s[28:29], 0x4
	s_load_dwordx2 s[8:9], s[28:29], 0xc4
	s_cmp_lt_u32 s33, 2
	s_waitcnt lgkmcnt(0)
	v_mul_hi_u32 v3, s5, v2
	v_add_nc_u32_e32 v3, v2, v3
	v_lshrrev_b32_e32 v3, s6, v3
	v_mul_lo_u32 v5, v3, s4
	v_sub_nc_u32_e32 v2, v2, v5
	v_mul_lo_u32 v31, v2, s8
	v_mul_lo_u32 v22, v2, s9
	s_cbranch_scc1 .LBB118_58
; %bb.57:
	s_clause 0x1
	s_load_dwordx4 s[4:7], s[28:29], 0x10
	s_load_dwordx2 s[8:9], s[28:29], 0xcc
	s_waitcnt lgkmcnt(0)
	v_mul_hi_u32 v2, s5, v3
	v_add_nc_u32_e32 v2, v3, v2
	v_lshrrev_b32_e32 v2, s6, v2
	v_mul_lo_u32 v2, v2, s4
	v_sub_nc_u32_e32 v2, v3, v2
	v_mad_u64_u32 v[31:32], null, v2, s8, v[31:32]
	v_mad_u64_u32 v[22:23], null, v2, s9, v[22:23]
.LBB118_58:
	v_cmp_ne_u32_e32 vcc_lo, 1, v1
	v_add_nc_u32_e32 v2, 0x180, v27
	s_cbranch_vccnz .LBB118_64
; %bb.59:
	s_cmp_lg_u32 s33, 0
	s_mov_b32 s8, 0
	s_cbranch_scc0 .LBB118_65
; %bb.60:
	s_min_u32 s10, s44, 15
	s_add_i32 s10, s10, 1
	s_cmp_eq_u32 s44, 2
	s_cbranch_scc1 .LBB118_66
; %bb.61:
	v_mov_b32_e32 v23, 0
	v_mov_b32_e32 v32, 0
	;; [unrolled: 1-line block ×3, first 2 shown]
	s_and_b32 s9, s10, 28
	s_add_u32 s4, s28, 0xc4
	s_addc_u32 s5, s29, 0
	s_mov_b32 s11, 0
	s_mov_b64 s[6:7], s[28:29]
.LBB118_62:                             ; =>This Inner Loop Header: Depth=1
	s_load_dwordx8 s[12:19], s[6:7], 0x4
	s_waitcnt lgkmcnt(0)
	s_load_dwordx4 s[36:39], s[6:7], 0x24
	s_load_dwordx8 s[20:27], s[4:5], 0x0
	s_add_u32 s6, s6, 48
	s_addc_u32 s7, s7, 0
	s_add_i32 s11, s11, 4
	s_add_u32 s4, s4, 32
	s_addc_u32 s5, s5, 0
	s_cmp_lg_u32 s9, s11
	v_mul_hi_u32 v5, s13, v3
	v_add_nc_u32_e32 v5, v3, v5
	v_lshrrev_b32_e32 v5, s14, v5
	v_mul_hi_u32 v6, s16, v5
	v_mul_lo_u32 v8, v5, s12
	v_add_nc_u32_e32 v6, v5, v6
	v_sub_nc_u32_e32 v3, v3, v8
	v_lshrrev_b32_e32 v6, s17, v6
	s_waitcnt lgkmcnt(0)
	v_mul_lo_u32 v8, v3, s20
	v_mul_lo_u32 v10, v3, s21
	v_mul_hi_u32 v7, s19, v6
	v_add_nc_u32_e32 v7, v6, v7
	v_lshrrev_b32_e32 v7, s36, v7
	v_mul_hi_u32 v9, s38, v7
	v_mul_lo_u32 v11, v7, s18
	v_add_nc_u32_e32 v3, v7, v9
	v_mul_lo_u32 v9, v6, s15
	v_sub_nc_u32_e32 v6, v6, v11
	v_lshrrev_b32_e32 v3, s39, v3
	v_mul_lo_u32 v11, v6, s24
	v_mul_lo_u32 v6, v6, s25
	v_sub_nc_u32_e32 v5, v5, v9
	v_mul_lo_u32 v12, v3, s37
	v_mul_lo_u32 v9, v5, s22
	v_mul_lo_u32 v5, v5, s23
	v_sub_nc_u32_e32 v7, v7, v12
	v_add3_u32 v8, v8, v32, v9
	v_mul_lo_u32 v12, v7, s26
	v_mul_lo_u32 v7, v7, s27
	v_add3_u32 v5, v10, v23, v5
	v_add3_u32 v32, v11, v8, v12
	;; [unrolled: 1-line block ×3, first 2 shown]
	s_cbranch_scc1 .LBB118_62
; %bb.63:
	s_and_b32 s10, s10, 3
	s_cmp_eq_u32 s10, 0
	s_cbranch_scc0 .LBB118_67
	s_branch .LBB118_69
.LBB118_64:
	s_mov_b32 s8, -1
                                        ; implicit-def: $vgpr32
                                        ; implicit-def: $vgpr23
	s_branch .LBB118_69
.LBB118_65:
	v_mov_b32_e32 v32, 0
	v_mov_b32_e32 v23, 0
	s_branch .LBB118_69
.LBB118_66:
	v_mov_b32_e32 v32, 0
	v_mov_b32_e32 v23, 0
	;; [unrolled: 1-line block ×3, first 2 shown]
	s_mov_b32 s9, 0
	s_and_b32 s10, s10, 3
	s_cmp_eq_u32 s10, 0
	s_cbranch_scc1 .LBB118_69
.LBB118_67:
	s_lshl_b32 s4, s9, 3
	s_mul_i32 s6, s9, 12
	s_add_u32 s4, s28, s4
	s_addc_u32 s5, s29, 0
	s_add_u32 s4, s4, 0xc4
	s_addc_u32 s5, s5, 0
	;; [unrolled: 2-line block ×3, first 2 shown]
	.p2align	6
.LBB118_68:                             ; =>This Inner Loop Header: Depth=1
	s_clause 0x1
	s_load_dwordx2 s[12:13], s[6:7], 0x4
	s_load_dword s9, s[6:7], 0xc
	s_load_dwordx2 s[14:15], s[4:5], 0x0
	s_add_u32 s6, s6, 12
	s_addc_u32 s7, s7, 0
	s_add_u32 s4, s4, 8
	s_addc_u32 s5, s5, 0
	s_add_i32 s10, s10, -1
	s_cmp_lg_u32 s10, 0
	s_waitcnt lgkmcnt(0)
	v_mul_hi_u32 v5, s13, v3
	v_add_nc_u32_e32 v5, v3, v5
	v_lshrrev_b32_e32 v5, s9, v5
	v_mul_lo_u32 v6, v5, s12
	v_sub_nc_u32_e32 v3, v3, v6
	v_mad_u64_u32 v[32:33], null, v3, s14, v[32:33]
	v_mad_u64_u32 v[23:24], null, v3, s15, v[23:24]
	v_mov_b32_e32 v3, v5
	s_cbranch_scc1 .LBB118_68
.LBB118_69:
	s_andn2_b32 vcc_lo, exec_lo, s8
	s_cbranch_vccnz .LBB118_72
; %bb.70:
	s_clause 0x1
	s_load_dwordx4 s[4:7], s[28:29], 0x4
	s_load_dwordx2 s[8:9], s[28:29], 0xc4
	s_cmp_lt_u32 s33, 2
	s_waitcnt lgkmcnt(0)
	v_mul_hi_u32 v3, s5, v2
	v_add_nc_u32_e32 v3, v2, v3
	v_lshrrev_b32_e32 v3, s6, v3
	v_mul_lo_u32 v5, v3, s4
	v_sub_nc_u32_e32 v2, v2, v5
	v_mul_lo_u32 v32, v2, s8
	v_mul_lo_u32 v23, v2, s9
	s_cbranch_scc1 .LBB118_72
; %bb.71:
	s_clause 0x1
	s_load_dwordx4 s[4:7], s[28:29], 0x10
	s_load_dwordx2 s[8:9], s[28:29], 0xcc
	s_waitcnt lgkmcnt(0)
	v_mul_hi_u32 v2, s5, v3
	v_add_nc_u32_e32 v2, v3, v2
	v_lshrrev_b32_e32 v2, s6, v2
	v_mul_lo_u32 v2, v2, s4
	v_sub_nc_u32_e32 v2, v3, v2
	v_mad_u64_u32 v[32:33], null, v2, s8, v[32:33]
	v_mad_u64_u32 v[23:24], null, v2, s9, v[23:24]
.LBB118_72:
	v_cmp_ne_u32_e32 vcc_lo, 1, v1
	v_add_nc_u32_e32 v2, 0x200, v27
	s_cbranch_vccnz .LBB118_78
; %bb.73:
	s_cmp_lg_u32 s33, 0
	s_mov_b32 s8, 0
	s_cbranch_scc0 .LBB118_79
; %bb.74:
	s_min_u32 s10, s44, 15
	s_add_i32 s10, s10, 1
	s_cmp_eq_u32 s44, 2
	s_cbranch_scc1 .LBB118_80
; %bb.75:
	v_mov_b32_e32 v24, 0
	v_mov_b32_e32 v33, 0
	;; [unrolled: 1-line block ×3, first 2 shown]
	s_and_b32 s9, s10, 28
	s_add_u32 s4, s28, 0xc4
	s_addc_u32 s5, s29, 0
	s_mov_b32 s11, 0
	s_mov_b64 s[6:7], s[28:29]
.LBB118_76:                             ; =>This Inner Loop Header: Depth=1
	s_load_dwordx8 s[12:19], s[6:7], 0x4
	s_waitcnt lgkmcnt(0)
	s_load_dwordx4 s[36:39], s[6:7], 0x24
	s_load_dwordx8 s[20:27], s[4:5], 0x0
	s_add_u32 s6, s6, 48
	s_addc_u32 s7, s7, 0
	s_add_i32 s11, s11, 4
	s_add_u32 s4, s4, 32
	s_addc_u32 s5, s5, 0
	s_cmp_lg_u32 s9, s11
	v_mul_hi_u32 v5, s13, v3
	v_add_nc_u32_e32 v5, v3, v5
	v_lshrrev_b32_e32 v5, s14, v5
	v_mul_hi_u32 v6, s16, v5
	v_mul_lo_u32 v8, v5, s12
	v_add_nc_u32_e32 v6, v5, v6
	v_sub_nc_u32_e32 v3, v3, v8
	v_lshrrev_b32_e32 v6, s17, v6
	s_waitcnt lgkmcnt(0)
	v_mul_lo_u32 v8, v3, s20
	v_mul_lo_u32 v10, v3, s21
	v_mul_hi_u32 v7, s19, v6
	v_add_nc_u32_e32 v7, v6, v7
	v_lshrrev_b32_e32 v7, s36, v7
	v_mul_hi_u32 v9, s38, v7
	v_mul_lo_u32 v11, v7, s18
	v_add_nc_u32_e32 v3, v7, v9
	v_mul_lo_u32 v9, v6, s15
	v_sub_nc_u32_e32 v6, v6, v11
	v_lshrrev_b32_e32 v3, s39, v3
	v_mul_lo_u32 v11, v6, s24
	v_mul_lo_u32 v6, v6, s25
	v_sub_nc_u32_e32 v5, v5, v9
	v_mul_lo_u32 v12, v3, s37
	v_mul_lo_u32 v9, v5, s22
	;; [unrolled: 1-line block ×3, first 2 shown]
	v_sub_nc_u32_e32 v7, v7, v12
	v_add3_u32 v8, v8, v33, v9
	v_mul_lo_u32 v12, v7, s26
	v_mul_lo_u32 v7, v7, s27
	v_add3_u32 v5, v10, v24, v5
	v_add3_u32 v33, v11, v8, v12
	;; [unrolled: 1-line block ×3, first 2 shown]
	s_cbranch_scc1 .LBB118_76
; %bb.77:
	s_and_b32 s10, s10, 3
	s_cmp_eq_u32 s10, 0
	s_cbranch_scc0 .LBB118_81
	s_branch .LBB118_83
.LBB118_78:
	s_mov_b32 s8, -1
                                        ; implicit-def: $vgpr33
                                        ; implicit-def: $vgpr24
	s_branch .LBB118_83
.LBB118_79:
	v_mov_b32_e32 v33, 0
	v_mov_b32_e32 v24, 0
	s_branch .LBB118_83
.LBB118_80:
	v_mov_b32_e32 v33, 0
	v_mov_b32_e32 v24, 0
	;; [unrolled: 1-line block ×3, first 2 shown]
	s_mov_b32 s9, 0
	s_and_b32 s10, s10, 3
	s_cmp_eq_u32 s10, 0
	s_cbranch_scc1 .LBB118_83
.LBB118_81:
	s_lshl_b32 s4, s9, 3
	s_mul_i32 s6, s9, 12
	s_add_u32 s4, s28, s4
	s_addc_u32 s5, s29, 0
	s_add_u32 s4, s4, 0xc4
	s_addc_u32 s5, s5, 0
	s_add_u32 s6, s28, s6
	s_addc_u32 s7, s29, 0
	.p2align	6
.LBB118_82:                             ; =>This Inner Loop Header: Depth=1
	s_clause 0x1
	s_load_dwordx2 s[12:13], s[6:7], 0x4
	s_load_dword s9, s[6:7], 0xc
	s_load_dwordx2 s[14:15], s[4:5], 0x0
	s_add_u32 s6, s6, 12
	s_addc_u32 s7, s7, 0
	s_add_u32 s4, s4, 8
	s_addc_u32 s5, s5, 0
	s_add_i32 s10, s10, -1
	s_cmp_lg_u32 s10, 0
	s_waitcnt lgkmcnt(0)
	v_mul_hi_u32 v5, s13, v3
	v_add_nc_u32_e32 v5, v3, v5
	v_lshrrev_b32_e32 v5, s9, v5
	v_mul_lo_u32 v6, v5, s12
	v_sub_nc_u32_e32 v3, v3, v6
	v_mad_u64_u32 v[33:34], null, v3, s14, v[33:34]
	v_mad_u64_u32 v[24:25], null, v3, s15, v[24:25]
	v_mov_b32_e32 v3, v5
	s_cbranch_scc1 .LBB118_82
.LBB118_83:
	s_andn2_b32 vcc_lo, exec_lo, s8
	s_cbranch_vccnz .LBB118_86
; %bb.84:
	s_clause 0x1
	s_load_dwordx4 s[4:7], s[28:29], 0x4
	s_load_dwordx2 s[8:9], s[28:29], 0xc4
	s_cmp_lt_u32 s33, 2
	s_waitcnt lgkmcnt(0)
	v_mul_hi_u32 v3, s5, v2
	v_add_nc_u32_e32 v3, v2, v3
	v_lshrrev_b32_e32 v3, s6, v3
	v_mul_lo_u32 v5, v3, s4
	v_sub_nc_u32_e32 v2, v2, v5
	v_mul_lo_u32 v33, v2, s8
	v_mul_lo_u32 v24, v2, s9
	s_cbranch_scc1 .LBB118_86
; %bb.85:
	s_clause 0x1
	s_load_dwordx4 s[4:7], s[28:29], 0x10
	s_load_dwordx2 s[8:9], s[28:29], 0xcc
	s_waitcnt lgkmcnt(0)
	v_mul_hi_u32 v2, s5, v3
	v_add_nc_u32_e32 v2, v3, v2
	v_lshrrev_b32_e32 v2, s6, v2
	v_mul_lo_u32 v2, v2, s4
	v_sub_nc_u32_e32 v2, v3, v2
	v_mad_u64_u32 v[33:34], null, v2, s8, v[33:34]
	v_mad_u64_u32 v[24:25], null, v2, s9, v[24:25]
.LBB118_86:
	v_cmp_ne_u32_e32 vcc_lo, 1, v1
	v_add_nc_u32_e32 v2, 0x280, v27
	s_cbranch_vccnz .LBB118_92
; %bb.87:
	s_cmp_lg_u32 s33, 0
	s_mov_b32 s8, 0
	s_cbranch_scc0 .LBB118_93
; %bb.88:
	s_min_u32 s10, s44, 15
	s_add_i32 s10, s10, 1
	s_cmp_eq_u32 s44, 2
	s_cbranch_scc1 .LBB118_94
; %bb.89:
	v_mov_b32_e32 v25, 0
	v_mov_b32_e32 v34, 0
	;; [unrolled: 1-line block ×3, first 2 shown]
	s_and_b32 s9, s10, 28
	s_add_u32 s4, s28, 0xc4
	s_addc_u32 s5, s29, 0
	s_mov_b32 s11, 0
	s_mov_b64 s[6:7], s[28:29]
.LBB118_90:                             ; =>This Inner Loop Header: Depth=1
	s_load_dwordx8 s[12:19], s[6:7], 0x4
	s_waitcnt lgkmcnt(0)
	s_load_dwordx4 s[36:39], s[6:7], 0x24
	s_load_dwordx8 s[20:27], s[4:5], 0x0
	s_add_u32 s6, s6, 48
	s_addc_u32 s7, s7, 0
	s_add_i32 s11, s11, 4
	s_add_u32 s4, s4, 32
	s_addc_u32 s5, s5, 0
	s_cmp_lg_u32 s9, s11
	v_mul_hi_u32 v5, s13, v3
	v_add_nc_u32_e32 v5, v3, v5
	v_lshrrev_b32_e32 v5, s14, v5
	v_mul_hi_u32 v6, s16, v5
	v_mul_lo_u32 v8, v5, s12
	v_add_nc_u32_e32 v6, v5, v6
	v_sub_nc_u32_e32 v3, v3, v8
	v_lshrrev_b32_e32 v6, s17, v6
	s_waitcnt lgkmcnt(0)
	v_mul_lo_u32 v8, v3, s20
	v_mul_lo_u32 v10, v3, s21
	v_mul_hi_u32 v7, s19, v6
	v_add_nc_u32_e32 v7, v6, v7
	v_lshrrev_b32_e32 v7, s36, v7
	v_mul_hi_u32 v9, s38, v7
	v_mul_lo_u32 v11, v7, s18
	v_add_nc_u32_e32 v3, v7, v9
	v_mul_lo_u32 v9, v6, s15
	v_sub_nc_u32_e32 v6, v6, v11
	v_lshrrev_b32_e32 v3, s39, v3
	v_mul_lo_u32 v11, v6, s24
	v_mul_lo_u32 v6, v6, s25
	v_sub_nc_u32_e32 v5, v5, v9
	v_mul_lo_u32 v12, v3, s37
	v_mul_lo_u32 v9, v5, s22
	;; [unrolled: 1-line block ×3, first 2 shown]
	v_sub_nc_u32_e32 v7, v7, v12
	v_add3_u32 v8, v8, v34, v9
	v_mul_lo_u32 v12, v7, s26
	v_mul_lo_u32 v7, v7, s27
	v_add3_u32 v5, v10, v25, v5
	v_add3_u32 v34, v11, v8, v12
	;; [unrolled: 1-line block ×3, first 2 shown]
	s_cbranch_scc1 .LBB118_90
; %bb.91:
	s_and_b32 s10, s10, 3
	s_cmp_eq_u32 s10, 0
	s_cbranch_scc0 .LBB118_95
	s_branch .LBB118_97
.LBB118_92:
	s_mov_b32 s8, -1
                                        ; implicit-def: $vgpr34
                                        ; implicit-def: $vgpr25
	s_branch .LBB118_97
.LBB118_93:
	v_mov_b32_e32 v34, 0
	v_mov_b32_e32 v25, 0
	s_branch .LBB118_97
.LBB118_94:
	v_mov_b32_e32 v34, 0
	v_mov_b32_e32 v25, 0
	;; [unrolled: 1-line block ×3, first 2 shown]
	s_mov_b32 s9, 0
	s_and_b32 s10, s10, 3
	s_cmp_eq_u32 s10, 0
	s_cbranch_scc1 .LBB118_97
.LBB118_95:
	s_lshl_b32 s4, s9, 3
	s_mul_i32 s6, s9, 12
	s_add_u32 s4, s28, s4
	s_addc_u32 s5, s29, 0
	s_add_u32 s4, s4, 0xc4
	s_addc_u32 s5, s5, 0
	s_add_u32 s6, s28, s6
	s_addc_u32 s7, s29, 0
	.p2align	6
.LBB118_96:                             ; =>This Inner Loop Header: Depth=1
	s_clause 0x1
	s_load_dwordx2 s[12:13], s[6:7], 0x4
	s_load_dword s9, s[6:7], 0xc
	s_load_dwordx2 s[14:15], s[4:5], 0x0
	s_add_u32 s6, s6, 12
	s_addc_u32 s7, s7, 0
	s_add_u32 s4, s4, 8
	s_addc_u32 s5, s5, 0
	s_add_i32 s10, s10, -1
	s_cmp_lg_u32 s10, 0
	s_waitcnt lgkmcnt(0)
	v_mul_hi_u32 v5, s13, v3
	v_add_nc_u32_e32 v5, v3, v5
	v_lshrrev_b32_e32 v5, s9, v5
	v_mul_lo_u32 v6, v5, s12
	v_sub_nc_u32_e32 v3, v3, v6
	v_mad_u64_u32 v[34:35], null, v3, s14, v[34:35]
	v_mad_u64_u32 v[25:26], null, v3, s15, v[25:26]
	v_mov_b32_e32 v3, v5
	s_cbranch_scc1 .LBB118_96
.LBB118_97:
	s_andn2_b32 vcc_lo, exec_lo, s8
	s_cbranch_vccnz .LBB118_100
; %bb.98:
	s_clause 0x1
	s_load_dwordx4 s[4:7], s[28:29], 0x4
	s_load_dwordx2 s[8:9], s[28:29], 0xc4
	s_cmp_lt_u32 s33, 2
	s_waitcnt lgkmcnt(0)
	v_mul_hi_u32 v3, s5, v2
	v_add_nc_u32_e32 v3, v2, v3
	v_lshrrev_b32_e32 v3, s6, v3
	v_mul_lo_u32 v5, v3, s4
	v_sub_nc_u32_e32 v2, v2, v5
	v_mul_lo_u32 v34, v2, s8
	v_mul_lo_u32 v25, v2, s9
	s_cbranch_scc1 .LBB118_100
; %bb.99:
	s_clause 0x1
	s_load_dwordx4 s[4:7], s[28:29], 0x10
	s_load_dwordx2 s[8:9], s[28:29], 0xcc
	s_waitcnt lgkmcnt(0)
	v_mul_hi_u32 v2, s5, v3
	v_add_nc_u32_e32 v2, v3, v2
	v_lshrrev_b32_e32 v2, s6, v2
	v_mul_lo_u32 v2, v2, s4
	v_sub_nc_u32_e32 v2, v3, v2
	v_mad_u64_u32 v[34:35], null, v2, s8, v[34:35]
	v_mad_u64_u32 v[25:26], null, v2, s9, v[25:26]
.LBB118_100:
	v_cmp_ne_u32_e32 vcc_lo, 1, v1
	v_add_nc_u32_e32 v2, 0x300, v27
	s_cbranch_vccnz .LBB118_106
; %bb.101:
	s_cmp_lg_u32 s33, 0
	s_mov_b32 s8, 0
	s_cbranch_scc0 .LBB118_107
; %bb.102:
	s_min_u32 s10, s44, 15
	s_add_i32 s10, s10, 1
	s_cmp_eq_u32 s44, 2
	s_cbranch_scc1 .LBB118_108
; %bb.103:
	v_mov_b32_e32 v26, 0
	v_mov_b32_e32 v35, 0
	v_mov_b32_e32 v3, v2
	s_and_b32 s9, s10, 28
	s_add_u32 s4, s28, 0xc4
	s_addc_u32 s5, s29, 0
	s_mov_b32 s11, 0
	s_mov_b64 s[6:7], s[28:29]
.LBB118_104:                            ; =>This Inner Loop Header: Depth=1
	s_load_dwordx8 s[12:19], s[6:7], 0x4
	s_waitcnt lgkmcnt(0)
	s_load_dwordx4 s[36:39], s[6:7], 0x24
	s_load_dwordx8 s[20:27], s[4:5], 0x0
	s_add_u32 s6, s6, 48
	s_addc_u32 s7, s7, 0
	s_add_i32 s11, s11, 4
	s_add_u32 s4, s4, 32
	s_addc_u32 s5, s5, 0
	s_cmp_lg_u32 s9, s11
	v_mul_hi_u32 v5, s13, v3
	v_add_nc_u32_e32 v5, v3, v5
	v_lshrrev_b32_e32 v5, s14, v5
	v_mul_hi_u32 v6, s16, v5
	v_mul_lo_u32 v8, v5, s12
	v_add_nc_u32_e32 v6, v5, v6
	v_sub_nc_u32_e32 v3, v3, v8
	v_lshrrev_b32_e32 v6, s17, v6
	s_waitcnt lgkmcnt(0)
	v_mul_lo_u32 v8, v3, s20
	v_mul_lo_u32 v10, v3, s21
	v_mul_hi_u32 v7, s19, v6
	v_add_nc_u32_e32 v7, v6, v7
	v_lshrrev_b32_e32 v7, s36, v7
	v_mul_hi_u32 v9, s38, v7
	v_mul_lo_u32 v11, v7, s18
	v_add_nc_u32_e32 v3, v7, v9
	v_mul_lo_u32 v9, v6, s15
	v_sub_nc_u32_e32 v6, v6, v11
	v_lshrrev_b32_e32 v3, s39, v3
	v_mul_lo_u32 v11, v6, s24
	v_mul_lo_u32 v6, v6, s25
	v_sub_nc_u32_e32 v5, v5, v9
	v_mul_lo_u32 v12, v3, s37
	v_mul_lo_u32 v9, v5, s22
	;; [unrolled: 1-line block ×3, first 2 shown]
	v_sub_nc_u32_e32 v7, v7, v12
	v_add3_u32 v8, v8, v35, v9
	v_mul_lo_u32 v12, v7, s26
	v_mul_lo_u32 v7, v7, s27
	v_add3_u32 v5, v10, v26, v5
	v_add3_u32 v35, v11, v8, v12
	;; [unrolled: 1-line block ×3, first 2 shown]
	s_cbranch_scc1 .LBB118_104
; %bb.105:
	s_and_b32 s10, s10, 3
	s_cmp_eq_u32 s10, 0
	s_cbranch_scc0 .LBB118_109
	s_branch .LBB118_111
.LBB118_106:
	s_mov_b32 s8, -1
                                        ; implicit-def: $vgpr35
                                        ; implicit-def: $vgpr26
	s_branch .LBB118_111
.LBB118_107:
	v_mov_b32_e32 v35, 0
	v_mov_b32_e32 v26, 0
	s_branch .LBB118_111
.LBB118_108:
	v_mov_b32_e32 v35, 0
	v_mov_b32_e32 v26, 0
	;; [unrolled: 1-line block ×3, first 2 shown]
	s_mov_b32 s9, 0
	s_and_b32 s10, s10, 3
	s_cmp_eq_u32 s10, 0
	s_cbranch_scc1 .LBB118_111
.LBB118_109:
	s_lshl_b32 s4, s9, 3
	s_mul_i32 s6, s9, 12
	s_add_u32 s4, s28, s4
	s_addc_u32 s5, s29, 0
	s_add_u32 s4, s4, 0xc4
	s_addc_u32 s5, s5, 0
	;; [unrolled: 2-line block ×3, first 2 shown]
	.p2align	6
.LBB118_110:                            ; =>This Inner Loop Header: Depth=1
	s_clause 0x1
	s_load_dwordx2 s[12:13], s[6:7], 0x4
	s_load_dword s9, s[6:7], 0xc
	s_load_dwordx2 s[14:15], s[4:5], 0x0
	s_add_u32 s6, s6, 12
	s_addc_u32 s7, s7, 0
	s_add_u32 s4, s4, 8
	s_addc_u32 s5, s5, 0
	s_add_i32 s10, s10, -1
	s_cmp_lg_u32 s10, 0
	s_waitcnt lgkmcnt(0)
	v_mul_hi_u32 v5, s13, v3
	v_add_nc_u32_e32 v5, v3, v5
	v_lshrrev_b32_e32 v5, s9, v5
	v_mul_lo_u32 v6, v5, s12
	v_sub_nc_u32_e32 v3, v3, v6
	v_mad_u64_u32 v[35:36], null, v3, s14, v[35:36]
	v_mad_u64_u32 v[26:27], null, v3, s15, v[26:27]
	v_mov_b32_e32 v3, v5
	s_cbranch_scc1 .LBB118_110
.LBB118_111:
	s_andn2_b32 vcc_lo, exec_lo, s8
	s_cbranch_vccnz .LBB118_114
; %bb.112:
	s_clause 0x1
	s_load_dwordx4 s[4:7], s[28:29], 0x4
	s_load_dwordx2 s[8:9], s[28:29], 0xc4
	s_cmp_lt_u32 s33, 2
	s_waitcnt lgkmcnt(0)
	v_mul_hi_u32 v3, s5, v2
	v_add_nc_u32_e32 v3, v2, v3
	v_lshrrev_b32_e32 v3, s6, v3
	v_mul_lo_u32 v5, v3, s4
	v_sub_nc_u32_e32 v2, v2, v5
	v_mul_lo_u32 v35, v2, s8
	v_mul_lo_u32 v26, v2, s9
	s_cbranch_scc1 .LBB118_114
; %bb.113:
	s_clause 0x1
	s_load_dwordx4 s[4:7], s[28:29], 0x10
	s_load_dwordx2 s[8:9], s[28:29], 0xcc
	s_waitcnt lgkmcnt(0)
	v_mul_hi_u32 v2, s5, v3
	v_add_nc_u32_e32 v2, v3, v2
	v_lshrrev_b32_e32 v2, s6, v2
	v_mul_lo_u32 v2, v2, s4
	v_sub_nc_u32_e32 v2, v3, v2
	v_mad_u64_u32 v[35:36], null, v2, s8, v[35:36]
	v_mad_u64_u32 v[26:27], null, v2, s9, v[26:27]
.LBB118_114:
	v_cmp_ne_u32_e32 vcc_lo, 1, v1
	s_cbranch_vccnz .LBB118_120
; %bb.115:
	s_cmp_lg_u32 s33, 0
	s_mov_b32 s8, 0
	s_cbranch_scc0 .LBB118_121
; %bb.116:
	s_min_u32 s10, s44, 15
	s_add_i32 s10, s10, 1
	s_cmp_eq_u32 s44, 2
	s_cbranch_scc1 .LBB118_122
; %bb.117:
	v_mov_b32_e32 v27, 0
	v_mov_b32_e32 v36, 0
	;; [unrolled: 1-line block ×3, first 2 shown]
	s_and_b32 s9, s10, 28
	s_add_u32 s4, s28, 0xc4
	s_addc_u32 s5, s29, 0
	s_mov_b32 s11, 0
	s_mov_b64 s[6:7], s[28:29]
.LBB118_118:                            ; =>This Inner Loop Header: Depth=1
	s_load_dwordx8 s[12:19], s[6:7], 0x4
	s_waitcnt lgkmcnt(0)
	s_load_dwordx4 s[36:39], s[6:7], 0x24
	s_load_dwordx8 s[20:27], s[4:5], 0x0
	s_add_u32 s6, s6, 48
	s_addc_u32 s7, s7, 0
	s_add_i32 s11, s11, 4
	s_add_u32 s4, s4, 32
	s_addc_u32 s5, s5, 0
	s_cmp_lg_u32 s9, s11
	v_mul_hi_u32 v2, s13, v1
	v_add_nc_u32_e32 v2, v1, v2
	v_lshrrev_b32_e32 v2, s14, v2
	v_mul_hi_u32 v3, s16, v2
	v_mul_lo_u32 v6, v2, s12
	v_add_nc_u32_e32 v3, v2, v3
	v_sub_nc_u32_e32 v1, v1, v6
	v_lshrrev_b32_e32 v3, s17, v3
	s_waitcnt lgkmcnt(0)
	v_mul_lo_u32 v6, v1, s20
	v_mul_lo_u32 v8, v1, s21
	v_mul_hi_u32 v5, s19, v3
	v_add_nc_u32_e32 v5, v3, v5
	v_lshrrev_b32_e32 v5, s36, v5
	v_mul_hi_u32 v7, s38, v5
	v_mul_lo_u32 v9, v5, s18
	v_add_nc_u32_e32 v1, v5, v7
	v_mul_lo_u32 v7, v3, s15
	v_sub_nc_u32_e32 v3, v3, v9
	v_lshrrev_b32_e32 v1, s39, v1
	v_mul_lo_u32 v9, v3, s24
	v_mul_lo_u32 v3, v3, s25
	v_sub_nc_u32_e32 v2, v2, v7
	v_mul_lo_u32 v10, v1, s37
	v_mul_lo_u32 v7, v2, s22
	;; [unrolled: 1-line block ×3, first 2 shown]
	v_sub_nc_u32_e32 v5, v5, v10
	v_add3_u32 v6, v6, v36, v7
	v_mul_lo_u32 v10, v5, s26
	v_mul_lo_u32 v5, v5, s27
	v_add3_u32 v2, v8, v27, v2
	v_add3_u32 v36, v9, v6, v10
	;; [unrolled: 1-line block ×3, first 2 shown]
	s_cbranch_scc1 .LBB118_118
; %bb.119:
	s_and_b32 s10, s10, 3
	s_cmp_eq_u32 s10, 0
	s_cbranch_scc0 .LBB118_123
	s_branch .LBB118_125
.LBB118_120:
	s_mov_b32 s8, -1
                                        ; implicit-def: $vgpr36
                                        ; implicit-def: $vgpr27
	s_branch .LBB118_125
.LBB118_121:
	v_mov_b32_e32 v36, 0
	v_mov_b32_e32 v27, 0
	s_branch .LBB118_125
.LBB118_122:
	v_mov_b32_e32 v36, 0
	v_mov_b32_e32 v27, 0
	;; [unrolled: 1-line block ×3, first 2 shown]
	s_mov_b32 s9, 0
	s_and_b32 s10, s10, 3
	s_cmp_eq_u32 s10, 0
	s_cbranch_scc1 .LBB118_125
.LBB118_123:
	s_lshl_b32 s4, s9, 3
	s_mul_i32 s6, s9, 12
	s_add_u32 s4, s28, s4
	s_addc_u32 s5, s29, 0
	s_add_u32 s4, s4, 0xc4
	s_addc_u32 s5, s5, 0
	;; [unrolled: 2-line block ×3, first 2 shown]
	.p2align	6
.LBB118_124:                            ; =>This Inner Loop Header: Depth=1
	s_clause 0x1
	s_load_dwordx2 s[12:13], s[6:7], 0x4
	s_load_dword s9, s[6:7], 0xc
	s_load_dwordx2 s[14:15], s[4:5], 0x0
	s_add_u32 s6, s6, 12
	s_addc_u32 s7, s7, 0
	s_add_u32 s4, s4, 8
	s_addc_u32 s5, s5, 0
	s_add_i32 s10, s10, -1
	s_cmp_lg_u32 s10, 0
	s_waitcnt lgkmcnt(0)
	v_mul_hi_u32 v2, s13, v1
	v_add_nc_u32_e32 v2, v1, v2
	v_lshrrev_b32_e32 v2, s9, v2
	v_mul_lo_u32 v3, v2, s12
	v_sub_nc_u32_e32 v1, v1, v3
	v_mad_u64_u32 v[36:37], null, v1, s14, v[36:37]
	v_mad_u64_u32 v[27:28], null, v1, s15, v[27:28]
	v_mov_b32_e32 v1, v2
	s_cbranch_scc1 .LBB118_124
.LBB118_125:
	s_andn2_b32 vcc_lo, exec_lo, s8
	s_cbranch_vccnz .LBB118_128
; %bb.126:
	s_clause 0x1
	s_load_dwordx4 s[4:7], s[28:29], 0x4
	s_load_dwordx2 s[8:9], s[28:29], 0xc4
	s_cmp_lt_u32 s33, 2
	s_waitcnt lgkmcnt(0)
	v_mul_hi_u32 v1, s5, v0
	v_add_nc_u32_e32 v1, v0, v1
	v_lshrrev_b32_e32 v1, s6, v1
	v_mul_lo_u32 v2, v1, s4
	v_sub_nc_u32_e32 v0, v0, v2
	v_mul_lo_u32 v36, v0, s8
	v_mul_lo_u32 v27, v0, s9
	s_cbranch_scc1 .LBB118_128
; %bb.127:
	s_clause 0x1
	s_load_dwordx4 s[4:7], s[28:29], 0x10
	s_load_dwordx2 s[8:9], s[28:29], 0xcc
	s_waitcnt lgkmcnt(0)
	v_mul_hi_u32 v0, s5, v1
	v_add_nc_u32_e32 v0, v1, v0
	v_lshrrev_b32_e32 v0, s6, v0
	v_mul_lo_u32 v0, v0, s4
	v_sub_nc_u32_e32 v0, v1, v0
	v_mad_u64_u32 v[36:37], null, v0, s8, v[36:37]
	v_mad_u64_u32 v[27:28], null, v0, s9, v[27:28]
.LBB118_128:
	s_waitcnt lgkmcnt(0)
	s_clause 0x1
	s_load_dwordx2 s[24:25], s[28:29], 0x158
	s_load_dwordx4 s[20:23], s[28:29], 0x148
	s_getpc_b64 s[26:27]
	s_add_u32 s26, s26, _ZN2at6native6invokeIZZZNS0_21polygamma_kernel_cudaERNS_18TensorIteratorBaseElENKUlvE_clEvENKUlvE2_clEvEUlN3c108BFloat16EE_j15function_traitsIS8_EEENT1_11result_typeERKT_PrKPcPKT0_i@rel32@lo+4
	s_addc_u32 s27, s27, _ZN2at6native6invokeIZZZNS0_21polygamma_kernel_cudaERNS_18TensorIteratorBaseElENKUlvE_clEvENKUlvE2_clEvEUlN3c108BFloat16EE_j15function_traitsIS8_EEENT1_11result_typeERKT_PrKPcPKT0_i@rel32@hi+12
	s_waitcnt lgkmcnt(0)
	v_mov_b32_e32 v0, s24
	v_mov_b32_e32 v1, s25
	v_mov_b32_e32 v2, s22
	v_mov_b32_e32 v3, s23
	s_swappc_b64 s[30:31], s[26:27]
	v_mov_b32_e32 v28, v0
	v_mov_b32_e32 v0, s24
	v_mov_b32_e32 v1, s25
	v_mov_b32_e32 v2, s22
	v_mov_b32_e32 v3, s23
	v_mov_b32_e32 v4, v21
	s_swappc_b64 s[30:31], s[26:27]
	v_mov_b32_e32 v21, v0
	v_mov_b32_e32 v0, s24
	;; [unrolled: 7-line block ×7, first 2 shown]
	v_mov_b32_e32 v1, s25
	v_mov_b32_e32 v2, s22
	v_mov_b32_e32 v3, s23
	v_mov_b32_e32 v4, v27
	s_swappc_b64 s[30:31], s[26:27]
	global_store_short v29, v28, s[20:21]
	global_store_short v30, v21, s[20:21]
	;; [unrolled: 1-line block ×8, first 2 shown]
	s_endpgm
.LBB118_129:
	v_mov_b32_e32 v21, 0
	v_mov_b32_e32 v4, 0
	s_branch .LBB118_135
.LBB118_130:
	v_mov_b32_e32 v21, 0
	v_mov_b32_e32 v4, 0
	s_branch .LBB118_151
.LBB118_131:
	v_mov_b32_e32 v21, 0
	v_mov_b32_e32 v4, 0
	;; [unrolled: 1-line block ×3, first 2 shown]
	s_mov_b32 s8, 0
.LBB118_132:
	s_and_b32 s9, s9, 3
	s_cmp_eq_u32 s9, 0
	s_cbranch_scc1 .LBB118_135
; %bb.133:
	s_lshl_b32 s4, s8, 3
	s_mul_i32 s6, s8, 12
	s_add_u32 s4, s28, s4
	s_addc_u32 s5, s29, 0
	s_add_u32 s4, s4, 0xc4
	s_addc_u32 s5, s5, 0
	;; [unrolled: 2-line block ×3, first 2 shown]
	.p2align	6
.LBB118_134:                            ; =>This Inner Loop Header: Depth=1
	s_clause 0x1
	s_load_dwordx2 s[10:11], s[6:7], 0x4
	s_load_dword s8, s[6:7], 0xc
	s_load_dwordx2 s[12:13], s[4:5], 0x0
	s_add_u32 s6, s6, 12
	s_addc_u32 s7, s7, 0
	s_add_u32 s4, s4, 8
	s_addc_u32 s5, s5, 0
	s_add_i32 s9, s9, -1
	s_cmp_lg_u32 s9, 0
	s_waitcnt lgkmcnt(0)
	v_mul_hi_u32 v1, s11, v0
	v_add_nc_u32_e32 v1, v0, v1
	v_lshrrev_b32_e32 v1, s8, v1
	v_mul_lo_u32 v2, v1, s10
	v_sub_nc_u32_e32 v0, v0, v2
	v_mad_u64_u32 v[21:22], null, v0, s12, v[21:22]
	v_mad_u64_u32 v[4:5], null, v0, s13, v[4:5]
	v_mov_b32_e32 v0, v1
	s_cbranch_scc1 .LBB118_134
.LBB118_135:
	s_cbranch_execnz .LBB118_138
.LBB118_136:
	s_waitcnt lgkmcnt(0)
	v_mul_hi_u32 v0, s25, v27
	s_andn2_b32 vcc_lo, exec_lo, s47
	v_add_nc_u32_e32 v0, v27, v0
	v_lshrrev_b32_e32 v0, s26, v0
	v_mul_lo_u32 v1, v0, s24
	v_sub_nc_u32_e32 v1, v27, v1
	v_mul_lo_u32 v21, v1, s36
	v_mul_lo_u32 v4, v1, s37
	s_cbranch_vccnz .LBB118_138
; %bb.137:
	v_mul_hi_u32 v1, s40, v0
	v_add_nc_u32_e32 v1, v0, v1
	v_lshrrev_b32_e32 v1, s41, v1
	v_mul_lo_u32 v1, v1, s27
	v_sub_nc_u32_e32 v0, v0, v1
	v_mad_u64_u32 v[21:22], null, v0, s38, v[21:22]
	v_mad_u64_u32 v[4:5], null, v0, s39, v[4:5]
.LBB118_138:
	s_waitcnt lgkmcnt(0)
	v_mov_b32_e32 v0, s34
	v_mov_b32_e32 v1, s35
	;; [unrolled: 1-line block ×4, first 2 shown]
	s_getpc_b64 s[4:5]
	s_add_u32 s4, s4, _ZN2at6native6invokeIZZZNS0_21polygamma_kernel_cudaERNS_18TensorIteratorBaseElENKUlvE_clEvENKUlvE2_clEvEUlN3c108BFloat16EE_j15function_traitsIS8_EEENT1_11result_typeERKT_PrKPcPKT0_i@rel32@lo+4
	s_addc_u32 s5, s5, _ZN2at6native6invokeIZZZNS0_21polygamma_kernel_cudaERNS_18TensorIteratorBaseElENKUlvE_clEvENKUlvE2_clEvEUlN3c108BFloat16EE_j15function_traitsIS8_EEENT1_11result_typeERKT_PrKPcPKT0_i@rel32@hi+12
	s_swappc_b64 s[30:31], s[4:5]
	v_add_nc_u32_e32 v27, 0x80, v27
	global_store_short v21, v0, s[20:21]
	s_or_b32 exec_lo, exec_lo, s51
	s_mov_b32 s51, exec_lo
	v_cmpx_gt_i32_e64 s48, v27
	s_cbranch_execnz .LBB118_15
.LBB118_139:
	s_or_b32 exec_lo, exec_lo, s51
	s_mov_b32 s51, exec_lo
	v_cmpx_gt_i32_e64 s48, v27
	s_cbranch_execz .LBB118_155
.LBB118_140:
	s_andn2_b32 vcc_lo, exec_lo, s45
	s_cbranch_vccnz .LBB118_145
; %bb.141:
	s_andn2_b32 vcc_lo, exec_lo, s50
	s_cbranch_vccnz .LBB118_146
; %bb.142:
	s_add_i32 s9, s49, 1
	s_cmp_eq_u32 s44, 2
	s_cbranch_scc1 .LBB118_163
; %bb.143:
	v_mov_b32_e32 v4, 0
	v_mov_b32_e32 v21, 0
	;; [unrolled: 1-line block ×3, first 2 shown]
	s_and_b32 s8, s9, 28
	s_mov_b32 s10, 0
	s_mov_b64 s[4:5], s[28:29]
	s_mov_b64 s[6:7], s[42:43]
.LBB118_144:                            ; =>This Inner Loop Header: Depth=1
	s_clause 0x1
	s_load_dwordx8 s[12:19], s[4:5], 0x4
	s_load_dwordx4 s[60:63], s[4:5], 0x24
	s_load_dwordx8 s[52:59], s[6:7], 0x0
	s_add_u32 s4, s4, 48
	s_addc_u32 s5, s5, 0
	s_add_i32 s10, s10, 4
	s_add_u32 s6, s6, 32
	s_addc_u32 s7, s7, 0
	s_cmp_eq_u32 s8, s10
	s_waitcnt lgkmcnt(0)
	v_mul_hi_u32 v1, s13, v0
	v_add_nc_u32_e32 v1, v0, v1
	v_lshrrev_b32_e32 v1, s14, v1
	v_mul_hi_u32 v2, s16, v1
	v_mul_lo_u32 v5, v1, s12
	v_add_nc_u32_e32 v2, v1, v2
	v_sub_nc_u32_e32 v0, v0, v5
	v_lshrrev_b32_e32 v2, s17, v2
	v_mul_lo_u32 v5, v0, s52
	v_mul_lo_u32 v7, v0, s53
	v_mul_hi_u32 v3, s19, v2
	v_add_nc_u32_e32 v3, v2, v3
	v_lshrrev_b32_e32 v3, s60, v3
	v_mul_hi_u32 v6, s62, v3
	v_mul_lo_u32 v8, v3, s18
	v_add_nc_u32_e32 v0, v3, v6
	v_mul_lo_u32 v6, v2, s15
	v_sub_nc_u32_e32 v2, v2, v8
	v_lshrrev_b32_e32 v0, s63, v0
	v_mul_lo_u32 v8, v2, s56
	v_mul_lo_u32 v2, v2, s57
	v_sub_nc_u32_e32 v1, v1, v6
	v_mul_lo_u32 v9, v0, s61
	v_mul_lo_u32 v6, v1, s54
	;; [unrolled: 1-line block ×3, first 2 shown]
	v_sub_nc_u32_e32 v3, v3, v9
	v_add3_u32 v5, v5, v21, v6
	v_mul_lo_u32 v9, v3, s58
	v_mul_lo_u32 v3, v3, s59
	v_add3_u32 v1, v7, v4, v1
	v_add3_u32 v21, v8, v5, v9
	;; [unrolled: 1-line block ×3, first 2 shown]
	s_cbranch_scc0 .LBB118_144
	s_branch .LBB118_164
.LBB118_145:
                                        ; implicit-def: $vgpr21
                                        ; implicit-def: $vgpr4
	s_branch .LBB118_168
.LBB118_146:
	v_mov_b32_e32 v21, 0
	v_mov_b32_e32 v4, 0
	s_branch .LBB118_167
.LBB118_147:
	v_mov_b32_e32 v21, 0
	v_mov_b32_e32 v4, 0
	;; [unrolled: 1-line block ×3, first 2 shown]
	s_mov_b32 s8, 0
.LBB118_148:
	s_and_b32 s9, s9, 3
	s_cmp_eq_u32 s9, 0
	s_cbranch_scc1 .LBB118_151
; %bb.149:
	s_lshl_b32 s4, s8, 3
	s_mul_i32 s6, s8, 12
	s_add_u32 s4, s28, s4
	s_addc_u32 s5, s29, 0
	s_add_u32 s4, s4, 0xc4
	s_addc_u32 s5, s5, 0
	;; [unrolled: 2-line block ×3, first 2 shown]
	.p2align	6
.LBB118_150:                            ; =>This Inner Loop Header: Depth=1
	s_clause 0x1
	s_load_dwordx2 s[10:11], s[6:7], 0x4
	s_load_dword s8, s[6:7], 0xc
	s_load_dwordx2 s[12:13], s[4:5], 0x0
	s_add_u32 s6, s6, 12
	s_addc_u32 s7, s7, 0
	s_add_u32 s4, s4, 8
	s_addc_u32 s5, s5, 0
	s_add_i32 s9, s9, -1
	s_cmp_lg_u32 s9, 0
	s_waitcnt lgkmcnt(0)
	v_mul_hi_u32 v1, s11, v0
	v_add_nc_u32_e32 v1, v0, v1
	v_lshrrev_b32_e32 v1, s8, v1
	v_mul_lo_u32 v2, v1, s10
	v_sub_nc_u32_e32 v0, v0, v2
	v_mad_u64_u32 v[21:22], null, v0, s12, v[21:22]
	v_mad_u64_u32 v[4:5], null, v0, s13, v[4:5]
	v_mov_b32_e32 v0, v1
	s_cbranch_scc1 .LBB118_150
.LBB118_151:
	s_cbranch_execnz .LBB118_154
.LBB118_152:
	s_waitcnt lgkmcnt(0)
	v_mul_hi_u32 v0, s25, v27
	s_andn2_b32 vcc_lo, exec_lo, s47
	v_add_nc_u32_e32 v0, v27, v0
	v_lshrrev_b32_e32 v0, s26, v0
	v_mul_lo_u32 v1, v0, s24
	v_sub_nc_u32_e32 v1, v27, v1
	v_mul_lo_u32 v21, v1, s36
	v_mul_lo_u32 v4, v1, s37
	s_cbranch_vccnz .LBB118_154
; %bb.153:
	v_mul_hi_u32 v1, s40, v0
	v_add_nc_u32_e32 v1, v0, v1
	v_lshrrev_b32_e32 v1, s41, v1
	v_mul_lo_u32 v1, v1, s27
	v_sub_nc_u32_e32 v0, v0, v1
	v_mad_u64_u32 v[21:22], null, v0, s38, v[21:22]
	v_mad_u64_u32 v[4:5], null, v0, s39, v[4:5]
.LBB118_154:
	s_waitcnt lgkmcnt(0)
	v_mov_b32_e32 v0, s34
	v_mov_b32_e32 v1, s35
	;; [unrolled: 1-line block ×4, first 2 shown]
	s_getpc_b64 s[4:5]
	s_add_u32 s4, s4, _ZN2at6native6invokeIZZZNS0_21polygamma_kernel_cudaERNS_18TensorIteratorBaseElENKUlvE_clEvENKUlvE2_clEvEUlN3c108BFloat16EE_j15function_traitsIS8_EEENT1_11result_typeERKT_PrKPcPKT0_i@rel32@lo+4
	s_addc_u32 s5, s5, _ZN2at6native6invokeIZZZNS0_21polygamma_kernel_cudaERNS_18TensorIteratorBaseElENKUlvE_clEvENKUlvE2_clEvEUlN3c108BFloat16EE_j15function_traitsIS8_EEENT1_11result_typeERKT_PrKPcPKT0_i@rel32@hi+12
	s_swappc_b64 s[30:31], s[4:5]
	v_add_nc_u32_e32 v27, 0x80, v27
	global_store_short v21, v0, s[20:21]
	s_or_b32 exec_lo, exec_lo, s51
	s_mov_b32 s51, exec_lo
	v_cmpx_gt_i32_e64 s48, v27
	s_cbranch_execnz .LBB118_140
.LBB118_155:
	s_or_b32 exec_lo, exec_lo, s51
	s_mov_b32 s51, exec_lo
	v_cmpx_gt_i32_e64 s48, v27
	s_cbranch_execz .LBB118_171
.LBB118_156:
	s_andn2_b32 vcc_lo, exec_lo, s45
	s_cbranch_vccnz .LBB118_161
; %bb.157:
	s_andn2_b32 vcc_lo, exec_lo, s50
	s_cbranch_vccnz .LBB118_162
; %bb.158:
	s_add_i32 s9, s49, 1
	s_cmp_eq_u32 s44, 2
	s_cbranch_scc1 .LBB118_179
; %bb.159:
	v_mov_b32_e32 v4, 0
	v_mov_b32_e32 v21, 0
	;; [unrolled: 1-line block ×3, first 2 shown]
	s_and_b32 s8, s9, 28
	s_mov_b32 s10, 0
	s_mov_b64 s[4:5], s[28:29]
	s_mov_b64 s[6:7], s[42:43]
.LBB118_160:                            ; =>This Inner Loop Header: Depth=1
	s_clause 0x1
	s_load_dwordx8 s[12:19], s[4:5], 0x4
	s_load_dwordx4 s[60:63], s[4:5], 0x24
	s_load_dwordx8 s[52:59], s[6:7], 0x0
	s_add_u32 s4, s4, 48
	s_addc_u32 s5, s5, 0
	s_add_i32 s10, s10, 4
	s_add_u32 s6, s6, 32
	s_addc_u32 s7, s7, 0
	s_cmp_eq_u32 s8, s10
	s_waitcnt lgkmcnt(0)
	v_mul_hi_u32 v1, s13, v0
	v_add_nc_u32_e32 v1, v0, v1
	v_lshrrev_b32_e32 v1, s14, v1
	v_mul_hi_u32 v2, s16, v1
	v_mul_lo_u32 v5, v1, s12
	v_add_nc_u32_e32 v2, v1, v2
	v_sub_nc_u32_e32 v0, v0, v5
	v_lshrrev_b32_e32 v2, s17, v2
	v_mul_lo_u32 v5, v0, s52
	v_mul_lo_u32 v7, v0, s53
	v_mul_hi_u32 v3, s19, v2
	v_add_nc_u32_e32 v3, v2, v3
	v_lshrrev_b32_e32 v3, s60, v3
	v_mul_hi_u32 v6, s62, v3
	v_mul_lo_u32 v8, v3, s18
	v_add_nc_u32_e32 v0, v3, v6
	v_mul_lo_u32 v6, v2, s15
	v_sub_nc_u32_e32 v2, v2, v8
	v_lshrrev_b32_e32 v0, s63, v0
	v_mul_lo_u32 v8, v2, s56
	v_mul_lo_u32 v2, v2, s57
	v_sub_nc_u32_e32 v1, v1, v6
	v_mul_lo_u32 v9, v0, s61
	v_mul_lo_u32 v6, v1, s54
	;; [unrolled: 1-line block ×3, first 2 shown]
	v_sub_nc_u32_e32 v3, v3, v9
	v_add3_u32 v5, v5, v21, v6
	v_mul_lo_u32 v9, v3, s58
	v_mul_lo_u32 v3, v3, s59
	v_add3_u32 v1, v7, v4, v1
	v_add3_u32 v21, v8, v5, v9
	;; [unrolled: 1-line block ×3, first 2 shown]
	s_cbranch_scc0 .LBB118_160
	s_branch .LBB118_180
.LBB118_161:
                                        ; implicit-def: $vgpr21
                                        ; implicit-def: $vgpr4
	s_branch .LBB118_184
.LBB118_162:
	v_mov_b32_e32 v21, 0
	v_mov_b32_e32 v4, 0
	s_branch .LBB118_183
.LBB118_163:
	v_mov_b32_e32 v21, 0
	v_mov_b32_e32 v4, 0
	;; [unrolled: 1-line block ×3, first 2 shown]
	s_mov_b32 s8, 0
.LBB118_164:
	s_and_b32 s9, s9, 3
	s_cmp_eq_u32 s9, 0
	s_cbranch_scc1 .LBB118_167
; %bb.165:
	s_lshl_b32 s4, s8, 3
	s_mul_i32 s6, s8, 12
	s_add_u32 s4, s28, s4
	s_addc_u32 s5, s29, 0
	s_add_u32 s4, s4, 0xc4
	s_addc_u32 s5, s5, 0
	;; [unrolled: 2-line block ×3, first 2 shown]
	.p2align	6
.LBB118_166:                            ; =>This Inner Loop Header: Depth=1
	s_clause 0x1
	s_load_dwordx2 s[10:11], s[6:7], 0x4
	s_load_dword s8, s[6:7], 0xc
	s_load_dwordx2 s[12:13], s[4:5], 0x0
	s_add_u32 s6, s6, 12
	s_addc_u32 s7, s7, 0
	s_add_u32 s4, s4, 8
	s_addc_u32 s5, s5, 0
	s_add_i32 s9, s9, -1
	s_cmp_lg_u32 s9, 0
	s_waitcnt lgkmcnt(0)
	v_mul_hi_u32 v1, s11, v0
	v_add_nc_u32_e32 v1, v0, v1
	v_lshrrev_b32_e32 v1, s8, v1
	v_mul_lo_u32 v2, v1, s10
	v_sub_nc_u32_e32 v0, v0, v2
	v_mad_u64_u32 v[21:22], null, v0, s12, v[21:22]
	v_mad_u64_u32 v[4:5], null, v0, s13, v[4:5]
	v_mov_b32_e32 v0, v1
	s_cbranch_scc1 .LBB118_166
.LBB118_167:
	s_cbranch_execnz .LBB118_170
.LBB118_168:
	s_waitcnt lgkmcnt(0)
	v_mul_hi_u32 v0, s25, v27
	s_andn2_b32 vcc_lo, exec_lo, s47
	v_add_nc_u32_e32 v0, v27, v0
	v_lshrrev_b32_e32 v0, s26, v0
	v_mul_lo_u32 v1, v0, s24
	v_sub_nc_u32_e32 v1, v27, v1
	v_mul_lo_u32 v21, v1, s36
	v_mul_lo_u32 v4, v1, s37
	s_cbranch_vccnz .LBB118_170
; %bb.169:
	v_mul_hi_u32 v1, s40, v0
	v_add_nc_u32_e32 v1, v0, v1
	v_lshrrev_b32_e32 v1, s41, v1
	v_mul_lo_u32 v1, v1, s27
	v_sub_nc_u32_e32 v0, v0, v1
	v_mad_u64_u32 v[21:22], null, v0, s38, v[21:22]
	v_mad_u64_u32 v[4:5], null, v0, s39, v[4:5]
.LBB118_170:
	s_waitcnt lgkmcnt(0)
	v_mov_b32_e32 v0, s34
	v_mov_b32_e32 v1, s35
	;; [unrolled: 1-line block ×4, first 2 shown]
	s_getpc_b64 s[4:5]
	s_add_u32 s4, s4, _ZN2at6native6invokeIZZZNS0_21polygamma_kernel_cudaERNS_18TensorIteratorBaseElENKUlvE_clEvENKUlvE2_clEvEUlN3c108BFloat16EE_j15function_traitsIS8_EEENT1_11result_typeERKT_PrKPcPKT0_i@rel32@lo+4
	s_addc_u32 s5, s5, _ZN2at6native6invokeIZZZNS0_21polygamma_kernel_cudaERNS_18TensorIteratorBaseElENKUlvE_clEvENKUlvE2_clEvEUlN3c108BFloat16EE_j15function_traitsIS8_EEENT1_11result_typeERKT_PrKPcPKT0_i@rel32@hi+12
	s_swappc_b64 s[30:31], s[4:5]
	v_add_nc_u32_e32 v27, 0x80, v27
	global_store_short v21, v0, s[20:21]
	s_or_b32 exec_lo, exec_lo, s51
	s_mov_b32 s51, exec_lo
	v_cmpx_gt_i32_e64 s48, v27
	s_cbranch_execnz .LBB118_156
.LBB118_171:
	s_or_b32 exec_lo, exec_lo, s51
	s_mov_b32 s51, exec_lo
	v_cmpx_gt_i32_e64 s48, v27
	s_cbranch_execz .LBB118_187
.LBB118_172:
	s_andn2_b32 vcc_lo, exec_lo, s45
	s_cbranch_vccnz .LBB118_177
; %bb.173:
	s_andn2_b32 vcc_lo, exec_lo, s50
	s_cbranch_vccnz .LBB118_178
; %bb.174:
	s_add_i32 s9, s49, 1
	s_cmp_eq_u32 s44, 2
	s_cbranch_scc1 .LBB118_195
; %bb.175:
	v_mov_b32_e32 v4, 0
	v_mov_b32_e32 v21, 0
	;; [unrolled: 1-line block ×3, first 2 shown]
	s_and_b32 s8, s9, 28
	s_mov_b32 s10, 0
	s_mov_b64 s[4:5], s[28:29]
	s_mov_b64 s[6:7], s[42:43]
.LBB118_176:                            ; =>This Inner Loop Header: Depth=1
	s_clause 0x1
	s_load_dwordx8 s[12:19], s[4:5], 0x4
	s_load_dwordx4 s[60:63], s[4:5], 0x24
	s_load_dwordx8 s[52:59], s[6:7], 0x0
	s_add_u32 s4, s4, 48
	s_addc_u32 s5, s5, 0
	s_add_i32 s10, s10, 4
	s_add_u32 s6, s6, 32
	s_addc_u32 s7, s7, 0
	s_cmp_eq_u32 s8, s10
	s_waitcnt lgkmcnt(0)
	v_mul_hi_u32 v1, s13, v0
	v_add_nc_u32_e32 v1, v0, v1
	v_lshrrev_b32_e32 v1, s14, v1
	v_mul_hi_u32 v2, s16, v1
	v_mul_lo_u32 v5, v1, s12
	v_add_nc_u32_e32 v2, v1, v2
	v_sub_nc_u32_e32 v0, v0, v5
	v_lshrrev_b32_e32 v2, s17, v2
	v_mul_lo_u32 v5, v0, s52
	v_mul_lo_u32 v7, v0, s53
	v_mul_hi_u32 v3, s19, v2
	v_add_nc_u32_e32 v3, v2, v3
	v_lshrrev_b32_e32 v3, s60, v3
	v_mul_hi_u32 v6, s62, v3
	v_mul_lo_u32 v8, v3, s18
	v_add_nc_u32_e32 v0, v3, v6
	v_mul_lo_u32 v6, v2, s15
	v_sub_nc_u32_e32 v2, v2, v8
	v_lshrrev_b32_e32 v0, s63, v0
	v_mul_lo_u32 v8, v2, s56
	v_mul_lo_u32 v2, v2, s57
	v_sub_nc_u32_e32 v1, v1, v6
	v_mul_lo_u32 v9, v0, s61
	v_mul_lo_u32 v6, v1, s54
	;; [unrolled: 1-line block ×3, first 2 shown]
	v_sub_nc_u32_e32 v3, v3, v9
	v_add3_u32 v5, v5, v21, v6
	v_mul_lo_u32 v9, v3, s58
	v_mul_lo_u32 v3, v3, s59
	v_add3_u32 v1, v7, v4, v1
	v_add3_u32 v21, v8, v5, v9
	;; [unrolled: 1-line block ×3, first 2 shown]
	s_cbranch_scc0 .LBB118_176
	s_branch .LBB118_196
.LBB118_177:
                                        ; implicit-def: $vgpr21
                                        ; implicit-def: $vgpr4
	s_branch .LBB118_200
.LBB118_178:
	v_mov_b32_e32 v21, 0
	v_mov_b32_e32 v4, 0
	s_branch .LBB118_199
.LBB118_179:
	v_mov_b32_e32 v21, 0
	v_mov_b32_e32 v4, 0
	;; [unrolled: 1-line block ×3, first 2 shown]
	s_mov_b32 s8, 0
.LBB118_180:
	s_and_b32 s9, s9, 3
	s_cmp_eq_u32 s9, 0
	s_cbranch_scc1 .LBB118_183
; %bb.181:
	s_lshl_b32 s4, s8, 3
	s_mul_i32 s6, s8, 12
	s_add_u32 s4, s28, s4
	s_addc_u32 s5, s29, 0
	s_add_u32 s4, s4, 0xc4
	s_addc_u32 s5, s5, 0
	;; [unrolled: 2-line block ×3, first 2 shown]
	.p2align	6
.LBB118_182:                            ; =>This Inner Loop Header: Depth=1
	s_clause 0x1
	s_load_dwordx2 s[10:11], s[6:7], 0x4
	s_load_dword s8, s[6:7], 0xc
	s_load_dwordx2 s[12:13], s[4:5], 0x0
	s_add_u32 s6, s6, 12
	s_addc_u32 s7, s7, 0
	s_add_u32 s4, s4, 8
	s_addc_u32 s5, s5, 0
	s_add_i32 s9, s9, -1
	s_cmp_lg_u32 s9, 0
	s_waitcnt lgkmcnt(0)
	v_mul_hi_u32 v1, s11, v0
	v_add_nc_u32_e32 v1, v0, v1
	v_lshrrev_b32_e32 v1, s8, v1
	v_mul_lo_u32 v2, v1, s10
	v_sub_nc_u32_e32 v0, v0, v2
	v_mad_u64_u32 v[21:22], null, v0, s12, v[21:22]
	v_mad_u64_u32 v[4:5], null, v0, s13, v[4:5]
	v_mov_b32_e32 v0, v1
	s_cbranch_scc1 .LBB118_182
.LBB118_183:
	s_cbranch_execnz .LBB118_186
.LBB118_184:
	s_waitcnt lgkmcnt(0)
	v_mul_hi_u32 v0, s25, v27
	s_andn2_b32 vcc_lo, exec_lo, s47
	v_add_nc_u32_e32 v0, v27, v0
	v_lshrrev_b32_e32 v0, s26, v0
	v_mul_lo_u32 v1, v0, s24
	v_sub_nc_u32_e32 v1, v27, v1
	v_mul_lo_u32 v21, v1, s36
	v_mul_lo_u32 v4, v1, s37
	s_cbranch_vccnz .LBB118_186
; %bb.185:
	v_mul_hi_u32 v1, s40, v0
	v_add_nc_u32_e32 v1, v0, v1
	v_lshrrev_b32_e32 v1, s41, v1
	v_mul_lo_u32 v1, v1, s27
	v_sub_nc_u32_e32 v0, v0, v1
	v_mad_u64_u32 v[21:22], null, v0, s38, v[21:22]
	v_mad_u64_u32 v[4:5], null, v0, s39, v[4:5]
.LBB118_186:
	s_waitcnt lgkmcnt(0)
	v_mov_b32_e32 v0, s34
	v_mov_b32_e32 v1, s35
	;; [unrolled: 1-line block ×4, first 2 shown]
	s_getpc_b64 s[4:5]
	s_add_u32 s4, s4, _ZN2at6native6invokeIZZZNS0_21polygamma_kernel_cudaERNS_18TensorIteratorBaseElENKUlvE_clEvENKUlvE2_clEvEUlN3c108BFloat16EE_j15function_traitsIS8_EEENT1_11result_typeERKT_PrKPcPKT0_i@rel32@lo+4
	s_addc_u32 s5, s5, _ZN2at6native6invokeIZZZNS0_21polygamma_kernel_cudaERNS_18TensorIteratorBaseElENKUlvE_clEvENKUlvE2_clEvEUlN3c108BFloat16EE_j15function_traitsIS8_EEENT1_11result_typeERKT_PrKPcPKT0_i@rel32@hi+12
	s_swappc_b64 s[30:31], s[4:5]
	v_add_nc_u32_e32 v27, 0x80, v27
	global_store_short v21, v0, s[20:21]
	s_or_b32 exec_lo, exec_lo, s51
	s_mov_b32 s51, exec_lo
	v_cmpx_gt_i32_e64 s48, v27
	s_cbranch_execnz .LBB118_172
.LBB118_187:
	s_or_b32 exec_lo, exec_lo, s51
	s_mov_b32 s51, exec_lo
	v_cmpx_gt_i32_e64 s48, v27
	s_cbranch_execz .LBB118_203
.LBB118_188:
	s_andn2_b32 vcc_lo, exec_lo, s45
	s_cbranch_vccnz .LBB118_193
; %bb.189:
	s_andn2_b32 vcc_lo, exec_lo, s50
	s_cbranch_vccnz .LBB118_194
; %bb.190:
	s_add_i32 s9, s49, 1
	s_cmp_eq_u32 s44, 2
	s_cbranch_scc1 .LBB118_211
; %bb.191:
	v_mov_b32_e32 v4, 0
	v_mov_b32_e32 v21, 0
	;; [unrolled: 1-line block ×3, first 2 shown]
	s_and_b32 s8, s9, 28
	s_mov_b32 s10, 0
	s_mov_b64 s[4:5], s[28:29]
	s_mov_b64 s[6:7], s[42:43]
.LBB118_192:                            ; =>This Inner Loop Header: Depth=1
	s_clause 0x1
	s_load_dwordx8 s[12:19], s[4:5], 0x4
	s_load_dwordx4 s[60:63], s[4:5], 0x24
	s_load_dwordx8 s[52:59], s[6:7], 0x0
	s_add_u32 s4, s4, 48
	s_addc_u32 s5, s5, 0
	s_add_i32 s10, s10, 4
	s_add_u32 s6, s6, 32
	s_addc_u32 s7, s7, 0
	s_cmp_eq_u32 s8, s10
	s_waitcnt lgkmcnt(0)
	v_mul_hi_u32 v1, s13, v0
	v_add_nc_u32_e32 v1, v0, v1
	v_lshrrev_b32_e32 v1, s14, v1
	v_mul_hi_u32 v2, s16, v1
	v_mul_lo_u32 v5, v1, s12
	v_add_nc_u32_e32 v2, v1, v2
	v_sub_nc_u32_e32 v0, v0, v5
	v_lshrrev_b32_e32 v2, s17, v2
	v_mul_lo_u32 v5, v0, s52
	v_mul_lo_u32 v7, v0, s53
	v_mul_hi_u32 v3, s19, v2
	v_add_nc_u32_e32 v3, v2, v3
	v_lshrrev_b32_e32 v3, s60, v3
	v_mul_hi_u32 v6, s62, v3
	v_mul_lo_u32 v8, v3, s18
	v_add_nc_u32_e32 v0, v3, v6
	v_mul_lo_u32 v6, v2, s15
	v_sub_nc_u32_e32 v2, v2, v8
	v_lshrrev_b32_e32 v0, s63, v0
	v_mul_lo_u32 v8, v2, s56
	v_mul_lo_u32 v2, v2, s57
	v_sub_nc_u32_e32 v1, v1, v6
	v_mul_lo_u32 v9, v0, s61
	v_mul_lo_u32 v6, v1, s54
	v_mul_lo_u32 v1, v1, s55
	v_sub_nc_u32_e32 v3, v3, v9
	v_add3_u32 v5, v5, v21, v6
	v_mul_lo_u32 v9, v3, s58
	v_mul_lo_u32 v3, v3, s59
	v_add3_u32 v1, v7, v4, v1
	v_add3_u32 v21, v8, v5, v9
	;; [unrolled: 1-line block ×3, first 2 shown]
	s_cbranch_scc0 .LBB118_192
	s_branch .LBB118_212
.LBB118_193:
                                        ; implicit-def: $vgpr21
                                        ; implicit-def: $vgpr4
	s_branch .LBB118_216
.LBB118_194:
	v_mov_b32_e32 v21, 0
	v_mov_b32_e32 v4, 0
	s_branch .LBB118_215
.LBB118_195:
	v_mov_b32_e32 v21, 0
	v_mov_b32_e32 v4, 0
	;; [unrolled: 1-line block ×3, first 2 shown]
	s_mov_b32 s8, 0
.LBB118_196:
	s_and_b32 s9, s9, 3
	s_cmp_eq_u32 s9, 0
	s_cbranch_scc1 .LBB118_199
; %bb.197:
	s_lshl_b32 s4, s8, 3
	s_mul_i32 s6, s8, 12
	s_add_u32 s4, s28, s4
	s_addc_u32 s5, s29, 0
	s_add_u32 s4, s4, 0xc4
	s_addc_u32 s5, s5, 0
	;; [unrolled: 2-line block ×3, first 2 shown]
	.p2align	6
.LBB118_198:                            ; =>This Inner Loop Header: Depth=1
	s_clause 0x1
	s_load_dwordx2 s[10:11], s[6:7], 0x4
	s_load_dword s8, s[6:7], 0xc
	s_load_dwordx2 s[12:13], s[4:5], 0x0
	s_add_u32 s6, s6, 12
	s_addc_u32 s7, s7, 0
	s_add_u32 s4, s4, 8
	s_addc_u32 s5, s5, 0
	s_add_i32 s9, s9, -1
	s_cmp_lg_u32 s9, 0
	s_waitcnt lgkmcnt(0)
	v_mul_hi_u32 v1, s11, v0
	v_add_nc_u32_e32 v1, v0, v1
	v_lshrrev_b32_e32 v1, s8, v1
	v_mul_lo_u32 v2, v1, s10
	v_sub_nc_u32_e32 v0, v0, v2
	v_mad_u64_u32 v[21:22], null, v0, s12, v[21:22]
	v_mad_u64_u32 v[4:5], null, v0, s13, v[4:5]
	v_mov_b32_e32 v0, v1
	s_cbranch_scc1 .LBB118_198
.LBB118_199:
	s_cbranch_execnz .LBB118_202
.LBB118_200:
	s_waitcnt lgkmcnt(0)
	v_mul_hi_u32 v0, s25, v27
	s_andn2_b32 vcc_lo, exec_lo, s47
	v_add_nc_u32_e32 v0, v27, v0
	v_lshrrev_b32_e32 v0, s26, v0
	v_mul_lo_u32 v1, v0, s24
	v_sub_nc_u32_e32 v1, v27, v1
	v_mul_lo_u32 v21, v1, s36
	v_mul_lo_u32 v4, v1, s37
	s_cbranch_vccnz .LBB118_202
; %bb.201:
	v_mul_hi_u32 v1, s40, v0
	v_add_nc_u32_e32 v1, v0, v1
	v_lshrrev_b32_e32 v1, s41, v1
	v_mul_lo_u32 v1, v1, s27
	v_sub_nc_u32_e32 v0, v0, v1
	v_mad_u64_u32 v[21:22], null, v0, s38, v[21:22]
	v_mad_u64_u32 v[4:5], null, v0, s39, v[4:5]
.LBB118_202:
	s_waitcnt lgkmcnt(0)
	v_mov_b32_e32 v0, s34
	v_mov_b32_e32 v1, s35
	;; [unrolled: 1-line block ×4, first 2 shown]
	s_getpc_b64 s[4:5]
	s_add_u32 s4, s4, _ZN2at6native6invokeIZZZNS0_21polygamma_kernel_cudaERNS_18TensorIteratorBaseElENKUlvE_clEvENKUlvE2_clEvEUlN3c108BFloat16EE_j15function_traitsIS8_EEENT1_11result_typeERKT_PrKPcPKT0_i@rel32@lo+4
	s_addc_u32 s5, s5, _ZN2at6native6invokeIZZZNS0_21polygamma_kernel_cudaERNS_18TensorIteratorBaseElENKUlvE_clEvENKUlvE2_clEvEUlN3c108BFloat16EE_j15function_traitsIS8_EEENT1_11result_typeERKT_PrKPcPKT0_i@rel32@hi+12
	s_swappc_b64 s[30:31], s[4:5]
	v_add_nc_u32_e32 v27, 0x80, v27
	global_store_short v21, v0, s[20:21]
	s_or_b32 exec_lo, exec_lo, s51
	s_mov_b32 s51, exec_lo
	v_cmpx_gt_i32_e64 s48, v27
	s_cbranch_execnz .LBB118_188
.LBB118_203:
	s_or_b32 exec_lo, exec_lo, s51
	s_mov_b32 s51, exec_lo
	v_cmpx_gt_i32_e64 s48, v27
	s_cbranch_execz .LBB118_219
.LBB118_204:
	s_andn2_b32 vcc_lo, exec_lo, s45
	s_cbranch_vccnz .LBB118_209
; %bb.205:
	s_andn2_b32 vcc_lo, exec_lo, s50
	s_cbranch_vccnz .LBB118_210
; %bb.206:
	s_add_i32 s9, s49, 1
	s_cmp_eq_u32 s44, 2
	s_cbranch_scc1 .LBB118_222
; %bb.207:
	v_mov_b32_e32 v4, 0
	v_mov_b32_e32 v21, 0
	;; [unrolled: 1-line block ×3, first 2 shown]
	s_and_b32 s8, s9, 28
	s_mov_b32 s10, 0
	s_mov_b64 s[4:5], s[28:29]
	s_mov_b64 s[6:7], s[42:43]
.LBB118_208:                            ; =>This Inner Loop Header: Depth=1
	s_clause 0x1
	s_load_dwordx8 s[12:19], s[4:5], 0x4
	s_load_dwordx4 s[60:63], s[4:5], 0x24
	s_load_dwordx8 s[52:59], s[6:7], 0x0
	s_add_u32 s4, s4, 48
	s_addc_u32 s5, s5, 0
	s_add_i32 s10, s10, 4
	s_add_u32 s6, s6, 32
	s_addc_u32 s7, s7, 0
	s_cmp_eq_u32 s8, s10
	s_waitcnt lgkmcnt(0)
	v_mul_hi_u32 v1, s13, v0
	v_add_nc_u32_e32 v1, v0, v1
	v_lshrrev_b32_e32 v1, s14, v1
	v_mul_hi_u32 v2, s16, v1
	v_mul_lo_u32 v5, v1, s12
	v_add_nc_u32_e32 v2, v1, v2
	v_sub_nc_u32_e32 v0, v0, v5
	v_lshrrev_b32_e32 v2, s17, v2
	v_mul_lo_u32 v5, v0, s52
	v_mul_lo_u32 v7, v0, s53
	v_mul_hi_u32 v3, s19, v2
	v_add_nc_u32_e32 v3, v2, v3
	v_lshrrev_b32_e32 v3, s60, v3
	v_mul_hi_u32 v6, s62, v3
	v_mul_lo_u32 v8, v3, s18
	v_add_nc_u32_e32 v0, v3, v6
	v_mul_lo_u32 v6, v2, s15
	v_sub_nc_u32_e32 v2, v2, v8
	v_lshrrev_b32_e32 v0, s63, v0
	v_mul_lo_u32 v8, v2, s56
	v_mul_lo_u32 v2, v2, s57
	v_sub_nc_u32_e32 v1, v1, v6
	v_mul_lo_u32 v9, v0, s61
	v_mul_lo_u32 v6, v1, s54
	;; [unrolled: 1-line block ×3, first 2 shown]
	v_sub_nc_u32_e32 v3, v3, v9
	v_add3_u32 v5, v5, v21, v6
	v_mul_lo_u32 v9, v3, s58
	v_mul_lo_u32 v3, v3, s59
	v_add3_u32 v1, v7, v4, v1
	v_add3_u32 v21, v8, v5, v9
	;; [unrolled: 1-line block ×3, first 2 shown]
	s_cbranch_scc0 .LBB118_208
	s_branch .LBB118_223
.LBB118_209:
                                        ; implicit-def: $vgpr21
                                        ; implicit-def: $vgpr4
	s_branch .LBB118_227
.LBB118_210:
	v_mov_b32_e32 v21, 0
	v_mov_b32_e32 v4, 0
	s_branch .LBB118_226
.LBB118_211:
	v_mov_b32_e32 v21, 0
	v_mov_b32_e32 v4, 0
	;; [unrolled: 1-line block ×3, first 2 shown]
	s_mov_b32 s8, 0
.LBB118_212:
	s_and_b32 s9, s9, 3
	s_cmp_eq_u32 s9, 0
	s_cbranch_scc1 .LBB118_215
; %bb.213:
	s_lshl_b32 s4, s8, 3
	s_mul_i32 s6, s8, 12
	s_add_u32 s4, s28, s4
	s_addc_u32 s5, s29, 0
	s_add_u32 s4, s4, 0xc4
	s_addc_u32 s5, s5, 0
	;; [unrolled: 2-line block ×3, first 2 shown]
	.p2align	6
.LBB118_214:                            ; =>This Inner Loop Header: Depth=1
	s_clause 0x1
	s_load_dwordx2 s[10:11], s[6:7], 0x4
	s_load_dword s8, s[6:7], 0xc
	s_load_dwordx2 s[12:13], s[4:5], 0x0
	s_add_u32 s6, s6, 12
	s_addc_u32 s7, s7, 0
	s_add_u32 s4, s4, 8
	s_addc_u32 s5, s5, 0
	s_add_i32 s9, s9, -1
	s_cmp_lg_u32 s9, 0
	s_waitcnt lgkmcnt(0)
	v_mul_hi_u32 v1, s11, v0
	v_add_nc_u32_e32 v1, v0, v1
	v_lshrrev_b32_e32 v1, s8, v1
	v_mul_lo_u32 v2, v1, s10
	v_sub_nc_u32_e32 v0, v0, v2
	v_mad_u64_u32 v[21:22], null, v0, s12, v[21:22]
	v_mad_u64_u32 v[4:5], null, v0, s13, v[4:5]
	v_mov_b32_e32 v0, v1
	s_cbranch_scc1 .LBB118_214
.LBB118_215:
	s_cbranch_execnz .LBB118_218
.LBB118_216:
	s_waitcnt lgkmcnt(0)
	v_mul_hi_u32 v0, s25, v27
	s_andn2_b32 vcc_lo, exec_lo, s47
	v_add_nc_u32_e32 v0, v27, v0
	v_lshrrev_b32_e32 v0, s26, v0
	v_mul_lo_u32 v1, v0, s24
	v_sub_nc_u32_e32 v1, v27, v1
	v_mul_lo_u32 v21, v1, s36
	v_mul_lo_u32 v4, v1, s37
	s_cbranch_vccnz .LBB118_218
; %bb.217:
	v_mul_hi_u32 v1, s40, v0
	v_add_nc_u32_e32 v1, v0, v1
	v_lshrrev_b32_e32 v1, s41, v1
	v_mul_lo_u32 v1, v1, s27
	v_sub_nc_u32_e32 v0, v0, v1
	v_mad_u64_u32 v[21:22], null, v0, s38, v[21:22]
	v_mad_u64_u32 v[4:5], null, v0, s39, v[4:5]
.LBB118_218:
	s_waitcnt lgkmcnt(0)
	v_mov_b32_e32 v0, s34
	v_mov_b32_e32 v1, s35
	;; [unrolled: 1-line block ×4, first 2 shown]
	s_getpc_b64 s[4:5]
	s_add_u32 s4, s4, _ZN2at6native6invokeIZZZNS0_21polygamma_kernel_cudaERNS_18TensorIteratorBaseElENKUlvE_clEvENKUlvE2_clEvEUlN3c108BFloat16EE_j15function_traitsIS8_EEENT1_11result_typeERKT_PrKPcPKT0_i@rel32@lo+4
	s_addc_u32 s5, s5, _ZN2at6native6invokeIZZZNS0_21polygamma_kernel_cudaERNS_18TensorIteratorBaseElENKUlvE_clEvENKUlvE2_clEvEUlN3c108BFloat16EE_j15function_traitsIS8_EEENT1_11result_typeERKT_PrKPcPKT0_i@rel32@hi+12
	s_swappc_b64 s[30:31], s[4:5]
	v_add_nc_u32_e32 v27, 0x80, v27
	global_store_short v21, v0, s[20:21]
	s_or_b32 exec_lo, exec_lo, s51
	s_mov_b32 s51, exec_lo
	v_cmpx_gt_i32_e64 s48, v27
	s_cbranch_execnz .LBB118_204
.LBB118_219:
	s_or_b32 exec_lo, exec_lo, s51
	v_cmp_gt_i32_e32 vcc_lo, s48, v27
	s_and_saveexec_b32 s48, vcc_lo
	s_cbranch_execnz .LBB118_230
.LBB118_220:
	s_or_b32 exec_lo, exec_lo, s48
                                        ; implicit-def: $vgpr0
                                        ; implicit-def: $vgpr27
	s_andn2_saveexec_b32 s4, s46
	s_cbranch_execnz .LBB118_8
.LBB118_221:
	s_endpgm
.LBB118_222:
	v_mov_b32_e32 v21, 0
	v_mov_b32_e32 v4, 0
	v_mov_b32_e32 v0, v27
	s_mov_b32 s8, 0
.LBB118_223:
	s_and_b32 s9, s9, 3
	s_cmp_eq_u32 s9, 0
	s_cbranch_scc1 .LBB118_226
; %bb.224:
	s_lshl_b32 s4, s8, 3
	s_mul_i32 s6, s8, 12
	s_add_u32 s4, s28, s4
	s_addc_u32 s5, s29, 0
	s_add_u32 s4, s4, 0xc4
	s_addc_u32 s5, s5, 0
	;; [unrolled: 2-line block ×3, first 2 shown]
	.p2align	6
.LBB118_225:                            ; =>This Inner Loop Header: Depth=1
	s_clause 0x1
	s_load_dwordx2 s[10:11], s[6:7], 0x4
	s_load_dword s8, s[6:7], 0xc
	s_load_dwordx2 s[12:13], s[4:5], 0x0
	s_add_u32 s6, s6, 12
	s_addc_u32 s7, s7, 0
	s_add_u32 s4, s4, 8
	s_addc_u32 s5, s5, 0
	s_add_i32 s9, s9, -1
	s_cmp_lg_u32 s9, 0
	s_waitcnt lgkmcnt(0)
	v_mul_hi_u32 v1, s11, v0
	v_add_nc_u32_e32 v1, v0, v1
	v_lshrrev_b32_e32 v1, s8, v1
	v_mul_lo_u32 v2, v1, s10
	v_sub_nc_u32_e32 v0, v0, v2
	v_mad_u64_u32 v[21:22], null, v0, s12, v[21:22]
	v_mad_u64_u32 v[4:5], null, v0, s13, v[4:5]
	v_mov_b32_e32 v0, v1
	s_cbranch_scc1 .LBB118_225
.LBB118_226:
	s_cbranch_execnz .LBB118_229
.LBB118_227:
	s_waitcnt lgkmcnt(0)
	v_mul_hi_u32 v0, s25, v27
	s_andn2_b32 vcc_lo, exec_lo, s47
	v_add_nc_u32_e32 v0, v27, v0
	v_lshrrev_b32_e32 v0, s26, v0
	v_mul_lo_u32 v1, v0, s24
	v_sub_nc_u32_e32 v1, v27, v1
	v_mul_lo_u32 v21, v1, s36
	v_mul_lo_u32 v4, v1, s37
	s_cbranch_vccnz .LBB118_229
; %bb.228:
	v_mul_hi_u32 v1, s40, v0
	v_add_nc_u32_e32 v1, v0, v1
	v_lshrrev_b32_e32 v1, s41, v1
	v_mul_lo_u32 v1, v1, s27
	v_sub_nc_u32_e32 v0, v0, v1
	v_mad_u64_u32 v[21:22], null, v0, s38, v[21:22]
	v_mad_u64_u32 v[4:5], null, v0, s39, v[4:5]
.LBB118_229:
	s_waitcnt lgkmcnt(0)
	v_mov_b32_e32 v0, s34
	v_mov_b32_e32 v1, s35
	;; [unrolled: 1-line block ×4, first 2 shown]
	s_getpc_b64 s[4:5]
	s_add_u32 s4, s4, _ZN2at6native6invokeIZZZNS0_21polygamma_kernel_cudaERNS_18TensorIteratorBaseElENKUlvE_clEvENKUlvE2_clEvEUlN3c108BFloat16EE_j15function_traitsIS8_EEENT1_11result_typeERKT_PrKPcPKT0_i@rel32@lo+4
	s_addc_u32 s5, s5, _ZN2at6native6invokeIZZZNS0_21polygamma_kernel_cudaERNS_18TensorIteratorBaseElENKUlvE_clEvENKUlvE2_clEvEUlN3c108BFloat16EE_j15function_traitsIS8_EEENT1_11result_typeERKT_PrKPcPKT0_i@rel32@hi+12
	s_swappc_b64 s[30:31], s[4:5]
	v_add_nc_u32_e32 v27, 0x80, v27
	global_store_short v21, v0, s[20:21]
	s_or_b32 exec_lo, exec_lo, s51
	v_cmp_gt_i32_e32 vcc_lo, s48, v27
	s_and_saveexec_b32 s48, vcc_lo
	s_cbranch_execz .LBB118_220
.LBB118_230:
	s_andn2_b32 vcc_lo, exec_lo, s45
	s_cbranch_vccnz .LBB118_235
; %bb.231:
	s_andn2_b32 vcc_lo, exec_lo, s50
	s_cbranch_vccnz .LBB118_236
; %bb.232:
	s_add_i32 s49, s49, 1
	s_cmp_eq_u32 s44, 2
	s_cbranch_scc1 .LBB118_237
; %bb.233:
	v_mov_b32_e32 v4, 0
	v_mov_b32_e32 v21, 0
	;; [unrolled: 1-line block ×3, first 2 shown]
	s_and_b32 s6, s49, 28
	s_mov_b32 s7, 0
	s_mov_b64 s[4:5], s[28:29]
.LBB118_234:                            ; =>This Inner Loop Header: Depth=1
	s_clause 0x1
	s_load_dwordx8 s[8:15], s[4:5], 0x4
	s_load_dwordx4 s[16:19], s[4:5], 0x24
	s_load_dwordx8 s[52:59], s[42:43], 0x0
	s_add_u32 s4, s4, 48
	s_addc_u32 s5, s5, 0
	s_add_i32 s7, s7, 4
	s_add_u32 s42, s42, 32
	s_addc_u32 s43, s43, 0
	s_cmp_eq_u32 s6, s7
	s_waitcnt lgkmcnt(0)
	v_mul_hi_u32 v1, s9, v0
	v_add_nc_u32_e32 v1, v0, v1
	v_lshrrev_b32_e32 v1, s10, v1
	v_mul_hi_u32 v2, s12, v1
	v_mul_lo_u32 v5, v1, s8
	v_add_nc_u32_e32 v2, v1, v2
	v_sub_nc_u32_e32 v0, v0, v5
	v_lshrrev_b32_e32 v2, s13, v2
	v_mul_lo_u32 v5, v0, s52
	v_mul_lo_u32 v7, v0, s53
	v_mul_hi_u32 v3, s15, v2
	v_add_nc_u32_e32 v3, v2, v3
	v_lshrrev_b32_e32 v3, s16, v3
	v_mul_hi_u32 v6, s18, v3
	v_mul_lo_u32 v8, v3, s14
	v_add_nc_u32_e32 v0, v3, v6
	v_mul_lo_u32 v6, v2, s11
	v_sub_nc_u32_e32 v2, v2, v8
	v_lshrrev_b32_e32 v0, s19, v0
	v_mul_lo_u32 v8, v2, s56
	v_mul_lo_u32 v2, v2, s57
	v_sub_nc_u32_e32 v1, v1, v6
	v_mul_lo_u32 v9, v0, s17
	v_mul_lo_u32 v6, v1, s54
	;; [unrolled: 1-line block ×3, first 2 shown]
	v_sub_nc_u32_e32 v3, v3, v9
	v_add3_u32 v5, v5, v21, v6
	v_mul_lo_u32 v9, v3, s58
	v_mul_lo_u32 v3, v3, s59
	v_add3_u32 v1, v7, v4, v1
	v_add3_u32 v21, v8, v5, v9
	;; [unrolled: 1-line block ×3, first 2 shown]
	s_cbranch_scc0 .LBB118_234
	s_branch .LBB118_238
.LBB118_235:
                                        ; implicit-def: $vgpr21
                                        ; implicit-def: $vgpr4
	s_branch .LBB118_242
.LBB118_236:
	v_mov_b32_e32 v21, 0
	v_mov_b32_e32 v4, 0
	s_branch .LBB118_241
.LBB118_237:
	v_mov_b32_e32 v21, 0
	v_mov_b32_e32 v4, 0
	;; [unrolled: 1-line block ×3, first 2 shown]
	s_mov_b32 s6, 0
.LBB118_238:
	s_and_b32 s8, s49, 3
	s_cmp_eq_u32 s8, 0
	s_cbranch_scc1 .LBB118_241
; %bb.239:
	s_lshl_b32 s4, s6, 3
	s_mul_i32 s6, s6, 12
	s_add_u32 s4, s28, s4
	s_addc_u32 s5, s29, 0
	s_add_u32 s4, s4, 0xc4
	s_addc_u32 s5, s5, 0
	;; [unrolled: 2-line block ×3, first 2 shown]
	.p2align	6
.LBB118_240:                            ; =>This Inner Loop Header: Depth=1
	s_clause 0x1
	s_load_dwordx2 s[10:11], s[6:7], 0x4
	s_load_dword s9, s[6:7], 0xc
	s_load_dwordx2 s[12:13], s[4:5], 0x0
	s_add_u32 s6, s6, 12
	s_addc_u32 s7, s7, 0
	s_add_u32 s4, s4, 8
	s_addc_u32 s5, s5, 0
	s_add_i32 s8, s8, -1
	s_cmp_lg_u32 s8, 0
	s_waitcnt lgkmcnt(0)
	v_mul_hi_u32 v1, s11, v0
	v_add_nc_u32_e32 v1, v0, v1
	v_lshrrev_b32_e32 v1, s9, v1
	v_mul_lo_u32 v2, v1, s10
	v_sub_nc_u32_e32 v0, v0, v2
	v_mad_u64_u32 v[21:22], null, v0, s12, v[21:22]
	v_mad_u64_u32 v[4:5], null, v0, s13, v[4:5]
	v_mov_b32_e32 v0, v1
	s_cbranch_scc1 .LBB118_240
.LBB118_241:
	s_cbranch_execnz .LBB118_244
.LBB118_242:
	s_waitcnt lgkmcnt(0)
	v_mul_hi_u32 v0, s25, v27
	s_andn2_b32 vcc_lo, exec_lo, s47
	v_add_nc_u32_e32 v0, v27, v0
	v_lshrrev_b32_e32 v0, s26, v0
	v_mul_lo_u32 v1, v0, s24
	v_sub_nc_u32_e32 v1, v27, v1
	v_mul_lo_u32 v21, v1, s36
	v_mul_lo_u32 v4, v1, s37
	s_cbranch_vccnz .LBB118_244
; %bb.243:
	v_mul_hi_u32 v1, s40, v0
	v_add_nc_u32_e32 v1, v0, v1
	v_lshrrev_b32_e32 v1, s41, v1
	v_mul_lo_u32 v1, v1, s27
	v_sub_nc_u32_e32 v0, v0, v1
	v_mad_u64_u32 v[21:22], null, v0, s38, v[21:22]
	v_mad_u64_u32 v[4:5], null, v0, s39, v[4:5]
.LBB118_244:
	s_waitcnt lgkmcnt(0)
	v_mov_b32_e32 v0, s34
	v_mov_b32_e32 v1, s35
	v_mov_b32_e32 v2, s22
	v_mov_b32_e32 v3, s23
	s_getpc_b64 s[4:5]
	s_add_u32 s4, s4, _ZN2at6native6invokeIZZZNS0_21polygamma_kernel_cudaERNS_18TensorIteratorBaseElENKUlvE_clEvENKUlvE2_clEvEUlN3c108BFloat16EE_j15function_traitsIS8_EEENT1_11result_typeERKT_PrKPcPKT0_i@rel32@lo+4
	s_addc_u32 s5, s5, _ZN2at6native6invokeIZZZNS0_21polygamma_kernel_cudaERNS_18TensorIteratorBaseElENKUlvE_clEvENKUlvE2_clEvEUlN3c108BFloat16EE_j15function_traitsIS8_EEENT1_11result_typeERKT_PrKPcPKT0_i@rel32@hi+12
	s_swappc_b64 s[30:31], s[4:5]
	global_store_short v21, v0, s[20:21]
	s_or_b32 exec_lo, exec_lo, s48
                                        ; implicit-def: $vgpr0
                                        ; implicit-def: $vgpr27
	s_andn2_saveexec_b32 s4, s46
	s_cbranch_execz .LBB118_221
	s_branch .LBB118_8
	.section	.rodata,"a",@progbits
	.p2align	6, 0x0
	.amdhsa_kernel _ZN2at6native32elementwise_kernel_manual_unrollILi128ELi8EZNS0_22gpu_kernel_impl_nocastIZZZNS0_21polygamma_kernel_cudaERNS_18TensorIteratorBaseElENKUlvE_clEvENKUlvE2_clEvEUlN3c108BFloat16EE_EEvS4_RKT_EUlibE_EEviT1_
		.amdhsa_group_segment_fixed_size 0
		.amdhsa_private_segment_fixed_size 0
		.amdhsa_kernarg_size 360
		.amdhsa_user_sgpr_count 6
		.amdhsa_user_sgpr_private_segment_buffer 1
		.amdhsa_user_sgpr_dispatch_ptr 0
		.amdhsa_user_sgpr_queue_ptr 0
		.amdhsa_user_sgpr_kernarg_segment_ptr 1
		.amdhsa_user_sgpr_dispatch_id 0
		.amdhsa_user_sgpr_flat_scratch_init 0
		.amdhsa_user_sgpr_private_segment_size 0
		.amdhsa_wavefront_size32 1
		.amdhsa_uses_dynamic_stack 0
		.amdhsa_system_sgpr_private_segment_wavefront_offset 0
		.amdhsa_system_sgpr_workgroup_id_x 1
		.amdhsa_system_sgpr_workgroup_id_y 0
		.amdhsa_system_sgpr_workgroup_id_z 0
		.amdhsa_system_sgpr_workgroup_info 0
		.amdhsa_system_vgpr_workitem_id 0
		.amdhsa_next_free_vgpr 38
		.amdhsa_next_free_sgpr 64
		.amdhsa_reserve_vcc 1
		.amdhsa_reserve_flat_scratch 0
		.amdhsa_float_round_mode_32 0
		.amdhsa_float_round_mode_16_64 0
		.amdhsa_float_denorm_mode_32 3
		.amdhsa_float_denorm_mode_16_64 3
		.amdhsa_dx10_clamp 1
		.amdhsa_ieee_mode 1
		.amdhsa_fp16_overflow 0
		.amdhsa_workgroup_processor_mode 1
		.amdhsa_memory_ordered 1
		.amdhsa_forward_progress 1
		.amdhsa_shared_vgpr_count 0
		.amdhsa_exception_fp_ieee_invalid_op 0
		.amdhsa_exception_fp_denorm_src 0
		.amdhsa_exception_fp_ieee_div_zero 0
		.amdhsa_exception_fp_ieee_overflow 0
		.amdhsa_exception_fp_ieee_underflow 0
		.amdhsa_exception_fp_ieee_inexact 0
		.amdhsa_exception_int_div_zero 0
	.end_amdhsa_kernel
	.section	.text._ZN2at6native32elementwise_kernel_manual_unrollILi128ELi8EZNS0_22gpu_kernel_impl_nocastIZZZNS0_21polygamma_kernel_cudaERNS_18TensorIteratorBaseElENKUlvE_clEvENKUlvE2_clEvEUlN3c108BFloat16EE_EEvS4_RKT_EUlibE_EEviT1_,"axG",@progbits,_ZN2at6native32elementwise_kernel_manual_unrollILi128ELi8EZNS0_22gpu_kernel_impl_nocastIZZZNS0_21polygamma_kernel_cudaERNS_18TensorIteratorBaseElENKUlvE_clEvENKUlvE2_clEvEUlN3c108BFloat16EE_EEvS4_RKT_EUlibE_EEviT1_,comdat
.Lfunc_end118:
	.size	_ZN2at6native32elementwise_kernel_manual_unrollILi128ELi8EZNS0_22gpu_kernel_impl_nocastIZZZNS0_21polygamma_kernel_cudaERNS_18TensorIteratorBaseElENKUlvE_clEvENKUlvE2_clEvEUlN3c108BFloat16EE_EEvS4_RKT_EUlibE_EEviT1_, .Lfunc_end118-_ZN2at6native32elementwise_kernel_manual_unrollILi128ELi8EZNS0_22gpu_kernel_impl_nocastIZZZNS0_21polygamma_kernel_cudaERNS_18TensorIteratorBaseElENKUlvE_clEvENKUlvE2_clEvEUlN3c108BFloat16EE_EEvS4_RKT_EUlibE_EEviT1_
                                        ; -- End function
	.set _ZN2at6native32elementwise_kernel_manual_unrollILi128ELi8EZNS0_22gpu_kernel_impl_nocastIZZZNS0_21polygamma_kernel_cudaERNS_18TensorIteratorBaseElENKUlvE_clEvENKUlvE2_clEvEUlN3c108BFloat16EE_EEvS4_RKT_EUlibE_EEviT1_.num_vgpr, max(38, .L_ZN2at6native6invokeIZZZNS0_21polygamma_kernel_cudaERNS_18TensorIteratorBaseElENKUlvE_clEvENKUlvE2_clEvEUlN3c108BFloat16EE_j15function_traitsIS8_EEENT1_11result_typeERKT_PrKPcPKT0_i.num_vgpr)
	.set _ZN2at6native32elementwise_kernel_manual_unrollILi128ELi8EZNS0_22gpu_kernel_impl_nocastIZZZNS0_21polygamma_kernel_cudaERNS_18TensorIteratorBaseElENKUlvE_clEvENKUlvE2_clEvEUlN3c108BFloat16EE_EEvS4_RKT_EUlibE_EEviT1_.num_agpr, max(0, .L_ZN2at6native6invokeIZZZNS0_21polygamma_kernel_cudaERNS_18TensorIteratorBaseElENKUlvE_clEvENKUlvE2_clEvEUlN3c108BFloat16EE_j15function_traitsIS8_EEENT1_11result_typeERKT_PrKPcPKT0_i.num_agpr)
	.set _ZN2at6native32elementwise_kernel_manual_unrollILi128ELi8EZNS0_22gpu_kernel_impl_nocastIZZZNS0_21polygamma_kernel_cudaERNS_18TensorIteratorBaseElENKUlvE_clEvENKUlvE2_clEvEUlN3c108BFloat16EE_EEvS4_RKT_EUlibE_EEviT1_.numbered_sgpr, max(64, .L_ZN2at6native6invokeIZZZNS0_21polygamma_kernel_cudaERNS_18TensorIteratorBaseElENKUlvE_clEvENKUlvE2_clEvEUlN3c108BFloat16EE_j15function_traitsIS8_EEENT1_11result_typeERKT_PrKPcPKT0_i.numbered_sgpr)
	.set _ZN2at6native32elementwise_kernel_manual_unrollILi128ELi8EZNS0_22gpu_kernel_impl_nocastIZZZNS0_21polygamma_kernel_cudaERNS_18TensorIteratorBaseElENKUlvE_clEvENKUlvE2_clEvEUlN3c108BFloat16EE_EEvS4_RKT_EUlibE_EEviT1_.num_named_barrier, max(0, .L_ZN2at6native6invokeIZZZNS0_21polygamma_kernel_cudaERNS_18TensorIteratorBaseElENKUlvE_clEvENKUlvE2_clEvEUlN3c108BFloat16EE_j15function_traitsIS8_EEENT1_11result_typeERKT_PrKPcPKT0_i.num_named_barrier)
	.set _ZN2at6native32elementwise_kernel_manual_unrollILi128ELi8EZNS0_22gpu_kernel_impl_nocastIZZZNS0_21polygamma_kernel_cudaERNS_18TensorIteratorBaseElENKUlvE_clEvENKUlvE2_clEvEUlN3c108BFloat16EE_EEvS4_RKT_EUlibE_EEviT1_.private_seg_size, 0+max(.L_ZN2at6native6invokeIZZZNS0_21polygamma_kernel_cudaERNS_18TensorIteratorBaseElENKUlvE_clEvENKUlvE2_clEvEUlN3c108BFloat16EE_j15function_traitsIS8_EEENT1_11result_typeERKT_PrKPcPKT0_i.private_seg_size)
	.set _ZN2at6native32elementwise_kernel_manual_unrollILi128ELi8EZNS0_22gpu_kernel_impl_nocastIZZZNS0_21polygamma_kernel_cudaERNS_18TensorIteratorBaseElENKUlvE_clEvENKUlvE2_clEvEUlN3c108BFloat16EE_EEvS4_RKT_EUlibE_EEviT1_.uses_vcc, or(1, .L_ZN2at6native6invokeIZZZNS0_21polygamma_kernel_cudaERNS_18TensorIteratorBaseElENKUlvE_clEvENKUlvE2_clEvEUlN3c108BFloat16EE_j15function_traitsIS8_EEENT1_11result_typeERKT_PrKPcPKT0_i.uses_vcc)
	.set _ZN2at6native32elementwise_kernel_manual_unrollILi128ELi8EZNS0_22gpu_kernel_impl_nocastIZZZNS0_21polygamma_kernel_cudaERNS_18TensorIteratorBaseElENKUlvE_clEvENKUlvE2_clEvEUlN3c108BFloat16EE_EEvS4_RKT_EUlibE_EEviT1_.uses_flat_scratch, or(0, .L_ZN2at6native6invokeIZZZNS0_21polygamma_kernel_cudaERNS_18TensorIteratorBaseElENKUlvE_clEvENKUlvE2_clEvEUlN3c108BFloat16EE_j15function_traitsIS8_EEENT1_11result_typeERKT_PrKPcPKT0_i.uses_flat_scratch)
	.set _ZN2at6native32elementwise_kernel_manual_unrollILi128ELi8EZNS0_22gpu_kernel_impl_nocastIZZZNS0_21polygamma_kernel_cudaERNS_18TensorIteratorBaseElENKUlvE_clEvENKUlvE2_clEvEUlN3c108BFloat16EE_EEvS4_RKT_EUlibE_EEviT1_.has_dyn_sized_stack, or(0, .L_ZN2at6native6invokeIZZZNS0_21polygamma_kernel_cudaERNS_18TensorIteratorBaseElENKUlvE_clEvENKUlvE2_clEvEUlN3c108BFloat16EE_j15function_traitsIS8_EEENT1_11result_typeERKT_PrKPcPKT0_i.has_dyn_sized_stack)
	.set _ZN2at6native32elementwise_kernel_manual_unrollILi128ELi8EZNS0_22gpu_kernel_impl_nocastIZZZNS0_21polygamma_kernel_cudaERNS_18TensorIteratorBaseElENKUlvE_clEvENKUlvE2_clEvEUlN3c108BFloat16EE_EEvS4_RKT_EUlibE_EEviT1_.has_recursion, or(0, .L_ZN2at6native6invokeIZZZNS0_21polygamma_kernel_cudaERNS_18TensorIteratorBaseElENKUlvE_clEvENKUlvE2_clEvEUlN3c108BFloat16EE_j15function_traitsIS8_EEENT1_11result_typeERKT_PrKPcPKT0_i.has_recursion)
	.set _ZN2at6native32elementwise_kernel_manual_unrollILi128ELi8EZNS0_22gpu_kernel_impl_nocastIZZZNS0_21polygamma_kernel_cudaERNS_18TensorIteratorBaseElENKUlvE_clEvENKUlvE2_clEvEUlN3c108BFloat16EE_EEvS4_RKT_EUlibE_EEviT1_.has_indirect_call, or(0, .L_ZN2at6native6invokeIZZZNS0_21polygamma_kernel_cudaERNS_18TensorIteratorBaseElENKUlvE_clEvENKUlvE2_clEvEUlN3c108BFloat16EE_j15function_traitsIS8_EEENT1_11result_typeERKT_PrKPcPKT0_i.has_indirect_call)
	.section	.AMDGPU.csdata,"",@progbits
; Kernel info:
; codeLenInByte = 12632
; TotalNumSgprs: 66
; NumVgprs: 38
; ScratchSize: 0
; MemoryBound: 0
; FloatMode: 240
; IeeeMode: 1
; LDSByteSize: 0 bytes/workgroup (compile time only)
; SGPRBlocks: 0
; VGPRBlocks: 4
; NumSGPRsForWavesPerEU: 66
; NumVGPRsForWavesPerEU: 38
; Occupancy: 16
; WaveLimiterHint : 1
; COMPUTE_PGM_RSRC2:SCRATCH_EN: 0
; COMPUTE_PGM_RSRC2:USER_SGPR: 6
; COMPUTE_PGM_RSRC2:TRAP_HANDLER: 0
; COMPUTE_PGM_RSRC2:TGID_X_EN: 1
; COMPUTE_PGM_RSRC2:TGID_Y_EN: 0
; COMPUTE_PGM_RSRC2:TGID_Z_EN: 0
; COMPUTE_PGM_RSRC2:TIDIG_COMP_CNT: 0
	.text
	.p2align	2                               ; -- Begin function _ZN2at6native6invokeIZZZNS0_21polygamma_kernel_cudaERNS_18TensorIteratorBaseElENKUlvE_clEvENKUlvE2_clEvEUlN3c108BFloat16EE_i15function_traitsIS8_EEENT1_11result_typeERKT_PrKPcPKT0_PKNS6_10ScalarTypeEi
	.type	_ZN2at6native6invokeIZZZNS0_21polygamma_kernel_cudaERNS_18TensorIteratorBaseElENKUlvE_clEvENKUlvE2_clEvEUlN3c108BFloat16EE_i15function_traitsIS8_EEENT1_11result_typeERKT_PrKPcPKT0_PKNS6_10ScalarTypeEi,@function
_ZN2at6native6invokeIZZZNS0_21polygamma_kernel_cudaERNS_18TensorIteratorBaseElENKUlvE_clEvENKUlvE2_clEvEUlN3c108BFloat16EE_i15function_traitsIS8_EEENT1_11result_typeERKT_PrKPcPKT0_PKNS6_10ScalarTypeEi: ; @_ZN2at6native6invokeIZZZNS0_21polygamma_kernel_cudaERNS_18TensorIteratorBaseElENKUlvE_clEvENKUlvE2_clEvEUlN3c108BFloat16EE_i15function_traitsIS8_EEENT1_11result_typeERKT_PrKPcPKT0_PKNS6_10ScalarTypeEi
; %bb.0:
	s_waitcnt vmcnt(0) expcnt(0) lgkmcnt(0)
	v_mul_lo_u32 v1, v6, v4
	v_mov_b32_e32 v6, 10
	s_mov_b32 s5, 0
	v_cmp_gt_i16_sdwa s4, v5, v6 src0_sel:BYTE_0 src1_sel:DWORD
	v_ashrrev_i32_e32 v4, 31, v1
	v_add_co_u32 v1, vcc_lo, v2, v1
	v_add_co_ci_u32_e64 v2, null, v3, v4, vcc_lo
                                        ; implicit-def: $vgpr3
	s_and_saveexec_b32 s6, s4
	s_xor_b32 s4, exec_lo, s6
	s_cbranch_execnz .LBB119_4
; %bb.1:
	s_andn2_saveexec_b32 s4, s4
	s_cbranch_execnz .LBB119_10
.LBB119_2:
	s_or_b32 exec_lo, exec_lo, s4
                                        ; implicit-def: $vgpr1
	s_and_saveexec_b32 s8, s5
	s_cbranch_execnz .LBB119_51
.LBB119_3:
	s_or_b32 exec_lo, exec_lo, s8
	v_mov_b32_e32 v0, v1
	s_waitcnt vmcnt(0) lgkmcnt(0)
	s_setpc_b64 s[30:31]
.LBB119_4:
	v_mov_b32_e32 v3, 25
	s_mov_b32 s8, 0
	s_mov_b32 s7, 0
	v_cmp_gt_i16_sdwa s6, v5, v3 src0_sel:BYTE_0 src1_sel:DWORD
                                        ; implicit-def: $vgpr3
	s_and_saveexec_b32 s9, s6
	s_xor_b32 s6, exec_lo, s9
	s_cbranch_execnz .LBB119_100
; %bb.5:
	s_andn2_saveexec_b32 s6, s6
	s_cbranch_execnz .LBB119_131
.LBB119_6:
	s_or_b32 exec_lo, exec_lo, s6
	s_and_saveexec_b32 s6, s8
	s_cbranch_execnz .LBB119_154
.LBB119_7:
	s_or_b32 exec_lo, exec_lo, s6
	s_and_saveexec_b32 s6, s5
	s_xor_b32 s5, exec_lo, s6
	s_cbranch_execz .LBB119_9
.LBB119_8:
	flat_load_ubyte v1, v[1:2]
	s_or_b32 s7, s7, exec_lo
	s_waitcnt vmcnt(0) lgkmcnt(0)
	v_cmp_ne_u16_e32 vcc_lo, 0, v1
	v_cndmask_b32_e64 v1, 0, 1.0, vcc_lo
	v_lshrrev_b32_e32 v3, 16, v1
.LBB119_9:
	s_or_b32 exec_lo, exec_lo, s5
	s_and_b32 s5, s7, exec_lo
                                        ; implicit-def: $vgpr5
                                        ; implicit-def: $vgpr1_vgpr2
	s_andn2_saveexec_b32 s4, s4
	s_cbranch_execz .LBB119_2
.LBB119_10:
	s_waitcnt vmcnt(0) lgkmcnt(0)
	v_mov_b32_e32 v3, 4
	v_cmp_gt_i16_sdwa s6, v5, v3 src0_sel:BYTE_0 src1_sel:DWORD
                                        ; implicit-def: $vgpr3
	s_and_saveexec_b32 s7, s6
	s_xor_b32 s6, exec_lo, s7
	s_cbranch_execz .LBB119_32
; %bb.11:
	v_mov_b32_e32 v3, 7
	v_cmp_gt_i16_sdwa s7, v5, v3 src0_sel:BYTE_0 src1_sel:DWORD
                                        ; implicit-def: $vgpr3
	s_and_saveexec_b32 s8, s7
	s_xor_b32 s7, exec_lo, s8
	s_cbranch_execz .LBB119_21
; %bb.12:
	;; [unrolled: 7-line block ×4, first 2 shown]
	flat_load_dwordx2 v[1:2], v[1:2]
	s_waitcnt vmcnt(0) lgkmcnt(0)
	v_cvt_f32_f64_e32 v1, v[1:2]
	v_bfe_u32 v2, v1, 16, 1
	v_cmp_o_f32_e32 vcc_lo, v1, v1
	v_add3_u32 v1, v1, v2, 0x7fff
	v_mov_b32_e32 v2, 0x7fc0
	v_cndmask_b32_sdwa v3, v2, v1, vcc_lo dst_sel:DWORD dst_unused:UNUSED_PAD src0_sel:DWORD src1_sel:WORD_1
                                        ; implicit-def: $vgpr1_vgpr2
.LBB119_15:
	s_andn2_saveexec_b32 s9, s9
	s_cbranch_execz .LBB119_17
; %bb.16:
	flat_load_dword v1, v[1:2]
	s_waitcnt vmcnt(0) lgkmcnt(0)
	v_bfe_u32 v2, v1, 16, 1
	v_cmp_o_f32_e32 vcc_lo, v1, v1
	v_add3_u32 v1, v1, v2, 0x7fff
	v_mov_b32_e32 v2, 0x7fc0
	v_cndmask_b32_sdwa v3, v2, v1, vcc_lo dst_sel:DWORD dst_unused:UNUSED_PAD src0_sel:DWORD src1_sel:WORD_1
.LBB119_17:
	s_or_b32 exec_lo, exec_lo, s9
                                        ; implicit-def: $vgpr1_vgpr2
.LBB119_18:
	s_andn2_saveexec_b32 s8, s8
	s_cbranch_execz .LBB119_20
; %bb.19:
	flat_load_dword v1, v[1:2]
	s_waitcnt vmcnt(0) lgkmcnt(0)
	v_cvt_f32_f16_e32 v2, v1
	v_cmp_o_f16_e32 vcc_lo, v1, v1
	v_bfe_u32 v3, v2, 16, 1
	v_add3_u32 v1, v2, v3, 0x7fff
	v_mov_b32_e32 v2, 0x7fc0
	v_cndmask_b32_sdwa v3, v2, v1, vcc_lo dst_sel:DWORD dst_unused:UNUSED_PAD src0_sel:DWORD src1_sel:WORD_1
.LBB119_20:
	s_or_b32 exec_lo, exec_lo, s8
                                        ; implicit-def: $vgpr1_vgpr2
                                        ; implicit-def: $vgpr5
.LBB119_21:
	s_andn2_saveexec_b32 s7, s7
	s_cbranch_execz .LBB119_31
; %bb.22:
	v_mov_b32_e32 v3, 5
	v_cmp_gt_i16_sdwa s8, v5, v3 src0_sel:BYTE_0 src1_sel:DWORD
                                        ; implicit-def: $vgpr3
	s_and_saveexec_b32 s9, s8
	s_xor_b32 s8, exec_lo, s9
	s_cbranch_execz .LBB119_28
; %bb.23:
	v_mov_b32_e32 v3, 6
	v_cmp_gt_i16_sdwa s9, v5, v3 src0_sel:BYTE_0 src1_sel:DWORD
                                        ; implicit-def: $vgpr3
	s_and_saveexec_b32 s10, s9
	s_xor_b32 s9, exec_lo, s10
	s_cbranch_execz .LBB119_25
; %bb.24:
	flat_load_dwordx2 v[1:2], v[1:2]
	s_waitcnt vmcnt(0) lgkmcnt(0)
	v_cvt_f32_f64_e32 v1, v[1:2]
	v_bfe_u32 v2, v1, 16, 1
	v_cmp_o_f32_e32 vcc_lo, v1, v1
	v_add3_u32 v1, v1, v2, 0x7fff
	v_mov_b32_e32 v2, 0x7fc0
	v_cndmask_b32_sdwa v3, v2, v1, vcc_lo dst_sel:DWORD dst_unused:UNUSED_PAD src0_sel:DWORD src1_sel:WORD_1
                                        ; implicit-def: $vgpr1_vgpr2
.LBB119_25:
	s_andn2_saveexec_b32 s9, s9
	s_cbranch_execz .LBB119_27
; %bb.26:
	flat_load_dword v1, v[1:2]
	s_waitcnt vmcnt(0) lgkmcnt(0)
	v_bfe_u32 v2, v1, 16, 1
	v_cmp_o_f32_e32 vcc_lo, v1, v1
	v_add3_u32 v1, v1, v2, 0x7fff
	v_mov_b32_e32 v2, 0x7fc0
	v_cndmask_b32_sdwa v3, v2, v1, vcc_lo dst_sel:DWORD dst_unused:UNUSED_PAD src0_sel:DWORD src1_sel:WORD_1
.LBB119_27:
	s_or_b32 exec_lo, exec_lo, s9
                                        ; implicit-def: $vgpr1_vgpr2
.LBB119_28:
	s_andn2_saveexec_b32 s8, s8
	s_cbranch_execz .LBB119_30
; %bb.29:
	flat_load_ushort v1, v[1:2]
	s_waitcnt vmcnt(0) lgkmcnt(0)
	v_cvt_f32_f16_e32 v2, v1
	v_cmp_o_f16_e32 vcc_lo, v1, v1
	v_bfe_u32 v3, v2, 16, 1
	v_add3_u32 v1, v2, v3, 0x7fff
	v_mov_b32_e32 v2, 0x7fc0
	v_cndmask_b32_sdwa v3, v2, v1, vcc_lo dst_sel:DWORD dst_unused:UNUSED_PAD src0_sel:DWORD src1_sel:WORD_1
.LBB119_30:
	s_or_b32 exec_lo, exec_lo, s8
.LBB119_31:
	s_or_b32 exec_lo, exec_lo, s7
                                        ; implicit-def: $vgpr5
                                        ; implicit-def: $vgpr1_vgpr2
.LBB119_32:
	s_andn2_saveexec_b32 s6, s6
	s_cbranch_execz .LBB119_50
; %bb.33:
	v_mov_b32_e32 v3, 1
	v_cmp_gt_i16_sdwa s7, v5, v3 src0_sel:BYTE_0 src1_sel:DWORD
                                        ; implicit-def: $vgpr3
	s_and_saveexec_b32 s8, s7
	s_xor_b32 s7, exec_lo, s8
	s_cbranch_execz .LBB119_43
; %bb.34:
	v_mov_b32_e32 v3, 2
	v_cmp_gt_i16_sdwa s8, v5, v3 src0_sel:BYTE_0 src1_sel:DWORD
                                        ; implicit-def: $vgpr3
	s_and_saveexec_b32 s9, s8
	s_xor_b32 s8, exec_lo, s9
	;; [unrolled: 7-line block ×3, first 2 shown]
	s_cbranch_execz .LBB119_37
; %bb.36:
	flat_load_dwordx2 v[1:2], v[1:2]
	s_waitcnt vmcnt(0) lgkmcnt(0)
	v_xor_b32_e32 v3, v1, v2
	v_ffbh_i32_e32 v4, v2
	v_ashrrev_i32_e32 v3, 31, v3
	v_add_nc_u32_e32 v4, -1, v4
	v_add_nc_u32_e32 v3, 32, v3
	v_min_u32_e32 v3, v4, v3
	v_lshlrev_b64 v[1:2], v3, v[1:2]
	v_min_u32_e32 v1, 1, v1
	v_or_b32_e32 v1, v2, v1
	v_sub_nc_u32_e32 v2, 32, v3
	v_cvt_f32_i32_e32 v1, v1
	v_ldexp_f32 v1, v1, v2
	v_bfe_u32 v2, v1, 16, 1
	v_add3_u32 v1, v1, v2, 0x7fff
	v_lshrrev_b32_e32 v3, 16, v1
                                        ; implicit-def: $vgpr1_vgpr2
.LBB119_37:
	s_andn2_saveexec_b32 s9, s9
	s_cbranch_execz .LBB119_39
; %bb.38:
	flat_load_dword v1, v[1:2]
	s_waitcnt vmcnt(0) lgkmcnt(0)
	v_cvt_f32_i32_e32 v1, v1
	v_bfe_u32 v2, v1, 16, 1
	v_add3_u32 v1, v1, v2, 0x7fff
	v_lshrrev_b32_e32 v3, 16, v1
.LBB119_39:
	s_or_b32 exec_lo, exec_lo, s9
                                        ; implicit-def: $vgpr1_vgpr2
.LBB119_40:
	s_andn2_saveexec_b32 s8, s8
	s_cbranch_execz .LBB119_42
; %bb.41:
	flat_load_sshort v1, v[1:2]
	s_waitcnt vmcnt(0) lgkmcnt(0)
	v_cvt_f32_i32_e32 v1, v1
	v_bfe_u32 v2, v1, 16, 1
	v_add3_u32 v1, v1, v2, 0x7fff
	v_lshrrev_b32_e32 v3, 16, v1
.LBB119_42:
	s_or_b32 exec_lo, exec_lo, s8
                                        ; implicit-def: $vgpr1_vgpr2
                                        ; implicit-def: $vgpr5
.LBB119_43:
	s_andn2_saveexec_b32 s7, s7
	s_cbranch_execz .LBB119_49
; %bb.44:
	v_mov_b32_e32 v3, 0
	v_cmp_gt_i16_sdwa s8, v5, v3 src0_sel:BYTE_0 src1_sel:DWORD
                                        ; implicit-def: $vgpr3
	s_and_saveexec_b32 s9, s8
	s_xor_b32 s8, exec_lo, s9
	s_cbranch_execz .LBB119_46
; %bb.45:
	flat_load_sbyte v1, v[1:2]
	s_waitcnt vmcnt(0) lgkmcnt(0)
	v_cvt_f32_i32_e32 v1, v1
	v_bfe_u32 v2, v1, 16, 1
	v_add3_u32 v1, v1, v2, 0x7fff
	v_lshrrev_b32_e32 v3, 16, v1
                                        ; implicit-def: $vgpr1_vgpr2
.LBB119_46:
	s_andn2_saveexec_b32 s8, s8
	s_cbranch_execz .LBB119_48
; %bb.47:
	flat_load_ubyte v1, v[1:2]
	s_waitcnt vmcnt(0) lgkmcnt(0)
	v_cvt_f32_ubyte0_e32 v1, v1
	v_bfe_u32 v2, v1, 16, 1
	v_add3_u32 v1, v1, v2, 0x7fff
	v_lshrrev_b32_e32 v3, 16, v1
.LBB119_48:
	s_or_b32 exec_lo, exec_lo, s8
.LBB119_49:
	s_or_b32 exec_lo, exec_lo, s7
.LBB119_50:
	s_or_b32 exec_lo, exec_lo, s6
	s_or_b32 s5, s5, exec_lo
	s_or_b32 exec_lo, exec_lo, s4
                                        ; implicit-def: $vgpr1
	s_and_saveexec_b32 s8, s5
	s_cbranch_execz .LBB119_3
.LBB119_51:
	v_cvt_f32_i32_e32 v1, v0
	s_mov_b32 s5, exec_lo
	v_bfe_u32 v2, v1, 16, 1
	v_add3_u32 v1, v1, v2, 0x7fff
	v_and_b32_e32 v1, 0xffff0000, v1
	v_add_f32_e32 v1, 1.0, v1
	v_bfe_u32 v2, v1, 16, 1
	v_cmp_o_f32_e32 vcc_lo, v1, v1
	v_add3_u32 v2, v1, v2, 0x7fff
	v_and_b32_e32 v2, 0xffff0000, v2
	v_cndmask_b32_e32 v1, 0x7fc00000, v2, vcc_lo
                                        ; implicit-def: $vgpr2
	v_and_b32_e32 v4, 0x7fffffff, v1
	v_cmpx_ngt_f32_e64 0x3c800000, |v1|
	s_xor_b32 s5, exec_lo, s5
	s_cbranch_execz .LBB119_81
; %bb.52:
	s_mov_b32 s6, exec_lo
                                        ; implicit-def: $vgpr2
	v_cmpx_nlt_f32_e64 |v1|, 2.0
	s_xor_b32 s6, exec_lo, s6
	s_cbranch_execz .LBB119_62
; %bb.53:
	v_cmp_ngt_f32_e64 s4, 0x41000000, |v1|
                                        ; implicit-def: $vgpr2
	s_and_saveexec_b32 s7, s4
	s_xor_b32 s4, exec_lo, s7
	s_cbranch_execz .LBB119_59
; %bb.54:
	v_cmp_ngt_f32_e64 s7, 0x5c800000, |v1|
                                        ; implicit-def: $vgpr2
	s_and_saveexec_b32 s9, s7
	s_xor_b32 s7, exec_lo, s9
	s_cbranch_execz .LBB119_56
; %bb.55:
	v_cmp_gt_f32_e64 s9, 0x800000, |v1|
	v_cndmask_b32_e64 v2, 0, 32, s9
	v_ldexp_f32 v2, |v1|, v2
	v_log_f32_e32 v2, v2
	v_mul_f32_e32 v5, 0x3f317217, v2
	v_cmp_gt_f32_e64 vcc_lo, 0x7f800000, |v2|
	v_fma_f32 v6, 0x3f317217, v2, -v5
	v_fmamk_f32 v6, v2, 0x3377d1cf, v6
	v_add_f32_e32 v5, v5, v6
	v_cndmask_b32_e32 v2, v2, v5, vcc_lo
	v_cndmask_b32_e64 v5, 0, 0x41b17218, s9
	v_sub_f32_e32 v2, v2, v5
	v_fma_f32 v2, |v1|, v2, -|v1|
.LBB119_56:
	s_andn2_saveexec_b32 s7, s7
	s_cbranch_execz .LBB119_58
; %bb.57:
	v_cmp_gt_f32_e64 s9, 0x800000, |v1|
	v_rcp_f32_e64 v5, |v1|
	s_mov_b32 s10, 0xbad5c4e8
	v_cndmask_b32_e64 v2, 0, 32, s9
	v_ldexp_f32 v2, |v1|, v2
	v_mul_f32_e32 v6, v5, v5
	v_log_f32_e32 v2, v2
	v_fmaak_f32 v8, s10, v6, 0x3a5b3dd2
	v_fmaak_f32 v8, v6, v8, 0xba1c065c
	v_mul_f32_e32 v7, 0x3f317217, v2
	v_fmaak_f32 v8, v6, v8, 0x3a500cfd
	v_cmp_gt_f32_e64 vcc_lo, 0x7f800000, |v2|
	v_fma_f32 v9, 0x3f317217, v2, -v7
	v_fmaak_f32 v8, v6, v8, 0xbb360b61
	v_fmamk_f32 v9, v2, 0x3377d1cf, v9
	v_fmaak_f32 v6, v6, v8, 0x3daaaaab
	v_add_f32_e32 v7, v7, v9
	v_cndmask_b32_e32 v2, v2, v7, vcc_lo
	v_cndmask_b32_e64 v7, 0, 0x41b17218, s9
	v_sub_f32_e32 v7, v2, v7
	v_fmaak_f32 v2, v5, v6, 0x3ed67f1d
	v_add_f32_e64 v5, |v1|, -0.5
	v_add_f32_e32 v6, -1.0, v7
	v_fmac_f32_e32 v2, v5, v6
.LBB119_58:
	s_or_b32 exec_lo, exec_lo, s7
.LBB119_59:
	s_andn2_saveexec_b32 s7, s4
	s_cbranch_execz .LBB119_61
; %bb.60:
	v_cvt_i32_f32_e32 v2, v4
	s_mov_b32 s4, 0x36f5d7bd
	s_mov_b32 s9, 0x3805ff67
	v_cvt_f32_i32_e32 v5, v2
	v_cmp_lt_i32_e32 vcc_lo, 2, v2
	v_sub_f32_e64 v5, |v1|, v5
	v_add_f32_e32 v6, 2.0, v5
	v_add_f32_e32 v7, 0x40400000, v5
	v_add_f32_e32 v8, 4.0, v5
	v_add_f32_e32 v9, 0x40a00000, v5
	v_cndmask_b32_e32 v6, 1.0, v6, vcc_lo
	v_cmp_lt_i32_e32 vcc_lo, 3, v2
	v_cndmask_b32_e32 v7, 1.0, v7, vcc_lo
	v_cmp_lt_i32_e32 vcc_lo, 4, v2
	v_mul_f32_e32 v6, v6, v7
	v_cndmask_b32_e32 v8, 1.0, v8, vcc_lo
	v_cmp_lt_i32_e32 vcc_lo, 5, v2
	v_add_f32_e32 v7, 0x40c00000, v5
	v_mul_f32_e32 v6, v8, v6
	v_cndmask_b32_e32 v9, 1.0, v9, vcc_lo
	v_cmp_lt_i32_e32 vcc_lo, 6, v2
	v_fmaak_f32 v8, s9, v5, 0x3af135b4
	v_mul_f32_e32 v6, v9, v6
	v_cndmask_b32_e32 v2, 1.0, v7, vcc_lo
	v_mul_f32_e32 v2, v2, v6
	v_fmaak_f32 v6, s4, v5, 0x3a4beed6
	v_cmp_gt_f32_e32 vcc_lo, 0x800000, v2
	v_fmaak_f32 v6, v5, v6, 0x3c98bf54
	v_cndmask_b32_e64 v7, 0, 32, vcc_lo
	v_fmaak_f32 v6, v5, v6, 0x3e300f6e
	v_ldexp_f32 v2, v2, v7
	v_fmaak_f32 v7, v5, v8, 0x3cda40e4
	v_fmaak_f32 v6, v5, v6, 0x3f38d0c5
	v_log_f32_e32 v2, v2
	v_fmaak_f32 v7, v5, v7, 0x3e15dce6
	v_fmaak_f32 v6, v5, v6, 0x3fb22d3b
	;; [unrolled: 1-line block ×3, first 2 shown]
	v_fma_f32 v6, v5, v6, 1.0
	v_mul_f32_e32 v8, 0x3f317217, v2
	v_fmaak_f32 v7, v5, v7, 0x3e5c245a
	v_rcp_f32_e32 v6, v6
	v_cmp_gt_f32_e64 s4, 0x7f800000, |v2|
	v_fma_f32 v9, 0x3f317217, v2, -v8
	v_fmaak_f32 v7, v5, v7, 0xbd9e233f
	v_fmamk_f32 v9, v2, 0x3377d1cf, v9
	v_mul_f32_e32 v7, v5, v7
	v_add_f32_e32 v8, v8, v9
	v_mul_f32_e32 v6, v7, v6
	v_cndmask_b32_e64 v7, 0, 0x41b17218, vcc_lo
	v_cndmask_b32_e64 v2, v2, v8, s4
	v_fmac_f32_e32 v6, 0.5, v5
	v_sub_f32_e32 v2, v2, v7
	v_add_f32_e32 v2, v2, v6
.LBB119_61:
	s_or_b32 exec_lo, exec_lo, s7
.LBB119_62:
	s_andn2_saveexec_b32 s6, s6
	s_cbranch_execz .LBB119_80
; %bb.63:
	s_mov_b32 s7, exec_lo
                                        ; implicit-def: $vgpr2
                                        ; implicit-def: $vgpr6
                                        ; implicit-def: $vgpr5
	v_cmpx_ge_f32_e64 0x3f666666, |v1|
	s_xor_b32 s7, exec_lo, s7
	s_cbranch_execz .LBB119_65
; %bb.64:
	v_cmp_gt_f32_e64 s4, 0x800000, |v1|
	v_sub_f32_e64 v7, 1.0, |v1|
	v_cmp_gt_f32_e64 vcc_lo, 0x3f3b4a23, |v1|
	v_cndmask_b32_e64 v2, 0, 32, s4
	v_cndmask_b32_e64 v8, 0, 0x41b17218, s4
	v_ldexp_f32 v2, |v1|, v2
	v_log_f32_e32 v2, v2
	v_mul_f32_e32 v5, 0x3f317217, v2
	v_cmp_gt_f32_e64 s4, 0x7f800000, |v2|
	v_fma_f32 v6, 0x3f317217, v2, -v5
	v_fmamk_f32 v6, v2, 0x3377d1cf, v6
	v_add_f32_e32 v5, v5, v6
	v_add_f32_e64 v6, 0xbeec5b0c, |v1|
	v_cndmask_b32_e64 v2, v2, v5, s4
	v_cndmask_b32_e32 v5, v7, v6, vcc_lo
	v_cndmask_b32_e64 v6, 0, 1, vcc_lo
	v_cmp_gt_f32_e64 s4, 0x3e6d3309, |v1|
	v_sub_f32_e32 v2, v2, v8
	v_cndmask_b32_e64 v5, v5, |v1|, s4
	v_cndmask_b32_e64 v6, v6, 2, s4
	v_xor_b32_e32 v2, 0x80000000, v2
.LBB119_65:
	s_andn2_saveexec_b32 s4, s7
	s_cbranch_execz .LBB119_67
; %bb.66:
	v_sub_f32_e64 v2, 2.0, |v1|
	v_add_f32_e64 v5, 0xbfbb16c3, |v1|
	v_cmp_gt_f32_e64 vcc_lo, 0x3fdda512, |v1|
	v_add_f32_e64 v6, |v1|, -1.0
	v_cndmask_b32_e32 v5, v2, v5, vcc_lo
	v_cndmask_b32_e64 v2, v2, 1.0, vcc_lo
	v_cmp_gt_f32_e64 vcc_lo, 0x3f9d70a4, |v1|
	v_cvt_i32_f32_e32 v2, v2
	v_cndmask_b32_e32 v5, v5, v6, vcc_lo
	v_cndmask_b32_e64 v6, v2, 2, vcc_lo
	v_mov_b32_e32 v2, 0
.LBB119_67:
	s_or_b32 exec_lo, exec_lo, s4
	s_mov_b32 s4, exec_lo
	v_cmpx_lt_i32_e32 0, v6
	s_xor_b32 s4, exec_lo, s4
	s_cbranch_execz .LBB119_75
; %bb.68:
	s_mov_b32 s7, exec_lo
	v_cmpx_lt_i32_e32 1, v6
	s_xor_b32 s7, exec_lo, s7
	s_cbranch_execz .LBB119_72
; %bb.69:
	s_mov_b32 s9, exec_lo
	v_cmpx_eq_u32_e32 2, v6
	s_cbranch_execz .LBB119_71
; %bb.70:
	s_mov_b32 s10, 0x3b52d5db
	v_fmaak_f32 v6, s10, v5, 0x3dd572af
	s_mov_b32 s10, 0x3c5b3c5e
	v_fmaak_f32 v7, s10, v5, 0x3e6a7578
	v_fmaak_f32 v6, v5, v6, 0x3f44efdf
	;; [unrolled: 1-line block ×7, first 2 shown]
	v_fma_f32 v6, v5, v6, 1.0
	v_fmaak_f32 v7, v5, v7, 0xbd9e233f
	v_rcp_f32_e32 v6, v6
	v_mul_f32_e32 v7, v5, v7
	v_mul_f32_e32 v6, v7, v6
	v_fmac_f32_e32 v6, -0.5, v5
	v_add_f32_e32 v2, v2, v6
.LBB119_71:
	s_or_b32 exec_lo, exec_lo, s9
                                        ; implicit-def: $vgpr5
.LBB119_72:
	s_andn2_saveexec_b32 s7, s7
	s_cbranch_execz .LBB119_74
; %bb.73:
	v_mul_f32_e32 v6, v5, v5
	s_mov_b32 s9, 0xb9a3f927
	s_mov_b32 s10, 0x39afe9f7
	v_mul_f32_e32 v7, v5, v6
	v_fmaak_f32 v8, s9, v7, 0x3a66f867
	v_fmaak_f32 v9, s10, v7, 0xba0d3085
	s_mov_b32 s9, 0x39a57b6b
	v_fmaak_f32 v10, s9, v7, 0xbab7f476
	v_fmaak_f32 v8, v7, v8, 0xbb7177fe
	;; [unrolled: 1-line block ×9, first 2 shown]
	v_fmac_f32_e32 v8, v5, v9
	v_fmaak_f32 v5, v7, v10, 0x3ef7b95e
	v_fma_f32 v7, v7, -v8, 0xa2863e55
	v_fma_f32 v5, v6, v5, -v7
	v_add_f32_e32 v5, 0xbdf8cdce, v5
	v_add_f32_e32 v2, v2, v5
.LBB119_74:
	s_or_b32 exec_lo, exec_lo, s7
                                        ; implicit-def: $vgpr6
                                        ; implicit-def: $vgpr5
.LBB119_75:
	s_andn2_saveexec_b32 s4, s4
	s_cbranch_execz .LBB119_79
; %bb.76:
	s_mov_b32 s7, exec_lo
	v_cmpx_eq_u32_e32 0, v6
	s_cbranch_execz .LBB119_78
; %bb.77:
	v_mul_f32_e32 v6, v5, v5
	s_mov_b32 s9, 0x383c2c75
	v_fmaak_f32 v7, s9, v6, 0x38e28445
	s_mov_b32 s9, 0x37d383a2
	v_fmaak_f32 v8, s9, v6, 0x39679767
	v_fmaak_f32 v7, v6, v7, 0x3a05b634
	;; [unrolled: 1-line block ×9, first 2 shown]
	v_mul_f32_e32 v6, v6, v7
	v_fmac_f32_e32 v6, v5, v8
	v_fmac_f32_e32 v6, -0.5, v5
	v_add_f32_e32 v2, v2, v6
.LBB119_78:
	s_or_b32 exec_lo, exec_lo, s7
.LBB119_79:
	s_or_b32 exec_lo, exec_lo, s4
.LBB119_80:
	s_or_b32 exec_lo, exec_lo, s6
.LBB119_81:
	s_andn2_saveexec_b32 s4, s5
	s_cbranch_execz .LBB119_83
; %bb.82:
	v_cmp_gt_f32_e64 s5, 0x800000, |v1|
	s_mov_b32 s6, 0x3e8a8991
	v_fma_f32 v7, |v1|, s6, 0xbecd26ab
	v_cndmask_b32_e64 v2, 0, 32, s5
	v_ldexp_f32 v2, |v1|, v2
	v_log_f32_e32 v2, v2
	v_mul_f32_e32 v5, 0x3f317217, v2
	v_cmp_gt_f32_e64 vcc_lo, 0x7f800000, |v2|
	v_fma_f32 v6, 0x3f317217, v2, -v5
	v_fmamk_f32 v6, v2, 0x3377d1cf, v6
	v_add_f32_e32 v5, v5, v6
	v_fma_f32 v6, |v1|, v7, 0x3f528d33
	v_cndmask_b32_e32 v2, v2, v5, vcc_lo
	v_cndmask_b32_e64 v5, 0, 0x41b17218, s5
	v_fma_f32 v6, |v1|, v6, 0xbf13c468
	v_sub_f32_e32 v2, v2, v5
	v_fma_f32 v2, |v1|, v6, -v2
.LBB119_83:
	s_or_b32 exec_lo, exec_lo, s4
	v_cmp_le_f32_e64 s4, 0, v1
	s_mov_b32 s5, exec_lo
	v_cmpx_nle_f32_e32 0, v1
	s_xor_b32 s6, exec_lo, s5
	s_cbranch_execz .LBB119_87
; %bb.84:
	v_cmp_gt_f32_e64 s5, 0x4b000000, |v1|
	v_cmp_lt_f32_e64 s7, 0x35000000, |v1|
	s_and_b32 s5, s5, s7
	s_and_saveexec_b32 s7, s5
	s_cbranch_execz .LBB119_86
; %bb.85:
	v_mul_f32_e64 v5, |v1|, 0.5
	v_cmp_gt_f32_e64 s5, |v1|, 1.0
	s_mov_b32 s9, 0x3d4be544
	v_floor_f32_e32 v6, v5
	v_cmp_neq_f32_e32 vcc_lo, 0x7f800000, v5
	v_sub_f32_e32 v6, v5, v6
	v_min_f32_e32 v6, 0x3f7fffff, v6
	v_add_f32_e32 v6, v6, v6
	v_cndmask_b32_e32 v5, 0, v6, vcc_lo
	v_cndmask_b32_e64 v5, |v1|, v5, s5
	s_mov_b32 s5, 0x3e75aa41
	v_add_f32_e32 v6, v5, v5
	v_rndne_f32_e32 v6, v6
	v_fmac_f32_e32 v5, -0.5, v6
	v_cvt_i32_f32_e32 v6, v6
	v_mul_f32_e32 v7, v5, v5
	v_fmaak_f32 v8, s5, v7, 0xbf1f24be
	v_fmaak_f32 v9, s9, v7, 0x3e642e9d
	v_mul_f32_e32 v10, v5, v7
	v_fmaak_f32 v8, v7, v8, 0x40234736
	v_fmaak_f32 v9, v7, v9, 0xbfaad1da
	;; [unrolled: 1-line block ×4, first 2 shown]
	v_mul_f32_e32 v8, v10, v8
	v_fmaak_f32 v9, v7, v9, 0xc09de9e6
	v_and_b32_e32 v10, 1, v6
	v_lshlrev_b32_e32 v6, 30, v6
	v_fmamk_f32 v5, v5, 0x40490fdb, v8
	v_fma_f32 v7, v7, v9, 1.0
	v_cmp_eq_u32_e32 vcc_lo, 0, v10
	v_and_or_b32 v4, 0x80000000, v6, v4
	v_cndmask_b32_e32 v5, v7, v5, vcc_lo
	v_xor3_b32 v4, v4, v5, v1
	v_mul_f32_e32 v4, v1, v4
	v_frexp_mant_f32_e64 v5, |v4|
	v_frexp_exp_i32_f32_e32 v4, v4
	v_rcp_f32_e32 v5, v5
	v_sub_nc_u32_e32 v4, 2, v4
	v_mul_f32_e32 v5, 0x3f490fdb, v5
	v_ldexp_f32 v4, v5, v4
	v_cmp_gt_f32_e32 vcc_lo, 0x800000, v4
	v_cndmask_b32_e64 v5, 0, 32, vcc_lo
	v_ldexp_f32 v4, v4, v5
	v_log_f32_e32 v4, v4
	v_mul_f32_e32 v5, 0x3f317217, v4
	v_cmp_gt_f32_e64 s5, 0x7f800000, |v4|
	v_fma_f32 v6, 0x3f317217, v4, -v5
	v_fmamk_f32 v6, v4, 0x3377d1cf, v6
	v_add_f32_e32 v5, v5, v6
	v_floor_f32_e32 v6, v1
	v_cndmask_b32_e64 v4, v4, v5, s5
	v_cndmask_b32_e64 v5, 0, 0x41b17218, vcc_lo
	v_sub_f32_e32 v6, v1, v6
	v_sub_f32_e32 v4, v4, v5
	v_min_f32_e32 v5, 0x3f7fffff, v6
	v_sub_f32_e32 v2, v4, v2
	v_cmp_neq_f32_e32 vcc_lo, 0, v5
	v_cndmask_b32_e32 v2, 0x7f800000, v2, vcc_lo
.LBB119_86:
	s_or_b32 exec_lo, exec_lo, s7
.LBB119_87:
	s_andn2_saveexec_b32 s6, s6
; %bb.88:
	v_cmp_eq_f32_e32 vcc_lo, 1.0, v1
	v_cmp_eq_f32_e64 s5, 2.0, v1
	s_or_b32 s5, vcc_lo, s5
	v_cndmask_b32_e64 v2, v2, 0, s5
; %bb.89:
	s_or_b32 exec_lo, exec_lo, s6
	v_add_nc_u32_e32 v4, 1, v0
	v_mov_b32_e32 v8, 0x7f800000
	s_mov_b32 s9, exec_lo
	v_cvt_f32_i32_e32 v4, v4
	v_bfe_u32 v5, v4, 16, 1
	v_add3_u32 v4, v4, v5, 0x7fff
	v_and_b32_e32 v4, 0xffff0000, v4
	v_cmpx_neq_f32_e32 1.0, v4
	s_cbranch_execz .LBB119_176
; %bb.90:
	v_mov_b32_e32 v8, 0x7fc00000
	s_mov_b32 s10, exec_lo
	v_cmpx_ngt_f32_e32 1.0, v4
	s_cbranch_execz .LBB119_175
; %bb.91:
	s_waitcnt vmcnt(0) lgkmcnt(0)
	v_lshlrev_b32_e32 v3, 16, v3
	s_mov_b32 s6, 0
	s_mov_b32 s7, -1
	s_mov_b32 s5, exec_lo
                                        ; implicit-def: $vgpr8
	v_cmpx_ge_f32_e32 0, v3
	s_cbranch_execz .LBB119_95
; %bb.92:
	v_floor_f32_e32 v5, v3
	v_mov_b32_e32 v8, 0x7f800000
	s_mov_b32 s7, exec_lo
	v_cmpx_neq_f32_e32 v5, v3
; %bb.93:
	v_floor_f32_e32 v5, v4
	v_mov_b32_e32 v8, 0x7fc00000
	v_cmp_eq_f32_e32 vcc_lo, v5, v4
	s_and_b32 s6, vcc_lo, exec_lo
; %bb.94:
	s_or_b32 exec_lo, exec_lo, s7
	s_orn2_b32 s7, s6, exec_lo
.LBB119_95:
	s_or_b32 exec_lo, exec_lo, s5
	s_and_saveexec_b32 s11, s7
	s_cbranch_execz .LBB119_174
; %bb.96:
	v_xor_b32_e32 v5, 0x80000000, v4
	v_cmp_o_f32_e32 vcc_lo, v4, v4
	s_mov_b32 s12, 0x3e76c4e1
	s_mov_b32 s17, 0
                                        ; implicit-def: $sgpr16
                                        ; implicit-def: $sgpr15
	v_bfe_u32 v6, v5, 16, 1
	v_add3_u32 v5, v5, v6, 0x7fff
	v_and_b32_e32 v5, 0xffff0000, v5
	v_cndmask_b32_e32 v6, 0x7fc00000, v5, vcc_lo
	v_cmp_neq_f32_e32 vcc_lo, 1.0, v3
	v_cndmask_b32_e32 v5, 1.0, v6, vcc_lo
	v_cmp_neq_f32_e32 vcc_lo, 0, v5
	v_cmp_neq_f32_e64 s13, v5, |v5|
	v_cndmask_b32_e32 v9, 1.0, v3, vcc_lo
	v_frexp_mant_f32_e64 v7, |v9|
	v_cmp_lt_f32_e64 s14, |v9|, 1.0
	v_cmp_eq_f32_e64 s7, 0, v9
	v_cmp_gt_f32_e32 vcc_lo, 0x3f2aaaab, v7
	s_xor_b32 s13, s13, s14
                                        ; implicit-def: $sgpr14
	v_cndmask_b32_e64 v8, 1.0, 2.0, vcc_lo
	v_mul_f32_e32 v7, v7, v8
	v_add_f32_e32 v8, 1.0, v7
	v_add_f32_e32 v11, -1.0, v7
	v_rcp_f32_e32 v10, v8
	v_add_f32_e32 v13, -1.0, v8
	v_sub_f32_e32 v7, v7, v13
	v_mul_f32_e32 v12, v11, v10
	v_mul_f32_e32 v14, v8, v12
	v_fma_f32 v8, v12, v8, -v14
	v_fmac_f32_e32 v8, v12, v7
	v_add_f32_e32 v7, v14, v8
	v_sub_f32_e32 v13, v11, v7
	v_sub_f32_e32 v14, v7, v14
	;; [unrolled: 1-line block ×5, first 2 shown]
	v_add_f32_e32 v7, v8, v7
	v_add_f32_e32 v7, v13, v7
	v_mul_f32_e32 v7, v10, v7
	v_add_f32_e32 v10, v12, v7
	v_sub_f32_e32 v8, v10, v12
	v_mul_f32_e32 v11, v10, v10
	v_sub_f32_e32 v12, v7, v8
	v_fma_f32 v7, v10, v10, -v11
	v_add_f32_e32 v8, v12, v12
	v_fmac_f32_e32 v7, v10, v8
	v_add_f32_e32 v13, v11, v7
	v_fmaak_f32 v8, s12, v13, 0x3e91f4c4
	v_sub_f32_e32 v11, v13, v11
	v_mul_f32_e32 v18, v10, v13
	v_fmaak_f32 v8, v13, v8, 0x3ecccdef
	v_sub_f32_e32 v11, v7, v11
	v_fma_f32 v19, v13, v10, -v18
	v_mul_f32_e32 v14, v13, v8
	v_fmac_f32_e32 v19, v13, v12
	v_ldexp_f32 v12, v12, 1
	v_fma_f32 v15, v13, v8, -v14
	v_fmac_f32_e32 v19, v11, v10
	v_fmac_f32_e32 v15, v11, v8
	v_cvt_f64_f32_e64 v[7:8], |v9|
	v_add_f32_e32 v16, v14, v15
	v_sub_f32_e32 v14, v16, v14
	v_add_f32_e32 v17, 0x3f2aaaaa, v16
	v_sub_f32_e32 v14, v15, v14
	v_add_f32_e32 v15, 0xbf2aaaaa, v17
	v_add_f32_e32 v14, 0x31739010, v14
	v_sub_f32_e32 v15, v16, v15
	v_frexp_exp_i32_f64_e32 v7, v[7:8]
	v_add_f32_e32 v13, v14, v15
	v_add_f32_e32 v14, v18, v19
	;; [unrolled: 1-line block ×3, first 2 shown]
	v_sub_f32_e32 v16, v14, v18
	v_sub_f32_e32 v8, v17, v11
	v_mul_f32_e32 v15, v14, v11
	v_sub_f32_e32 v16, v19, v16
	v_add_f32_e32 v8, v13, v8
	v_fma_f32 v13, v14, v11, -v15
	v_subrev_co_ci_u32_e64 v7, null, 0, v7, vcc_lo
	v_fmac_f32_e32 v13, v14, v8
	v_ldexp_f32 v8, v10, 1
	v_cvt_f32_i32_e32 v7, v7
	v_fmac_f32_e32 v13, v16, v11
	v_add_f32_e32 v10, v15, v13
	v_add_f32_e32 v11, v8, v10
	v_sub_f32_e32 v14, v10, v15
	v_mul_f32_e32 v15, 0x3f317218, v7
	v_sub_f32_e32 v8, v11, v8
	v_sub_f32_e32 v13, v13, v14
	v_fma_f32 v14, 0x3f317218, v7, -v15
	v_sub_f32_e32 v8, v10, v8
	v_add_f32_e32 v10, v12, v13
	v_fmac_f32_e32 v14, 0xb102e308, v7
	v_add_f32_e32 v7, v10, v8
	v_add_f32_e32 v8, v15, v14
	v_add_f32_e32 v10, v11, v7
	v_sub_f32_e32 v15, v8, v15
	v_add_f32_e32 v12, v8, v10
	v_sub_f32_e32 v11, v10, v11
	v_sub_f32_e32 v14, v14, v15
	;; [unrolled: 1-line block ×6, first 2 shown]
	v_add_f32_e32 v11, v14, v7
	v_sub_f32_e32 v8, v8, v16
	v_add_f32_e32 v8, v10, v8
	v_sub_f32_e32 v10, v11, v14
	v_add_f32_e32 v8, v11, v8
	v_sub_f32_e32 v11, v11, v10
	v_sub_f32_e32 v7, v7, v10
	v_add_f32_e32 v13, v12, v8
	v_sub_f32_e32 v10, v14, v11
	v_sub_f32_e32 v11, v13, v12
	v_add_f32_e32 v7, v7, v10
	v_sub_f32_e32 v8, v8, v11
	v_add_f32_e32 v7, v7, v8
	v_add_f32_e32 v8, v13, v7
	v_sub_f32_e32 v10, v8, v13
	v_mul_f32_e32 v11, v5, v8
	v_sub_f32_e32 v7, v7, v10
	v_fma_f32 v8, v5, v8, -v11
	v_cmp_class_f32_e64 vcc_lo, v11, 0x204
	v_fmac_f32_e32 v8, v5, v7
	v_add_f32_e32 v7, v11, v8
	v_cndmask_b32_e32 v10, v7, v11, vcc_lo
	v_sub_f32_e32 v7, v7, v11
	v_cmp_eq_f32_e32 vcc_lo, 0x42b17218, v10
	v_sub_f32_e32 v7, v8, v7
	v_cndmask_b32_e64 v12, 0, 0x37000000, vcc_lo
	v_cmp_neq_f32_e64 vcc_lo, 0x7f800000, |v10|
	v_sub_f32_e32 v13, v10, v12
	v_cndmask_b32_e32 v7, 0, v7, vcc_lo
	v_trunc_f32_e32 v10, v5
	v_mul_f32_e32 v14, 0x3fb8aa3b, v13
	v_cmp_ngt_f32_e32 vcc_lo, 0xc2ce8ed0, v13
	v_add_f32_e32 v7, v12, v7
	v_fma_f32 v15, 0x3fb8aa3b, v13, -v14
	v_rndne_f32_e32 v16, v14
	v_fmac_f32_e32 v15, 0x32a5705f, v13
	v_sub_f32_e32 v14, v14, v16
	v_cvt_i32_f32_e32 v11, v16
	v_add_f32_e32 v14, v14, v15
	v_exp_f32_e32 v14, v14
	v_ldexp_f32 v8, v14, v11
	v_mul_f32_e32 v11, 0.5, v5
	v_cndmask_b32_e32 v8, 0, v8, vcc_lo
	v_cmp_nlt_f32_e32 vcc_lo, 0x42b17218, v13
	v_trunc_f32_e32 v14, v11
	v_cndmask_b32_e32 v8, 0x7f800000, v8, vcc_lo
	v_cmp_eq_f32_e32 vcc_lo, v10, v5
	v_cmp_neq_f32_e64 s5, v14, v11
	v_fma_f32 v7, v8, v7, v8
	v_cmp_class_f32_e64 s6, v8, 0x204
	s_and_b32 s5, vcc_lo, s5
	v_cndmask_b32_e64 v10, 1.0, v9, s5
	v_cndmask_b32_e64 v7, v7, v8, s6
	v_cndmask_b32_e64 v8, 0x7f800000, 0, s13
	v_cmp_gt_f32_e64 s6, 0, v5
	s_mov_b32 s13, 0
	v_bfi_b32 v7, 0x7fffffff, v7, v10
	s_xor_b32 s6, s6, s7
	v_cndmask_b32_e64 v11, 0x7f800000, 0, s6
	v_cndmask_b32_e32 v10, 0x7fc00000, v7, vcc_lo
	v_cmp_neq_f32_e64 vcc_lo, |v9|, 1.0
	v_cndmask_b32_e32 v8, 1.0, v8, vcc_lo
	v_cmp_gt_f32_e32 vcc_lo, 0, v9
	v_cndmask_b32_e32 v7, v7, v10, vcc_lo
	v_cndmask_b32_e64 v10, 0, v9, s5
	v_cmp_class_f32_e64 vcc_lo, v5, 0x204
	v_cmp_class_f32_e64 s5, v9, 0x204
	v_cndmask_b32_e32 v7, v7, v8, vcc_lo
	v_bfi_b32 v8, 0x7fffffff, v11, v10
	s_or_b32 vcc_lo, s7, s5
	v_cndmask_b32_e32 v7, v7, v8, vcc_lo
	v_cmp_o_f32_e32 vcc_lo, v9, v5
	v_cndmask_b32_e32 v5, 0x7fc00000, v7, vcc_lo
	s_branch .LBB119_98
.LBB119_97:                             ;   in Loop: Header=BB119_98 Depth=1
	s_or_b32 exec_lo, exec_lo, s5
	s_and_b32 s5, exec_lo, s16
	s_or_b32 s13, s5, s13
	s_andn2_b32 s5, s14, exec_lo
	s_and_b32 s6, s15, exec_lo
	s_or_b32 s14, s5, s6
	s_andn2_b32 exec_lo, exec_lo, s13
	s_cbranch_execz .LBB119_155
.LBB119_98:                             ; =>This Inner Loop Header: Depth=1
	v_add_f32_e32 v3, 1.0, v3
	s_or_b32 s15, s15, exec_lo
	s_or_b32 s16, s16, exec_lo
	v_cmp_neq_f32_e32 vcc_lo, 1.0, v3
	v_cndmask_b32_e32 v9, 1.0, v6, vcc_lo
	v_cmp_neq_f32_e32 vcc_lo, 0, v9
	v_cmp_neq_f32_e64 s18, v9, |v9|
	v_cndmask_b32_e32 v10, 1.0, v3, vcc_lo
	v_frexp_mant_f32_e64 v7, |v10|
	v_cmp_lt_f32_e64 s19, |v10|, 1.0
	v_cmp_eq_f32_e64 s7, 0, v10
	v_cmp_gt_f32_e32 vcc_lo, 0x3f2aaaab, v7
	s_xor_b32 s18, s18, s19
	v_cndmask_b32_e64 v8, 1.0, 2.0, vcc_lo
	v_mul_f32_e32 v7, v7, v8
	v_add_f32_e32 v8, 1.0, v7
	v_add_f32_e32 v12, -1.0, v7
	v_rcp_f32_e32 v11, v8
	v_add_f32_e32 v14, -1.0, v8
	v_sub_f32_e32 v7, v7, v14
	v_mul_f32_e32 v13, v12, v11
	v_mul_f32_e32 v15, v8, v13
	v_fma_f32 v8, v13, v8, -v15
	v_fmac_f32_e32 v8, v13, v7
	v_add_f32_e32 v7, v15, v8
	v_sub_f32_e32 v14, v12, v7
	v_sub_f32_e32 v15, v7, v15
	;; [unrolled: 1-line block ×5, first 2 shown]
	v_add_f32_e32 v7, v8, v7
	v_add_f32_e32 v7, v14, v7
	v_mul_f32_e32 v7, v11, v7
	v_add_f32_e32 v11, v13, v7
	v_sub_f32_e32 v8, v11, v13
	v_mul_f32_e32 v12, v11, v11
	v_sub_f32_e32 v13, v7, v8
	v_fma_f32 v7, v11, v11, -v12
	v_add_f32_e32 v8, v13, v13
	v_fmac_f32_e32 v7, v11, v8
	v_add_f32_e32 v14, v12, v7
	v_fmaak_f32 v8, s12, v14, 0x3e91f4c4
	v_sub_f32_e32 v12, v14, v12
	v_mul_f32_e32 v19, v11, v14
	v_fmaak_f32 v8, v14, v8, 0x3ecccdef
	v_sub_f32_e32 v12, v7, v12
	v_fma_f32 v20, v14, v11, -v19
	v_mul_f32_e32 v15, v14, v8
	v_fmac_f32_e32 v20, v14, v13
	v_ldexp_f32 v13, v13, 1
	v_fma_f32 v16, v14, v8, -v15
	v_fmac_f32_e32 v20, v12, v11
	v_fmac_f32_e32 v16, v12, v8
	v_cvt_f64_f32_e64 v[7:8], |v10|
	v_add_f32_e32 v17, v15, v16
	v_sub_f32_e32 v15, v17, v15
	v_add_f32_e32 v18, 0x3f2aaaaa, v17
	v_sub_f32_e32 v15, v16, v15
	v_add_f32_e32 v16, 0xbf2aaaaa, v18
	v_add_f32_e32 v15, 0x31739010, v15
	v_sub_f32_e32 v16, v17, v16
	v_frexp_exp_i32_f64_e32 v7, v[7:8]
	v_add_f32_e32 v14, v15, v16
	v_add_f32_e32 v15, v19, v20
	;; [unrolled: 1-line block ×3, first 2 shown]
	v_sub_f32_e32 v17, v15, v19
	v_sub_f32_e32 v8, v18, v12
	v_mul_f32_e32 v16, v15, v12
	v_sub_f32_e32 v17, v20, v17
	v_add_f32_e32 v8, v14, v8
	v_fma_f32 v14, v15, v12, -v16
	v_subrev_co_ci_u32_e64 v7, null, 0, v7, vcc_lo
	v_fmac_f32_e32 v14, v15, v8
	v_ldexp_f32 v8, v11, 1
	v_cvt_f32_i32_e32 v7, v7
	v_fmac_f32_e32 v14, v17, v12
	v_add_f32_e32 v11, v16, v14
	v_add_f32_e32 v12, v8, v11
	v_sub_f32_e32 v15, v11, v16
	v_mul_f32_e32 v16, 0x3f317218, v7
	v_sub_f32_e32 v8, v12, v8
	v_sub_f32_e32 v14, v14, v15
	v_fma_f32 v15, 0x3f317218, v7, -v16
	v_sub_f32_e32 v8, v11, v8
	v_add_f32_e32 v11, v13, v14
	v_fmac_f32_e32 v15, 0xb102e308, v7
	v_add_f32_e32 v7, v11, v8
	v_add_f32_e32 v8, v16, v15
	v_add_f32_e32 v11, v12, v7
	v_sub_f32_e32 v16, v8, v16
	v_add_f32_e32 v13, v8, v11
	v_sub_f32_e32 v12, v11, v12
	v_sub_f32_e32 v15, v15, v16
	;; [unrolled: 1-line block ×6, first 2 shown]
	v_add_f32_e32 v12, v15, v7
	v_sub_f32_e32 v8, v8, v17
	v_add_f32_e32 v8, v11, v8
	v_sub_f32_e32 v11, v12, v15
	;; [unrolled: 2-line block ×3, first 2 shown]
	v_sub_f32_e32 v7, v7, v11
	v_add_f32_e32 v14, v13, v8
	v_sub_f32_e32 v11, v15, v12
	v_sub_f32_e32 v12, v14, v13
	v_add_f32_e32 v7, v7, v11
	v_sub_f32_e32 v8, v8, v12
	v_add_f32_e32 v7, v7, v8
	v_add_f32_e32 v8, v14, v7
	v_sub_f32_e32 v11, v8, v14
	v_mul_f32_e32 v12, v9, v8
	v_sub_f32_e32 v7, v7, v11
	v_fma_f32 v8, v9, v8, -v12
	v_cmp_class_f32_e64 vcc_lo, v12, 0x204
	v_fmac_f32_e32 v8, v9, v7
	v_add_f32_e32 v7, v12, v8
	v_cndmask_b32_e32 v11, v7, v12, vcc_lo
	v_sub_f32_e32 v7, v7, v12
	v_cmp_eq_f32_e32 vcc_lo, 0x42b17218, v11
	v_sub_f32_e32 v7, v8, v7
	v_cndmask_b32_e64 v13, 0, 0x37000000, vcc_lo
	v_cmp_neq_f32_e64 vcc_lo, 0x7f800000, |v11|
	v_sub_f32_e32 v14, v11, v13
	v_cndmask_b32_e32 v7, 0, v7, vcc_lo
	v_trunc_f32_e32 v11, v9
	v_mul_f32_e32 v15, 0x3fb8aa3b, v14
	v_cmp_ngt_f32_e32 vcc_lo, 0xc2ce8ed0, v14
	v_add_f32_e32 v7, v13, v7
	v_fma_f32 v16, 0x3fb8aa3b, v14, -v15
	v_rndne_f32_e32 v17, v15
	v_fmac_f32_e32 v16, 0x32a5705f, v14
	v_sub_f32_e32 v15, v15, v17
	v_cvt_i32_f32_e32 v12, v17
	v_add_f32_e32 v15, v15, v16
	v_exp_f32_e32 v15, v15
	v_ldexp_f32 v8, v15, v12
	v_mul_f32_e32 v12, 0.5, v9
	v_cndmask_b32_e32 v8, 0, v8, vcc_lo
	v_cmp_nlt_f32_e32 vcc_lo, 0x42b17218, v14
	v_trunc_f32_e32 v15, v12
	v_cndmask_b32_e32 v8, 0x7f800000, v8, vcc_lo
	v_cmp_eq_f32_e32 vcc_lo, v11, v9
	v_cmp_neq_f32_e64 s5, v15, v12
	v_fma_f32 v7, v8, v7, v8
	v_cmp_class_f32_e64 s6, v8, 0x204
	s_and_b32 s5, vcc_lo, s5
	v_cndmask_b32_e64 v11, 1.0, v10, s5
	v_cndmask_b32_e64 v13, 0, v10, s5
	v_cndmask_b32_e64 v7, v7, v8, s6
	;; [unrolled: 1-line block ×3, first 2 shown]
	v_cmp_gt_f32_e64 s6, 0, v9
	v_cmp_class_f32_e64 s5, v10, 0x204
	v_bfi_b32 v7, 0x7fffffff, v7, v11
	s_xor_b32 s6, s6, s7
	v_cndmask_b32_e64 v11, 0x7f800000, 0, s6
	v_cndmask_b32_e32 v12, 0x7fc00000, v7, vcc_lo
	v_cmp_neq_f32_e64 vcc_lo, |v10|, 1.0
	v_bfi_b32 v11, 0x7fffffff, v11, v13
	v_cndmask_b32_e32 v8, 1.0, v8, vcc_lo
	v_cmp_gt_f32_e32 vcc_lo, 0, v10
	v_cndmask_b32_e32 v7, v7, v12, vcc_lo
	v_cmp_class_f32_e64 vcc_lo, v9, 0x204
	v_cndmask_b32_e32 v7, v7, v8, vcc_lo
	s_or_b32 vcc_lo, s7, s5
	v_cndmask_b32_e32 v7, v7, v11, vcc_lo
	v_cmp_o_f32_e32 vcc_lo, v10, v9
	v_cndmask_b32_e32 v7, 0x7fc00000, v7, vcc_lo
	v_add_f32_e32 v5, v5, v7
	v_mul_f32_e32 v8, 0xa5000000, v5
	v_mul_f32_e32 v9, 0x25000000, v5
	v_cmp_nlt_f32_e32 vcc_lo, v8, v7
	v_cmp_nlt_f32_e64 s5, v7, v9
	s_or_b32 s6, vcc_lo, s5
	s_and_saveexec_b32 s5, s6
	s_cbranch_execz .LBB119_97
; %bb.99:                               ;   in Loop: Header=BB119_98 Depth=1
	s_add_i32 s6, s17, 1
	v_cmp_nge_f32_e32 vcc_lo, 0x41100000, v3
	s_cmp_gt_u32 s17, 7
	s_mov_b32 s17, s6
	s_cselect_b32 s7, -1, 0
	s_andn2_b32 s16, s16, exec_lo
	s_and_b32 s7, s7, vcc_lo
	s_andn2_b32 s15, s15, exec_lo
	s_and_b32 s7, s7, exec_lo
	s_or_b32 s16, s16, s7
	s_branch .LBB119_97
.LBB119_100:
	v_mov_b32_e32 v3, 28
	s_mov_b32 s9, 0
	v_cmp_gt_i16_sdwa s7, v5, v3 src0_sel:BYTE_0 src1_sel:DWORD
                                        ; implicit-def: $vgpr3
	s_and_saveexec_b32 s10, s7
	s_xor_b32 s7, exec_lo, s10
	s_cbranch_execz .LBB119_116
; %bb.101:
	v_mov_b32_e32 v3, 43
	s_mov_b32 s10, 0
	s_mov_b32 s11, 0
	v_cmp_gt_i16_sdwa s8, v5, v3 src0_sel:BYTE_0 src1_sel:DWORD
                                        ; implicit-def: $vgpr3
	s_and_saveexec_b32 s9, s8
	s_xor_b32 s8, exec_lo, s9
	s_cbranch_execz .LBB119_111
; %bb.102:
	v_mov_b32_e32 v3, 45
	s_mov_b32 s9, 0
	v_cmp_gt_i16_sdwa s11, v5, v3 src0_sel:BYTE_0 src1_sel:DWORD
                                        ; implicit-def: $vgpr3
	s_and_saveexec_b32 s12, s11
	s_xor_b32 s11, exec_lo, s12
	s_cbranch_execz .LBB119_106
; %bb.103:
	v_mov_b32_e32 v3, 46
	s_mov_b32 s12, -1
	v_cmp_eq_u16_sdwa s13, v5, v3 src0_sel:BYTE_0 src1_sel:DWORD
                                        ; implicit-def: $vgpr3
	s_and_saveexec_b32 s10, s13
	s_cbranch_execz .LBB119_105
; %bb.104:
	flat_load_dword v3, v[1:2]
	s_mov_b32 s9, exec_lo
	s_xor_b32 s12, exec_lo, -1
.LBB119_105:
	s_or_b32 exec_lo, exec_lo, s10
	s_and_b32 s10, s9, exec_lo
	s_and_b32 s9, s12, exec_lo
                                        ; implicit-def: $vgpr5
.LBB119_106:
	s_andn2_saveexec_b32 s11, s11
	s_cbranch_execz .LBB119_110
; %bb.107:
	s_waitcnt vmcnt(0) lgkmcnt(0)
	v_mov_b32_e32 v3, 44
	s_mov_b32 s13, -1
	s_mov_b32 s14, s10
	v_cmp_eq_u16_sdwa s15, v5, v3 src0_sel:BYTE_0 src1_sel:DWORD
                                        ; implicit-def: $vgpr3
	s_and_saveexec_b32 s12, s15
	s_cbranch_execz .LBB119_109
; %bb.108:
	flat_load_ubyte v3, v[1:2]
	s_or_b32 s14, s10, exec_lo
	s_xor_b32 s13, exec_lo, -1
	s_waitcnt vmcnt(0) lgkmcnt(0)
	v_lshlrev_b32_e32 v4, 23, v3
	v_cmp_ne_u32_e32 vcc_lo, 0xff, v3
	v_cndmask_b32_e32 v4, 0x7f800001, v4, vcc_lo
	v_cmp_ne_u32_e32 vcc_lo, 0, v3
	v_cndmask_b32_e32 v3, 0x400000, v4, vcc_lo
	v_mov_b32_e32 v4, 0x7fc0
	v_cmp_o_f32_e32 vcc_lo, v3, v3
	v_add_nc_u32_e32 v3, 0x7fff, v3
	v_cndmask_b32_sdwa v3, v4, v3, vcc_lo dst_sel:DWORD dst_unused:UNUSED_PAD src0_sel:DWORD src1_sel:WORD_1
.LBB119_109:
	s_or_b32 exec_lo, exec_lo, s12
	s_andn2_b32 s10, s10, exec_lo
	s_and_b32 s12, s14, exec_lo
	s_andn2_b32 s9, s9, exec_lo
	s_and_b32 s13, s13, exec_lo
	s_or_b32 s10, s10, s12
	s_or_b32 s9, s9, s13
.LBB119_110:
	s_or_b32 exec_lo, exec_lo, s11
	s_and_b32 s11, s10, exec_lo
	s_and_b32 s10, s9, exec_lo
                                        ; implicit-def: $vgpr5
.LBB119_111:
	s_andn2_saveexec_b32 s8, s8
	s_cbranch_execz .LBB119_115
; %bb.112:
	s_waitcnt vmcnt(0) lgkmcnt(0)
	v_mov_b32_e32 v3, 29
	s_mov_b32 s12, -1
	s_mov_b32 s13, s11
	v_cmp_eq_u16_sdwa s14, v5, v3 src0_sel:BYTE_0 src1_sel:DWORD
                                        ; implicit-def: $vgpr3
	s_and_saveexec_b32 s9, s14
	s_cbranch_execz .LBB119_114
; %bb.113:
	flat_load_dwordx2 v[3:4], v[1:2]
	s_or_b32 s13, s11, exec_lo
	s_xor_b32 s12, exec_lo, -1
	s_waitcnt vmcnt(0) lgkmcnt(0)
	v_ffbh_u32_e32 v5, v4
	v_min_u32_e32 v5, 32, v5
	v_lshlrev_b64 v[3:4], v5, v[3:4]
	v_min_u32_e32 v3, 1, v3
	v_or_b32_e32 v3, v4, v3
	v_sub_nc_u32_e32 v4, 32, v5
	v_cvt_f32_u32_e32 v3, v3
	v_ldexp_f32 v3, v3, v4
	v_bfe_u32 v4, v3, 16, 1
	v_add3_u32 v3, v3, v4, 0x7fff
	v_lshrrev_b32_e32 v3, 16, v3
.LBB119_114:
	s_or_b32 exec_lo, exec_lo, s9
	s_andn2_b32 s9, s11, exec_lo
	s_and_b32 s11, s13, exec_lo
	s_andn2_b32 s10, s10, exec_lo
	s_and_b32 s12, s12, exec_lo
	s_or_b32 s11, s9, s11
	s_or_b32 s10, s10, s12
.LBB119_115:
	s_or_b32 exec_lo, exec_lo, s8
	s_and_b32 s9, s11, exec_lo
	s_and_b32 s8, s10, exec_lo
                                        ; implicit-def: $vgpr5
.LBB119_116:
	s_andn2_saveexec_b32 s7, s7
	s_cbranch_execz .LBB119_130
; %bb.117:
	s_waitcnt vmcnt(0) lgkmcnt(0)
	v_mov_b32_e32 v3, 26
	v_cmp_gt_i16_sdwa s10, v5, v3 src0_sel:BYTE_0 src1_sel:DWORD
                                        ; implicit-def: $vgpr3
	s_and_saveexec_b32 s11, s10
	s_xor_b32 s10, exec_lo, s11
	s_cbranch_execz .LBB119_123
; %bb.118:
	v_mov_b32_e32 v3, 27
	v_cmp_gt_i16_sdwa s11, v5, v3 src0_sel:BYTE_0 src1_sel:DWORD
                                        ; implicit-def: $vgpr3
	s_and_saveexec_b32 s12, s11
	s_xor_b32 s11, exec_lo, s12
	s_cbranch_execz .LBB119_120
; %bb.119:
	flat_load_dword v3, v[1:2]
	s_waitcnt vmcnt(0) lgkmcnt(0)
	v_cvt_f32_u32_e32 v3, v3
	v_bfe_u32 v4, v3, 16, 1
	v_add3_u32 v3, v3, v4, 0x7fff
	v_lshrrev_b32_e32 v3, 16, v3
.LBB119_120:
	s_andn2_saveexec_b32 s11, s11
	s_cbranch_execz .LBB119_122
; %bb.121:
	flat_load_ushort v3, v[1:2]
	s_waitcnt vmcnt(0) lgkmcnt(0)
	v_cvt_f32_u32_e32 v3, v3
	v_bfe_u32 v4, v3, 16, 1
	v_add3_u32 v3, v3, v4, 0x7fff
	v_lshrrev_b32_e32 v3, 16, v3
.LBB119_122:
	s_or_b32 exec_lo, exec_lo, s11
.LBB119_123:
	s_andn2_saveexec_b32 s10, s10
	s_cbranch_execz .LBB119_129
; %bb.124:
	flat_load_ubyte v3, v[1:2]
	s_mov_b32 s11, 0
	s_mov_b32 s12, exec_lo
	s_waitcnt vmcnt(0) lgkmcnt(0)
	v_cmpx_lt_i16_e32 0x7f, v3
	s_xor_b32 s12, exec_lo, s12
	s_cbranch_execnz .LBB119_162
; %bb.125:
	s_or_saveexec_b32 s12, s12
	v_mov_b32_e32 v4, 0x7f800001
	s_xor_b32 exec_lo, exec_lo, s12
	s_cbranch_execnz .LBB119_165
.LBB119_126:
	s_or_b32 exec_lo, exec_lo, s12
	s_and_saveexec_b32 s12, s11
	s_cbranch_execz .LBB119_128
.LBB119_127:
	v_and_b32_e32 v4, 0xffff, v3
	v_lshlrev_b32_e32 v3, 24, v3
	v_and_b32_e32 v5, 7, v4
	v_bfe_u32 v8, v4, 3, 4
	v_and_b32_e32 v3, 0x80000000, v3
	v_ffbh_u32_e32 v6, v5
	v_cmp_eq_u32_e32 vcc_lo, 0, v8
	v_min_u32_e32 v6, 32, v6
	v_subrev_nc_u32_e32 v7, 28, v6
	v_sub_nc_u32_e32 v6, 29, v6
	v_lshlrev_b32_e32 v4, v7, v4
	v_cndmask_b32_e32 v6, v8, v6, vcc_lo
	v_and_b32_e32 v4, 7, v4
	v_cndmask_b32_e32 v4, v5, v4, vcc_lo
	v_lshl_add_u32 v5, v6, 23, 0x3b800000
	v_lshlrev_b32_e32 v4, 20, v4
	v_or3_b32 v4, v3, v5, v4
.LBB119_128:
	s_or_b32 exec_lo, exec_lo, s12
	v_bfe_u32 v3, v4, 16, 1
	v_cmp_o_f32_e32 vcc_lo, v4, v4
	v_add3_u32 v3, v4, v3, 0x7fff
	v_mov_b32_e32 v4, 0x7fc0
	v_cndmask_b32_sdwa v3, v4, v3, vcc_lo dst_sel:DWORD dst_unused:UNUSED_PAD src0_sel:DWORD src1_sel:WORD_1
.LBB119_129:
	s_or_b32 exec_lo, exec_lo, s10
	s_or_b32 s9, s9, exec_lo
.LBB119_130:
	s_or_b32 exec_lo, exec_lo, s7
	s_and_b32 s7, s9, exec_lo
	s_and_b32 s8, s8, exec_lo
                                        ; implicit-def: $vgpr5
	s_andn2_saveexec_b32 s6, s6
	s_cbranch_execz .LBB119_6
.LBB119_131:
	s_waitcnt vmcnt(0) lgkmcnt(0)
	v_mov_b32_e32 v3, 22
	s_mov_b32 s9, s7
	v_cmp_gt_i16_sdwa s5, v5, v3 src0_sel:BYTE_0 src1_sel:DWORD
                                        ; implicit-def: $vgpr3
	s_and_saveexec_b32 s10, s5
	s_xor_b32 s5, exec_lo, s10
	s_cbranch_execz .LBB119_145
; %bb.132:
	v_mov_b32_e32 v3, 23
	v_cmp_gt_i16_sdwa s9, v5, v3 src0_sel:BYTE_0 src1_sel:DWORD
                                        ; implicit-def: $vgpr3
	s_and_saveexec_b32 s10, s9
	s_xor_b32 s9, exec_lo, s10
	s_cbranch_execz .LBB119_142
; %bb.133:
	v_mov_b32_e32 v3, 24
	v_cmp_gt_i16_sdwa s10, v5, v3 src0_sel:BYTE_0 src1_sel:DWORD
                                        ; implicit-def: $vgpr3
	s_and_saveexec_b32 s11, s10
	s_xor_b32 s10, exec_lo, s11
	s_cbranch_execz .LBB119_139
; %bb.134:
	flat_load_ubyte v3, v[1:2]
	s_mov_b32 s11, 0
	s_mov_b32 s12, exec_lo
	s_waitcnt vmcnt(0) lgkmcnt(0)
	v_cmpx_lt_i16_e32 0x7f, v3
	s_xor_b32 s12, exec_lo, s12
	s_cbranch_execnz .LBB119_177
; %bb.135:
	s_or_saveexec_b32 s12, s12
	v_mov_b32_e32 v4, 0x7f800001
	s_xor_b32 exec_lo, exec_lo, s12
	s_cbranch_execnz .LBB119_180
.LBB119_136:
	s_or_b32 exec_lo, exec_lo, s12
	s_and_saveexec_b32 s12, s11
	s_cbranch_execz .LBB119_138
.LBB119_137:
	v_and_b32_e32 v4, 0xffff, v3
	v_lshlrev_b32_e32 v3, 24, v3
	v_and_b32_e32 v5, 3, v4
	v_bfe_u32 v8, v4, 2, 5
	v_and_b32_e32 v3, 0x80000000, v3
	v_ffbh_u32_e32 v6, v5
	v_cmp_eq_u32_e32 vcc_lo, 0, v8
	v_min_u32_e32 v6, 32, v6
	v_subrev_nc_u32_e32 v7, 29, v6
	v_sub_nc_u32_e32 v6, 30, v6
	v_lshlrev_b32_e32 v4, v7, v4
	v_cndmask_b32_e32 v6, v8, v6, vcc_lo
	v_and_b32_e32 v4, 3, v4
	v_cndmask_b32_e32 v4, v5, v4, vcc_lo
	v_lshl_add_u32 v5, v6, 23, 0x37800000
	v_lshlrev_b32_e32 v4, 21, v4
	v_or3_b32 v4, v3, v5, v4
.LBB119_138:
	s_or_b32 exec_lo, exec_lo, s12
	v_bfe_u32 v3, v4, 16, 1
	v_cmp_o_f32_e32 vcc_lo, v4, v4
	v_add3_u32 v3, v4, v3, 0x7fff
	v_mov_b32_e32 v4, 0x7fc0
	v_cndmask_b32_sdwa v3, v4, v3, vcc_lo dst_sel:DWORD dst_unused:UNUSED_PAD src0_sel:DWORD src1_sel:WORD_1
.LBB119_139:
	s_andn2_saveexec_b32 s10, s10
	s_cbranch_execz .LBB119_141
; %bb.140:
	flat_load_ubyte v3, v[1:2]
	s_waitcnt vmcnt(0) lgkmcnt(0)
	v_lshlrev_b32_e32 v3, 24, v3
	v_and_b32_e32 v4, 0x7f000000, v3
	v_ffbh_u32_e32 v5, v4
	v_add_nc_u32_e32 v7, 0x1000000, v4
	v_cmp_ne_u32_e32 vcc_lo, 0, v4
	v_min_u32_e32 v5, 32, v5
	v_sub_nc_u32_e64 v5, v5, 4 clamp
	v_lshlrev_b32_e32 v6, v5, v4
	v_lshlrev_b32_e32 v5, 23, v5
	v_lshrrev_b32_e32 v6, 4, v6
	v_sub_nc_u32_e32 v5, v6, v5
	v_ashrrev_i32_e32 v6, 8, v7
	v_add_nc_u32_e32 v5, 0x3c000000, v5
	v_and_or_b32 v5, 0x7f800000, v6, v5
	v_cndmask_b32_e32 v4, 0, v5, vcc_lo
	v_and_or_b32 v3, 0x80000000, v3, v4
	v_bfe_u32 v4, v4, 16, 1
	v_cmp_o_f32_e32 vcc_lo, v3, v3
	v_add3_u32 v3, v3, v4, 0x7fff
	v_mov_b32_e32 v4, 0x7fc0
	v_cndmask_b32_sdwa v3, v4, v3, vcc_lo dst_sel:DWORD dst_unused:UNUSED_PAD src0_sel:DWORD src1_sel:WORD_1
.LBB119_141:
	s_or_b32 exec_lo, exec_lo, s10
.LBB119_142:
	s_andn2_saveexec_b32 s9, s9
	s_cbranch_execz .LBB119_144
; %bb.143:
	flat_load_ubyte v3, v[1:2]
	s_waitcnt vmcnt(0) lgkmcnt(0)
	v_lshlrev_b32_e32 v4, 25, v3
	v_lshlrev_b16 v3, 8, v3
	v_lshrrev_b32_e32 v5, 4, v4
	v_and_or_b32 v6, 0x7f00, v3, 0.5
	v_cmp_gt_u32_e32 vcc_lo, 0x8000000, v4
	v_bfe_i32 v3, v3, 0, 16
	v_or_b32_e32 v5, 0x70000000, v5
	v_add_f32_e32 v6, -0.5, v6
	v_mul_f32_e32 v5, 0x7800000, v5
	v_cndmask_b32_e32 v4, v5, v6, vcc_lo
	v_and_or_b32 v3, 0x80000000, v3, v4
	v_bfe_u32 v4, v4, 16, 1
	v_cmp_o_f32_e32 vcc_lo, v3, v3
	v_add3_u32 v3, v3, v4, 0x7fff
	v_mov_b32_e32 v4, 0x7fc0
	v_cndmask_b32_sdwa v3, v4, v3, vcc_lo dst_sel:DWORD dst_unused:UNUSED_PAD src0_sel:DWORD src1_sel:WORD_1
.LBB119_144:
	s_or_b32 exec_lo, exec_lo, s9
	s_or_b32 s9, s7, exec_lo
                                        ; implicit-def: $vgpr5
.LBB119_145:
	s_or_saveexec_b32 s5, s5
	s_mov_b32 s10, 0
	s_mov_b32 s11, s8
	s_xor_b32 exec_lo, exec_lo, s5
	s_cbranch_execz .LBB119_153
; %bb.146:
	v_mov_b32_e32 v3, 14
	s_mov_b32 s10, s8
	s_mov_b32 s11, s9
	v_cmp_gt_i16_sdwa s12, v5, v3 src0_sel:BYTE_0 src1_sel:DWORD
                                        ; implicit-def: $vgpr3
	s_and_saveexec_b32 s13, s12
	s_xor_b32 s12, exec_lo, s13
	s_cbranch_execz .LBB119_150
; %bb.147:
	v_mov_b32_e32 v3, 15
	s_mov_b32 s10, -1
	s_mov_b32 s11, s9
	v_cmp_eq_u16_sdwa s14, v5, v3 src0_sel:BYTE_0 src1_sel:DWORD
                                        ; implicit-def: $vgpr3
	s_and_saveexec_b32 s13, s14
	s_cbranch_execz .LBB119_149
; %bb.148:
	flat_load_ushort v3, v[1:2]
	s_or_b32 s11, s9, exec_lo
	s_xor_b32 s10, exec_lo, -1
.LBB119_149:
	s_or_b32 exec_lo, exec_lo, s13
	s_andn2_b32 s13, s9, exec_lo
	s_and_b32 s11, s11, exec_lo
	s_andn2_b32 s14, s8, exec_lo
	s_and_b32 s10, s10, exec_lo
	s_or_b32 s11, s13, s11
	s_or_b32 s10, s14, s10
                                        ; implicit-def: $vgpr5
.LBB119_150:
	s_or_saveexec_b32 s12, s12
	s_mov_b32 s13, 0
	s_xor_b32 exec_lo, exec_lo, s12
; %bb.151:
	v_mov_b32_e32 v4, 11
	s_andn2_b32 s10, s10, exec_lo
	s_mov_b32 s13, exec_lo
	v_cmp_ne_u16_sdwa s14, v5, v4 src0_sel:BYTE_0 src1_sel:DWORD
	s_and_b32 s14, s14, exec_lo
	s_or_b32 s10, s10, s14
; %bb.152:
	s_or_b32 exec_lo, exec_lo, s12
	s_andn2_b32 s9, s9, exec_lo
	s_and_b32 s11, s11, exec_lo
	s_and_b32 s12, s10, exec_lo
	s_or_b32 s9, s9, s11
	s_andn2_b32 s11, s8, exec_lo
	s_and_b32 s10, s13, exec_lo
	s_or_b32 s11, s11, s12
.LBB119_153:
	s_or_b32 exec_lo, exec_lo, s5
	s_andn2_b32 s5, s7, exec_lo
	s_and_b32 s7, s9, exec_lo
	s_andn2_b32 s8, s8, exec_lo
	s_and_b32 s9, s11, exec_lo
	s_or_b32 s7, s5, s7
	s_and_b32 s5, s10, exec_lo
	s_or_b32 s8, s8, s9
	s_or_b32 exec_lo, exec_lo, s6
	s_and_saveexec_b32 s6, s8
	s_cbranch_execz .LBB119_7
.LBB119_154:
	s_trap 2
	; divergent unreachable
	s_andn2_b32 s5, s5, exec_lo
	s_or_b32 exec_lo, exec_lo, s6
	s_and_saveexec_b32 s6, s5
	s_xor_b32 s5, exec_lo, s6
	s_cbranch_execnz .LBB119_8
	s_branch .LBB119_9
.LBB119_155:
	s_or_b32 exec_lo, exec_lo, s13
	s_xor_b32 s5, s14, -1
                                        ; implicit-def: $vgpr8
	s_and_saveexec_b32 s6, s5
	s_xor_b32 s5, exec_lo, s6
	s_cbranch_execz .LBB119_171
; %bb.156:
	v_mul_f32_e32 v6, v3, v7
	v_add_f32_e32 v8, -1.0, v4
	s_mov_b64 s[6:7], 0
	s_mov_b32 s12, 0
                                        ; implicit-def: $sgpr13
                                        ; implicit-def: $sgpr14
                                        ; implicit-def: $sgpr15
	v_div_scale_f32 v9, null, v8, v8, v6
	v_div_scale_f32 v12, vcc_lo, v6, v8, v6
	v_rcp_f32_e32 v10, v9
	v_fma_f32 v11, -v9, v10, 1.0
	v_fmac_f32_e32 v10, v11, v10
	v_mul_f32_e32 v11, v12, v10
	v_fma_f32 v13, -v9, v11, v12
	v_fmac_f32_e32 v11, v13, v10
	v_fma_f32 v9, -v9, v11, v12
	v_div_fmas_f32 v9, v9, v10, v11
	v_div_fixup_f32 v6, v9, v8, v6
	v_mov_b32_e32 v9, 1.0
	v_mov_b32_e32 v8, 0
	v_add_f32_e32 v6, v5, v6
	v_fmac_f32_e32 v6, -0.5, v7
	s_branch .LBB119_159
.LBB119_157:                            ;   in Loop: Header=BB119_159 Depth=1
	s_or_b32 exec_lo, exec_lo, s17
	s_andn2_b32 s15, s15, exec_lo
	s_and_b32 s17, s19, exec_lo
	s_andn2_b32 s14, s14, exec_lo
	s_and_b32 s18, s18, exec_lo
	s_or_b32 s15, s15, s17
	s_or_b32 s14, s14, s18
.LBB119_158:                            ;   in Loop: Header=BB119_159 Depth=1
	s_or_b32 exec_lo, exec_lo, s16
	s_and_b32 s16, exec_lo, s14
	s_or_b32 s12, s16, s12
	s_andn2_b32 s13, s13, exec_lo
	s_and_b32 s16, s15, exec_lo
	s_or_b32 s13, s13, s16
	s_andn2_b32 exec_lo, exec_lo, s12
	s_cbranch_execz .LBB119_166
.LBB119_159:                            ; =>This Inner Loop Header: Depth=1
	v_div_scale_f32 v10, null, v3, v3, v7
	v_div_scale_f32 v13, vcc_lo, v7, v3, v7
	s_getpc_b64 s[16:17]
	s_add_u32 s16, s16, _ZZ4zetaIN3c108BFloat16ELb1EET_S2_S2_E1A@rel32@lo+4
	s_addc_u32 s17, s17, _ZZ4zetaIN3c108BFloat16ELb1EET_S2_S2_E1A@rel32@hi+12
	v_rcp_f32_e32 v11, v10
	s_add_u32 s16, s16, s6
	s_addc_u32 s17, s17, s7
	s_or_b32 s15, s15, exec_lo
	s_load_dword s16, s[16:17], 0x0
	s_or_b32 s14, s14, exec_lo
	v_fma_f32 v12, -v10, v11, 1.0
	v_fmac_f32_e32 v11, v12, v11
	v_mul_f32_e32 v12, v13, v11
	v_fma_f32 v14, -v10, v12, v13
	v_fmac_f32_e32 v12, v14, v11
	v_fma_f32 v10, -v10, v12, v13
	v_add_f32_e32 v13, v8, v4
	v_div_fmas_f32 v11, v10, v11, v12
	v_mul_f32_e32 v10, v9, v13
	v_div_fixup_f32 v11, v11, v3, v7
	v_mul_f32_e32 v7, v11, v10
	s_waitcnt lgkmcnt(0)
	v_div_scale_f32 v9, null, s16, s16, v7
	v_div_scale_f32 v14, vcc_lo, v7, s16, v7
	v_rcp_f32_e32 v12, v9
	v_fma_f32 v13, -v9, v12, 1.0
	v_fmac_f32_e32 v12, v13, v12
	v_mul_f32_e32 v13, v14, v12
	v_fma_f32 v15, -v9, v13, v14
	v_fmac_f32_e32 v13, v15, v12
	v_fma_f32 v9, -v9, v13, v14
	v_div_fmas_f32 v9, v9, v12, v13
	v_div_fixup_f32 v7, v9, s16, v7
	v_add_f32_e32 v6, v6, v7
	v_div_scale_f32 v9, null, v6, v6, v7
	v_rcp_f32_e32 v12, v9
	v_fma_f32 v13, -v9, v12, 1.0
	v_fmac_f32_e32 v12, v13, v12
	v_div_scale_f32 v13, vcc_lo, v7, v6, v7
	v_mul_f32_e32 v14, v13, v12
	v_fma_f32 v15, -v9, v14, v13
	v_fmac_f32_e32 v14, v15, v12
	v_fma_f32 v9, -v9, v14, v13
	v_div_fmas_f32 v9, v9, v12, v14
	v_div_fixup_f32 v7, v9, v6, v7
                                        ; implicit-def: $vgpr9
	v_cmp_ngt_f32_e64 s17, 0x25000000, |v7|
                                        ; implicit-def: $vgpr7
	s_and_saveexec_b32 s16, s17
	s_cbranch_execz .LBB119_158
; %bb.160:                              ;   in Loop: Header=BB119_159 Depth=1
	v_div_scale_f32 v7, null, v3, v3, v11
	v_div_scale_f32 v13, vcc_lo, v11, v3, v11
	v_add_f32_e32 v8, 1.0, v8
	v_rcp_f32_e32 v9, v7
	s_getpc_b64 s[18:19]
	s_add_u32 s18, s18, _ZZ4zetaIN3c108BFloat16ELb1EET_S2_S2_E1A@rel32@lo+8
	s_addc_u32 s19, s19, _ZZ4zetaIN3c108BFloat16ELb1EET_S2_S2_E1A@rel32@hi+16
	s_add_u32 s18, s18, s6
	s_addc_u32 s19, s19, s7
	v_add_f32_e32 v16, v8, v4
	s_load_dword s17, s[18:19], 0x0
	s_mov_b32 s18, -1
	s_mov_b32 s19, -1
	v_fma_f32 v12, -v7, v9, 1.0
	v_fmac_f32_e32 v9, v12, v9
	v_mul_f32_e32 v12, v13, v9
	v_fma_f32 v14, -v7, v12, v13
	v_fmac_f32_e32 v12, v14, v9
	v_fma_f32 v7, -v7, v12, v13
	v_div_fmas_f32 v7, v7, v9, v12
	v_div_fixup_f32 v7, v7, v3, v11
	v_div_scale_f32 v9, null, v3, v3, v7
	v_div_scale_f32 v13, vcc_lo, v7, v3, v7
	v_rcp_f32_e32 v11, v9
	v_fma_f32 v12, -v9, v11, 1.0
	v_fmac_f32_e32 v11, v12, v11
	v_add_f32_e32 v12, 1.0, v8
	v_mul_f32_e32 v14, v13, v11
	v_fma_f32 v15, -v9, v14, v13
	v_fmac_f32_e32 v14, v15, v11
	v_fma_f32 v8, -v9, v14, v13
	v_mul_f32_e32 v9, v16, v10
	v_add_f32_e32 v10, v12, v4
	v_div_fmas_f32 v8, v8, v11, v14
	v_mul_f32_e32 v10, v9, v10
	v_div_fixup_f32 v11, v8, v3, v7
	v_mul_f32_e32 v7, v11, v10
	s_waitcnt lgkmcnt(0)
	v_div_scale_f32 v8, null, s17, s17, v7
	v_div_scale_f32 v14, vcc_lo, v7, s17, v7
	v_rcp_f32_e32 v9, v8
	v_fma_f32 v13, -v8, v9, 1.0
	v_fmac_f32_e32 v9, v13, v9
	v_mul_f32_e32 v13, v14, v9
	v_fma_f32 v15, -v8, v13, v14
	v_fmac_f32_e32 v13, v15, v9
	v_fma_f32 v8, -v8, v13, v14
	v_div_fmas_f32 v8, v8, v9, v13
	v_div_fixup_f32 v7, v8, s17, v7
	v_add_f32_e32 v6, v6, v7
	v_div_scale_f32 v8, null, v6, v6, v7
	v_rcp_f32_e32 v9, v8
	v_fma_f32 v13, -v8, v9, 1.0
	v_fmac_f32_e32 v9, v13, v9
	v_div_scale_f32 v13, vcc_lo, v7, v6, v7
	v_mul_f32_e32 v14, v13, v9
	v_fma_f32 v15, -v8, v14, v13
	v_fmac_f32_e32 v14, v15, v9
	v_fma_f32 v8, -v8, v14, v13
	v_div_fmas_f32 v8, v8, v9, v14
                                        ; implicit-def: $vgpr9
	v_div_fixup_f32 v7, v8, v6, v7
                                        ; implicit-def: $vgpr8
	v_cmp_ngt_f32_e64 s20, 0x25000000, |v7|
                                        ; implicit-def: $vgpr7
	s_and_saveexec_b32 s17, s20
	s_cbranch_execz .LBB119_157
; %bb.161:                              ;   in Loop: Header=BB119_159 Depth=1
	v_div_scale_f32 v7, null, v3, v3, v11
	v_div_scale_f32 v13, vcc_lo, v11, v3, v11
	v_add_f32_e32 v12, 1.0, v12
	v_rcp_f32_e32 v8, v7
	s_add_u32 s6, s6, 8
	s_addc_u32 s7, s7, 0
	s_cmp_eq_u32 s6, 48
	s_cselect_b32 s18, -1, 0
	s_xor_b32 s19, exec_lo, -1
	s_orn2_b32 s18, s18, exec_lo
	v_fma_f32 v9, -v7, v8, 1.0
	v_fmac_f32_e32 v8, v9, v8
	v_mul_f32_e32 v9, v13, v8
	v_fma_f32 v14, -v7, v9, v13
	v_fmac_f32_e32 v9, v14, v8
	v_fma_f32 v7, -v7, v9, v13
	v_add_f32_e32 v13, v12, v4
	v_div_fmas_f32 v7, v7, v8, v9
	v_mul_f32_e32 v9, v13, v10
	v_add_f32_e32 v8, 1.0, v12
	v_div_fixup_f32 v7, v7, v3, v11
	s_branch .LBB119_157
.LBB119_162:
	s_mov_b32 s11, -1
	s_mov_b32 s13, exec_lo
	v_cmpx_eq_u16_e32 0x80, v3
; %bb.163:
	s_xor_b32 s11, exec_lo, -1
; %bb.164:
	s_or_b32 exec_lo, exec_lo, s13
	s_and_b32 s11, s11, exec_lo
	s_or_saveexec_b32 s12, s12
	v_mov_b32_e32 v4, 0x7f800001
	s_xor_b32 exec_lo, exec_lo, s12
	s_cbranch_execz .LBB119_126
.LBB119_165:
	v_cmp_ne_u16_e32 vcc_lo, 0, v3
	v_mov_b32_e32 v4, 0
	s_andn2_b32 s11, s11, exec_lo
	s_and_b32 s13, vcc_lo, exec_lo
	s_or_b32 s11, s11, s13
	s_or_b32 exec_lo, exec_lo, s12
	s_and_saveexec_b32 s12, s11
	s_cbranch_execnz .LBB119_127
	s_branch .LBB119_128
.LBB119_166:
	s_or_b32 exec_lo, exec_lo, s12
	s_xor_b32 s6, s13, -1
                                        ; implicit-def: $vgpr8
	s_and_saveexec_b32 s7, s6
	s_xor_b32 s6, exec_lo, s7
; %bb.167:
	v_bfe_u32 v3, v6, 16, 1
	v_cmp_o_f32_e32 vcc_lo, v6, v6
	v_add3_u32 v3, v6, v3, 0x7fff
	v_and_b32_e32 v3, 0xffff0000, v3
	v_cndmask_b32_e32 v8, 0x7fc00000, v3, vcc_lo
; %bb.168:
	s_andn2_saveexec_b32 s6, s6
; %bb.169:
	v_bfe_u32 v3, v6, 16, 1
	v_cmp_o_f32_e32 vcc_lo, v6, v6
	v_add3_u32 v3, v6, v3, 0x7fff
	v_and_b32_e32 v3, 0xffff0000, v3
	v_cndmask_b32_e32 v8, 0x7fc00000, v3, vcc_lo
; %bb.170:
	s_or_b32 exec_lo, exec_lo, s6
.LBB119_171:
	s_andn2_saveexec_b32 s5, s5
; %bb.172:
	v_bfe_u32 v3, v5, 16, 1
	v_cmp_o_f32_e32 vcc_lo, v5, v5
	v_add3_u32 v3, v5, v3, 0x7fff
	v_and_b32_e32 v3, 0xffff0000, v3
	v_cndmask_b32_e32 v8, 0x7fc00000, v3, vcc_lo
; %bb.173:
	s_or_b32 exec_lo, exec_lo, s5
.LBB119_174:
	s_or_b32 exec_lo, exec_lo, s11
.LBB119_175:
	s_or_b32 exec_lo, exec_lo, s10
.LBB119_176:
	s_or_b32 exec_lo, exec_lo, s9
	v_cmp_gt_f32_e64 s5, 0x4b000000, |v1|
	v_and_b32_e32 v0, 1, v0
	s_or_b32 vcc_lo, s4, s5
	v_cmp_class_f32_e64 s4, v1, 0x264
	v_cndmask_b32_e32 v2, 0x7f800000, v2, vcc_lo
	v_cmp_u_f32_e32 vcc_lo, v1, v1
	v_cndmask_b32_e64 v2, v2, 0x7f800000, s4
	v_cndmask_b32_e32 v1, v2, v1, vcc_lo
	v_mul_f32_e32 v2, 0x3fb8aa3b, v1
	v_cmp_ngt_f32_e32 vcc_lo, 0xc2ce8ed0, v1
	s_waitcnt vmcnt(0) lgkmcnt(0)
	v_fma_f32 v3, 0x3fb8aa3b, v1, -v2
	v_rndne_f32_e32 v4, v2
	v_fmamk_f32 v3, v1, 0x32a5705f, v3
	v_sub_f32_e32 v2, v2, v4
	v_add_f32_e32 v2, v2, v3
	v_cvt_i32_f32_e32 v3, v4
	v_exp_f32_e32 v2, v2
	v_ldexp_f32 v2, v2, v3
	v_cndmask_b32_e32 v2, 0, v2, vcc_lo
	v_cmp_eq_u32_e32 vcc_lo, 0, v0
	v_cndmask_b32_e64 v0, 1.0, -1.0, vcc_lo
	v_cmp_nlt_f32_e32 vcc_lo, 0x42b17218, v1
	v_cndmask_b32_e32 v1, 0x7f800000, v2, vcc_lo
	v_mul_f32_e32 v0, v1, v0
	v_mul_f32_e32 v0, v0, v8
	v_bfe_u32 v1, v0, 16, 1
	v_cmp_o_f32_e32 vcc_lo, v0, v0
	v_add3_u32 v0, v0, v1, 0x7fff
	v_mov_b32_e32 v1, 0x7fc0
	v_cndmask_b32_sdwa v1, v1, v0, vcc_lo dst_sel:DWORD dst_unused:UNUSED_PAD src0_sel:DWORD src1_sel:WORD_1
	s_or_b32 exec_lo, exec_lo, s8
	v_mov_b32_e32 v0, v1
	s_setpc_b64 s[30:31]
.LBB119_177:
	s_mov_b32 s11, -1
	s_mov_b32 s13, exec_lo
	v_cmpx_eq_u16_e32 0x80, v3
; %bb.178:
	s_xor_b32 s11, exec_lo, -1
; %bb.179:
	s_or_b32 exec_lo, exec_lo, s13
	s_and_b32 s11, s11, exec_lo
	s_or_saveexec_b32 s12, s12
	v_mov_b32_e32 v4, 0x7f800001
	s_xor_b32 exec_lo, exec_lo, s12
	s_cbranch_execz .LBB119_136
.LBB119_180:
	v_cmp_ne_u16_e32 vcc_lo, 0, v3
	v_mov_b32_e32 v4, 0
	s_andn2_b32 s11, s11, exec_lo
	s_and_b32 s13, vcc_lo, exec_lo
	s_or_b32 s11, s11, s13
	s_or_b32 exec_lo, exec_lo, s12
	s_and_saveexec_b32 s12, s11
	s_cbranch_execnz .LBB119_137
	s_branch .LBB119_138
.Lfunc_end119:
	.size	_ZN2at6native6invokeIZZZNS0_21polygamma_kernel_cudaERNS_18TensorIteratorBaseElENKUlvE_clEvENKUlvE2_clEvEUlN3c108BFloat16EE_i15function_traitsIS8_EEENT1_11result_typeERKT_PrKPcPKT0_PKNS6_10ScalarTypeEi, .Lfunc_end119-_ZN2at6native6invokeIZZZNS0_21polygamma_kernel_cudaERNS_18TensorIteratorBaseElENKUlvE_clEvENKUlvE2_clEvEUlN3c108BFloat16EE_i15function_traitsIS8_EEENT1_11result_typeERKT_PrKPcPKT0_PKNS6_10ScalarTypeEi
                                        ; -- End function
	.set .L_ZN2at6native6invokeIZZZNS0_21polygamma_kernel_cudaERNS_18TensorIteratorBaseElENKUlvE_clEvENKUlvE2_clEvEUlN3c108BFloat16EE_i15function_traitsIS8_EEENT1_11result_typeERKT_PrKPcPKT0_PKNS6_10ScalarTypeEi.num_vgpr, 21
	.set .L_ZN2at6native6invokeIZZZNS0_21polygamma_kernel_cudaERNS_18TensorIteratorBaseElENKUlvE_clEvENKUlvE2_clEvEUlN3c108BFloat16EE_i15function_traitsIS8_EEENT1_11result_typeERKT_PrKPcPKT0_PKNS6_10ScalarTypeEi.num_agpr, 0
	.set .L_ZN2at6native6invokeIZZZNS0_21polygamma_kernel_cudaERNS_18TensorIteratorBaseElENKUlvE_clEvENKUlvE2_clEvEUlN3c108BFloat16EE_i15function_traitsIS8_EEENT1_11result_typeERKT_PrKPcPKT0_PKNS6_10ScalarTypeEi.numbered_sgpr, 32
	.set .L_ZN2at6native6invokeIZZZNS0_21polygamma_kernel_cudaERNS_18TensorIteratorBaseElENKUlvE_clEvENKUlvE2_clEvEUlN3c108BFloat16EE_i15function_traitsIS8_EEENT1_11result_typeERKT_PrKPcPKT0_PKNS6_10ScalarTypeEi.num_named_barrier, 0
	.set .L_ZN2at6native6invokeIZZZNS0_21polygamma_kernel_cudaERNS_18TensorIteratorBaseElENKUlvE_clEvENKUlvE2_clEvEUlN3c108BFloat16EE_i15function_traitsIS8_EEENT1_11result_typeERKT_PrKPcPKT0_PKNS6_10ScalarTypeEi.private_seg_size, 0
	.set .L_ZN2at6native6invokeIZZZNS0_21polygamma_kernel_cudaERNS_18TensorIteratorBaseElENKUlvE_clEvENKUlvE2_clEvEUlN3c108BFloat16EE_i15function_traitsIS8_EEENT1_11result_typeERKT_PrKPcPKT0_PKNS6_10ScalarTypeEi.uses_vcc, 1
	.set .L_ZN2at6native6invokeIZZZNS0_21polygamma_kernel_cudaERNS_18TensorIteratorBaseElENKUlvE_clEvENKUlvE2_clEvEUlN3c108BFloat16EE_i15function_traitsIS8_EEENT1_11result_typeERKT_PrKPcPKT0_PKNS6_10ScalarTypeEi.uses_flat_scratch, 0
	.set .L_ZN2at6native6invokeIZZZNS0_21polygamma_kernel_cudaERNS_18TensorIteratorBaseElENKUlvE_clEvENKUlvE2_clEvEUlN3c108BFloat16EE_i15function_traitsIS8_EEENT1_11result_typeERKT_PrKPcPKT0_PKNS6_10ScalarTypeEi.has_dyn_sized_stack, 0
	.set .L_ZN2at6native6invokeIZZZNS0_21polygamma_kernel_cudaERNS_18TensorIteratorBaseElENKUlvE_clEvENKUlvE2_clEvEUlN3c108BFloat16EE_i15function_traitsIS8_EEENT1_11result_typeERKT_PrKPcPKT0_PKNS6_10ScalarTypeEi.has_recursion, 0
	.set .L_ZN2at6native6invokeIZZZNS0_21polygamma_kernel_cudaERNS_18TensorIteratorBaseElENKUlvE_clEvENKUlvE2_clEvEUlN3c108BFloat16EE_i15function_traitsIS8_EEENT1_11result_typeERKT_PrKPcPKT0_PKNS6_10ScalarTypeEi.has_indirect_call, 0
	.section	.AMDGPU.csdata,"",@progbits
; Function info:
; codeLenInByte = 8876
; TotalNumSgprs: 34
; NumVgprs: 21
; ScratchSize: 0
; MemoryBound: 0
	.section	.text._ZN2at6native32elementwise_kernel_manual_unrollILi128ELi4EZNS0_15gpu_kernel_implIZZZNS0_21polygamma_kernel_cudaERNS_18TensorIteratorBaseElENKUlvE_clEvENKUlvE2_clEvEUlN3c108BFloat16EE_EEvS4_RKT_EUlibE_EEviT1_,"axG",@progbits,_ZN2at6native32elementwise_kernel_manual_unrollILi128ELi4EZNS0_15gpu_kernel_implIZZZNS0_21polygamma_kernel_cudaERNS_18TensorIteratorBaseElENKUlvE_clEvENKUlvE2_clEvEUlN3c108BFloat16EE_EEvS4_RKT_EUlibE_EEviT1_,comdat
	.globl	_ZN2at6native32elementwise_kernel_manual_unrollILi128ELi4EZNS0_15gpu_kernel_implIZZZNS0_21polygamma_kernel_cudaERNS_18TensorIteratorBaseElENKUlvE_clEvENKUlvE2_clEvEUlN3c108BFloat16EE_EEvS4_RKT_EUlibE_EEviT1_ ; -- Begin function _ZN2at6native32elementwise_kernel_manual_unrollILi128ELi4EZNS0_15gpu_kernel_implIZZZNS0_21polygamma_kernel_cudaERNS_18TensorIteratorBaseElENKUlvE_clEvENKUlvE2_clEvEUlN3c108BFloat16EE_EEvS4_RKT_EUlibE_EEviT1_
	.p2align	8
	.type	_ZN2at6native32elementwise_kernel_manual_unrollILi128ELi4EZNS0_15gpu_kernel_implIZZZNS0_21polygamma_kernel_cudaERNS_18TensorIteratorBaseElENKUlvE_clEvENKUlvE2_clEvEUlN3c108BFloat16EE_EEvS4_RKT_EUlibE_EEviT1_,@function
_ZN2at6native32elementwise_kernel_manual_unrollILi128ELi4EZNS0_15gpu_kernel_implIZZZNS0_21polygamma_kernel_cudaERNS_18TensorIteratorBaseElENKUlvE_clEvENKUlvE2_clEvEUlN3c108BFloat16EE_EEvS4_RKT_EUlibE_EEviT1_: ; @_ZN2at6native32elementwise_kernel_manual_unrollILi128ELi4EZNS0_15gpu_kernel_implIZZZNS0_21polygamma_kernel_cudaERNS_18TensorIteratorBaseElENKUlvE_clEvENKUlvE2_clEvEUlN3c108BFloat16EE_EEvS4_RKT_EUlibE_EEviT1_
; %bb.0:
	s_clause 0x2
	s_load_dword s26, s[4:5], 0x0
	s_load_dword s21, s[4:5], 0x28
	s_load_dwordx8 s[36:43], s[4:5], 0x8
	v_lshl_or_b32 v21, s6, 9, v0
	s_add_u32 s0, s0, s7
	s_addc_u32 s1, s1, 0
	s_mov_b32 s23, 0
	s_mov_b32 s25, 0
	v_or_b32_e32 v25, 0x180, v21
	s_mov_b32 s32, 0
	s_mov_b32 s4, exec_lo
	s_waitcnt lgkmcnt(0)
	s_bfe_u32 s22, s21, 0x80008
	v_cmpx_le_i32_e64 s26, v25
	s_xor_b32 s24, exec_lo, s4
	s_cbranch_execz .LBB120_512
; %bb.1:
	s_mov_b32 s4, -1
	s_mov_b32 s28, 0
	s_mov_b32 s27, exec_lo
	v_cmpx_gt_i32_e64 s26, v21
	s_cbranch_execz .LBB120_124
; %bb.2:
	v_mov_b32_e32 v0, s42
	v_mov_b32_e32 v1, s43
	;; [unrolled: 1-line block ×7, first 2 shown]
	s_getpc_b64 s[4:5]
	s_add_u32 s4, s4, _ZN2at6native6invokeIZZZNS0_21polygamma_kernel_cudaERNS_18TensorIteratorBaseElENKUlvE_clEvENKUlvE2_clEvEUlN3c108BFloat16EE_i15function_traitsIS8_EEENT1_11result_typeERKT_PrKPcPKT0_PKNS6_10ScalarTypeEi@rel32@lo+4
	s_addc_u32 s5, s5, _ZN2at6native6invokeIZZZNS0_21polygamma_kernel_cudaERNS_18TensorIteratorBaseElENKUlvE_clEvENKUlvE2_clEvEUlN3c108BFloat16EE_i15function_traitsIS8_EEENT1_11result_typeERKT_PrKPcPKT0_PKNS6_10ScalarTypeEi@rel32@hi+12
	s_swappc_b64 s[30:31], s[4:5]
	v_mul_lo_u32 v1, v21, s40
	s_and_b32 s5, s21, 0xff
	s_cmp_lt_i32 s5, 11
	v_ashrrev_i32_e32 v2, 31, v1
	v_add_co_u32 v1, vcc_lo, s36, v1
	v_add_co_ci_u32_e64 v2, null, s37, v2, vcc_lo
	s_cbranch_scc1 .LBB120_9
; %bb.3:
	s_and_b32 s6, 0xffff, s5
	s_cmp_gt_i32 s6, 25
	s_cbranch_scc0 .LBB120_12
; %bb.4:
	s_cmp_gt_i32 s6, 28
	s_cbranch_scc0 .LBB120_13
; %bb.5:
	;; [unrolled: 3-line block ×4, first 2 shown]
	s_mov_b32 s8, 0
	s_mov_b32 s4, -1
	s_cmp_eq_u32 s6, 46
	s_mov_b32 s7, 0
	s_cbranch_scc0 .LBB120_16
; %bb.8:
	v_and_b32_e32 v3, 0xffff, v0
	s_mov_b32 s7, -1
	s_mov_b32 s4, 0
	global_store_dword v[1:2], v3, off
	s_branch .LBB120_16
.LBB120_9:
	s_mov_b32 s4, 0
	s_mov_b32 s7, 0
	s_cbranch_execnz .LBB120_84
.LBB120_10:
	s_andn2_b32 vcc_lo, exec_lo, s7
	s_cbranch_vccnz .LBB120_122
.LBB120_11:
	v_add_nc_u32_e32 v21, 0x80, v21
	s_mov_b32 s5, -1
	s_branch .LBB120_123
.LBB120_12:
	s_mov_b32 s4, 0
	s_mov_b32 s7, 0
	s_cbranch_execnz .LBB120_43
	s_branch .LBB120_83
.LBB120_13:
	s_mov_b32 s8, -1
	s_mov_b32 s4, 0
	s_mov_b32 s7, 0
	s_branch .LBB120_26
.LBB120_14:
	s_mov_b32 s8, -1
	s_mov_b32 s4, 0
	s_mov_b32 s7, 0
	s_branch .LBB120_22
.LBB120_15:
	s_mov_b32 s8, -1
	s_mov_b32 s4, 0
	s_mov_b32 s7, 0
.LBB120_16:
	s_and_b32 vcc_lo, exec_lo, s8
	s_cbranch_vccz .LBB120_21
; %bb.17:
	s_cmp_eq_u32 s6, 44
	s_mov_b32 s4, -1
	s_cbranch_scc0 .LBB120_21
; %bb.18:
	v_and_b32_e32 v3, 0xffff, v0
	v_mov_b32_e32 v4, 0xff
	s_mov_b32 s7, exec_lo
	v_bfe_u32 v5, v3, 7, 8
	v_cmpx_ne_u32_e32 0xff, v5
	s_cbranch_execz .LBB120_20
; %bb.19:
	v_lshlrev_b32_e32 v4, 16, v3
	v_and_b32_e32 v6, 64, v3
	v_lshrrev_b32_e32 v3, 7, v3
	v_and_or_b32 v4, 0x3f0000, v4, v5
	v_cmp_ne_u32_e32 vcc_lo, 0, v6
	v_cmp_ne_u32_e64 s4, 0, v4
	s_and_b32 s4, vcc_lo, s4
	v_cndmask_b32_e64 v4, 0, 1, s4
	v_add_nc_u32_e32 v4, v3, v4
.LBB120_20:
	s_or_b32 exec_lo, exec_lo, s7
	s_mov_b32 s7, -1
	s_mov_b32 s4, 0
	global_store_byte v[1:2], v4, off
.LBB120_21:
	s_mov_b32 s8, 0
.LBB120_22:
	s_and_b32 vcc_lo, exec_lo, s8
	s_cbranch_vccz .LBB120_25
; %bb.23:
	s_cmp_eq_u32 s6, 29
	s_mov_b32 s4, -1
	s_cbranch_scc0 .LBB120_25
; %bb.24:
	v_lshlrev_b32_e32 v3, 16, v0
	s_mov_b32 s7, -1
	s_mov_b32 s4, 0
	s_mov_b32 s8, 0
	v_trunc_f32_e32 v3, v3
	v_mul_f32_e32 v4, 0x2f800000, v3
	v_floor_f32_e32 v4, v4
	v_fmamk_f32 v3, v4, 0xcf800000, v3
	v_cvt_u32_f32_e32 v4, v4
	v_cvt_u32_f32_e32 v3, v3
	global_store_dwordx2 v[1:2], v[3:4], off
	s_branch .LBB120_26
.LBB120_25:
	s_mov_b32 s8, 0
.LBB120_26:
	s_and_b32 vcc_lo, exec_lo, s8
	s_cbranch_vccz .LBB120_42
; %bb.27:
	s_cmp_lt_i32 s6, 27
	s_mov_b32 s7, -1
	s_cbranch_scc1 .LBB120_33
; %bb.28:
	s_cmp_gt_i32 s6, 27
	s_cbranch_scc0 .LBB120_30
; %bb.29:
	v_lshlrev_b32_e32 v3, 16, v0
	s_mov_b32 s7, 0
	v_cvt_u32_f32_e32 v3, v3
	global_store_dword v[1:2], v3, off
.LBB120_30:
	s_andn2_b32 vcc_lo, exec_lo, s7
	s_cbranch_vccnz .LBB120_32
; %bb.31:
	v_lshlrev_b32_e32 v3, 16, v0
	v_cvt_u32_f32_e32 v3, v3
	global_store_short v[1:2], v3, off
.LBB120_32:
	s_mov_b32 s7, 0
.LBB120_33:
	s_andn2_b32 vcc_lo, exec_lo, s7
	s_cbranch_vccnz .LBB120_41
; %bb.34:
	v_lshlrev_b32_e32 v5, 16, v0
	v_mov_b32_e32 v6, 0x80
	s_mov_b32 s7, exec_lo
	v_and_b32_e32 v4, 0x7fffffff, v5
	v_cmpx_gt_u32_e32 0x43800000, v4
	s_cbranch_execz .LBB120_40
; %bb.35:
	v_and_b32_e32 v3, 0xffff, v0
	v_cmp_lt_u32_e32 vcc_lo, 0x3bffffff, v4
	s_mov_b32 s8, 0
                                        ; implicit-def: $vgpr4
	s_and_saveexec_b32 s9, vcc_lo
	s_xor_b32 s9, exec_lo, s9
	s_cbranch_execz .LBB120_141
; %bb.36:
	v_bfe_u32 v4, v3, 4, 1
	s_mov_b32 s8, exec_lo
	v_add3_u32 v4, v5, v4, 0x487ffff
                                        ; implicit-def: $vgpr5
	v_lshrrev_b32_e32 v4, 20, v4
	s_andn2_saveexec_b32 s9, s9
	s_cbranch_execnz .LBB120_142
.LBB120_37:
	s_or_b32 exec_lo, exec_lo, s9
	v_mov_b32_e32 v6, 0
	s_and_saveexec_b32 s9, s8
.LBB120_38:
	v_lshrrev_b32_e32 v3, 8, v3
	v_and_or_b32 v6, 0x80, v3, v4
.LBB120_39:
	s_or_b32 exec_lo, exec_lo, s9
.LBB120_40:
	s_or_b32 exec_lo, exec_lo, s7
	global_store_byte v[1:2], v6, off
.LBB120_41:
	s_mov_b32 s7, -1
.LBB120_42:
	s_branch .LBB120_83
.LBB120_43:
	s_cmp_gt_i32 s6, 22
	s_mov_b32 s8, -1
	s_cbranch_scc0 .LBB120_75
; %bb.44:
	s_cmp_lt_i32 s6, 24
	s_mov_b32 s7, -1
	s_cbranch_scc1 .LBB120_64
; %bb.45:
	s_cmp_gt_i32 s6, 24
	s_cbranch_scc0 .LBB120_53
; %bb.46:
	v_lshlrev_b32_e32 v5, 16, v0
	v_mov_b32_e32 v6, 0x80
	s_mov_b32 s7, exec_lo
	v_and_b32_e32 v4, 0x7fffffff, v5
	v_cmpx_gt_u32_e32 0x47800000, v4
	s_cbranch_execz .LBB120_52
; %bb.47:
	v_and_b32_e32 v3, 0xffff, v0
	v_cmp_lt_u32_e32 vcc_lo, 0x37ffffff, v4
	s_mov_b32 s8, 0
                                        ; implicit-def: $vgpr4
	s_and_saveexec_b32 s9, vcc_lo
	s_xor_b32 s9, exec_lo, s9
	s_cbranch_execz .LBB120_144
; %bb.48:
	v_bfe_u32 v4, v3, 5, 1
	s_mov_b32 s8, exec_lo
	v_add3_u32 v4, v5, v4, 0x88fffff
                                        ; implicit-def: $vgpr5
	v_lshrrev_b32_e32 v4, 21, v4
	s_andn2_saveexec_b32 s9, s9
	s_cbranch_execnz .LBB120_145
.LBB120_49:
	s_or_b32 exec_lo, exec_lo, s9
	v_mov_b32_e32 v6, 0
	s_and_saveexec_b32 s9, s8
.LBB120_50:
	v_lshrrev_b32_e32 v3, 8, v3
	v_and_or_b32 v6, 0x80, v3, v4
.LBB120_51:
	s_or_b32 exec_lo, exec_lo, s9
.LBB120_52:
	s_or_b32 exec_lo, exec_lo, s7
	s_mov_b32 s7, 0
	global_store_byte v[1:2], v6, off
.LBB120_53:
	s_and_b32 vcc_lo, exec_lo, s7
	s_cbranch_vccz .LBB120_63
; %bb.54:
	v_lshlrev_b32_e32 v5, 16, v0
	v_and_b32_e32 v3, 0xffff, v0
	s_mov_b32 s7, exec_lo
                                        ; implicit-def: $vgpr4
	v_and_b32_e32 v6, 0x7fffffff, v5
	v_cmpx_gt_u32_e32 0x43f00000, v6
	s_xor_b32 s7, exec_lo, s7
	s_cbranch_execz .LBB120_60
; %bb.55:
	s_mov_b32 s8, exec_lo
                                        ; implicit-def: $vgpr4
	v_cmpx_lt_u32_e32 0x3c7fffff, v6
	s_xor_b32 s8, exec_lo, s8
; %bb.56:
	v_bfe_u32 v4, v3, 4, 1
	v_add3_u32 v4, v5, v4, 0x407ffff
	v_and_b32_e32 v5, 0xff00000, v4
	v_lshrrev_b32_e32 v4, 20, v4
	v_cmp_ne_u32_e32 vcc_lo, 0x7f00000, v5
                                        ; implicit-def: $vgpr5
	v_cndmask_b32_e32 v4, 0x7e, v4, vcc_lo
; %bb.57:
	s_andn2_saveexec_b32 s8, s8
; %bb.58:
	v_add_f32_e64 v4, 0x46800000, |v5|
; %bb.59:
	s_or_b32 exec_lo, exec_lo, s8
                                        ; implicit-def: $vgpr6
.LBB120_60:
	s_andn2_saveexec_b32 s7, s7
; %bb.61:
	v_mov_b32_e32 v4, 0x7f
	v_cmp_lt_u32_e32 vcc_lo, 0x7f800000, v6
	v_cndmask_b32_e32 v4, 0x7e, v4, vcc_lo
; %bb.62:
	s_or_b32 exec_lo, exec_lo, s7
	v_lshrrev_b32_e32 v3, 8, v3
	v_and_or_b32 v3, 0x80, v3, v4
	global_store_byte v[1:2], v3, off
.LBB120_63:
	s_mov_b32 s7, 0
.LBB120_64:
	s_andn2_b32 vcc_lo, exec_lo, s7
	s_cbranch_vccnz .LBB120_74
; %bb.65:
	v_lshlrev_b32_e32 v5, 16, v0
	v_and_b32_e32 v3, 0xffff, v0
	s_mov_b32 s7, exec_lo
                                        ; implicit-def: $vgpr4
	v_and_b32_e32 v6, 0x7fffffff, v5
	v_cmpx_gt_u32_e32 0x47800000, v6
	s_xor_b32 s7, exec_lo, s7
	s_cbranch_execz .LBB120_71
; %bb.66:
	s_mov_b32 s8, exec_lo
                                        ; implicit-def: $vgpr4
	v_cmpx_lt_u32_e32 0x387fffff, v6
	s_xor_b32 s8, exec_lo, s8
; %bb.67:
	v_bfe_u32 v4, v3, 5, 1
	v_add3_u32 v4, v5, v4, 0x80fffff
                                        ; implicit-def: $vgpr5
	v_lshrrev_b32_e32 v4, 21, v4
; %bb.68:
	s_andn2_saveexec_b32 s8, s8
; %bb.69:
	v_add_f32_e64 v4, 0x43000000, |v5|
; %bb.70:
	s_or_b32 exec_lo, exec_lo, s8
                                        ; implicit-def: $vgpr6
.LBB120_71:
	s_andn2_saveexec_b32 s7, s7
; %bb.72:
	v_mov_b32_e32 v4, 0x7f
	v_cmp_lt_u32_e32 vcc_lo, 0x7f800000, v6
	v_cndmask_b32_e32 v4, 0x7c, v4, vcc_lo
; %bb.73:
	s_or_b32 exec_lo, exec_lo, s7
	v_lshrrev_b32_e32 v3, 8, v3
	v_and_or_b32 v3, 0x80, v3, v4
	global_store_byte v[1:2], v3, off
.LBB120_74:
	s_mov_b32 s8, 0
	s_mov_b32 s7, -1
.LBB120_75:
	s_andn2_b32 vcc_lo, exec_lo, s8
	s_cbranch_vccnz .LBB120_83
; %bb.76:
	s_cmp_gt_i32 s6, 14
	s_mov_b32 s8, -1
	s_cbranch_scc0 .LBB120_80
; %bb.77:
	s_cmp_eq_u32 s6, 15
	s_mov_b32 s4, -1
	s_cbranch_scc0 .LBB120_79
; %bb.78:
	s_mov_b32 s7, -1
	s_mov_b32 s4, 0
	global_store_short v[1:2], v0, off
.LBB120_79:
	s_mov_b32 s8, 0
.LBB120_80:
	s_and_b32 vcc_lo, exec_lo, s8
	s_cbranch_vccz .LBB120_83
; %bb.81:
	s_cmp_eq_u32 s6, 11
	s_mov_b32 s4, -1
	s_cbranch_scc0 .LBB120_83
; %bb.82:
	v_and_b32_e32 v3, 0x7fff, v0
	s_mov_b32 s4, 0
	s_mov_b32 s7, -1
	v_cmp_ne_u16_e32 vcc_lo, 0, v3
	v_cndmask_b32_e64 v3, 0, 1, vcc_lo
	global_store_byte v[1:2], v3, off
.LBB120_83:
	s_branch .LBB120_10
.LBB120_84:
	s_and_b32 s5, 0xffff, s5
	s_mov_b32 s6, -1
	s_cmp_lt_i32 s5, 5
	s_cbranch_scc1 .LBB120_105
; %bb.85:
	s_cmp_lt_i32 s5, 8
	s_cbranch_scc1 .LBB120_95
; %bb.86:
	;; [unrolled: 3-line block ×3, first 2 shown]
	s_cmp_gt_i32 s5, 9
	s_cbranch_scc0 .LBB120_89
; %bb.88:
	v_lshlrev_b32_e32 v3, 16, v0
	v_mov_b32_e32 v5, 0
	s_mov_b32 s6, 0
	v_cvt_f64_f32_e32 v[3:4], v3
	v_mov_b32_e32 v6, v5
	global_store_dwordx4 v[1:2], v[3:6], off
.LBB120_89:
	s_andn2_b32 vcc_lo, exec_lo, s6
	s_cbranch_vccnz .LBB120_91
; %bb.90:
	v_lshlrev_b32_e32 v3, 16, v0
	v_mov_b32_e32 v4, 0
	global_store_dwordx2 v[1:2], v[3:4], off
.LBB120_91:
	s_mov_b32 s6, 0
.LBB120_92:
	s_andn2_b32 vcc_lo, exec_lo, s6
	s_cbranch_vccnz .LBB120_94
; %bb.93:
	v_lshlrev_b32_e32 v3, 16, v0
	v_cvt_f16_f32_e32 v3, v3
	v_and_b32_e32 v3, 0xffff, v3
	global_store_dword v[1:2], v3, off
.LBB120_94:
	s_mov_b32 s6, 0
.LBB120_95:
	s_andn2_b32 vcc_lo, exec_lo, s6
	s_cbranch_vccnz .LBB120_104
; %bb.96:
	s_cmp_lt_i32 s5, 6
	s_mov_b32 s6, -1
	s_cbranch_scc1 .LBB120_102
; %bb.97:
	s_cmp_gt_i32 s5, 6
	s_cbranch_scc0 .LBB120_99
; %bb.98:
	v_lshlrev_b32_e32 v3, 16, v0
	s_mov_b32 s6, 0
	v_cvt_f64_f32_e32 v[3:4], v3
	global_store_dwordx2 v[1:2], v[3:4], off
.LBB120_99:
	s_andn2_b32 vcc_lo, exec_lo, s6
	s_cbranch_vccnz .LBB120_101
; %bb.100:
	v_lshlrev_b32_e32 v3, 16, v0
	global_store_dword v[1:2], v3, off
.LBB120_101:
	s_mov_b32 s6, 0
.LBB120_102:
	s_andn2_b32 vcc_lo, exec_lo, s6
	s_cbranch_vccnz .LBB120_104
; %bb.103:
	v_lshlrev_b32_e32 v3, 16, v0
	v_cvt_f16_f32_e32 v3, v3
	global_store_short v[1:2], v3, off
.LBB120_104:
	s_mov_b32 s6, 0
.LBB120_105:
	s_andn2_b32 vcc_lo, exec_lo, s6
	s_cbranch_vccnz .LBB120_121
; %bb.106:
	s_cmp_lt_i32 s5, 2
	s_mov_b32 s6, -1
	s_cbranch_scc1 .LBB120_116
; %bb.107:
	s_cmp_lt_i32 s5, 3
	s_cbranch_scc1 .LBB120_113
; %bb.108:
	s_cmp_gt_i32 s5, 3
	s_cbranch_scc0 .LBB120_110
; %bb.109:
	v_lshlrev_b32_e32 v3, 16, v0
	s_mov_b32 s6, 0
	v_trunc_f32_e32 v3, v3
	v_mul_f32_e64 v4, 0x2f800000, |v3|
	v_ashrrev_i32_e32 v6, 31, v3
	v_floor_f32_e32 v4, v4
	v_fma_f32 v5, 0xcf800000, v4, |v3|
	v_cvt_u32_f32_e32 v4, v4
	v_cvt_u32_f32_e32 v3, v5
	v_xor_b32_e32 v4, v4, v6
	v_xor_b32_e32 v3, v3, v6
	v_sub_co_u32 v3, vcc_lo, v3, v6
	v_sub_co_ci_u32_e64 v4, null, v4, v6, vcc_lo
	global_store_dwordx2 v[1:2], v[3:4], off
.LBB120_110:
	s_andn2_b32 vcc_lo, exec_lo, s6
	s_cbranch_vccnz .LBB120_112
; %bb.111:
	v_lshlrev_b32_e32 v3, 16, v0
	v_cvt_i32_f32_e32 v3, v3
	global_store_dword v[1:2], v3, off
.LBB120_112:
	s_mov_b32 s6, 0
.LBB120_113:
	s_andn2_b32 vcc_lo, exec_lo, s6
	s_cbranch_vccnz .LBB120_115
; %bb.114:
	v_lshlrev_b32_e32 v3, 16, v0
	v_cvt_i32_f32_e32 v3, v3
	global_store_short v[1:2], v3, off
.LBB120_115:
	s_mov_b32 s6, 0
.LBB120_116:
	s_andn2_b32 vcc_lo, exec_lo, s6
	s_cbranch_vccnz .LBB120_121
; %bb.117:
	v_lshlrev_b32_e32 v0, 16, v0
	s_cmp_gt_i32 s5, 0
	s_mov_b32 s5, -1
	s_cbranch_scc0 .LBB120_119
; %bb.118:
	v_cvt_i32_f32_e32 v3, v0
	s_mov_b32 s5, 0
	global_store_byte v[1:2], v3, off
.LBB120_119:
	s_andn2_b32 vcc_lo, exec_lo, s5
	s_cbranch_vccnz .LBB120_121
; %bb.120:
	v_trunc_f32_e32 v0, v0
	v_mul_f32_e64 v3, 0x2f800000, |v0|
	v_floor_f32_e32 v3, v3
	v_fma_f32 v3, 0xcf800000, v3, |v0|
	v_ashrrev_i32_e32 v0, 31, v0
	v_cvt_u32_f32_e32 v3, v3
	v_xor_b32_e32 v3, v3, v0
	v_sub_nc_u32_e32 v0, v3, v0
	global_store_byte v[1:2], v0, off
.LBB120_121:
	s_branch .LBB120_11
.LBB120_122:
	s_mov_b32 s5, 0
                                        ; implicit-def: $vgpr21
.LBB120_123:
	s_and_b32 s25, s4, exec_lo
	s_orn2_b32 s4, s5, exec_lo
.LBB120_124:
	s_or_b32 exec_lo, exec_lo, s27
	s_mov_b32 s6, 0
                                        ; implicit-def: $sgpr5
                                        ; implicit-def: $vgpr1_vgpr2
                                        ; implicit-def: $vgpr0
	s_and_saveexec_b32 s27, s4
	s_cbranch_execz .LBB120_133
; %bb.125:
	s_mov_b32 s7, -1
	s_mov_b32 s28, s25
	s_mov_b32 s29, exec_lo
	v_cmpx_gt_i32_e64 s26, v21
	s_cbranch_execz .LBB120_256
; %bb.126:
	v_mov_b32_e32 v0, s42
	v_mov_b32_e32 v1, s43
	v_mov_b32_e32 v2, s38
	v_mov_b32_e32 v3, s39
	v_mov_b32_e32 v4, s41
	v_mov_b32_e32 v5, s22
	v_mov_b32_e32 v6, v21
	s_getpc_b64 s[4:5]
	s_add_u32 s4, s4, _ZN2at6native6invokeIZZZNS0_21polygamma_kernel_cudaERNS_18TensorIteratorBaseElENKUlvE_clEvENKUlvE2_clEvEUlN3c108BFloat16EE_i15function_traitsIS8_EEENT1_11result_typeERKT_PrKPcPKT0_PKNS6_10ScalarTypeEi@rel32@lo+4
	s_addc_u32 s5, s5, _ZN2at6native6invokeIZZZNS0_21polygamma_kernel_cudaERNS_18TensorIteratorBaseElENKUlvE_clEvENKUlvE2_clEvEUlN3c108BFloat16EE_i15function_traitsIS8_EEENT1_11result_typeERKT_PrKPcPKT0_PKNS6_10ScalarTypeEi@rel32@hi+12
	s_swappc_b64 s[30:31], s[4:5]
	v_mul_lo_u32 v1, v21, s40
	s_and_b32 s5, s21, 0xff
	s_cmp_lt_i32 s5, 11
	v_ashrrev_i32_e32 v2, 31, v1
	v_add_co_u32 v1, vcc_lo, s36, v1
	v_add_co_ci_u32_e64 v2, null, s37, v2, vcc_lo
	s_cbranch_scc1 .LBB120_136
; %bb.127:
	s_and_b32 s6, 0xffff, s5
	s_cmp_gt_i32 s6, 25
	s_cbranch_scc0 .LBB120_139
; %bb.128:
	s_cmp_gt_i32 s6, 28
	s_cbranch_scc0 .LBB120_140
; %bb.129:
	;; [unrolled: 3-line block ×4, first 2 shown]
	s_mov_b32 s8, 0
	s_mov_b32 s4, -1
	s_cmp_eq_u32 s6, 46
	s_mov_b32 s7, 0
	s_cbranch_scc0 .LBB120_147
; %bb.132:
	v_and_b32_e32 v3, 0xffff, v0
	s_mov_b32 s7, -1
	s_mov_b32 s4, 0
	global_store_dword v[1:2], v3, off
	s_branch .LBB120_147
.LBB120_133:
	s_or_b32 exec_lo, exec_lo, s27
	s_mov_b32 s4, 0
	s_and_saveexec_b32 s7, s25
	s_cbranch_execnz .LBB120_472
.LBB120_134:
	s_or_b32 exec_lo, exec_lo, s7
	s_and_saveexec_b32 s7, s28
	s_xor_b32 s7, exec_lo, s7
	s_cbranch_execz .LBB120_473
.LBB120_135:
	v_and_b32_e32 v3, 0x7fff, v0
	v_cmp_ne_u16_e32 vcc_lo, 0, v3
	v_cndmask_b32_e64 v3, 0, 1, vcc_lo
	global_store_byte v[1:2], v3, off
	s_or_b32 exec_lo, exec_lo, s7
	s_and_saveexec_b32 s7, s6
	s_xor_b32 s6, exec_lo, s7
	s_cbranch_execz .LBB120_511
	s_branch .LBB120_474
.LBB120_136:
	s_mov_b32 s7, 0
	s_mov_b32 s4, s25
	s_cbranch_execnz .LBB120_216
.LBB120_137:
	s_andn2_b32 vcc_lo, exec_lo, s7
	s_cbranch_vccnz .LBB120_254
.LBB120_138:
	v_add_nc_u32_e32 v21, 0x80, v21
	s_mov_b32 s5, -1
	s_branch .LBB120_255
.LBB120_139:
	s_mov_b32 s8, -1
	s_mov_b32 s7, 0
	s_mov_b32 s4, s25
	s_branch .LBB120_174
.LBB120_140:
	s_mov_b32 s8, -1
	s_mov_b32 s7, 0
	s_mov_b32 s4, s25
	s_branch .LBB120_157
.LBB120_141:
	s_andn2_saveexec_b32 s9, s9
	s_cbranch_execz .LBB120_37
.LBB120_142:
	v_add_f32_e64 v4, 0x46000000, |v5|
	s_andn2_b32 s8, s8, exec_lo
	v_and_b32_e32 v4, 0xff, v4
	v_cmp_ne_u32_e32 vcc_lo, 0, v4
	s_and_b32 s10, vcc_lo, exec_lo
	s_or_b32 s8, s8, s10
	s_or_b32 exec_lo, exec_lo, s9
	v_mov_b32_e32 v6, 0
	s_and_saveexec_b32 s9, s8
	s_cbranch_execnz .LBB120_38
	s_branch .LBB120_39
.LBB120_143:
	s_mov_b32 s8, -1
	s_mov_b32 s7, 0
	s_mov_b32 s4, s25
	s_branch .LBB120_153
.LBB120_144:
	s_andn2_saveexec_b32 s9, s9
	s_cbranch_execz .LBB120_49
.LBB120_145:
	v_add_f32_e64 v4, 0x42800000, |v5|
	s_andn2_b32 s8, s8, exec_lo
	v_and_b32_e32 v4, 0xff, v4
	v_cmp_ne_u32_e32 vcc_lo, 0, v4
	s_and_b32 s10, vcc_lo, exec_lo
	s_or_b32 s8, s8, s10
	s_or_b32 exec_lo, exec_lo, s9
	v_mov_b32_e32 v6, 0
	s_and_saveexec_b32 s9, s8
	s_cbranch_execnz .LBB120_50
	s_branch .LBB120_51
.LBB120_146:
	s_mov_b32 s8, -1
	s_mov_b32 s7, 0
	s_mov_b32 s4, s25
.LBB120_147:
	s_and_b32 vcc_lo, exec_lo, s8
	s_cbranch_vccz .LBB120_152
; %bb.148:
	s_cmp_eq_u32 s6, 44
	s_mov_b32 s4, -1
	s_cbranch_scc0 .LBB120_152
; %bb.149:
	v_and_b32_e32 v3, 0xffff, v0
	v_mov_b32_e32 v4, 0xff
	s_mov_b32 s7, exec_lo
	v_bfe_u32 v5, v3, 7, 8
	v_cmpx_ne_u32_e32 0xff, v5
	s_cbranch_execz .LBB120_151
; %bb.150:
	v_lshlrev_b32_e32 v4, 16, v3
	v_and_b32_e32 v6, 64, v3
	v_lshrrev_b32_e32 v3, 7, v3
	v_and_or_b32 v4, 0x3f0000, v4, v5
	v_cmp_ne_u32_e32 vcc_lo, 0, v6
	v_cmp_ne_u32_e64 s4, 0, v4
	s_and_b32 s4, vcc_lo, s4
	v_cndmask_b32_e64 v4, 0, 1, s4
	v_add_nc_u32_e32 v4, v3, v4
.LBB120_151:
	s_or_b32 exec_lo, exec_lo, s7
	s_mov_b32 s7, -1
	s_mov_b32 s4, 0
	global_store_byte v[1:2], v4, off
.LBB120_152:
	s_mov_b32 s8, 0
.LBB120_153:
	s_and_b32 vcc_lo, exec_lo, s8
	s_cbranch_vccz .LBB120_156
; %bb.154:
	s_cmp_eq_u32 s6, 29
	s_mov_b32 s4, -1
	s_cbranch_scc0 .LBB120_156
; %bb.155:
	v_lshlrev_b32_e32 v3, 16, v0
	s_mov_b32 s7, -1
	s_mov_b32 s4, 0
	s_mov_b32 s8, 0
	v_trunc_f32_e32 v3, v3
	v_mul_f32_e32 v4, 0x2f800000, v3
	v_floor_f32_e32 v4, v4
	v_fmamk_f32 v3, v4, 0xcf800000, v3
	v_cvt_u32_f32_e32 v4, v4
	v_cvt_u32_f32_e32 v3, v3
	global_store_dwordx2 v[1:2], v[3:4], off
	s_branch .LBB120_157
.LBB120_156:
	s_mov_b32 s8, 0
.LBB120_157:
	s_and_b32 vcc_lo, exec_lo, s8
	s_cbranch_vccz .LBB120_173
; %bb.158:
	s_cmp_lt_i32 s6, 27
	s_mov_b32 s7, -1
	s_cbranch_scc1 .LBB120_164
; %bb.159:
	s_cmp_gt_i32 s6, 27
	s_cbranch_scc0 .LBB120_161
; %bb.160:
	v_lshlrev_b32_e32 v3, 16, v0
	s_mov_b32 s7, 0
	v_cvt_u32_f32_e32 v3, v3
	global_store_dword v[1:2], v3, off
.LBB120_161:
	s_andn2_b32 vcc_lo, exec_lo, s7
	s_cbranch_vccnz .LBB120_163
; %bb.162:
	v_lshlrev_b32_e32 v3, 16, v0
	v_cvt_u32_f32_e32 v3, v3
	global_store_short v[1:2], v3, off
.LBB120_163:
	s_mov_b32 s7, 0
.LBB120_164:
	s_andn2_b32 vcc_lo, exec_lo, s7
	s_cbranch_vccnz .LBB120_172
; %bb.165:
	v_lshlrev_b32_e32 v5, 16, v0
	v_mov_b32_e32 v6, 0x80
	s_mov_b32 s7, exec_lo
	v_and_b32_e32 v4, 0x7fffffff, v5
	v_cmpx_gt_u32_e32 0x43800000, v4
	s_cbranch_execz .LBB120_171
; %bb.166:
	v_and_b32_e32 v3, 0xffff, v0
	v_cmp_lt_u32_e32 vcc_lo, 0x3bffffff, v4
	s_mov_b32 s8, 0
                                        ; implicit-def: $vgpr4
	s_and_saveexec_b32 s9, vcc_lo
	s_xor_b32 s9, exec_lo, s9
	s_cbranch_execz .LBB120_268
; %bb.167:
	v_bfe_u32 v4, v3, 4, 1
	s_mov_b32 s8, exec_lo
	v_add3_u32 v4, v5, v4, 0x487ffff
                                        ; implicit-def: $vgpr5
	v_lshrrev_b32_e32 v4, 20, v4
	s_andn2_saveexec_b32 s9, s9
	s_cbranch_execnz .LBB120_269
.LBB120_168:
	s_or_b32 exec_lo, exec_lo, s9
	v_mov_b32_e32 v6, 0
	s_and_saveexec_b32 s9, s8
.LBB120_169:
	v_lshrrev_b32_e32 v3, 8, v3
	v_and_or_b32 v6, 0x80, v3, v4
.LBB120_170:
	s_or_b32 exec_lo, exec_lo, s9
.LBB120_171:
	s_or_b32 exec_lo, exec_lo, s7
	global_store_byte v[1:2], v6, off
.LBB120_172:
	s_mov_b32 s7, -1
.LBB120_173:
	s_mov_b32 s8, 0
.LBB120_174:
	s_and_b32 vcc_lo, exec_lo, s8
	s_cbranch_vccz .LBB120_215
; %bb.175:
	s_cmp_gt_i32 s6, 22
	s_mov_b32 s8, -1
	s_cbranch_scc0 .LBB120_207
; %bb.176:
	s_cmp_lt_i32 s6, 24
	s_mov_b32 s7, -1
	s_cbranch_scc1 .LBB120_196
; %bb.177:
	s_cmp_gt_i32 s6, 24
	s_cbranch_scc0 .LBB120_185
; %bb.178:
	v_lshlrev_b32_e32 v5, 16, v0
	v_mov_b32_e32 v6, 0x80
	s_mov_b32 s7, exec_lo
	v_and_b32_e32 v4, 0x7fffffff, v5
	v_cmpx_gt_u32_e32 0x47800000, v4
	s_cbranch_execz .LBB120_184
; %bb.179:
	v_and_b32_e32 v3, 0xffff, v0
	v_cmp_lt_u32_e32 vcc_lo, 0x37ffffff, v4
	s_mov_b32 s8, 0
                                        ; implicit-def: $vgpr4
	s_and_saveexec_b32 s9, vcc_lo
	s_xor_b32 s9, exec_lo, s9
	s_cbranch_execz .LBB120_271
; %bb.180:
	v_bfe_u32 v4, v3, 5, 1
	s_mov_b32 s8, exec_lo
	v_add3_u32 v4, v5, v4, 0x88fffff
                                        ; implicit-def: $vgpr5
	v_lshrrev_b32_e32 v4, 21, v4
	s_andn2_saveexec_b32 s9, s9
	s_cbranch_execnz .LBB120_272
.LBB120_181:
	s_or_b32 exec_lo, exec_lo, s9
	v_mov_b32_e32 v6, 0
	s_and_saveexec_b32 s9, s8
.LBB120_182:
	v_lshrrev_b32_e32 v3, 8, v3
	v_and_or_b32 v6, 0x80, v3, v4
.LBB120_183:
	s_or_b32 exec_lo, exec_lo, s9
.LBB120_184:
	s_or_b32 exec_lo, exec_lo, s7
	s_mov_b32 s7, 0
	global_store_byte v[1:2], v6, off
.LBB120_185:
	s_and_b32 vcc_lo, exec_lo, s7
	s_cbranch_vccz .LBB120_195
; %bb.186:
	v_lshlrev_b32_e32 v5, 16, v0
	v_and_b32_e32 v3, 0xffff, v0
	s_mov_b32 s7, exec_lo
                                        ; implicit-def: $vgpr4
	v_and_b32_e32 v6, 0x7fffffff, v5
	v_cmpx_gt_u32_e32 0x43f00000, v6
	s_xor_b32 s7, exec_lo, s7
	s_cbranch_execz .LBB120_192
; %bb.187:
	s_mov_b32 s8, exec_lo
                                        ; implicit-def: $vgpr4
	v_cmpx_lt_u32_e32 0x3c7fffff, v6
	s_xor_b32 s8, exec_lo, s8
; %bb.188:
	v_bfe_u32 v4, v3, 4, 1
	v_add3_u32 v4, v5, v4, 0x407ffff
	v_and_b32_e32 v5, 0xff00000, v4
	v_lshrrev_b32_e32 v4, 20, v4
	v_cmp_ne_u32_e32 vcc_lo, 0x7f00000, v5
                                        ; implicit-def: $vgpr5
	v_cndmask_b32_e32 v4, 0x7e, v4, vcc_lo
; %bb.189:
	s_andn2_saveexec_b32 s8, s8
; %bb.190:
	v_add_f32_e64 v4, 0x46800000, |v5|
; %bb.191:
	s_or_b32 exec_lo, exec_lo, s8
                                        ; implicit-def: $vgpr6
.LBB120_192:
	s_andn2_saveexec_b32 s7, s7
; %bb.193:
	v_mov_b32_e32 v4, 0x7f
	v_cmp_lt_u32_e32 vcc_lo, 0x7f800000, v6
	v_cndmask_b32_e32 v4, 0x7e, v4, vcc_lo
; %bb.194:
	s_or_b32 exec_lo, exec_lo, s7
	v_lshrrev_b32_e32 v3, 8, v3
	v_and_or_b32 v3, 0x80, v3, v4
	global_store_byte v[1:2], v3, off
.LBB120_195:
	s_mov_b32 s7, 0
.LBB120_196:
	s_andn2_b32 vcc_lo, exec_lo, s7
	s_cbranch_vccnz .LBB120_206
; %bb.197:
	v_lshlrev_b32_e32 v5, 16, v0
	v_and_b32_e32 v3, 0xffff, v0
	s_mov_b32 s7, exec_lo
                                        ; implicit-def: $vgpr4
	v_and_b32_e32 v6, 0x7fffffff, v5
	v_cmpx_gt_u32_e32 0x47800000, v6
	s_xor_b32 s7, exec_lo, s7
	s_cbranch_execz .LBB120_203
; %bb.198:
	s_mov_b32 s8, exec_lo
                                        ; implicit-def: $vgpr4
	v_cmpx_lt_u32_e32 0x387fffff, v6
	s_xor_b32 s8, exec_lo, s8
; %bb.199:
	v_bfe_u32 v4, v3, 5, 1
	v_add3_u32 v4, v5, v4, 0x80fffff
                                        ; implicit-def: $vgpr5
	v_lshrrev_b32_e32 v4, 21, v4
; %bb.200:
	s_andn2_saveexec_b32 s8, s8
; %bb.201:
	v_add_f32_e64 v4, 0x43000000, |v5|
; %bb.202:
	s_or_b32 exec_lo, exec_lo, s8
                                        ; implicit-def: $vgpr6
.LBB120_203:
	s_andn2_saveexec_b32 s7, s7
; %bb.204:
	v_mov_b32_e32 v4, 0x7f
	v_cmp_lt_u32_e32 vcc_lo, 0x7f800000, v6
	v_cndmask_b32_e32 v4, 0x7c, v4, vcc_lo
; %bb.205:
	s_or_b32 exec_lo, exec_lo, s7
	v_lshrrev_b32_e32 v3, 8, v3
	v_and_or_b32 v3, 0x80, v3, v4
	global_store_byte v[1:2], v3, off
.LBB120_206:
	s_mov_b32 s8, 0
	s_mov_b32 s7, -1
.LBB120_207:
	s_andn2_b32 vcc_lo, exec_lo, s8
	s_cbranch_vccnz .LBB120_215
; %bb.208:
	s_cmp_gt_i32 s6, 14
	s_mov_b32 s8, -1
	s_cbranch_scc0 .LBB120_212
; %bb.209:
	s_cmp_eq_u32 s6, 15
	s_mov_b32 s4, -1
	s_cbranch_scc0 .LBB120_211
; %bb.210:
	s_mov_b32 s7, -1
	s_mov_b32 s4, 0
	global_store_short v[1:2], v0, off
.LBB120_211:
	s_mov_b32 s8, 0
.LBB120_212:
	s_and_b32 vcc_lo, exec_lo, s8
	s_cbranch_vccz .LBB120_215
; %bb.213:
	s_cmp_eq_u32 s6, 11
	s_mov_b32 s4, -1
	s_cbranch_scc0 .LBB120_215
; %bb.214:
	v_and_b32_e32 v3, 0x7fff, v0
	s_mov_b32 s4, 0
	s_mov_b32 s7, -1
	v_cmp_ne_u16_e32 vcc_lo, 0, v3
	v_cndmask_b32_e64 v3, 0, 1, vcc_lo
	global_store_byte v[1:2], v3, off
.LBB120_215:
	s_branch .LBB120_137
.LBB120_216:
	s_and_b32 s5, 0xffff, s5
	s_mov_b32 s6, -1
	s_cmp_lt_i32 s5, 5
	s_cbranch_scc1 .LBB120_237
; %bb.217:
	s_cmp_lt_i32 s5, 8
	s_cbranch_scc1 .LBB120_227
; %bb.218:
	;; [unrolled: 3-line block ×3, first 2 shown]
	s_cmp_gt_i32 s5, 9
	s_cbranch_scc0 .LBB120_221
; %bb.220:
	v_lshlrev_b32_e32 v3, 16, v0
	v_mov_b32_e32 v5, 0
	s_mov_b32 s6, 0
	v_cvt_f64_f32_e32 v[3:4], v3
	v_mov_b32_e32 v6, v5
	global_store_dwordx4 v[1:2], v[3:6], off
.LBB120_221:
	s_andn2_b32 vcc_lo, exec_lo, s6
	s_cbranch_vccnz .LBB120_223
; %bb.222:
	v_lshlrev_b32_e32 v3, 16, v0
	v_mov_b32_e32 v4, 0
	global_store_dwordx2 v[1:2], v[3:4], off
.LBB120_223:
	s_mov_b32 s6, 0
.LBB120_224:
	s_andn2_b32 vcc_lo, exec_lo, s6
	s_cbranch_vccnz .LBB120_226
; %bb.225:
	v_lshlrev_b32_e32 v3, 16, v0
	v_cvt_f16_f32_e32 v3, v3
	v_and_b32_e32 v3, 0xffff, v3
	global_store_dword v[1:2], v3, off
.LBB120_226:
	s_mov_b32 s6, 0
.LBB120_227:
	s_andn2_b32 vcc_lo, exec_lo, s6
	s_cbranch_vccnz .LBB120_236
; %bb.228:
	s_cmp_lt_i32 s5, 6
	s_mov_b32 s6, -1
	s_cbranch_scc1 .LBB120_234
; %bb.229:
	s_cmp_gt_i32 s5, 6
	s_cbranch_scc0 .LBB120_231
; %bb.230:
	v_lshlrev_b32_e32 v3, 16, v0
	s_mov_b32 s6, 0
	v_cvt_f64_f32_e32 v[3:4], v3
	global_store_dwordx2 v[1:2], v[3:4], off
.LBB120_231:
	s_andn2_b32 vcc_lo, exec_lo, s6
	s_cbranch_vccnz .LBB120_233
; %bb.232:
	v_lshlrev_b32_e32 v3, 16, v0
	global_store_dword v[1:2], v3, off
.LBB120_233:
	s_mov_b32 s6, 0
.LBB120_234:
	s_andn2_b32 vcc_lo, exec_lo, s6
	s_cbranch_vccnz .LBB120_236
; %bb.235:
	v_lshlrev_b32_e32 v3, 16, v0
	v_cvt_f16_f32_e32 v3, v3
	global_store_short v[1:2], v3, off
.LBB120_236:
	s_mov_b32 s6, 0
.LBB120_237:
	s_andn2_b32 vcc_lo, exec_lo, s6
	s_cbranch_vccnz .LBB120_253
; %bb.238:
	s_cmp_lt_i32 s5, 2
	s_mov_b32 s6, -1
	s_cbranch_scc1 .LBB120_248
; %bb.239:
	s_cmp_lt_i32 s5, 3
	s_cbranch_scc1 .LBB120_245
; %bb.240:
	s_cmp_gt_i32 s5, 3
	s_cbranch_scc0 .LBB120_242
; %bb.241:
	v_lshlrev_b32_e32 v3, 16, v0
	s_mov_b32 s6, 0
	v_trunc_f32_e32 v3, v3
	v_mul_f32_e64 v4, 0x2f800000, |v3|
	v_ashrrev_i32_e32 v6, 31, v3
	v_floor_f32_e32 v4, v4
	v_fma_f32 v5, 0xcf800000, v4, |v3|
	v_cvt_u32_f32_e32 v4, v4
	v_cvt_u32_f32_e32 v3, v5
	v_xor_b32_e32 v4, v4, v6
	v_xor_b32_e32 v3, v3, v6
	v_sub_co_u32 v3, vcc_lo, v3, v6
	v_sub_co_ci_u32_e64 v4, null, v4, v6, vcc_lo
	global_store_dwordx2 v[1:2], v[3:4], off
.LBB120_242:
	s_andn2_b32 vcc_lo, exec_lo, s6
	s_cbranch_vccnz .LBB120_244
; %bb.243:
	v_lshlrev_b32_e32 v3, 16, v0
	v_cvt_i32_f32_e32 v3, v3
	global_store_dword v[1:2], v3, off
.LBB120_244:
	s_mov_b32 s6, 0
.LBB120_245:
	s_andn2_b32 vcc_lo, exec_lo, s6
	s_cbranch_vccnz .LBB120_247
; %bb.246:
	v_lshlrev_b32_e32 v3, 16, v0
	v_cvt_i32_f32_e32 v3, v3
	global_store_short v[1:2], v3, off
.LBB120_247:
	s_mov_b32 s6, 0
.LBB120_248:
	s_andn2_b32 vcc_lo, exec_lo, s6
	s_cbranch_vccnz .LBB120_253
; %bb.249:
	v_lshlrev_b32_e32 v0, 16, v0
	s_cmp_gt_i32 s5, 0
	s_mov_b32 s5, -1
	s_cbranch_scc0 .LBB120_251
; %bb.250:
	v_cvt_i32_f32_e32 v3, v0
	s_mov_b32 s5, 0
	global_store_byte v[1:2], v3, off
.LBB120_251:
	s_andn2_b32 vcc_lo, exec_lo, s5
	s_cbranch_vccnz .LBB120_253
; %bb.252:
	v_trunc_f32_e32 v0, v0
	v_mul_f32_e64 v3, 0x2f800000, |v0|
	v_floor_f32_e32 v3, v3
	v_fma_f32 v3, 0xcf800000, v3, |v0|
	v_ashrrev_i32_e32 v0, 31, v0
	v_cvt_u32_f32_e32 v3, v3
	v_xor_b32_e32 v3, v3, v0
	v_sub_nc_u32_e32 v0, v3, v0
	global_store_byte v[1:2], v0, off
.LBB120_253:
	s_branch .LBB120_138
.LBB120_254:
	s_mov_b32 s5, 0
                                        ; implicit-def: $vgpr21
.LBB120_255:
	s_andn2_b32 s6, s25, exec_lo
	s_and_b32 s4, s4, exec_lo
	s_orn2_b32 s7, s5, exec_lo
	s_or_b32 s28, s6, s4
.LBB120_256:
	s_or_b32 exec_lo, exec_lo, s29
	s_mov_b32 s4, 0
	s_mov_b32 s6, 0
                                        ; implicit-def: $sgpr5
                                        ; implicit-def: $vgpr1_vgpr2
                                        ; implicit-def: $vgpr0
	s_and_saveexec_b32 s29, s7
	s_cbranch_execz .LBB120_471
; %bb.257:
	s_mov_b32 s7, -1
	s_mov_b32 s34, s28
	s_mov_b32 s33, exec_lo
	v_cmpx_gt_i32_e64 s26, v21
	s_cbranch_execz .LBB120_386
; %bb.258:
	v_mov_b32_e32 v0, s42
	v_mov_b32_e32 v1, s43
	;; [unrolled: 1-line block ×7, first 2 shown]
	s_getpc_b64 s[4:5]
	s_add_u32 s4, s4, _ZN2at6native6invokeIZZZNS0_21polygamma_kernel_cudaERNS_18TensorIteratorBaseElENKUlvE_clEvENKUlvE2_clEvEUlN3c108BFloat16EE_i15function_traitsIS8_EEENT1_11result_typeERKT_PrKPcPKT0_PKNS6_10ScalarTypeEi@rel32@lo+4
	s_addc_u32 s5, s5, _ZN2at6native6invokeIZZZNS0_21polygamma_kernel_cudaERNS_18TensorIteratorBaseElENKUlvE_clEvENKUlvE2_clEvEUlN3c108BFloat16EE_i15function_traitsIS8_EEENT1_11result_typeERKT_PrKPcPKT0_PKNS6_10ScalarTypeEi@rel32@hi+12
	s_swappc_b64 s[30:31], s[4:5]
	v_mul_lo_u32 v1, v21, s40
	s_and_b32 s5, s21, 0xff
	s_cmp_lt_i32 s5, 11
	v_ashrrev_i32_e32 v2, 31, v1
	v_add_co_u32 v1, vcc_lo, s36, v1
	v_add_co_ci_u32_e64 v2, null, s37, v2, vcc_lo
	s_cbranch_scc1 .LBB120_265
; %bb.259:
	s_and_b32 s6, 0xffff, s5
	s_cmp_gt_i32 s6, 25
	s_cbranch_scc0 .LBB120_266
; %bb.260:
	s_cmp_gt_i32 s6, 28
	s_cbranch_scc0 .LBB120_267
; %bb.261:
	;; [unrolled: 3-line block ×4, first 2 shown]
	s_mov_b32 s8, 0
	s_mov_b32 s4, -1
	s_cmp_eq_u32 s6, 46
	s_mov_b32 s7, 0
	s_cbranch_scc0 .LBB120_274
; %bb.264:
	v_and_b32_e32 v3, 0xffff, v0
	s_mov_b32 s7, -1
	s_mov_b32 s4, 0
	global_store_dword v[1:2], v3, off
	s_branch .LBB120_274
.LBB120_265:
	s_mov_b32 s6, -1
	s_mov_b32 s7, 0
	s_mov_b32 s4, s28
	s_branch .LBB120_343
.LBB120_266:
	s_mov_b32 s8, -1
	s_mov_b32 s7, 0
	s_mov_b32 s4, s28
	s_branch .LBB120_301
.LBB120_267:
	s_mov_b32 s8, -1
	s_mov_b32 s7, 0
	s_mov_b32 s4, s28
	s_branch .LBB120_284
.LBB120_268:
	s_andn2_saveexec_b32 s9, s9
	s_cbranch_execz .LBB120_168
.LBB120_269:
	v_add_f32_e64 v4, 0x46000000, |v5|
	s_andn2_b32 s8, s8, exec_lo
	v_and_b32_e32 v4, 0xff, v4
	v_cmp_ne_u32_e32 vcc_lo, 0, v4
	s_and_b32 s10, vcc_lo, exec_lo
	s_or_b32 s8, s8, s10
	s_or_b32 exec_lo, exec_lo, s9
	v_mov_b32_e32 v6, 0
	s_and_saveexec_b32 s9, s8
	s_cbranch_execnz .LBB120_169
	s_branch .LBB120_170
.LBB120_270:
	s_mov_b32 s8, -1
	s_mov_b32 s7, 0
	s_mov_b32 s4, s28
	s_branch .LBB120_280
.LBB120_271:
	s_andn2_saveexec_b32 s9, s9
	s_cbranch_execz .LBB120_181
.LBB120_272:
	v_add_f32_e64 v4, 0x42800000, |v5|
	s_andn2_b32 s8, s8, exec_lo
	v_and_b32_e32 v4, 0xff, v4
	v_cmp_ne_u32_e32 vcc_lo, 0, v4
	s_and_b32 s10, vcc_lo, exec_lo
	s_or_b32 s8, s8, s10
	s_or_b32 exec_lo, exec_lo, s9
	v_mov_b32_e32 v6, 0
	s_and_saveexec_b32 s9, s8
	s_cbranch_execnz .LBB120_182
	s_branch .LBB120_183
.LBB120_273:
	s_mov_b32 s8, -1
	s_mov_b32 s7, 0
	s_mov_b32 s4, s28
.LBB120_274:
	s_and_b32 vcc_lo, exec_lo, s8
	s_cbranch_vccz .LBB120_279
; %bb.275:
	s_cmp_eq_u32 s6, 44
	s_mov_b32 s4, -1
	s_cbranch_scc0 .LBB120_279
; %bb.276:
	v_and_b32_e32 v3, 0xffff, v0
	v_mov_b32_e32 v4, 0xff
	s_mov_b32 s7, exec_lo
	v_bfe_u32 v5, v3, 7, 8
	v_cmpx_ne_u32_e32 0xff, v5
	s_cbranch_execz .LBB120_278
; %bb.277:
	v_lshlrev_b32_e32 v4, 16, v3
	v_and_b32_e32 v6, 64, v3
	v_lshrrev_b32_e32 v3, 7, v3
	v_and_or_b32 v4, 0x3f0000, v4, v5
	v_cmp_ne_u32_e32 vcc_lo, 0, v6
	v_cmp_ne_u32_e64 s4, 0, v4
	s_and_b32 s4, vcc_lo, s4
	v_cndmask_b32_e64 v4, 0, 1, s4
	v_add_nc_u32_e32 v4, v3, v4
.LBB120_278:
	s_or_b32 exec_lo, exec_lo, s7
	s_mov_b32 s7, -1
	s_mov_b32 s4, 0
	global_store_byte v[1:2], v4, off
.LBB120_279:
	s_mov_b32 s8, 0
.LBB120_280:
	s_and_b32 vcc_lo, exec_lo, s8
	s_cbranch_vccz .LBB120_283
; %bb.281:
	s_cmp_eq_u32 s6, 29
	s_mov_b32 s4, -1
	s_cbranch_scc0 .LBB120_283
; %bb.282:
	v_lshlrev_b32_e32 v3, 16, v0
	s_mov_b32 s7, -1
	s_mov_b32 s4, 0
	s_mov_b32 s8, 0
	v_trunc_f32_e32 v3, v3
	v_mul_f32_e32 v4, 0x2f800000, v3
	v_floor_f32_e32 v4, v4
	v_fmamk_f32 v3, v4, 0xcf800000, v3
	v_cvt_u32_f32_e32 v4, v4
	v_cvt_u32_f32_e32 v3, v3
	global_store_dwordx2 v[1:2], v[3:4], off
	s_branch .LBB120_284
.LBB120_283:
	s_mov_b32 s8, 0
.LBB120_284:
	s_and_b32 vcc_lo, exec_lo, s8
	s_cbranch_vccz .LBB120_300
; %bb.285:
	s_cmp_lt_i32 s6, 27
	s_mov_b32 s7, -1
	s_cbranch_scc1 .LBB120_291
; %bb.286:
	s_cmp_gt_i32 s6, 27
	s_cbranch_scc0 .LBB120_288
; %bb.287:
	v_lshlrev_b32_e32 v3, 16, v0
	s_mov_b32 s7, 0
	v_cvt_u32_f32_e32 v3, v3
	global_store_dword v[1:2], v3, off
.LBB120_288:
	s_andn2_b32 vcc_lo, exec_lo, s7
	s_cbranch_vccnz .LBB120_290
; %bb.289:
	v_lshlrev_b32_e32 v3, 16, v0
	v_cvt_u32_f32_e32 v3, v3
	global_store_short v[1:2], v3, off
.LBB120_290:
	s_mov_b32 s7, 0
.LBB120_291:
	s_andn2_b32 vcc_lo, exec_lo, s7
	s_cbranch_vccnz .LBB120_299
; %bb.292:
	v_lshlrev_b32_e32 v5, 16, v0
	v_mov_b32_e32 v6, 0x80
	s_mov_b32 s7, exec_lo
	v_and_b32_e32 v4, 0x7fffffff, v5
	v_cmpx_gt_u32_e32 0x43800000, v4
	s_cbranch_execz .LBB120_298
; %bb.293:
	v_and_b32_e32 v3, 0xffff, v0
	v_cmp_lt_u32_e32 vcc_lo, 0x3bffffff, v4
	s_mov_b32 s8, 0
                                        ; implicit-def: $vgpr4
	s_and_saveexec_b32 s9, vcc_lo
	s_xor_b32 s9, exec_lo, s9
	s_cbranch_execz .LBB120_396
; %bb.294:
	v_bfe_u32 v4, v3, 4, 1
	s_mov_b32 s8, exec_lo
	v_add3_u32 v4, v5, v4, 0x487ffff
                                        ; implicit-def: $vgpr5
	v_lshrrev_b32_e32 v4, 20, v4
	s_andn2_saveexec_b32 s9, s9
	s_cbranch_execnz .LBB120_397
.LBB120_295:
	s_or_b32 exec_lo, exec_lo, s9
	v_mov_b32_e32 v6, 0
	s_and_saveexec_b32 s9, s8
.LBB120_296:
	v_lshrrev_b32_e32 v3, 8, v3
	v_and_or_b32 v6, 0x80, v3, v4
.LBB120_297:
	s_or_b32 exec_lo, exec_lo, s9
.LBB120_298:
	s_or_b32 exec_lo, exec_lo, s7
	global_store_byte v[1:2], v6, off
.LBB120_299:
	s_mov_b32 s7, -1
.LBB120_300:
	s_mov_b32 s8, 0
.LBB120_301:
	s_and_b32 vcc_lo, exec_lo, s8
	s_cbranch_vccz .LBB120_342
; %bb.302:
	s_cmp_gt_i32 s6, 22
	s_mov_b32 s8, -1
	s_cbranch_scc0 .LBB120_334
; %bb.303:
	s_cmp_lt_i32 s6, 24
	s_mov_b32 s7, -1
	s_cbranch_scc1 .LBB120_323
; %bb.304:
	s_cmp_gt_i32 s6, 24
	s_cbranch_scc0 .LBB120_312
; %bb.305:
	v_lshlrev_b32_e32 v5, 16, v0
	v_mov_b32_e32 v6, 0x80
	s_mov_b32 s7, exec_lo
	v_and_b32_e32 v4, 0x7fffffff, v5
	v_cmpx_gt_u32_e32 0x47800000, v4
	s_cbranch_execz .LBB120_311
; %bb.306:
	v_and_b32_e32 v3, 0xffff, v0
	v_cmp_lt_u32_e32 vcc_lo, 0x37ffffff, v4
	s_mov_b32 s8, 0
                                        ; implicit-def: $vgpr4
	s_and_saveexec_b32 s9, vcc_lo
	s_xor_b32 s9, exec_lo, s9
	s_cbranch_execz .LBB120_398
; %bb.307:
	v_bfe_u32 v4, v3, 5, 1
	s_mov_b32 s8, exec_lo
	v_add3_u32 v4, v5, v4, 0x88fffff
                                        ; implicit-def: $vgpr5
	v_lshrrev_b32_e32 v4, 21, v4
	s_andn2_saveexec_b32 s9, s9
	s_cbranch_execnz .LBB120_399
.LBB120_308:
	s_or_b32 exec_lo, exec_lo, s9
	v_mov_b32_e32 v6, 0
	s_and_saveexec_b32 s9, s8
.LBB120_309:
	v_lshrrev_b32_e32 v3, 8, v3
	v_and_or_b32 v6, 0x80, v3, v4
.LBB120_310:
	s_or_b32 exec_lo, exec_lo, s9
.LBB120_311:
	s_or_b32 exec_lo, exec_lo, s7
	s_mov_b32 s7, 0
	global_store_byte v[1:2], v6, off
.LBB120_312:
	s_and_b32 vcc_lo, exec_lo, s7
	s_cbranch_vccz .LBB120_322
; %bb.313:
	v_lshlrev_b32_e32 v5, 16, v0
	v_and_b32_e32 v3, 0xffff, v0
	s_mov_b32 s7, exec_lo
                                        ; implicit-def: $vgpr4
	v_and_b32_e32 v6, 0x7fffffff, v5
	v_cmpx_gt_u32_e32 0x43f00000, v6
	s_xor_b32 s7, exec_lo, s7
	s_cbranch_execz .LBB120_319
; %bb.314:
	s_mov_b32 s8, exec_lo
                                        ; implicit-def: $vgpr4
	v_cmpx_lt_u32_e32 0x3c7fffff, v6
	s_xor_b32 s8, exec_lo, s8
; %bb.315:
	v_bfe_u32 v4, v3, 4, 1
	v_add3_u32 v4, v5, v4, 0x407ffff
	v_and_b32_e32 v5, 0xff00000, v4
	v_lshrrev_b32_e32 v4, 20, v4
	v_cmp_ne_u32_e32 vcc_lo, 0x7f00000, v5
                                        ; implicit-def: $vgpr5
	v_cndmask_b32_e32 v4, 0x7e, v4, vcc_lo
; %bb.316:
	s_andn2_saveexec_b32 s8, s8
; %bb.317:
	v_add_f32_e64 v4, 0x46800000, |v5|
; %bb.318:
	s_or_b32 exec_lo, exec_lo, s8
                                        ; implicit-def: $vgpr6
.LBB120_319:
	s_andn2_saveexec_b32 s7, s7
; %bb.320:
	v_mov_b32_e32 v4, 0x7f
	v_cmp_lt_u32_e32 vcc_lo, 0x7f800000, v6
	v_cndmask_b32_e32 v4, 0x7e, v4, vcc_lo
; %bb.321:
	s_or_b32 exec_lo, exec_lo, s7
	v_lshrrev_b32_e32 v3, 8, v3
	v_and_or_b32 v3, 0x80, v3, v4
	global_store_byte v[1:2], v3, off
.LBB120_322:
	s_mov_b32 s7, 0
.LBB120_323:
	s_andn2_b32 vcc_lo, exec_lo, s7
	s_cbranch_vccnz .LBB120_333
; %bb.324:
	v_lshlrev_b32_e32 v5, 16, v0
	v_and_b32_e32 v3, 0xffff, v0
	s_mov_b32 s7, exec_lo
                                        ; implicit-def: $vgpr4
	v_and_b32_e32 v6, 0x7fffffff, v5
	v_cmpx_gt_u32_e32 0x47800000, v6
	s_xor_b32 s7, exec_lo, s7
	s_cbranch_execz .LBB120_330
; %bb.325:
	s_mov_b32 s8, exec_lo
                                        ; implicit-def: $vgpr4
	v_cmpx_lt_u32_e32 0x387fffff, v6
	s_xor_b32 s8, exec_lo, s8
; %bb.326:
	v_bfe_u32 v4, v3, 5, 1
	v_add3_u32 v4, v5, v4, 0x80fffff
                                        ; implicit-def: $vgpr5
	v_lshrrev_b32_e32 v4, 21, v4
; %bb.327:
	s_andn2_saveexec_b32 s8, s8
; %bb.328:
	v_add_f32_e64 v4, 0x43000000, |v5|
; %bb.329:
	s_or_b32 exec_lo, exec_lo, s8
                                        ; implicit-def: $vgpr6
.LBB120_330:
	s_andn2_saveexec_b32 s7, s7
; %bb.331:
	v_mov_b32_e32 v4, 0x7f
	v_cmp_lt_u32_e32 vcc_lo, 0x7f800000, v6
	v_cndmask_b32_e32 v4, 0x7c, v4, vcc_lo
; %bb.332:
	s_or_b32 exec_lo, exec_lo, s7
	v_lshrrev_b32_e32 v3, 8, v3
	v_and_or_b32 v3, 0x80, v3, v4
	global_store_byte v[1:2], v3, off
.LBB120_333:
	s_mov_b32 s8, 0
	s_mov_b32 s7, -1
.LBB120_334:
	s_andn2_b32 vcc_lo, exec_lo, s8
	s_cbranch_vccnz .LBB120_342
; %bb.335:
	s_cmp_gt_i32 s6, 14
	s_mov_b32 s8, -1
	s_cbranch_scc0 .LBB120_339
; %bb.336:
	s_cmp_eq_u32 s6, 15
	s_mov_b32 s4, -1
	s_cbranch_scc0 .LBB120_338
; %bb.337:
	s_mov_b32 s7, -1
	s_mov_b32 s4, 0
	global_store_short v[1:2], v0, off
.LBB120_338:
	s_mov_b32 s8, 0
.LBB120_339:
	s_and_b32 vcc_lo, exec_lo, s8
	s_cbranch_vccz .LBB120_342
; %bb.340:
	s_cmp_eq_u32 s6, 11
	s_mov_b32 s4, -1
	s_cbranch_scc0 .LBB120_342
; %bb.341:
	v_and_b32_e32 v3, 0x7fff, v0
	s_mov_b32 s4, 0
	s_mov_b32 s7, -1
	v_cmp_ne_u16_e32 vcc_lo, 0, v3
	v_cndmask_b32_e64 v3, 0, 1, vcc_lo
	global_store_byte v[1:2], v3, off
.LBB120_342:
	s_mov_b32 s6, 0
.LBB120_343:
	s_and_b32 vcc_lo, exec_lo, s6
	s_cbranch_vccz .LBB120_382
; %bb.344:
	s_and_b32 s5, 0xffff, s5
	s_mov_b32 s6, -1
	s_cmp_lt_i32 s5, 5
	s_cbranch_scc1 .LBB120_365
; %bb.345:
	s_cmp_lt_i32 s5, 8
	s_cbranch_scc1 .LBB120_355
; %bb.346:
	;; [unrolled: 3-line block ×3, first 2 shown]
	s_cmp_gt_i32 s5, 9
	s_cbranch_scc0 .LBB120_349
; %bb.348:
	v_lshlrev_b32_e32 v3, 16, v0
	v_mov_b32_e32 v5, 0
	s_mov_b32 s6, 0
	v_cvt_f64_f32_e32 v[3:4], v3
	v_mov_b32_e32 v6, v5
	global_store_dwordx4 v[1:2], v[3:6], off
.LBB120_349:
	s_andn2_b32 vcc_lo, exec_lo, s6
	s_cbranch_vccnz .LBB120_351
; %bb.350:
	v_lshlrev_b32_e32 v3, 16, v0
	v_mov_b32_e32 v4, 0
	global_store_dwordx2 v[1:2], v[3:4], off
.LBB120_351:
	s_mov_b32 s6, 0
.LBB120_352:
	s_andn2_b32 vcc_lo, exec_lo, s6
	s_cbranch_vccnz .LBB120_354
; %bb.353:
	v_lshlrev_b32_e32 v3, 16, v0
	v_cvt_f16_f32_e32 v3, v3
	v_and_b32_e32 v3, 0xffff, v3
	global_store_dword v[1:2], v3, off
.LBB120_354:
	s_mov_b32 s6, 0
.LBB120_355:
	s_andn2_b32 vcc_lo, exec_lo, s6
	s_cbranch_vccnz .LBB120_364
; %bb.356:
	s_cmp_lt_i32 s5, 6
	s_mov_b32 s6, -1
	s_cbranch_scc1 .LBB120_362
; %bb.357:
	s_cmp_gt_i32 s5, 6
	s_cbranch_scc0 .LBB120_359
; %bb.358:
	v_lshlrev_b32_e32 v3, 16, v0
	s_mov_b32 s6, 0
	v_cvt_f64_f32_e32 v[3:4], v3
	global_store_dwordx2 v[1:2], v[3:4], off
.LBB120_359:
	s_andn2_b32 vcc_lo, exec_lo, s6
	s_cbranch_vccnz .LBB120_361
; %bb.360:
	v_lshlrev_b32_e32 v3, 16, v0
	global_store_dword v[1:2], v3, off
.LBB120_361:
	s_mov_b32 s6, 0
.LBB120_362:
	s_andn2_b32 vcc_lo, exec_lo, s6
	s_cbranch_vccnz .LBB120_364
; %bb.363:
	v_lshlrev_b32_e32 v3, 16, v0
	v_cvt_f16_f32_e32 v3, v3
	global_store_short v[1:2], v3, off
.LBB120_364:
	s_mov_b32 s6, 0
.LBB120_365:
	s_andn2_b32 vcc_lo, exec_lo, s6
	s_cbranch_vccnz .LBB120_381
; %bb.366:
	s_cmp_lt_i32 s5, 2
	s_mov_b32 s6, -1
	s_cbranch_scc1 .LBB120_376
; %bb.367:
	s_cmp_lt_i32 s5, 3
	s_cbranch_scc1 .LBB120_373
; %bb.368:
	s_cmp_gt_i32 s5, 3
	s_cbranch_scc0 .LBB120_370
; %bb.369:
	v_lshlrev_b32_e32 v3, 16, v0
	s_mov_b32 s6, 0
	v_trunc_f32_e32 v3, v3
	v_mul_f32_e64 v4, 0x2f800000, |v3|
	v_ashrrev_i32_e32 v6, 31, v3
	v_floor_f32_e32 v4, v4
	v_fma_f32 v5, 0xcf800000, v4, |v3|
	v_cvt_u32_f32_e32 v4, v4
	v_cvt_u32_f32_e32 v3, v5
	v_xor_b32_e32 v4, v4, v6
	v_xor_b32_e32 v3, v3, v6
	v_sub_co_u32 v3, vcc_lo, v3, v6
	v_sub_co_ci_u32_e64 v4, null, v4, v6, vcc_lo
	global_store_dwordx2 v[1:2], v[3:4], off
.LBB120_370:
	s_andn2_b32 vcc_lo, exec_lo, s6
	s_cbranch_vccnz .LBB120_372
; %bb.371:
	v_lshlrev_b32_e32 v3, 16, v0
	v_cvt_i32_f32_e32 v3, v3
	global_store_dword v[1:2], v3, off
.LBB120_372:
	s_mov_b32 s6, 0
.LBB120_373:
	s_andn2_b32 vcc_lo, exec_lo, s6
	s_cbranch_vccnz .LBB120_375
; %bb.374:
	v_lshlrev_b32_e32 v3, 16, v0
	v_cvt_i32_f32_e32 v3, v3
	global_store_short v[1:2], v3, off
.LBB120_375:
	s_mov_b32 s6, 0
.LBB120_376:
	s_andn2_b32 vcc_lo, exec_lo, s6
	s_cbranch_vccnz .LBB120_381
; %bb.377:
	v_lshlrev_b32_e32 v0, 16, v0
	s_cmp_gt_i32 s5, 0
	s_mov_b32 s5, -1
	s_cbranch_scc0 .LBB120_379
; %bb.378:
	v_cvt_i32_f32_e32 v3, v0
	s_mov_b32 s5, 0
	global_store_byte v[1:2], v3, off
.LBB120_379:
	s_andn2_b32 vcc_lo, exec_lo, s5
	s_cbranch_vccnz .LBB120_381
; %bb.380:
	v_trunc_f32_e32 v0, v0
	v_mul_f32_e64 v3, 0x2f800000, |v0|
	v_floor_f32_e32 v3, v3
	v_fma_f32 v3, 0xcf800000, v3, |v0|
	v_ashrrev_i32_e32 v0, 31, v0
	v_cvt_u32_f32_e32 v3, v3
	v_xor_b32_e32 v3, v3, v0
	v_sub_nc_u32_e32 v0, v3, v0
	global_store_byte v[1:2], v0, off
.LBB120_381:
	s_mov_b32 s7, -1
.LBB120_382:
	s_andn2_b32 vcc_lo, exec_lo, s7
	s_cbranch_vccnz .LBB120_384
; %bb.383:
	v_add_nc_u32_e32 v21, 0x80, v21
	s_mov_b32 s5, -1
	s_branch .LBB120_385
.LBB120_384:
	s_mov_b32 s5, 0
                                        ; implicit-def: $vgpr21
.LBB120_385:
	s_andn2_b32 s6, s28, exec_lo
	s_and_b32 s4, s4, exec_lo
	s_orn2_b32 s7, s5, exec_lo
	s_or_b32 s34, s6, s4
.LBB120_386:
	s_or_b32 exec_lo, exec_lo, s33
	s_mov_b32 s4, 0
	s_mov_b32 s6, 0
                                        ; implicit-def: $sgpr5
                                        ; implicit-def: $vgpr1_vgpr2
                                        ; implicit-def: $vgpr0
	s_and_saveexec_b32 s33, s7
	s_cbranch_execz .LBB120_470
; %bb.387:
	v_cmp_gt_i32_e32 vcc_lo, s26, v21
	s_mov_b32 s7, s34
                                        ; implicit-def: $sgpr5
                                        ; implicit-def: $vgpr1_vgpr2
                                        ; implicit-def: $vgpr0
	s_and_saveexec_b32 s26, vcc_lo
	s_cbranch_execz .LBB120_469
; %bb.388:
	v_mov_b32_e32 v0, s42
	v_mov_b32_e32 v1, s43
	;; [unrolled: 1-line block ×7, first 2 shown]
	s_getpc_b64 s[4:5]
	s_add_u32 s4, s4, _ZN2at6native6invokeIZZZNS0_21polygamma_kernel_cudaERNS_18TensorIteratorBaseElENKUlvE_clEvENKUlvE2_clEvEUlN3c108BFloat16EE_i15function_traitsIS8_EEENT1_11result_typeERKT_PrKPcPKT0_PKNS6_10ScalarTypeEi@rel32@lo+4
	s_addc_u32 s5, s5, _ZN2at6native6invokeIZZZNS0_21polygamma_kernel_cudaERNS_18TensorIteratorBaseElENKUlvE_clEvENKUlvE2_clEvEUlN3c108BFloat16EE_i15function_traitsIS8_EEENT1_11result_typeERKT_PrKPcPKT0_PKNS6_10ScalarTypeEi@rel32@hi+12
	s_swappc_b64 s[30:31], s[4:5]
	v_mul_lo_u32 v1, v21, s40
	s_and_b32 s5, s21, 0xff
	s_cmp_lt_i32 s5, 11
	v_ashrrev_i32_e32 v2, 31, v1
	v_add_co_u32 v1, vcc_lo, s36, v1
	v_add_co_ci_u32_e64 v2, null, s37, v2, vcc_lo
	s_cbranch_scc1 .LBB120_395
; %bb.389:
	s_and_b32 s6, 0xffff, s5
	s_mov_b32 s7, -1
	s_cmp_gt_i32 s6, 25
	s_mov_b32 s4, s34
	s_cbranch_scc0 .LBB120_427
; %bb.390:
	s_cmp_gt_i32 s6, 28
	s_mov_b32 s4, s34
	s_cbranch_scc0 .LBB120_411
; %bb.391:
	;; [unrolled: 4-line block ×4, first 2 shown]
	s_cmp_eq_u32 s6, 46
	s_mov_b32 s4, -1
	s_cbranch_scc0 .LBB120_400
; %bb.394:
	v_and_b32_e32 v3, 0xffff, v0
	s_mov_b32 s4, 0
	s_mov_b32 s7, 0
	global_store_dword v[1:2], v3, off
	s_branch .LBB120_401
.LBB120_395:
	s_mov_b32 s8, 0
	s_mov_b32 s7, -1
	s_mov_b32 s4, s34
	s_branch .LBB120_468
.LBB120_396:
	s_andn2_saveexec_b32 s9, s9
	s_cbranch_execz .LBB120_295
.LBB120_397:
	v_add_f32_e64 v4, 0x46000000, |v5|
	s_andn2_b32 s8, s8, exec_lo
	v_and_b32_e32 v4, 0xff, v4
	v_cmp_ne_u32_e32 vcc_lo, 0, v4
	s_and_b32 s10, vcc_lo, exec_lo
	s_or_b32 s8, s8, s10
	s_or_b32 exec_lo, exec_lo, s9
	v_mov_b32_e32 v6, 0
	s_and_saveexec_b32 s9, s8
	s_cbranch_execnz .LBB120_296
	s_branch .LBB120_297
.LBB120_398:
	s_andn2_saveexec_b32 s9, s9
	s_cbranch_execz .LBB120_308
.LBB120_399:
	v_add_f32_e64 v4, 0x42800000, |v5|
	s_andn2_b32 s8, s8, exec_lo
	v_and_b32_e32 v4, 0xff, v4
	v_cmp_ne_u32_e32 vcc_lo, 0, v4
	s_and_b32 s10, vcc_lo, exec_lo
	s_or_b32 s8, s8, s10
	s_or_b32 exec_lo, exec_lo, s9
	v_mov_b32_e32 v6, 0
	s_and_saveexec_b32 s9, s8
	s_cbranch_execnz .LBB120_309
	s_branch .LBB120_310
.LBB120_400:
	s_mov_b32 s7, 0
.LBB120_401:
	s_and_b32 vcc_lo, exec_lo, s7
	s_cbranch_vccz .LBB120_406
; %bb.402:
	s_cmp_eq_u32 s6, 44
	s_mov_b32 s4, -1
	s_cbranch_scc0 .LBB120_406
; %bb.403:
	v_and_b32_e32 v3, 0xffff, v0
	v_mov_b32_e32 v4, 0xff
	s_mov_b32 s7, exec_lo
	v_bfe_u32 v5, v3, 7, 8
	v_cmpx_ne_u32_e32 0xff, v5
	s_cbranch_execz .LBB120_405
; %bb.404:
	v_lshlrev_b32_e32 v4, 16, v3
	v_and_b32_e32 v6, 64, v3
	v_lshrrev_b32_e32 v3, 7, v3
	v_and_or_b32 v4, 0x3f0000, v4, v5
	v_cmp_ne_u32_e32 vcc_lo, 0, v6
	v_cmp_ne_u32_e64 s4, 0, v4
	s_and_b32 s4, vcc_lo, s4
	v_cndmask_b32_e64 v4, 0, 1, s4
	v_add_nc_u32_e32 v4, v3, v4
.LBB120_405:
	s_or_b32 exec_lo, exec_lo, s7
	s_mov_b32 s4, 0
	global_store_byte v[1:2], v4, off
.LBB120_406:
	s_mov_b32 s7, 0
.LBB120_407:
	s_and_b32 vcc_lo, exec_lo, s7
	s_cbranch_vccz .LBB120_410
; %bb.408:
	s_cmp_eq_u32 s6, 29
	s_mov_b32 s4, -1
	s_cbranch_scc0 .LBB120_410
; %bb.409:
	v_lshlrev_b32_e32 v3, 16, v0
	s_mov_b32 s4, 0
	s_mov_b32 s7, 0
	v_trunc_f32_e32 v3, v3
	v_mul_f32_e32 v4, 0x2f800000, v3
	v_floor_f32_e32 v4, v4
	v_fmamk_f32 v3, v4, 0xcf800000, v3
	v_cvt_u32_f32_e32 v4, v4
	v_cvt_u32_f32_e32 v3, v3
	global_store_dwordx2 v[1:2], v[3:4], off
	s_branch .LBB120_411
.LBB120_410:
	s_mov_b32 s7, 0
.LBB120_411:
	s_and_b32 vcc_lo, exec_lo, s7
	s_cbranch_vccz .LBB120_426
; %bb.412:
	s_cmp_lt_i32 s6, 27
	s_mov_b32 s7, -1
	s_cbranch_scc1 .LBB120_418
; %bb.413:
	s_cmp_gt_i32 s6, 27
	s_cbranch_scc0 .LBB120_415
; %bb.414:
	v_lshlrev_b32_e32 v3, 16, v0
	s_mov_b32 s7, 0
	v_cvt_u32_f32_e32 v3, v3
	global_store_dword v[1:2], v3, off
.LBB120_415:
	s_andn2_b32 vcc_lo, exec_lo, s7
	s_cbranch_vccnz .LBB120_417
; %bb.416:
	v_lshlrev_b32_e32 v3, 16, v0
	v_cvt_u32_f32_e32 v3, v3
	global_store_short v[1:2], v3, off
.LBB120_417:
	s_mov_b32 s7, 0
.LBB120_418:
	s_andn2_b32 vcc_lo, exec_lo, s7
	s_cbranch_vccnz .LBB120_426
; %bb.419:
	v_lshlrev_b32_e32 v5, 16, v0
	v_mov_b32_e32 v6, 0x80
	s_mov_b32 s7, exec_lo
	v_and_b32_e32 v4, 0x7fffffff, v5
	v_cmpx_gt_u32_e32 0x43800000, v4
	s_cbranch_execz .LBB120_425
; %bb.420:
	v_and_b32_e32 v3, 0xffff, v0
	v_cmp_lt_u32_e32 vcc_lo, 0x3bffffff, v4
	s_mov_b32 s8, 0
                                        ; implicit-def: $vgpr4
	s_and_saveexec_b32 s9, vcc_lo
	s_xor_b32 s9, exec_lo, s9
	s_cbranch_execz .LBB120_1007
; %bb.421:
	v_bfe_u32 v4, v3, 4, 1
	s_mov_b32 s8, exec_lo
	v_add3_u32 v4, v5, v4, 0x487ffff
                                        ; implicit-def: $vgpr5
	v_lshrrev_b32_e32 v4, 20, v4
	s_andn2_saveexec_b32 s9, s9
	s_cbranch_execnz .LBB120_1008
.LBB120_422:
	s_or_b32 exec_lo, exec_lo, s9
	v_mov_b32_e32 v6, 0
	s_and_saveexec_b32 s9, s8
.LBB120_423:
	v_lshrrev_b32_e32 v3, 8, v3
	v_and_or_b32 v6, 0x80, v3, v4
.LBB120_424:
	s_or_b32 exec_lo, exec_lo, s9
.LBB120_425:
	s_or_b32 exec_lo, exec_lo, s7
	global_store_byte v[1:2], v6, off
.LBB120_426:
	s_mov_b32 s7, 0
.LBB120_427:
	s_and_b32 vcc_lo, exec_lo, s7
	s_mov_b32 s7, 0
	s_cbranch_vccz .LBB120_467
; %bb.428:
	s_cmp_gt_i32 s6, 22
	s_mov_b32 s8, -1
	s_cbranch_scc0 .LBB120_460
; %bb.429:
	s_cmp_lt_i32 s6, 24
	s_cbranch_scc1 .LBB120_449
; %bb.430:
	s_cmp_gt_i32 s6, 24
	s_cbranch_scc0 .LBB120_438
; %bb.431:
	v_lshlrev_b32_e32 v5, 16, v0
	v_mov_b32_e32 v6, 0x80
	s_mov_b32 s8, exec_lo
	v_and_b32_e32 v4, 0x7fffffff, v5
	v_cmpx_gt_u32_e32 0x47800000, v4
	s_cbranch_execz .LBB120_437
; %bb.432:
	v_and_b32_e32 v3, 0xffff, v0
	v_cmp_lt_u32_e32 vcc_lo, 0x37ffffff, v4
	s_mov_b32 s9, 0
                                        ; implicit-def: $vgpr4
	s_and_saveexec_b32 s10, vcc_lo
	s_xor_b32 s10, exec_lo, s10
	s_cbranch_execz .LBB120_1011
; %bb.433:
	v_bfe_u32 v4, v3, 5, 1
	s_mov_b32 s9, exec_lo
	v_add3_u32 v4, v5, v4, 0x88fffff
                                        ; implicit-def: $vgpr5
	v_lshrrev_b32_e32 v4, 21, v4
	s_andn2_saveexec_b32 s10, s10
	s_cbranch_execnz .LBB120_1012
.LBB120_434:
	s_or_b32 exec_lo, exec_lo, s10
	v_mov_b32_e32 v6, 0
	s_and_saveexec_b32 s10, s9
.LBB120_435:
	v_lshrrev_b32_e32 v3, 8, v3
	v_and_or_b32 v6, 0x80, v3, v4
.LBB120_436:
	s_or_b32 exec_lo, exec_lo, s10
.LBB120_437:
	s_or_b32 exec_lo, exec_lo, s8
	s_mov_b32 s8, 0
	global_store_byte v[1:2], v6, off
.LBB120_438:
	s_and_b32 vcc_lo, exec_lo, s8
	s_cbranch_vccz .LBB120_448
; %bb.439:
	v_lshlrev_b32_e32 v5, 16, v0
	v_and_b32_e32 v3, 0xffff, v0
	s_mov_b32 s8, exec_lo
                                        ; implicit-def: $vgpr4
	v_and_b32_e32 v6, 0x7fffffff, v5
	v_cmpx_gt_u32_e32 0x43f00000, v6
	s_xor_b32 s8, exec_lo, s8
	s_cbranch_execz .LBB120_445
; %bb.440:
	s_mov_b32 s9, exec_lo
                                        ; implicit-def: $vgpr4
	v_cmpx_lt_u32_e32 0x3c7fffff, v6
	s_xor_b32 s9, exec_lo, s9
; %bb.441:
	v_bfe_u32 v4, v3, 4, 1
	v_add3_u32 v4, v5, v4, 0x407ffff
	v_and_b32_e32 v5, 0xff00000, v4
	v_lshrrev_b32_e32 v4, 20, v4
	v_cmp_ne_u32_e32 vcc_lo, 0x7f00000, v5
                                        ; implicit-def: $vgpr5
	v_cndmask_b32_e32 v4, 0x7e, v4, vcc_lo
; %bb.442:
	s_andn2_saveexec_b32 s9, s9
; %bb.443:
	v_add_f32_e64 v4, 0x46800000, |v5|
; %bb.444:
	s_or_b32 exec_lo, exec_lo, s9
                                        ; implicit-def: $vgpr6
.LBB120_445:
	s_andn2_saveexec_b32 s8, s8
; %bb.446:
	v_mov_b32_e32 v4, 0x7f
	v_cmp_lt_u32_e32 vcc_lo, 0x7f800000, v6
	v_cndmask_b32_e32 v4, 0x7e, v4, vcc_lo
; %bb.447:
	s_or_b32 exec_lo, exec_lo, s8
	v_lshrrev_b32_e32 v3, 8, v3
	v_and_or_b32 v3, 0x80, v3, v4
	global_store_byte v[1:2], v3, off
.LBB120_448:
	s_mov_b32 s8, 0
.LBB120_449:
	s_andn2_b32 vcc_lo, exec_lo, s8
	s_cbranch_vccnz .LBB120_459
; %bb.450:
	v_lshlrev_b32_e32 v5, 16, v0
	v_and_b32_e32 v3, 0xffff, v0
	s_mov_b32 s8, exec_lo
                                        ; implicit-def: $vgpr4
	v_and_b32_e32 v6, 0x7fffffff, v5
	v_cmpx_gt_u32_e32 0x47800000, v6
	s_xor_b32 s8, exec_lo, s8
	s_cbranch_execz .LBB120_456
; %bb.451:
	s_mov_b32 s9, exec_lo
                                        ; implicit-def: $vgpr4
	v_cmpx_lt_u32_e32 0x387fffff, v6
	s_xor_b32 s9, exec_lo, s9
; %bb.452:
	v_bfe_u32 v4, v3, 5, 1
	v_add3_u32 v4, v5, v4, 0x80fffff
                                        ; implicit-def: $vgpr5
	v_lshrrev_b32_e32 v4, 21, v4
; %bb.453:
	s_andn2_saveexec_b32 s9, s9
; %bb.454:
	v_add_f32_e64 v4, 0x43000000, |v5|
; %bb.455:
	s_or_b32 exec_lo, exec_lo, s9
                                        ; implicit-def: $vgpr6
.LBB120_456:
	s_andn2_saveexec_b32 s8, s8
; %bb.457:
	v_mov_b32_e32 v4, 0x7f
	v_cmp_lt_u32_e32 vcc_lo, 0x7f800000, v6
	v_cndmask_b32_e32 v4, 0x7c, v4, vcc_lo
; %bb.458:
	s_or_b32 exec_lo, exec_lo, s8
	v_lshrrev_b32_e32 v3, 8, v3
	v_and_or_b32 v3, 0x80, v3, v4
	global_store_byte v[1:2], v3, off
.LBB120_459:
	s_mov_b32 s8, 0
.LBB120_460:
	s_andn2_b32 vcc_lo, exec_lo, s8
	s_mov_b32 s8, 0
	s_cbranch_vccnz .LBB120_468
; %bb.461:
	s_cmp_gt_i32 s6, 14
	s_mov_b32 s8, -1
	s_cbranch_scc0 .LBB120_465
; %bb.462:
	s_cmp_eq_u32 s6, 15
	s_mov_b32 s4, -1
	s_cbranch_scc0 .LBB120_464
; %bb.463:
	s_mov_b32 s4, 0
	global_store_short v[1:2], v0, off
.LBB120_464:
	s_mov_b32 s8, 0
.LBB120_465:
	s_and_b32 vcc_lo, exec_lo, s8
	s_mov_b32 s8, 0
	s_cbranch_vccz .LBB120_468
; %bb.466:
	s_cmp_lg_u32 s6, 11
	s_mov_b32 s8, -1
	s_cselect_b32 s6, -1, 0
	s_andn2_b32 s4, s4, exec_lo
	s_and_b32 s6, s6, exec_lo
	s_or_b32 s4, s4, s6
	s_branch .LBB120_468
.LBB120_467:
	s_mov_b32 s8, 0
.LBB120_468:
	s_and_b32 s6, s7, exec_lo
	s_andn2_b32 s7, s34, exec_lo
	s_and_b32 s9, s4, exec_lo
	s_and_b32 s4, s8, exec_lo
	s_or_b32 s7, s7, s9
.LBB120_469:
	s_or_b32 exec_lo, exec_lo, s26
	s_andn2_b32 s8, s34, exec_lo
	s_and_b32 s7, s7, exec_lo
	s_and_b32 s6, s6, exec_lo
	;; [unrolled: 1-line block ×3, first 2 shown]
	s_or_b32 s34, s8, s7
.LBB120_470:
	s_or_b32 exec_lo, exec_lo, s33
	s_andn2_b32 s7, s28, exec_lo
	s_and_b32 s8, s34, exec_lo
	s_and_b32 s6, s6, exec_lo
	;; [unrolled: 1-line block ×3, first 2 shown]
	s_or_b32 s28, s7, s8
.LBB120_471:
	s_or_b32 exec_lo, exec_lo, s29
	s_andn2_b32 s7, s25, exec_lo
	s_and_b32 s8, s28, exec_lo
	s_and_b32 s6, s6, exec_lo
	;; [unrolled: 1-line block ×3, first 2 shown]
	s_or_b32 s25, s7, s8
	s_or_b32 exec_lo, exec_lo, s27
	s_mov_b32 s4, 0
	s_and_saveexec_b32 s7, s25
	s_cbranch_execz .LBB120_134
.LBB120_472:
	s_mov_b32 s4, exec_lo
	s_andn2_b32 s28, s28, exec_lo
	s_trap 2
	s_or_b32 exec_lo, exec_lo, s7
	s_and_saveexec_b32 s7, s28
	s_xor_b32 s7, exec_lo, s7
	s_cbranch_execnz .LBB120_135
.LBB120_473:
	s_or_b32 exec_lo, exec_lo, s7
	s_and_saveexec_b32 s7, s6
	s_xor_b32 s6, exec_lo, s7
	s_cbranch_execz .LBB120_511
.LBB120_474:
	s_sext_i32_i16 s8, s5
	s_mov_b32 s7, -1
	s_cmp_lt_i32 s8, 5
	s_cbranch_scc1 .LBB120_495
; %bb.475:
	s_cmp_lt_i32 s8, 8
	s_cbranch_scc1 .LBB120_485
; %bb.476:
	;; [unrolled: 3-line block ×3, first 2 shown]
	s_cmp_gt_i32 s8, 9
	s_cbranch_scc0 .LBB120_479
; %bb.478:
	v_lshlrev_b32_e32 v3, 16, v0
	v_mov_b32_e32 v5, 0
	s_mov_b32 s7, 0
	v_cvt_f64_f32_e32 v[3:4], v3
	v_mov_b32_e32 v6, v5
	global_store_dwordx4 v[1:2], v[3:6], off
.LBB120_479:
	s_andn2_b32 vcc_lo, exec_lo, s7
	s_cbranch_vccnz .LBB120_481
; %bb.480:
	v_lshlrev_b32_e32 v3, 16, v0
	v_mov_b32_e32 v4, 0
	global_store_dwordx2 v[1:2], v[3:4], off
.LBB120_481:
	s_mov_b32 s7, 0
.LBB120_482:
	s_andn2_b32 vcc_lo, exec_lo, s7
	s_cbranch_vccnz .LBB120_484
; %bb.483:
	v_lshlrev_b32_e32 v3, 16, v0
	v_cvt_f16_f32_e32 v3, v3
	v_and_b32_e32 v3, 0xffff, v3
	global_store_dword v[1:2], v3, off
.LBB120_484:
	s_mov_b32 s7, 0
.LBB120_485:
	s_andn2_b32 vcc_lo, exec_lo, s7
	s_cbranch_vccnz .LBB120_494
; %bb.486:
	s_sext_i32_i16 s8, s5
	s_mov_b32 s7, -1
	s_cmp_lt_i32 s8, 6
	s_cbranch_scc1 .LBB120_492
; %bb.487:
	s_cmp_gt_i32 s8, 6
	s_cbranch_scc0 .LBB120_489
; %bb.488:
	v_lshlrev_b32_e32 v3, 16, v0
	s_mov_b32 s7, 0
	v_cvt_f64_f32_e32 v[3:4], v3
	global_store_dwordx2 v[1:2], v[3:4], off
.LBB120_489:
	s_andn2_b32 vcc_lo, exec_lo, s7
	s_cbranch_vccnz .LBB120_491
; %bb.490:
	v_lshlrev_b32_e32 v3, 16, v0
	global_store_dword v[1:2], v3, off
.LBB120_491:
	s_mov_b32 s7, 0
.LBB120_492:
	s_andn2_b32 vcc_lo, exec_lo, s7
	s_cbranch_vccnz .LBB120_494
; %bb.493:
	v_lshlrev_b32_e32 v3, 16, v0
	v_cvt_f16_f32_e32 v3, v3
	global_store_short v[1:2], v3, off
.LBB120_494:
	s_mov_b32 s7, 0
.LBB120_495:
	s_andn2_b32 vcc_lo, exec_lo, s7
	s_cbranch_vccnz .LBB120_511
; %bb.496:
	s_sext_i32_i16 s8, s5
	s_mov_b32 s7, -1
	s_cmp_lt_i32 s8, 2
	s_cbranch_scc1 .LBB120_506
; %bb.497:
	s_cmp_lt_i32 s8, 3
	s_cbranch_scc1 .LBB120_503
; %bb.498:
	s_cmp_gt_i32 s8, 3
	s_cbranch_scc0 .LBB120_500
; %bb.499:
	v_lshlrev_b32_e32 v3, 16, v0
	s_mov_b32 s7, 0
	v_trunc_f32_e32 v3, v3
	v_mul_f32_e64 v4, 0x2f800000, |v3|
	v_ashrrev_i32_e32 v6, 31, v3
	v_floor_f32_e32 v4, v4
	v_fma_f32 v5, 0xcf800000, v4, |v3|
	v_cvt_u32_f32_e32 v4, v4
	v_cvt_u32_f32_e32 v3, v5
	v_xor_b32_e32 v4, v4, v6
	v_xor_b32_e32 v3, v3, v6
	v_sub_co_u32 v3, vcc_lo, v3, v6
	v_sub_co_ci_u32_e64 v4, null, v4, v6, vcc_lo
	global_store_dwordx2 v[1:2], v[3:4], off
.LBB120_500:
	s_andn2_b32 vcc_lo, exec_lo, s7
	s_cbranch_vccnz .LBB120_502
; %bb.501:
	v_lshlrev_b32_e32 v3, 16, v0
	v_cvt_i32_f32_e32 v3, v3
	global_store_dword v[1:2], v3, off
.LBB120_502:
	s_mov_b32 s7, 0
.LBB120_503:
	s_andn2_b32 vcc_lo, exec_lo, s7
	s_cbranch_vccnz .LBB120_505
; %bb.504:
	v_lshlrev_b32_e32 v3, 16, v0
	v_cvt_i32_f32_e32 v3, v3
	global_store_short v[1:2], v3, off
.LBB120_505:
	s_mov_b32 s7, 0
.LBB120_506:
	s_andn2_b32 vcc_lo, exec_lo, s7
	s_cbranch_vccnz .LBB120_511
; %bb.507:
	v_lshlrev_b32_e32 v0, 16, v0
	s_sext_i32_i16 s5, s5
	s_cmp_gt_i32 s5, 0
	s_mov_b32 s5, -1
	s_cbranch_scc0 .LBB120_509
; %bb.508:
	v_cvt_i32_f32_e32 v3, v0
	s_mov_b32 s5, 0
	global_store_byte v[1:2], v3, off
.LBB120_509:
	s_andn2_b32 vcc_lo, exec_lo, s5
	s_cbranch_vccnz .LBB120_511
; %bb.510:
	v_trunc_f32_e32 v0, v0
	v_mul_f32_e64 v3, 0x2f800000, |v0|
	v_floor_f32_e32 v3, v3
	v_fma_f32 v3, 0xcf800000, v3, |v0|
	v_ashrrev_i32_e32 v0, 31, v0
	v_cvt_u32_f32_e32 v3, v3
	v_xor_b32_e32 v3, v3, v0
	v_sub_nc_u32_e32 v0, v3, v0
	global_store_byte v[1:2], v0, off
.LBB120_511:
	s_or_b32 exec_lo, exec_lo, s6
	s_and_b32 s25, s4, exec_lo
                                        ; implicit-def: $vgpr21
                                        ; implicit-def: $vgpr25
.LBB120_512:
	s_or_saveexec_b32 s24, s24
	s_mov_b32 s4, 0
                                        ; implicit-def: $sgpr5
                                        ; implicit-def: $vgpr1_vgpr2
                                        ; implicit-def: $vgpr0
	s_xor_b32 exec_lo, exec_lo, s24
	s_cbranch_execz .LBB120_945
; %bb.513:
	v_mov_b32_e32 v0, s42
	v_mov_b32_e32 v1, s43
	;; [unrolled: 1-line block ×7, first 2 shown]
	s_getpc_b64 s[26:27]
	s_add_u32 s26, s26, _ZN2at6native6invokeIZZZNS0_21polygamma_kernel_cudaERNS_18TensorIteratorBaseElENKUlvE_clEvENKUlvE2_clEvEUlN3c108BFloat16EE_i15function_traitsIS8_EEENT1_11result_typeERKT_PrKPcPKT0_PKNS6_10ScalarTypeEi@rel32@lo+4
	s_addc_u32 s27, s27, _ZN2at6native6invokeIZZZNS0_21polygamma_kernel_cudaERNS_18TensorIteratorBaseElENKUlvE_clEvENKUlvE2_clEvEUlN3c108BFloat16EE_i15function_traitsIS8_EEENT1_11result_typeERKT_PrKPcPKT0_PKNS6_10ScalarTypeEi@rel32@hi+12
	v_add_nc_u32_e32 v22, 0x80, v21
	v_add_nc_u32_e32 v26, 0x100, v21
	s_swappc_b64 s[30:31], s[26:27]
	v_mov_b32_e32 v24, v0
	v_mov_b32_e32 v0, s42
	v_mov_b32_e32 v1, s43
	v_mov_b32_e32 v2, s38
	v_mov_b32_e32 v3, s39
	v_mov_b32_e32 v4, s41
	v_mov_b32_e32 v5, s22
	v_mov_b32_e32 v6, v22
	s_swappc_b64 s[30:31], s[26:27]
	v_mov_b32_e32 v23, v0
	v_mov_b32_e32 v0, s42
	v_mov_b32_e32 v1, s43
	v_mov_b32_e32 v2, s38
	v_mov_b32_e32 v3, s39
	v_mov_b32_e32 v4, s41
	v_mov_b32_e32 v5, s22
	v_mov_b32_e32 v6, v26
	;; [unrolled: 9-line block ×3, first 2 shown]
	s_swappc_b64 s[30:31], s[26:27]
	v_mul_lo_u32 v3, s40, v21
	s_and_b32 s5, s21, 0xff
	s_cmp_lt_i32 s5, 11
	v_ashrrev_i32_e32 v2, 31, v3
	v_add_co_u32 v1, vcc_lo, s36, v3
	v_add_co_ci_u32_e64 v2, null, s37, v2, vcc_lo
	s_cbranch_scc1 .LBB120_592
; %bb.514:
	s_and_b32 s6, 0xffff, s5
	s_mov_b32 s9, -1
	s_mov_b32 s7, 0
	s_cmp_gt_i32 s6, 25
	s_mov_b32 s8, 0
	s_mov_b32 s4, 0
	s_cbranch_scc0 .LBB120_547
; %bb.515:
	s_cmp_gt_i32 s6, 28
	s_cbranch_scc0 .LBB120_530
; %bb.516:
	s_cmp_gt_i32 s6, 43
	;; [unrolled: 3-line block ×3, first 2 shown]
	s_cbranch_scc0 .LBB120_520
; %bb.518:
	s_mov_b32 s4, -1
	s_mov_b32 s9, 0
	s_cmp_eq_u32 s6, 46
	s_cbranch_scc0 .LBB120_520
; %bb.519:
	v_and_b32_e32 v4, 0xffff, v24
	s_mov_b32 s4, 0
	s_mov_b32 s8, -1
	global_store_dword v[1:2], v4, off
.LBB120_520:
	s_and_b32 vcc_lo, exec_lo, s9
	s_cbranch_vccz .LBB120_525
; %bb.521:
	s_cmp_eq_u32 s6, 44
	s_mov_b32 s4, -1
	s_cbranch_scc0 .LBB120_525
; %bb.522:
	v_and_b32_e32 v4, 0xffff, v24
	v_mov_b32_e32 v5, 0xff
	s_mov_b32 s8, exec_lo
	v_bfe_u32 v6, v4, 7, 8
	v_cmpx_ne_u32_e32 0xff, v6
	s_cbranch_execz .LBB120_524
; %bb.523:
	v_lshlrev_b32_e32 v5, 16, v4
	v_and_b32_e32 v7, 64, v4
	v_lshrrev_b32_e32 v4, 7, v4
	v_and_or_b32 v5, 0x3f0000, v5, v6
	v_cmp_ne_u32_e32 vcc_lo, 0, v7
	v_cmp_ne_u32_e64 s4, 0, v5
	s_and_b32 s4, vcc_lo, s4
	v_cndmask_b32_e64 v5, 0, 1, s4
	v_add_nc_u32_e32 v5, v4, v5
.LBB120_524:
	s_or_b32 exec_lo, exec_lo, s8
	s_mov_b32 s4, 0
	s_mov_b32 s8, -1
	global_store_byte v[1:2], v5, off
.LBB120_525:
	s_mov_b32 s9, 0
.LBB120_526:
	s_and_b32 vcc_lo, exec_lo, s9
	s_cbranch_vccz .LBB120_529
; %bb.527:
	s_cmp_eq_u32 s6, 29
	s_mov_b32 s4, -1
	s_cbranch_scc0 .LBB120_529
; %bb.528:
	v_lshlrev_b32_e32 v4, 16, v24
	s_mov_b32 s4, 0
	s_mov_b32 s8, -1
	v_trunc_f32_e32 v4, v4
	v_mul_f32_e32 v5, 0x2f800000, v4
	v_floor_f32_e32 v5, v5
	v_fmamk_f32 v4, v5, 0xcf800000, v4
	v_cvt_u32_f32_e32 v5, v5
	v_cvt_u32_f32_e32 v4, v4
	global_store_dwordx2 v[1:2], v[4:5], off
.LBB120_529:
	s_mov_b32 s9, 0
.LBB120_530:
	s_and_b32 vcc_lo, exec_lo, s9
	s_cbranch_vccz .LBB120_546
; %bb.531:
	s_cmp_lt_i32 s6, 27
	s_mov_b32 s8, -1
	s_cbranch_scc1 .LBB120_537
; %bb.532:
	s_cmp_gt_i32 s6, 27
	s_cbranch_scc0 .LBB120_534
; %bb.533:
	v_lshlrev_b32_e32 v4, 16, v24
	s_mov_b32 s8, 0
	v_cvt_u32_f32_e32 v4, v4
	global_store_dword v[1:2], v4, off
.LBB120_534:
	s_andn2_b32 vcc_lo, exec_lo, s8
	s_cbranch_vccnz .LBB120_536
; %bb.535:
	v_lshlrev_b32_e32 v4, 16, v24
	v_cvt_u32_f32_e32 v4, v4
	global_store_short v[1:2], v4, off
.LBB120_536:
	s_mov_b32 s8, 0
.LBB120_537:
	s_andn2_b32 vcc_lo, exec_lo, s8
	s_cbranch_vccnz .LBB120_545
; %bb.538:
	v_lshlrev_b32_e32 v6, 16, v24
	v_mov_b32_e32 v7, 0x80
	s_mov_b32 s8, exec_lo
	v_and_b32_e32 v5, 0x7fffffff, v6
	v_cmpx_gt_u32_e32 0x43800000, v5
	s_cbranch_execz .LBB120_544
; %bb.539:
	v_and_b32_e32 v4, 0xffff, v24
	v_cmp_lt_u32_e32 vcc_lo, 0x3bffffff, v5
	s_mov_b32 s9, 0
                                        ; implicit-def: $vgpr5
	s_and_saveexec_b32 s10, vcc_lo
	s_xor_b32 s10, exec_lo, s10
	s_cbranch_execz .LBB120_989
; %bb.540:
	v_bfe_u32 v5, v4, 4, 1
	s_mov_b32 s9, exec_lo
	v_add3_u32 v5, v6, v5, 0x487ffff
                                        ; implicit-def: $vgpr6
	v_lshrrev_b32_e32 v5, 20, v5
	s_andn2_saveexec_b32 s10, s10
	s_cbranch_execnz .LBB120_990
.LBB120_541:
	s_or_b32 exec_lo, exec_lo, s10
	v_mov_b32_e32 v7, 0
	s_and_saveexec_b32 s10, s9
.LBB120_542:
	v_lshrrev_b32_e32 v4, 8, v4
	v_and_or_b32 v7, 0x80, v4, v5
.LBB120_543:
	s_or_b32 exec_lo, exec_lo, s10
.LBB120_544:
	s_or_b32 exec_lo, exec_lo, s8
	global_store_byte v[1:2], v7, off
.LBB120_545:
	s_mov_b32 s8, -1
.LBB120_546:
	s_mov_b32 s9, 0
.LBB120_547:
	s_and_b32 vcc_lo, exec_lo, s9
	s_cbranch_vccz .LBB120_587
; %bb.548:
	s_cmp_gt_i32 s6, 22
	s_mov_b32 s7, -1
	s_cbranch_scc0 .LBB120_580
; %bb.549:
	s_cmp_lt_i32 s6, 24
	s_cbranch_scc1 .LBB120_569
; %bb.550:
	s_cmp_gt_i32 s6, 24
	s_cbranch_scc0 .LBB120_558
; %bb.551:
	v_lshlrev_b32_e32 v6, 16, v24
	v_mov_b32_e32 v7, 0x80
	s_mov_b32 s7, exec_lo
	v_and_b32_e32 v5, 0x7fffffff, v6
	v_cmpx_gt_u32_e32 0x47800000, v5
	s_cbranch_execz .LBB120_557
; %bb.552:
	v_and_b32_e32 v4, 0xffff, v24
	v_cmp_lt_u32_e32 vcc_lo, 0x37ffffff, v5
	s_mov_b32 s8, 0
                                        ; implicit-def: $vgpr5
	s_and_saveexec_b32 s9, vcc_lo
	s_xor_b32 s9, exec_lo, s9
	s_cbranch_execz .LBB120_992
; %bb.553:
	v_bfe_u32 v5, v4, 5, 1
	s_mov_b32 s8, exec_lo
	v_add3_u32 v5, v6, v5, 0x88fffff
                                        ; implicit-def: $vgpr6
	v_lshrrev_b32_e32 v5, 21, v5
	s_andn2_saveexec_b32 s9, s9
	s_cbranch_execnz .LBB120_993
.LBB120_554:
	s_or_b32 exec_lo, exec_lo, s9
	v_mov_b32_e32 v7, 0
	s_and_saveexec_b32 s9, s8
.LBB120_555:
	v_lshrrev_b32_e32 v4, 8, v4
	v_and_or_b32 v7, 0x80, v4, v5
.LBB120_556:
	s_or_b32 exec_lo, exec_lo, s9
.LBB120_557:
	s_or_b32 exec_lo, exec_lo, s7
	s_mov_b32 s7, 0
	global_store_byte v[1:2], v7, off
.LBB120_558:
	s_and_b32 vcc_lo, exec_lo, s7
	s_cbranch_vccz .LBB120_568
; %bb.559:
	v_lshlrev_b32_e32 v6, 16, v24
	v_and_b32_e32 v4, 0xffff, v24
	s_mov_b32 s7, exec_lo
                                        ; implicit-def: $vgpr5
	v_and_b32_e32 v7, 0x7fffffff, v6
	v_cmpx_gt_u32_e32 0x43f00000, v7
	s_xor_b32 s7, exec_lo, s7
	s_cbranch_execz .LBB120_565
; %bb.560:
	s_mov_b32 s8, exec_lo
                                        ; implicit-def: $vgpr5
	v_cmpx_lt_u32_e32 0x3c7fffff, v7
	s_xor_b32 s8, exec_lo, s8
; %bb.561:
	v_bfe_u32 v5, v4, 4, 1
	v_add3_u32 v5, v6, v5, 0x407ffff
	v_and_b32_e32 v6, 0xff00000, v5
	v_lshrrev_b32_e32 v5, 20, v5
	v_cmp_ne_u32_e32 vcc_lo, 0x7f00000, v6
                                        ; implicit-def: $vgpr6
	v_cndmask_b32_e32 v5, 0x7e, v5, vcc_lo
; %bb.562:
	s_andn2_saveexec_b32 s8, s8
; %bb.563:
	v_add_f32_e64 v5, 0x46800000, |v6|
; %bb.564:
	s_or_b32 exec_lo, exec_lo, s8
                                        ; implicit-def: $vgpr7
.LBB120_565:
	s_andn2_saveexec_b32 s7, s7
; %bb.566:
	v_mov_b32_e32 v5, 0x7f
	v_cmp_lt_u32_e32 vcc_lo, 0x7f800000, v7
	v_cndmask_b32_e32 v5, 0x7e, v5, vcc_lo
; %bb.567:
	s_or_b32 exec_lo, exec_lo, s7
	v_lshrrev_b32_e32 v4, 8, v4
	v_and_or_b32 v4, 0x80, v4, v5
	global_store_byte v[1:2], v4, off
.LBB120_568:
	s_mov_b32 s7, 0
.LBB120_569:
	s_andn2_b32 vcc_lo, exec_lo, s7
	s_cbranch_vccnz .LBB120_579
; %bb.570:
	v_lshlrev_b32_e32 v6, 16, v24
	v_and_b32_e32 v4, 0xffff, v24
	s_mov_b32 s7, exec_lo
                                        ; implicit-def: $vgpr5
	v_and_b32_e32 v7, 0x7fffffff, v6
	v_cmpx_gt_u32_e32 0x47800000, v7
	s_xor_b32 s7, exec_lo, s7
	s_cbranch_execz .LBB120_576
; %bb.571:
	s_mov_b32 s8, exec_lo
                                        ; implicit-def: $vgpr5
	v_cmpx_lt_u32_e32 0x387fffff, v7
	s_xor_b32 s8, exec_lo, s8
; %bb.572:
	v_bfe_u32 v5, v4, 5, 1
	v_add3_u32 v5, v6, v5, 0x80fffff
                                        ; implicit-def: $vgpr6
	v_lshrrev_b32_e32 v5, 21, v5
; %bb.573:
	s_andn2_saveexec_b32 s8, s8
; %bb.574:
	v_add_f32_e64 v5, 0x43000000, |v6|
; %bb.575:
	s_or_b32 exec_lo, exec_lo, s8
                                        ; implicit-def: $vgpr7
.LBB120_576:
	s_andn2_saveexec_b32 s7, s7
; %bb.577:
	v_mov_b32_e32 v5, 0x7f
	v_cmp_lt_u32_e32 vcc_lo, 0x7f800000, v7
	v_cndmask_b32_e32 v5, 0x7c, v5, vcc_lo
; %bb.578:
	s_or_b32 exec_lo, exec_lo, s7
	v_lshrrev_b32_e32 v4, 8, v4
	v_and_or_b32 v4, 0x80, v4, v5
	global_store_byte v[1:2], v4, off
.LBB120_579:
	s_mov_b32 s7, 0
	s_mov_b32 s8, -1
.LBB120_580:
	s_andn2_b32 vcc_lo, exec_lo, s7
	s_mov_b32 s7, 0
	s_cbranch_vccnz .LBB120_587
; %bb.581:
	s_cmp_gt_i32 s6, 14
	s_mov_b32 s7, -1
	s_cbranch_scc0 .LBB120_585
; %bb.582:
	s_cmp_eq_u32 s6, 15
	s_mov_b32 s4, -1
	s_cbranch_scc0 .LBB120_584
; %bb.583:
	s_mov_b32 s4, 0
	s_mov_b32 s8, -1
	global_store_short v[1:2], v24, off
.LBB120_584:
	s_mov_b32 s7, 0
.LBB120_585:
	s_and_b32 vcc_lo, exec_lo, s7
	s_mov_b32 s7, 0
	s_cbranch_vccz .LBB120_587
; %bb.586:
	s_cmp_lg_u32 s6, 11
	s_mov_b32 s7, -1
	s_cselect_b32 s4, -1, 0
.LBB120_587:
	s_and_b32 vcc_lo, exec_lo, s4
	s_mov_b32 s6, s25
	s_cbranch_vccnz .LBB120_991
; %bb.588:
	s_andn2_b32 vcc_lo, exec_lo, s7
	s_cbranch_vccnz .LBB120_590
.LBB120_589:
	v_and_b32_e32 v4, 0x7fff, v24
	s_mov_b32 s8, -1
	v_cmp_ne_u16_e32 vcc_lo, 0, v4
	v_cndmask_b32_e64 v4, 0, 1, vcc_lo
	global_store_byte v[1:2], v4, off
.LBB120_590:
.LBB120_591:
	s_andn2_b32 vcc_lo, exec_lo, s8
	s_cbranch_vccz .LBB120_631
	s_branch .LBB120_943
.LBB120_592:
	s_mov_b32 s8, 0
	s_mov_b32 s6, s25
	s_cbranch_execz .LBB120_591
; %bb.593:
	s_and_b32 s4, 0xffff, s5
	s_mov_b32 s7, -1
	s_cmp_lt_i32 s4, 5
	s_cbranch_scc1 .LBB120_614
; %bb.594:
	s_cmp_lt_i32 s4, 8
	s_cbranch_scc1 .LBB120_604
; %bb.595:
	;; [unrolled: 3-line block ×3, first 2 shown]
	s_cmp_gt_i32 s4, 9
	s_cbranch_scc0 .LBB120_598
; %bb.597:
	v_lshlrev_b32_e32 v4, 16, v24
	v_mov_b32_e32 v6, 0
	s_mov_b32 s7, 0
	v_cvt_f64_f32_e32 v[4:5], v4
	v_mov_b32_e32 v7, v6
	global_store_dwordx4 v[1:2], v[4:7], off
.LBB120_598:
	s_andn2_b32 vcc_lo, exec_lo, s7
	s_cbranch_vccnz .LBB120_600
; %bb.599:
	v_lshlrev_b32_e32 v4, 16, v24
	v_mov_b32_e32 v5, 0
	global_store_dwordx2 v[1:2], v[4:5], off
.LBB120_600:
	s_mov_b32 s7, 0
.LBB120_601:
	s_andn2_b32 vcc_lo, exec_lo, s7
	s_cbranch_vccnz .LBB120_603
; %bb.602:
	v_lshlrev_b32_e32 v4, 16, v24
	v_cvt_f16_f32_e32 v4, v4
	v_and_b32_e32 v4, 0xffff, v4
	global_store_dword v[1:2], v4, off
.LBB120_603:
	s_mov_b32 s7, 0
.LBB120_604:
	s_andn2_b32 vcc_lo, exec_lo, s7
	s_cbranch_vccnz .LBB120_613
; %bb.605:
	s_cmp_lt_i32 s4, 6
	s_mov_b32 s7, -1
	s_cbranch_scc1 .LBB120_611
; %bb.606:
	s_cmp_gt_i32 s4, 6
	s_cbranch_scc0 .LBB120_608
; %bb.607:
	v_lshlrev_b32_e32 v4, 16, v24
	s_mov_b32 s7, 0
	v_cvt_f64_f32_e32 v[4:5], v4
	global_store_dwordx2 v[1:2], v[4:5], off
.LBB120_608:
	s_andn2_b32 vcc_lo, exec_lo, s7
	s_cbranch_vccnz .LBB120_610
; %bb.609:
	v_lshlrev_b32_e32 v4, 16, v24
	global_store_dword v[1:2], v4, off
.LBB120_610:
	s_mov_b32 s7, 0
.LBB120_611:
	s_andn2_b32 vcc_lo, exec_lo, s7
	s_cbranch_vccnz .LBB120_613
; %bb.612:
	v_lshlrev_b32_e32 v4, 16, v24
	v_cvt_f16_f32_e32 v4, v4
	global_store_short v[1:2], v4, off
.LBB120_613:
	s_mov_b32 s7, 0
.LBB120_614:
	s_andn2_b32 vcc_lo, exec_lo, s7
	s_cbranch_vccnz .LBB120_630
; %bb.615:
	s_cmp_lt_i32 s4, 2
	s_mov_b32 s7, -1
	s_cbranch_scc1 .LBB120_625
; %bb.616:
	s_cmp_lt_i32 s4, 3
	s_cbranch_scc1 .LBB120_622
; %bb.617:
	s_cmp_gt_i32 s4, 3
	s_cbranch_scc0 .LBB120_619
; %bb.618:
	v_lshlrev_b32_e32 v4, 16, v24
	s_mov_b32 s7, 0
	v_trunc_f32_e32 v4, v4
	v_mul_f32_e64 v5, 0x2f800000, |v4|
	v_ashrrev_i32_e32 v7, 31, v4
	v_floor_f32_e32 v5, v5
	v_fma_f32 v6, 0xcf800000, v5, |v4|
	v_cvt_u32_f32_e32 v5, v5
	v_cvt_u32_f32_e32 v4, v6
	v_xor_b32_e32 v5, v5, v7
	v_xor_b32_e32 v4, v4, v7
	v_sub_co_u32 v4, vcc_lo, v4, v7
	v_sub_co_ci_u32_e64 v5, null, v5, v7, vcc_lo
	global_store_dwordx2 v[1:2], v[4:5], off
.LBB120_619:
	s_andn2_b32 vcc_lo, exec_lo, s7
	s_cbranch_vccnz .LBB120_621
; %bb.620:
	v_lshlrev_b32_e32 v4, 16, v24
	v_cvt_i32_f32_e32 v4, v4
	global_store_dword v[1:2], v4, off
.LBB120_621:
	s_mov_b32 s7, 0
.LBB120_622:
	s_andn2_b32 vcc_lo, exec_lo, s7
	s_cbranch_vccnz .LBB120_624
; %bb.623:
	v_lshlrev_b32_e32 v4, 16, v24
	v_cvt_i32_f32_e32 v4, v4
	global_store_short v[1:2], v4, off
.LBB120_624:
	s_mov_b32 s7, 0
.LBB120_625:
	s_andn2_b32 vcc_lo, exec_lo, s7
	s_cbranch_vccnz .LBB120_630
; %bb.626:
	v_lshlrev_b32_e32 v4, 16, v24
	s_cmp_gt_i32 s4, 0
	s_mov_b32 s4, -1
	s_cbranch_scc0 .LBB120_628
; %bb.627:
	v_cvt_i32_f32_e32 v5, v4
	s_mov_b32 s4, 0
	global_store_byte v[1:2], v5, off
.LBB120_628:
	s_andn2_b32 vcc_lo, exec_lo, s4
	s_cbranch_vccnz .LBB120_630
; %bb.629:
	v_trunc_f32_e32 v4, v4
	v_mul_f32_e64 v5, 0x2f800000, |v4|
	v_floor_f32_e32 v5, v5
	v_fma_f32 v5, 0xcf800000, v5, |v4|
	v_ashrrev_i32_e32 v4, 31, v4
	v_cvt_u32_f32_e32 v5, v5
	v_xor_b32_e32 v5, v5, v4
	v_sub_nc_u32_e32 v4, v5, v4
	global_store_byte v[1:2], v4, off
.LBB120_630:
.LBB120_631:
	s_lshl_b32 s7, s40, 7
	s_cmp_lt_i32 s5, 11
	v_add_nc_u32_e32 v3, s7, v3
	v_ashrrev_i32_e32 v2, 31, v3
	v_add_co_u32 v1, vcc_lo, s36, v3
	v_add_co_ci_u32_e64 v2, null, s37, v2, vcc_lo
	s_cbranch_scc1 .LBB120_710
; %bb.632:
	s_and_b32 s8, 0xffff, s5
	s_mov_b32 s11, -1
	s_mov_b32 s9, 0
	s_cmp_gt_i32 s8, 25
	s_mov_b32 s10, 0
	s_mov_b32 s4, 0
	s_cbranch_scc0 .LBB120_665
; %bb.633:
	s_cmp_gt_i32 s8, 28
	s_cbranch_scc0 .LBB120_648
; %bb.634:
	s_cmp_gt_i32 s8, 43
	;; [unrolled: 3-line block ×3, first 2 shown]
	s_cbranch_scc0 .LBB120_638
; %bb.636:
	s_mov_b32 s4, -1
	s_mov_b32 s11, 0
	s_cmp_eq_u32 s8, 46
	s_cbranch_scc0 .LBB120_638
; %bb.637:
	v_and_b32_e32 v4, 0xffff, v23
	s_mov_b32 s4, 0
	s_mov_b32 s10, -1
	global_store_dword v[1:2], v4, off
.LBB120_638:
	s_and_b32 vcc_lo, exec_lo, s11
	s_cbranch_vccz .LBB120_643
; %bb.639:
	s_cmp_eq_u32 s8, 44
	s_mov_b32 s4, -1
	s_cbranch_scc0 .LBB120_643
; %bb.640:
	v_and_b32_e32 v4, 0xffff, v23
	v_mov_b32_e32 v5, 0xff
	s_mov_b32 s10, exec_lo
	v_bfe_u32 v6, v4, 7, 8
	v_cmpx_ne_u32_e32 0xff, v6
	s_cbranch_execz .LBB120_642
; %bb.641:
	v_lshlrev_b32_e32 v5, 16, v4
	v_and_b32_e32 v7, 64, v4
	v_lshrrev_b32_e32 v4, 7, v4
	v_and_or_b32 v5, 0x3f0000, v5, v6
	v_cmp_ne_u32_e32 vcc_lo, 0, v7
	v_cmp_ne_u32_e64 s4, 0, v5
	s_and_b32 s4, vcc_lo, s4
	v_cndmask_b32_e64 v5, 0, 1, s4
	v_add_nc_u32_e32 v5, v4, v5
.LBB120_642:
	s_or_b32 exec_lo, exec_lo, s10
	s_mov_b32 s4, 0
	s_mov_b32 s10, -1
	global_store_byte v[1:2], v5, off
.LBB120_643:
	s_mov_b32 s11, 0
.LBB120_644:
	s_and_b32 vcc_lo, exec_lo, s11
	s_cbranch_vccz .LBB120_647
; %bb.645:
	s_cmp_eq_u32 s8, 29
	s_mov_b32 s4, -1
	s_cbranch_scc0 .LBB120_647
; %bb.646:
	v_lshlrev_b32_e32 v4, 16, v23
	s_mov_b32 s4, 0
	s_mov_b32 s10, -1
	v_trunc_f32_e32 v4, v4
	v_mul_f32_e32 v5, 0x2f800000, v4
	v_floor_f32_e32 v5, v5
	v_fmamk_f32 v4, v5, 0xcf800000, v4
	v_cvt_u32_f32_e32 v5, v5
	v_cvt_u32_f32_e32 v4, v4
	global_store_dwordx2 v[1:2], v[4:5], off
.LBB120_647:
	s_mov_b32 s11, 0
.LBB120_648:
	s_and_b32 vcc_lo, exec_lo, s11
	s_cbranch_vccz .LBB120_664
; %bb.649:
	s_cmp_lt_i32 s8, 27
	s_mov_b32 s10, -1
	s_cbranch_scc1 .LBB120_655
; %bb.650:
	s_cmp_gt_i32 s8, 27
	s_cbranch_scc0 .LBB120_652
; %bb.651:
	v_lshlrev_b32_e32 v4, 16, v23
	s_mov_b32 s10, 0
	v_cvt_u32_f32_e32 v4, v4
	global_store_dword v[1:2], v4, off
.LBB120_652:
	s_andn2_b32 vcc_lo, exec_lo, s10
	s_cbranch_vccnz .LBB120_654
; %bb.653:
	v_lshlrev_b32_e32 v4, 16, v23
	v_cvt_u32_f32_e32 v4, v4
	global_store_short v[1:2], v4, off
.LBB120_654:
	s_mov_b32 s10, 0
.LBB120_655:
	s_andn2_b32 vcc_lo, exec_lo, s10
	s_cbranch_vccnz .LBB120_663
; %bb.656:
	v_lshlrev_b32_e32 v6, 16, v23
	v_mov_b32_e32 v7, 0x80
	s_mov_b32 s10, exec_lo
	v_and_b32_e32 v5, 0x7fffffff, v6
	v_cmpx_gt_u32_e32 0x43800000, v5
	s_cbranch_execz .LBB120_662
; %bb.657:
	v_and_b32_e32 v4, 0xffff, v23
	v_cmp_lt_u32_e32 vcc_lo, 0x3bffffff, v5
	s_mov_b32 s11, 0
                                        ; implicit-def: $vgpr5
	s_and_saveexec_b32 s12, vcc_lo
	s_xor_b32 s12, exec_lo, s12
	s_cbranch_execz .LBB120_994
; %bb.658:
	v_bfe_u32 v5, v4, 4, 1
	s_mov_b32 s11, exec_lo
	v_add3_u32 v5, v6, v5, 0x487ffff
                                        ; implicit-def: $vgpr6
	v_lshrrev_b32_e32 v5, 20, v5
	s_andn2_saveexec_b32 s12, s12
	s_cbranch_execnz .LBB120_995
.LBB120_659:
	s_or_b32 exec_lo, exec_lo, s12
	v_mov_b32_e32 v7, 0
	s_and_saveexec_b32 s12, s11
.LBB120_660:
	v_lshrrev_b32_e32 v4, 8, v4
	v_and_or_b32 v7, 0x80, v4, v5
.LBB120_661:
	s_or_b32 exec_lo, exec_lo, s12
.LBB120_662:
	s_or_b32 exec_lo, exec_lo, s10
	global_store_byte v[1:2], v7, off
.LBB120_663:
	s_mov_b32 s10, -1
.LBB120_664:
	s_mov_b32 s11, 0
.LBB120_665:
	s_and_b32 vcc_lo, exec_lo, s11
	s_cbranch_vccz .LBB120_705
; %bb.666:
	s_cmp_gt_i32 s8, 22
	s_mov_b32 s9, -1
	s_cbranch_scc0 .LBB120_698
; %bb.667:
	s_cmp_lt_i32 s8, 24
	s_cbranch_scc1 .LBB120_687
; %bb.668:
	s_cmp_gt_i32 s8, 24
	s_cbranch_scc0 .LBB120_676
; %bb.669:
	v_lshlrev_b32_e32 v6, 16, v23
	v_mov_b32_e32 v7, 0x80
	s_mov_b32 s9, exec_lo
	v_and_b32_e32 v5, 0x7fffffff, v6
	v_cmpx_gt_u32_e32 0x47800000, v5
	s_cbranch_execz .LBB120_675
; %bb.670:
	v_and_b32_e32 v4, 0xffff, v23
	v_cmp_lt_u32_e32 vcc_lo, 0x37ffffff, v5
	s_mov_b32 s10, 0
                                        ; implicit-def: $vgpr5
	s_and_saveexec_b32 s11, vcc_lo
	s_xor_b32 s11, exec_lo, s11
	s_cbranch_execz .LBB120_997
; %bb.671:
	v_bfe_u32 v5, v4, 5, 1
	s_mov_b32 s10, exec_lo
	v_add3_u32 v5, v6, v5, 0x88fffff
                                        ; implicit-def: $vgpr6
	v_lshrrev_b32_e32 v5, 21, v5
	s_andn2_saveexec_b32 s11, s11
	s_cbranch_execnz .LBB120_998
.LBB120_672:
	s_or_b32 exec_lo, exec_lo, s11
	v_mov_b32_e32 v7, 0
	s_and_saveexec_b32 s11, s10
.LBB120_673:
	v_lshrrev_b32_e32 v4, 8, v4
	v_and_or_b32 v7, 0x80, v4, v5
.LBB120_674:
	s_or_b32 exec_lo, exec_lo, s11
.LBB120_675:
	s_or_b32 exec_lo, exec_lo, s9
	s_mov_b32 s9, 0
	global_store_byte v[1:2], v7, off
.LBB120_676:
	s_and_b32 vcc_lo, exec_lo, s9
	s_cbranch_vccz .LBB120_686
; %bb.677:
	v_lshlrev_b32_e32 v6, 16, v23
	v_and_b32_e32 v4, 0xffff, v23
	s_mov_b32 s9, exec_lo
                                        ; implicit-def: $vgpr5
	v_and_b32_e32 v7, 0x7fffffff, v6
	v_cmpx_gt_u32_e32 0x43f00000, v7
	s_xor_b32 s9, exec_lo, s9
	s_cbranch_execz .LBB120_683
; %bb.678:
	s_mov_b32 s10, exec_lo
                                        ; implicit-def: $vgpr5
	v_cmpx_lt_u32_e32 0x3c7fffff, v7
	s_xor_b32 s10, exec_lo, s10
; %bb.679:
	v_bfe_u32 v5, v4, 4, 1
	v_add3_u32 v5, v6, v5, 0x407ffff
	v_and_b32_e32 v6, 0xff00000, v5
	v_lshrrev_b32_e32 v5, 20, v5
	v_cmp_ne_u32_e32 vcc_lo, 0x7f00000, v6
                                        ; implicit-def: $vgpr6
	v_cndmask_b32_e32 v5, 0x7e, v5, vcc_lo
; %bb.680:
	s_andn2_saveexec_b32 s10, s10
; %bb.681:
	v_add_f32_e64 v5, 0x46800000, |v6|
; %bb.682:
	s_or_b32 exec_lo, exec_lo, s10
                                        ; implicit-def: $vgpr7
.LBB120_683:
	s_andn2_saveexec_b32 s9, s9
; %bb.684:
	v_mov_b32_e32 v5, 0x7f
	v_cmp_lt_u32_e32 vcc_lo, 0x7f800000, v7
	v_cndmask_b32_e32 v5, 0x7e, v5, vcc_lo
; %bb.685:
	s_or_b32 exec_lo, exec_lo, s9
	v_lshrrev_b32_e32 v4, 8, v4
	v_and_or_b32 v4, 0x80, v4, v5
	global_store_byte v[1:2], v4, off
.LBB120_686:
	s_mov_b32 s9, 0
.LBB120_687:
	s_andn2_b32 vcc_lo, exec_lo, s9
	s_cbranch_vccnz .LBB120_697
; %bb.688:
	v_lshlrev_b32_e32 v6, 16, v23
	v_and_b32_e32 v4, 0xffff, v23
	s_mov_b32 s9, exec_lo
                                        ; implicit-def: $vgpr5
	v_and_b32_e32 v7, 0x7fffffff, v6
	v_cmpx_gt_u32_e32 0x47800000, v7
	s_xor_b32 s9, exec_lo, s9
	s_cbranch_execz .LBB120_694
; %bb.689:
	s_mov_b32 s10, exec_lo
                                        ; implicit-def: $vgpr5
	v_cmpx_lt_u32_e32 0x387fffff, v7
	s_xor_b32 s10, exec_lo, s10
; %bb.690:
	v_bfe_u32 v5, v4, 5, 1
	v_add3_u32 v5, v6, v5, 0x80fffff
                                        ; implicit-def: $vgpr6
	v_lshrrev_b32_e32 v5, 21, v5
; %bb.691:
	s_andn2_saveexec_b32 s10, s10
; %bb.692:
	v_add_f32_e64 v5, 0x43000000, |v6|
; %bb.693:
	s_or_b32 exec_lo, exec_lo, s10
                                        ; implicit-def: $vgpr7
.LBB120_694:
	s_andn2_saveexec_b32 s9, s9
; %bb.695:
	v_mov_b32_e32 v5, 0x7f
	v_cmp_lt_u32_e32 vcc_lo, 0x7f800000, v7
	v_cndmask_b32_e32 v5, 0x7c, v5, vcc_lo
; %bb.696:
	s_or_b32 exec_lo, exec_lo, s9
	v_lshrrev_b32_e32 v4, 8, v4
	v_and_or_b32 v4, 0x80, v4, v5
	global_store_byte v[1:2], v4, off
.LBB120_697:
	s_mov_b32 s9, 0
	s_mov_b32 s10, -1
.LBB120_698:
	s_andn2_b32 vcc_lo, exec_lo, s9
	s_mov_b32 s9, 0
	s_cbranch_vccnz .LBB120_705
; %bb.699:
	s_cmp_gt_i32 s8, 14
	s_mov_b32 s9, -1
	s_cbranch_scc0 .LBB120_703
; %bb.700:
	s_cmp_eq_u32 s8, 15
	s_mov_b32 s4, -1
	s_cbranch_scc0 .LBB120_702
; %bb.701:
	s_mov_b32 s4, 0
	s_mov_b32 s10, -1
	global_store_short v[1:2], v23, off
.LBB120_702:
	s_mov_b32 s9, 0
.LBB120_703:
	s_and_b32 vcc_lo, exec_lo, s9
	s_mov_b32 s9, 0
	s_cbranch_vccz .LBB120_705
; %bb.704:
	s_cmp_lg_u32 s8, 11
	s_mov_b32 s9, -1
	s_cselect_b32 s4, -1, 0
.LBB120_705:
	s_and_b32 vcc_lo, exec_lo, s4
	s_cbranch_vccnz .LBB120_996
; %bb.706:
	s_andn2_b32 vcc_lo, exec_lo, s9
	s_cbranch_vccnz .LBB120_708
.LBB120_707:
	v_and_b32_e32 v4, 0x7fff, v23
	s_mov_b32 s10, -1
	v_cmp_ne_u16_e32 vcc_lo, 0, v4
	v_cndmask_b32_e64 v4, 0, 1, vcc_lo
	global_store_byte v[1:2], v4, off
.LBB120_708:
.LBB120_709:
	s_andn2_b32 vcc_lo, exec_lo, s10
	s_cbranch_vccz .LBB120_749
	s_branch .LBB120_943
.LBB120_710:
	s_mov_b32 s10, 0
	s_cbranch_execz .LBB120_709
; %bb.711:
	s_and_b32 s4, 0xffff, s5
	s_mov_b32 s8, -1
	s_cmp_lt_i32 s4, 5
	s_cbranch_scc1 .LBB120_732
; %bb.712:
	s_cmp_lt_i32 s4, 8
	s_cbranch_scc1 .LBB120_722
; %bb.713:
	;; [unrolled: 3-line block ×3, first 2 shown]
	s_cmp_gt_i32 s4, 9
	s_cbranch_scc0 .LBB120_716
; %bb.715:
	v_lshlrev_b32_e32 v4, 16, v23
	v_mov_b32_e32 v6, 0
	s_mov_b32 s8, 0
	v_cvt_f64_f32_e32 v[4:5], v4
	v_mov_b32_e32 v7, v6
	global_store_dwordx4 v[1:2], v[4:7], off
.LBB120_716:
	s_andn2_b32 vcc_lo, exec_lo, s8
	s_cbranch_vccnz .LBB120_718
; %bb.717:
	v_lshlrev_b32_e32 v4, 16, v23
	v_mov_b32_e32 v5, 0
	global_store_dwordx2 v[1:2], v[4:5], off
.LBB120_718:
	s_mov_b32 s8, 0
.LBB120_719:
	s_andn2_b32 vcc_lo, exec_lo, s8
	s_cbranch_vccnz .LBB120_721
; %bb.720:
	v_lshlrev_b32_e32 v4, 16, v23
	v_cvt_f16_f32_e32 v4, v4
	v_and_b32_e32 v4, 0xffff, v4
	global_store_dword v[1:2], v4, off
.LBB120_721:
	s_mov_b32 s8, 0
.LBB120_722:
	s_andn2_b32 vcc_lo, exec_lo, s8
	s_cbranch_vccnz .LBB120_731
; %bb.723:
	s_cmp_lt_i32 s4, 6
	s_mov_b32 s8, -1
	s_cbranch_scc1 .LBB120_729
; %bb.724:
	s_cmp_gt_i32 s4, 6
	s_cbranch_scc0 .LBB120_726
; %bb.725:
	v_lshlrev_b32_e32 v4, 16, v23
	s_mov_b32 s8, 0
	v_cvt_f64_f32_e32 v[4:5], v4
	global_store_dwordx2 v[1:2], v[4:5], off
.LBB120_726:
	s_andn2_b32 vcc_lo, exec_lo, s8
	s_cbranch_vccnz .LBB120_728
; %bb.727:
	v_lshlrev_b32_e32 v4, 16, v23
	global_store_dword v[1:2], v4, off
.LBB120_728:
	s_mov_b32 s8, 0
.LBB120_729:
	s_andn2_b32 vcc_lo, exec_lo, s8
	s_cbranch_vccnz .LBB120_731
; %bb.730:
	v_lshlrev_b32_e32 v4, 16, v23
	v_cvt_f16_f32_e32 v4, v4
	global_store_short v[1:2], v4, off
.LBB120_731:
	s_mov_b32 s8, 0
.LBB120_732:
	s_andn2_b32 vcc_lo, exec_lo, s8
	s_cbranch_vccnz .LBB120_748
; %bb.733:
	s_cmp_lt_i32 s4, 2
	s_mov_b32 s8, -1
	s_cbranch_scc1 .LBB120_743
; %bb.734:
	s_cmp_lt_i32 s4, 3
	s_cbranch_scc1 .LBB120_740
; %bb.735:
	s_cmp_gt_i32 s4, 3
	s_cbranch_scc0 .LBB120_737
; %bb.736:
	v_lshlrev_b32_e32 v4, 16, v23
	s_mov_b32 s8, 0
	v_trunc_f32_e32 v4, v4
	v_mul_f32_e64 v5, 0x2f800000, |v4|
	v_ashrrev_i32_e32 v7, 31, v4
	v_floor_f32_e32 v5, v5
	v_fma_f32 v6, 0xcf800000, v5, |v4|
	v_cvt_u32_f32_e32 v5, v5
	v_cvt_u32_f32_e32 v4, v6
	v_xor_b32_e32 v5, v5, v7
	v_xor_b32_e32 v4, v4, v7
	v_sub_co_u32 v4, vcc_lo, v4, v7
	v_sub_co_ci_u32_e64 v5, null, v5, v7, vcc_lo
	global_store_dwordx2 v[1:2], v[4:5], off
.LBB120_737:
	s_andn2_b32 vcc_lo, exec_lo, s8
	s_cbranch_vccnz .LBB120_739
; %bb.738:
	v_lshlrev_b32_e32 v4, 16, v23
	v_cvt_i32_f32_e32 v4, v4
	global_store_dword v[1:2], v4, off
.LBB120_739:
	s_mov_b32 s8, 0
.LBB120_740:
	s_andn2_b32 vcc_lo, exec_lo, s8
	s_cbranch_vccnz .LBB120_742
; %bb.741:
	v_lshlrev_b32_e32 v4, 16, v23
	v_cvt_i32_f32_e32 v4, v4
	global_store_short v[1:2], v4, off
.LBB120_742:
	s_mov_b32 s8, 0
.LBB120_743:
	s_andn2_b32 vcc_lo, exec_lo, s8
	s_cbranch_vccnz .LBB120_748
; %bb.744:
	v_lshlrev_b32_e32 v4, 16, v23
	s_cmp_gt_i32 s4, 0
	s_mov_b32 s4, -1
	s_cbranch_scc0 .LBB120_746
; %bb.745:
	v_cvt_i32_f32_e32 v5, v4
	s_mov_b32 s4, 0
	global_store_byte v[1:2], v5, off
.LBB120_746:
	s_andn2_b32 vcc_lo, exec_lo, s4
	s_cbranch_vccnz .LBB120_748
; %bb.747:
	v_trunc_f32_e32 v4, v4
	v_mul_f32_e64 v5, 0x2f800000, |v4|
	v_floor_f32_e32 v5, v5
	v_fma_f32 v5, 0xcf800000, v5, |v4|
	v_ashrrev_i32_e32 v4, 31, v4
	v_cvt_u32_f32_e32 v5, v5
	v_xor_b32_e32 v5, v5, v4
	v_sub_nc_u32_e32 v4, v5, v4
	global_store_byte v[1:2], v4, off
.LBB120_748:
.LBB120_749:
	v_add_nc_u32_e32 v3, s7, v3
	s_cmp_lt_i32 s5, 11
	v_ashrrev_i32_e32 v2, 31, v3
	v_add_co_u32 v1, vcc_lo, s36, v3
	v_add_co_ci_u32_e64 v2, null, s37, v2, vcc_lo
	s_cbranch_scc1 .LBB120_904
; %bb.750:
	s_and_b32 s8, 0xffff, s5
	s_mov_b32 s11, -1
	s_mov_b32 s9, 0
	s_cmp_gt_i32 s8, 25
	s_mov_b32 s10, 0
	s_mov_b32 s4, 0
	s_cbranch_scc0 .LBB120_783
; %bb.751:
	s_cmp_gt_i32 s8, 28
	s_cbranch_scc0 .LBB120_766
; %bb.752:
	s_cmp_gt_i32 s8, 43
	;; [unrolled: 3-line block ×3, first 2 shown]
	s_cbranch_scc0 .LBB120_756
; %bb.754:
	s_mov_b32 s4, -1
	s_mov_b32 s11, 0
	s_cmp_eq_u32 s8, 46
	s_cbranch_scc0 .LBB120_756
; %bb.755:
	v_and_b32_e32 v4, 0xffff, v22
	s_mov_b32 s4, 0
	s_mov_b32 s10, -1
	global_store_dword v[1:2], v4, off
.LBB120_756:
	s_and_b32 vcc_lo, exec_lo, s11
	s_cbranch_vccz .LBB120_761
; %bb.757:
	s_cmp_eq_u32 s8, 44
	s_mov_b32 s4, -1
	s_cbranch_scc0 .LBB120_761
; %bb.758:
	v_and_b32_e32 v4, 0xffff, v22
	v_mov_b32_e32 v5, 0xff
	s_mov_b32 s10, exec_lo
	v_bfe_u32 v6, v4, 7, 8
	v_cmpx_ne_u32_e32 0xff, v6
	s_cbranch_execz .LBB120_760
; %bb.759:
	v_lshlrev_b32_e32 v5, 16, v4
	v_and_b32_e32 v7, 64, v4
	v_lshrrev_b32_e32 v4, 7, v4
	v_and_or_b32 v5, 0x3f0000, v5, v6
	v_cmp_ne_u32_e32 vcc_lo, 0, v7
	v_cmp_ne_u32_e64 s4, 0, v5
	s_and_b32 s4, vcc_lo, s4
	v_cndmask_b32_e64 v5, 0, 1, s4
	v_add_nc_u32_e32 v5, v4, v5
.LBB120_760:
	s_or_b32 exec_lo, exec_lo, s10
	s_mov_b32 s4, 0
	s_mov_b32 s10, -1
	global_store_byte v[1:2], v5, off
.LBB120_761:
	s_mov_b32 s11, 0
.LBB120_762:
	s_and_b32 vcc_lo, exec_lo, s11
	s_cbranch_vccz .LBB120_765
; %bb.763:
	s_cmp_eq_u32 s8, 29
	s_mov_b32 s4, -1
	s_cbranch_scc0 .LBB120_765
; %bb.764:
	v_lshlrev_b32_e32 v4, 16, v22
	s_mov_b32 s4, 0
	s_mov_b32 s10, -1
	v_trunc_f32_e32 v4, v4
	v_mul_f32_e32 v5, 0x2f800000, v4
	v_floor_f32_e32 v5, v5
	v_fmamk_f32 v4, v5, 0xcf800000, v4
	v_cvt_u32_f32_e32 v5, v5
	v_cvt_u32_f32_e32 v4, v4
	global_store_dwordx2 v[1:2], v[4:5], off
.LBB120_765:
	s_mov_b32 s11, 0
.LBB120_766:
	s_and_b32 vcc_lo, exec_lo, s11
	s_cbranch_vccz .LBB120_782
; %bb.767:
	s_cmp_lt_i32 s8, 27
	s_mov_b32 s10, -1
	s_cbranch_scc1 .LBB120_773
; %bb.768:
	s_cmp_gt_i32 s8, 27
	s_cbranch_scc0 .LBB120_770
; %bb.769:
	v_lshlrev_b32_e32 v4, 16, v22
	s_mov_b32 s10, 0
	v_cvt_u32_f32_e32 v4, v4
	global_store_dword v[1:2], v4, off
.LBB120_770:
	s_andn2_b32 vcc_lo, exec_lo, s10
	s_cbranch_vccnz .LBB120_772
; %bb.771:
	v_lshlrev_b32_e32 v4, 16, v22
	v_cvt_u32_f32_e32 v4, v4
	global_store_short v[1:2], v4, off
.LBB120_772:
	s_mov_b32 s10, 0
.LBB120_773:
	s_andn2_b32 vcc_lo, exec_lo, s10
	s_cbranch_vccnz .LBB120_781
; %bb.774:
	v_lshlrev_b32_e32 v6, 16, v22
	v_mov_b32_e32 v7, 0x80
	s_mov_b32 s10, exec_lo
	v_and_b32_e32 v5, 0x7fffffff, v6
	v_cmpx_gt_u32_e32 0x43800000, v5
	s_cbranch_execz .LBB120_780
; %bb.775:
	v_and_b32_e32 v4, 0xffff, v22
	v_cmp_lt_u32_e32 vcc_lo, 0x3bffffff, v5
	s_mov_b32 s11, 0
                                        ; implicit-def: $vgpr5
	s_and_saveexec_b32 s12, vcc_lo
	s_xor_b32 s12, exec_lo, s12
	s_cbranch_execz .LBB120_999
; %bb.776:
	v_bfe_u32 v5, v4, 4, 1
	s_mov_b32 s11, exec_lo
	v_add3_u32 v5, v6, v5, 0x487ffff
                                        ; implicit-def: $vgpr6
	v_lshrrev_b32_e32 v5, 20, v5
	s_andn2_saveexec_b32 s12, s12
	s_cbranch_execnz .LBB120_1000
.LBB120_777:
	s_or_b32 exec_lo, exec_lo, s12
	v_mov_b32_e32 v7, 0
	s_and_saveexec_b32 s12, s11
.LBB120_778:
	v_lshrrev_b32_e32 v4, 8, v4
	v_and_or_b32 v7, 0x80, v4, v5
.LBB120_779:
	s_or_b32 exec_lo, exec_lo, s12
.LBB120_780:
	s_or_b32 exec_lo, exec_lo, s10
	global_store_byte v[1:2], v7, off
.LBB120_781:
	s_mov_b32 s10, -1
.LBB120_782:
	s_mov_b32 s11, 0
.LBB120_783:
	s_and_b32 vcc_lo, exec_lo, s11
	s_cbranch_vccz .LBB120_823
; %bb.784:
	s_cmp_gt_i32 s8, 22
	s_mov_b32 s9, -1
	s_cbranch_scc0 .LBB120_816
; %bb.785:
	s_cmp_lt_i32 s8, 24
	s_cbranch_scc1 .LBB120_805
; %bb.786:
	s_cmp_gt_i32 s8, 24
	s_cbranch_scc0 .LBB120_794
; %bb.787:
	v_lshlrev_b32_e32 v6, 16, v22
	v_mov_b32_e32 v7, 0x80
	s_mov_b32 s9, exec_lo
	v_and_b32_e32 v5, 0x7fffffff, v6
	v_cmpx_gt_u32_e32 0x47800000, v5
	s_cbranch_execz .LBB120_793
; %bb.788:
	v_and_b32_e32 v4, 0xffff, v22
	v_cmp_lt_u32_e32 vcc_lo, 0x37ffffff, v5
	s_mov_b32 s10, 0
                                        ; implicit-def: $vgpr5
	s_and_saveexec_b32 s11, vcc_lo
	s_xor_b32 s11, exec_lo, s11
	s_cbranch_execz .LBB120_1002
; %bb.789:
	v_bfe_u32 v5, v4, 5, 1
	s_mov_b32 s10, exec_lo
	v_add3_u32 v5, v6, v5, 0x88fffff
                                        ; implicit-def: $vgpr6
	v_lshrrev_b32_e32 v5, 21, v5
	s_andn2_saveexec_b32 s11, s11
	s_cbranch_execnz .LBB120_1003
.LBB120_790:
	s_or_b32 exec_lo, exec_lo, s11
	v_mov_b32_e32 v7, 0
	s_and_saveexec_b32 s11, s10
.LBB120_791:
	v_lshrrev_b32_e32 v4, 8, v4
	v_and_or_b32 v7, 0x80, v4, v5
.LBB120_792:
	s_or_b32 exec_lo, exec_lo, s11
.LBB120_793:
	s_or_b32 exec_lo, exec_lo, s9
	s_mov_b32 s9, 0
	global_store_byte v[1:2], v7, off
.LBB120_794:
	s_and_b32 vcc_lo, exec_lo, s9
	s_cbranch_vccz .LBB120_804
; %bb.795:
	v_lshlrev_b32_e32 v6, 16, v22
	v_and_b32_e32 v4, 0xffff, v22
	s_mov_b32 s9, exec_lo
                                        ; implicit-def: $vgpr5
	v_and_b32_e32 v7, 0x7fffffff, v6
	v_cmpx_gt_u32_e32 0x43f00000, v7
	s_xor_b32 s9, exec_lo, s9
	s_cbranch_execz .LBB120_801
; %bb.796:
	s_mov_b32 s10, exec_lo
                                        ; implicit-def: $vgpr5
	v_cmpx_lt_u32_e32 0x3c7fffff, v7
	s_xor_b32 s10, exec_lo, s10
; %bb.797:
	v_bfe_u32 v5, v4, 4, 1
	v_add3_u32 v5, v6, v5, 0x407ffff
	v_and_b32_e32 v6, 0xff00000, v5
	v_lshrrev_b32_e32 v5, 20, v5
	v_cmp_ne_u32_e32 vcc_lo, 0x7f00000, v6
                                        ; implicit-def: $vgpr6
	v_cndmask_b32_e32 v5, 0x7e, v5, vcc_lo
; %bb.798:
	s_andn2_saveexec_b32 s10, s10
; %bb.799:
	v_add_f32_e64 v5, 0x46800000, |v6|
; %bb.800:
	s_or_b32 exec_lo, exec_lo, s10
                                        ; implicit-def: $vgpr7
.LBB120_801:
	s_andn2_saveexec_b32 s9, s9
; %bb.802:
	v_mov_b32_e32 v5, 0x7f
	v_cmp_lt_u32_e32 vcc_lo, 0x7f800000, v7
	v_cndmask_b32_e32 v5, 0x7e, v5, vcc_lo
; %bb.803:
	s_or_b32 exec_lo, exec_lo, s9
	v_lshrrev_b32_e32 v4, 8, v4
	v_and_or_b32 v4, 0x80, v4, v5
	global_store_byte v[1:2], v4, off
.LBB120_804:
	s_mov_b32 s9, 0
.LBB120_805:
	s_andn2_b32 vcc_lo, exec_lo, s9
	s_cbranch_vccnz .LBB120_815
; %bb.806:
	v_lshlrev_b32_e32 v6, 16, v22
	v_and_b32_e32 v4, 0xffff, v22
	s_mov_b32 s9, exec_lo
                                        ; implicit-def: $vgpr5
	v_and_b32_e32 v7, 0x7fffffff, v6
	v_cmpx_gt_u32_e32 0x47800000, v7
	s_xor_b32 s9, exec_lo, s9
	s_cbranch_execz .LBB120_812
; %bb.807:
	s_mov_b32 s10, exec_lo
                                        ; implicit-def: $vgpr5
	v_cmpx_lt_u32_e32 0x387fffff, v7
	s_xor_b32 s10, exec_lo, s10
; %bb.808:
	v_bfe_u32 v5, v4, 5, 1
	v_add3_u32 v5, v6, v5, 0x80fffff
                                        ; implicit-def: $vgpr6
	v_lshrrev_b32_e32 v5, 21, v5
; %bb.809:
	s_andn2_saveexec_b32 s10, s10
; %bb.810:
	v_add_f32_e64 v5, 0x43000000, |v6|
; %bb.811:
	s_or_b32 exec_lo, exec_lo, s10
                                        ; implicit-def: $vgpr7
.LBB120_812:
	s_andn2_saveexec_b32 s9, s9
; %bb.813:
	v_mov_b32_e32 v5, 0x7f
	v_cmp_lt_u32_e32 vcc_lo, 0x7f800000, v7
	v_cndmask_b32_e32 v5, 0x7c, v5, vcc_lo
; %bb.814:
	s_or_b32 exec_lo, exec_lo, s9
	v_lshrrev_b32_e32 v4, 8, v4
	v_and_or_b32 v4, 0x80, v4, v5
	global_store_byte v[1:2], v4, off
.LBB120_815:
	s_mov_b32 s9, 0
	s_mov_b32 s10, -1
.LBB120_816:
	s_andn2_b32 vcc_lo, exec_lo, s9
	s_mov_b32 s9, 0
	s_cbranch_vccnz .LBB120_823
; %bb.817:
	s_cmp_gt_i32 s8, 14
	s_mov_b32 s9, -1
	s_cbranch_scc0 .LBB120_821
; %bb.818:
	s_cmp_eq_u32 s8, 15
	s_mov_b32 s4, -1
	s_cbranch_scc0 .LBB120_820
; %bb.819:
	s_mov_b32 s4, 0
	s_mov_b32 s10, -1
	global_store_short v[1:2], v22, off
.LBB120_820:
	s_mov_b32 s9, 0
.LBB120_821:
	s_and_b32 vcc_lo, exec_lo, s9
	s_mov_b32 s9, 0
	s_cbranch_vccz .LBB120_823
; %bb.822:
	s_cmp_lg_u32 s8, 11
	s_mov_b32 s9, -1
	s_cselect_b32 s4, -1, 0
.LBB120_823:
	s_and_b32 vcc_lo, exec_lo, s4
	s_cbranch_vccnz .LBB120_1001
; %bb.824:
	s_andn2_b32 vcc_lo, exec_lo, s9
	s_cbranch_vccnz .LBB120_826
.LBB120_825:
	v_and_b32_e32 v4, 0x7fff, v22
	s_mov_b32 s10, -1
	v_cmp_ne_u16_e32 vcc_lo, 0, v4
	v_cndmask_b32_e64 v4, 0, 1, vcc_lo
	global_store_byte v[1:2], v4, off
.LBB120_826:
.LBB120_827:
	s_andn2_b32 vcc_lo, exec_lo, s10
	s_cbranch_vccnz .LBB120_943
.LBB120_828:
	v_add_nc_u32_e32 v1, s7, v3
	s_cmp_lt_i32 s5, 11
	v_ashrrev_i32_e32 v2, 31, v1
	v_add_co_u32 v1, vcc_lo, s36, v1
	v_add_co_ci_u32_e64 v2, null, s37, v2, vcc_lo
	s_cbranch_scc1 .LBB120_988
; %bb.829:
	s_and_b32 s7, 0xffff, s5
	s_mov_b32 s9, -1
	s_mov_b32 s8, 0
	s_cmp_gt_i32 s7, 25
	s_mov_b32 s4, 0
	s_cbranch_scc0 .LBB120_862
; %bb.830:
	s_cmp_gt_i32 s7, 28
	s_cbranch_scc0 .LBB120_846
; %bb.831:
	s_cmp_gt_i32 s7, 43
	;; [unrolled: 3-line block ×3, first 2 shown]
	s_cbranch_scc0 .LBB120_836
; %bb.833:
	s_cmp_eq_u32 s7, 46
	s_mov_b32 s4, -1
	s_cbranch_scc0 .LBB120_835
; %bb.834:
	v_and_b32_e32 v3, 0xffff, v0
	s_mov_b32 s4, 0
	global_store_dword v[1:2], v3, off
.LBB120_835:
	s_mov_b32 s9, 0
.LBB120_836:
	s_and_b32 vcc_lo, exec_lo, s9
	s_cbranch_vccz .LBB120_841
; %bb.837:
	s_cmp_eq_u32 s7, 44
	s_mov_b32 s4, -1
	s_cbranch_scc0 .LBB120_841
; %bb.838:
	v_and_b32_e32 v3, 0xffff, v0
	v_mov_b32_e32 v4, 0xff
	s_mov_b32 s9, exec_lo
	v_bfe_u32 v5, v3, 7, 8
	v_cmpx_ne_u32_e32 0xff, v5
	s_cbranch_execz .LBB120_840
; %bb.839:
	v_lshlrev_b32_e32 v4, 16, v3
	v_and_b32_e32 v6, 64, v3
	v_lshrrev_b32_e32 v3, 7, v3
	v_and_or_b32 v4, 0x3f0000, v4, v5
	v_cmp_ne_u32_e32 vcc_lo, 0, v6
	v_cmp_ne_u32_e64 s4, 0, v4
	s_and_b32 s4, vcc_lo, s4
	v_cndmask_b32_e64 v4, 0, 1, s4
	v_add_nc_u32_e32 v4, v3, v4
.LBB120_840:
	s_or_b32 exec_lo, exec_lo, s9
	s_mov_b32 s4, 0
	global_store_byte v[1:2], v4, off
.LBB120_841:
	s_mov_b32 s9, 0
.LBB120_842:
	s_and_b32 vcc_lo, exec_lo, s9
	s_cbranch_vccz .LBB120_845
; %bb.843:
	s_cmp_eq_u32 s7, 29
	s_mov_b32 s4, -1
	s_cbranch_scc0 .LBB120_845
; %bb.844:
	v_lshlrev_b32_e32 v3, 16, v0
	s_mov_b32 s4, 0
	v_trunc_f32_e32 v3, v3
	v_mul_f32_e32 v4, 0x2f800000, v3
	v_floor_f32_e32 v4, v4
	v_fmamk_f32 v3, v4, 0xcf800000, v3
	v_cvt_u32_f32_e32 v4, v4
	v_cvt_u32_f32_e32 v3, v3
	global_store_dwordx2 v[1:2], v[3:4], off
.LBB120_845:
	s_mov_b32 s9, 0
.LBB120_846:
	s_and_b32 vcc_lo, exec_lo, s9
	s_cbranch_vccz .LBB120_861
; %bb.847:
	s_cmp_lt_i32 s7, 27
	s_mov_b32 s9, -1
	s_cbranch_scc1 .LBB120_853
; %bb.848:
	s_cmp_gt_i32 s7, 27
	s_cbranch_scc0 .LBB120_850
; %bb.849:
	v_lshlrev_b32_e32 v3, 16, v0
	s_mov_b32 s9, 0
	v_cvt_u32_f32_e32 v3, v3
	global_store_dword v[1:2], v3, off
.LBB120_850:
	s_andn2_b32 vcc_lo, exec_lo, s9
	s_cbranch_vccnz .LBB120_852
; %bb.851:
	v_lshlrev_b32_e32 v3, 16, v0
	v_cvt_u32_f32_e32 v3, v3
	global_store_short v[1:2], v3, off
.LBB120_852:
	s_mov_b32 s9, 0
.LBB120_853:
	s_andn2_b32 vcc_lo, exec_lo, s9
	s_cbranch_vccnz .LBB120_861
; %bb.854:
	v_lshlrev_b32_e32 v5, 16, v0
	v_mov_b32_e32 v6, 0x80
	s_mov_b32 s9, exec_lo
	v_and_b32_e32 v4, 0x7fffffff, v5
	v_cmpx_gt_u32_e32 0x43800000, v4
	s_cbranch_execz .LBB120_860
; %bb.855:
	v_and_b32_e32 v3, 0xffff, v0
	v_cmp_lt_u32_e32 vcc_lo, 0x3bffffff, v4
	s_mov_b32 s10, 0
                                        ; implicit-def: $vgpr4
	s_and_saveexec_b32 s11, vcc_lo
	s_xor_b32 s11, exec_lo, s11
	s_cbranch_execz .LBB120_1004
; %bb.856:
	v_bfe_u32 v4, v3, 4, 1
	s_mov_b32 s10, exec_lo
	v_add3_u32 v4, v5, v4, 0x487ffff
                                        ; implicit-def: $vgpr5
	v_lshrrev_b32_e32 v4, 20, v4
	s_andn2_saveexec_b32 s11, s11
	s_cbranch_execnz .LBB120_1005
.LBB120_857:
	s_or_b32 exec_lo, exec_lo, s11
	v_mov_b32_e32 v6, 0
	s_and_saveexec_b32 s11, s10
.LBB120_858:
	v_lshrrev_b32_e32 v3, 8, v3
	v_and_or_b32 v6, 0x80, v3, v4
.LBB120_859:
	s_or_b32 exec_lo, exec_lo, s11
.LBB120_860:
	s_or_b32 exec_lo, exec_lo, s9
	global_store_byte v[1:2], v6, off
.LBB120_861:
	s_mov_b32 s9, 0
.LBB120_862:
	s_and_b32 vcc_lo, exec_lo, s9
	s_cbranch_vccz .LBB120_902
; %bb.863:
	s_cmp_gt_i32 s7, 22
	s_mov_b32 s8, -1
	s_cbranch_scc0 .LBB120_895
; %bb.864:
	s_cmp_lt_i32 s7, 24
	s_cbranch_scc1 .LBB120_884
; %bb.865:
	s_cmp_gt_i32 s7, 24
	s_cbranch_scc0 .LBB120_873
; %bb.866:
	v_lshlrev_b32_e32 v5, 16, v0
	v_mov_b32_e32 v6, 0x80
	s_mov_b32 s8, exec_lo
	v_and_b32_e32 v4, 0x7fffffff, v5
	v_cmpx_gt_u32_e32 0x47800000, v4
	s_cbranch_execz .LBB120_872
; %bb.867:
	v_and_b32_e32 v3, 0xffff, v0
	v_cmp_lt_u32_e32 vcc_lo, 0x37ffffff, v4
	s_mov_b32 s9, 0
                                        ; implicit-def: $vgpr4
	s_and_saveexec_b32 s10, vcc_lo
	s_xor_b32 s10, exec_lo, s10
	s_cbranch_execz .LBB120_1009
; %bb.868:
	v_bfe_u32 v4, v3, 5, 1
	s_mov_b32 s9, exec_lo
	v_add3_u32 v4, v5, v4, 0x88fffff
                                        ; implicit-def: $vgpr5
	v_lshrrev_b32_e32 v4, 21, v4
	s_andn2_saveexec_b32 s10, s10
	s_cbranch_execnz .LBB120_1010
.LBB120_869:
	s_or_b32 exec_lo, exec_lo, s10
	v_mov_b32_e32 v6, 0
	s_and_saveexec_b32 s10, s9
.LBB120_870:
	v_lshrrev_b32_e32 v3, 8, v3
	v_and_or_b32 v6, 0x80, v3, v4
.LBB120_871:
	s_or_b32 exec_lo, exec_lo, s10
.LBB120_872:
	s_or_b32 exec_lo, exec_lo, s8
	s_mov_b32 s8, 0
	global_store_byte v[1:2], v6, off
.LBB120_873:
	s_and_b32 vcc_lo, exec_lo, s8
	s_cbranch_vccz .LBB120_883
; %bb.874:
	v_lshlrev_b32_e32 v5, 16, v0
	v_and_b32_e32 v3, 0xffff, v0
	s_mov_b32 s8, exec_lo
                                        ; implicit-def: $vgpr4
	v_and_b32_e32 v6, 0x7fffffff, v5
	v_cmpx_gt_u32_e32 0x43f00000, v6
	s_xor_b32 s8, exec_lo, s8
	s_cbranch_execz .LBB120_880
; %bb.875:
	s_mov_b32 s9, exec_lo
                                        ; implicit-def: $vgpr4
	v_cmpx_lt_u32_e32 0x3c7fffff, v6
	s_xor_b32 s9, exec_lo, s9
; %bb.876:
	v_bfe_u32 v4, v3, 4, 1
	v_add3_u32 v4, v5, v4, 0x407ffff
	v_and_b32_e32 v5, 0xff00000, v4
	v_lshrrev_b32_e32 v4, 20, v4
	v_cmp_ne_u32_e32 vcc_lo, 0x7f00000, v5
                                        ; implicit-def: $vgpr5
	v_cndmask_b32_e32 v4, 0x7e, v4, vcc_lo
; %bb.877:
	s_andn2_saveexec_b32 s9, s9
; %bb.878:
	v_add_f32_e64 v4, 0x46800000, |v5|
; %bb.879:
	s_or_b32 exec_lo, exec_lo, s9
                                        ; implicit-def: $vgpr6
.LBB120_880:
	s_andn2_saveexec_b32 s8, s8
; %bb.881:
	v_mov_b32_e32 v4, 0x7f
	v_cmp_lt_u32_e32 vcc_lo, 0x7f800000, v6
	v_cndmask_b32_e32 v4, 0x7e, v4, vcc_lo
; %bb.882:
	s_or_b32 exec_lo, exec_lo, s8
	v_lshrrev_b32_e32 v3, 8, v3
	v_and_or_b32 v3, 0x80, v3, v4
	global_store_byte v[1:2], v3, off
.LBB120_883:
	s_mov_b32 s8, 0
.LBB120_884:
	s_andn2_b32 vcc_lo, exec_lo, s8
	s_cbranch_vccnz .LBB120_894
; %bb.885:
	v_lshlrev_b32_e32 v5, 16, v0
	v_and_b32_e32 v3, 0xffff, v0
	s_mov_b32 s8, exec_lo
                                        ; implicit-def: $vgpr4
	v_and_b32_e32 v6, 0x7fffffff, v5
	v_cmpx_gt_u32_e32 0x47800000, v6
	s_xor_b32 s8, exec_lo, s8
	s_cbranch_execz .LBB120_891
; %bb.886:
	s_mov_b32 s9, exec_lo
                                        ; implicit-def: $vgpr4
	v_cmpx_lt_u32_e32 0x387fffff, v6
	s_xor_b32 s9, exec_lo, s9
; %bb.887:
	v_bfe_u32 v4, v3, 5, 1
	v_add3_u32 v4, v5, v4, 0x80fffff
                                        ; implicit-def: $vgpr5
	v_lshrrev_b32_e32 v4, 21, v4
; %bb.888:
	s_andn2_saveexec_b32 s9, s9
; %bb.889:
	v_add_f32_e64 v4, 0x43000000, |v5|
; %bb.890:
	s_or_b32 exec_lo, exec_lo, s9
                                        ; implicit-def: $vgpr6
.LBB120_891:
	s_andn2_saveexec_b32 s8, s8
; %bb.892:
	v_mov_b32_e32 v4, 0x7f
	v_cmp_lt_u32_e32 vcc_lo, 0x7f800000, v6
	v_cndmask_b32_e32 v4, 0x7c, v4, vcc_lo
; %bb.893:
	s_or_b32 exec_lo, exec_lo, s8
	v_lshrrev_b32_e32 v3, 8, v3
	v_and_or_b32 v3, 0x80, v3, v4
	global_store_byte v[1:2], v3, off
.LBB120_894:
	s_mov_b32 s8, 0
.LBB120_895:
	s_andn2_b32 vcc_lo, exec_lo, s8
	s_mov_b32 s8, 0
	s_cbranch_vccnz .LBB120_902
; %bb.896:
	s_cmp_gt_i32 s7, 14
	s_mov_b32 s8, -1
	s_cbranch_scc0 .LBB120_900
; %bb.897:
	s_cmp_eq_u32 s7, 15
	s_mov_b32 s4, -1
	s_cbranch_scc0 .LBB120_899
; %bb.898:
	s_mov_b32 s4, 0
	global_store_short v[1:2], v0, off
.LBB120_899:
	s_mov_b32 s8, 0
.LBB120_900:
	s_and_b32 vcc_lo, exec_lo, s8
	s_mov_b32 s8, 0
	s_cbranch_vccz .LBB120_902
; %bb.901:
	s_cmp_lg_u32 s7, 11
	s_mov_b32 s8, -1
	s_cselect_b32 s4, -1, 0
.LBB120_902:
	s_and_b32 vcc_lo, exec_lo, s4
	s_cbranch_vccnz .LBB120_1006
.LBB120_903:
	s_mov_b32 s4, 0
	s_branch .LBB120_944
.LBB120_904:
	s_mov_b32 s10, 0
	s_cbranch_execz .LBB120_827
; %bb.905:
	s_and_b32 s4, 0xffff, s5
	s_mov_b32 s8, -1
	s_cmp_lt_i32 s4, 5
	s_cbranch_scc1 .LBB120_926
; %bb.906:
	s_cmp_lt_i32 s4, 8
	s_cbranch_scc1 .LBB120_916
; %bb.907:
	;; [unrolled: 3-line block ×3, first 2 shown]
	s_cmp_gt_i32 s4, 9
	s_cbranch_scc0 .LBB120_910
; %bb.909:
	v_lshlrev_b32_e32 v4, 16, v22
	v_mov_b32_e32 v6, 0
	s_mov_b32 s8, 0
	v_cvt_f64_f32_e32 v[4:5], v4
	v_mov_b32_e32 v7, v6
	global_store_dwordx4 v[1:2], v[4:7], off
.LBB120_910:
	s_andn2_b32 vcc_lo, exec_lo, s8
	s_cbranch_vccnz .LBB120_912
; %bb.911:
	v_lshlrev_b32_e32 v4, 16, v22
	v_mov_b32_e32 v5, 0
	global_store_dwordx2 v[1:2], v[4:5], off
.LBB120_912:
	s_mov_b32 s8, 0
.LBB120_913:
	s_andn2_b32 vcc_lo, exec_lo, s8
	s_cbranch_vccnz .LBB120_915
; %bb.914:
	v_lshlrev_b32_e32 v4, 16, v22
	v_cvt_f16_f32_e32 v4, v4
	v_and_b32_e32 v4, 0xffff, v4
	global_store_dword v[1:2], v4, off
.LBB120_915:
	s_mov_b32 s8, 0
.LBB120_916:
	s_andn2_b32 vcc_lo, exec_lo, s8
	s_cbranch_vccnz .LBB120_925
; %bb.917:
	s_cmp_lt_i32 s4, 6
	s_mov_b32 s8, -1
	s_cbranch_scc1 .LBB120_923
; %bb.918:
	s_cmp_gt_i32 s4, 6
	s_cbranch_scc0 .LBB120_920
; %bb.919:
	v_lshlrev_b32_e32 v4, 16, v22
	s_mov_b32 s8, 0
	v_cvt_f64_f32_e32 v[4:5], v4
	global_store_dwordx2 v[1:2], v[4:5], off
.LBB120_920:
	s_andn2_b32 vcc_lo, exec_lo, s8
	s_cbranch_vccnz .LBB120_922
; %bb.921:
	v_lshlrev_b32_e32 v4, 16, v22
	global_store_dword v[1:2], v4, off
.LBB120_922:
	s_mov_b32 s8, 0
.LBB120_923:
	s_andn2_b32 vcc_lo, exec_lo, s8
	s_cbranch_vccnz .LBB120_925
; %bb.924:
	v_lshlrev_b32_e32 v4, 16, v22
	v_cvt_f16_f32_e32 v4, v4
	global_store_short v[1:2], v4, off
.LBB120_925:
	s_mov_b32 s8, 0
.LBB120_926:
	s_andn2_b32 vcc_lo, exec_lo, s8
	s_cbranch_vccnz .LBB120_942
; %bb.927:
	s_cmp_lt_i32 s4, 2
	s_mov_b32 s8, -1
	s_cbranch_scc1 .LBB120_937
; %bb.928:
	s_cmp_lt_i32 s4, 3
	s_cbranch_scc1 .LBB120_934
; %bb.929:
	s_cmp_gt_i32 s4, 3
	s_cbranch_scc0 .LBB120_931
; %bb.930:
	v_lshlrev_b32_e32 v4, 16, v22
	s_mov_b32 s8, 0
	v_trunc_f32_e32 v4, v4
	v_mul_f32_e64 v5, 0x2f800000, |v4|
	v_ashrrev_i32_e32 v7, 31, v4
	v_floor_f32_e32 v5, v5
	v_fma_f32 v6, 0xcf800000, v5, |v4|
	v_cvt_u32_f32_e32 v5, v5
	v_cvt_u32_f32_e32 v4, v6
	v_xor_b32_e32 v5, v5, v7
	v_xor_b32_e32 v4, v4, v7
	v_sub_co_u32 v4, vcc_lo, v4, v7
	v_sub_co_ci_u32_e64 v5, null, v5, v7, vcc_lo
	global_store_dwordx2 v[1:2], v[4:5], off
.LBB120_931:
	s_andn2_b32 vcc_lo, exec_lo, s8
	s_cbranch_vccnz .LBB120_933
; %bb.932:
	v_lshlrev_b32_e32 v4, 16, v22
	v_cvt_i32_f32_e32 v4, v4
	global_store_dword v[1:2], v4, off
.LBB120_933:
	s_mov_b32 s8, 0
.LBB120_934:
	s_andn2_b32 vcc_lo, exec_lo, s8
	s_cbranch_vccnz .LBB120_936
; %bb.935:
	v_lshlrev_b32_e32 v4, 16, v22
	v_cvt_i32_f32_e32 v4, v4
	global_store_short v[1:2], v4, off
.LBB120_936:
	s_mov_b32 s8, 0
.LBB120_937:
	s_andn2_b32 vcc_lo, exec_lo, s8
	s_cbranch_vccnz .LBB120_942
; %bb.938:
	v_lshlrev_b32_e32 v4, 16, v22
	s_cmp_gt_i32 s4, 0
	s_mov_b32 s4, -1
	s_cbranch_scc0 .LBB120_940
; %bb.939:
	v_cvt_i32_f32_e32 v5, v4
	s_mov_b32 s4, 0
	global_store_byte v[1:2], v5, off
.LBB120_940:
	s_andn2_b32 vcc_lo, exec_lo, s4
	s_cbranch_vccnz .LBB120_942
; %bb.941:
	v_trunc_f32_e32 v4, v4
	v_mul_f32_e64 v5, 0x2f800000, |v4|
	v_floor_f32_e32 v5, v5
	v_fma_f32 v5, 0xcf800000, v5, |v4|
	v_ashrrev_i32_e32 v4, 31, v4
	v_cvt_u32_f32_e32 v5, v5
	v_xor_b32_e32 v5, v5, v4
	v_sub_nc_u32_e32 v4, v5, v4
	global_store_byte v[1:2], v4, off
.LBB120_942:
	s_branch .LBB120_828
.LBB120_943:
	s_mov_b32 s4, 0
	s_mov_b32 s8, 0
                                        ; implicit-def: $sgpr5
                                        ; implicit-def: $vgpr1_vgpr2
.LBB120_944:
	s_andn2_b32 s7, s25, exec_lo
	s_and_b32 s6, s6, exec_lo
	s_and_b32 s4, s4, exec_lo
	;; [unrolled: 1-line block ×3, first 2 shown]
	s_or_b32 s25, s7, s6
.LBB120_945:
	s_or_b32 exec_lo, exec_lo, s24
	s_and_saveexec_b32 s6, s25
	s_cbranch_execz .LBB120_948
; %bb.946:
	; divergent unreachable
	s_or_b32 exec_lo, exec_lo, s6
	s_and_saveexec_b32 s6, s23
	s_xor_b32 s6, exec_lo, s6
	s_cbranch_execnz .LBB120_949
.LBB120_947:
	s_or_b32 exec_lo, exec_lo, s6
	s_and_saveexec_b32 s6, s4
	s_cbranch_execnz .LBB120_950
	s_branch .LBB120_987
.LBB120_948:
	s_or_b32 exec_lo, exec_lo, s6
	s_and_saveexec_b32 s6, s23
	s_xor_b32 s6, exec_lo, s6
	s_cbranch_execz .LBB120_947
.LBB120_949:
	v_and_b32_e32 v3, 0x7fff, v0
	v_cmp_ne_u16_e32 vcc_lo, 0, v3
	v_cndmask_b32_e64 v3, 0, 1, vcc_lo
	global_store_byte v[1:2], v3, off
	s_or_b32 exec_lo, exec_lo, s6
	s_and_saveexec_b32 s6, s4
	s_cbranch_execz .LBB120_987
.LBB120_950:
	s_sext_i32_i16 s6, s5
	s_mov_b32 s4, -1
	s_cmp_lt_i32 s6, 5
	s_cbranch_scc1 .LBB120_971
; %bb.951:
	s_cmp_lt_i32 s6, 8
	s_cbranch_scc1 .LBB120_961
; %bb.952:
	;; [unrolled: 3-line block ×3, first 2 shown]
	s_cmp_gt_i32 s6, 9
	s_cbranch_scc0 .LBB120_955
; %bb.954:
	v_lshlrev_b32_e32 v3, 16, v0
	v_mov_b32_e32 v5, 0
	s_mov_b32 s4, 0
	v_cvt_f64_f32_e32 v[3:4], v3
	v_mov_b32_e32 v6, v5
	global_store_dwordx4 v[1:2], v[3:6], off
.LBB120_955:
	s_andn2_b32 vcc_lo, exec_lo, s4
	s_cbranch_vccnz .LBB120_957
; %bb.956:
	v_lshlrev_b32_e32 v3, 16, v0
	v_mov_b32_e32 v4, 0
	global_store_dwordx2 v[1:2], v[3:4], off
.LBB120_957:
	s_mov_b32 s4, 0
.LBB120_958:
	s_andn2_b32 vcc_lo, exec_lo, s4
	s_cbranch_vccnz .LBB120_960
; %bb.959:
	v_lshlrev_b32_e32 v3, 16, v0
	v_cvt_f16_f32_e32 v3, v3
	v_and_b32_e32 v3, 0xffff, v3
	global_store_dword v[1:2], v3, off
.LBB120_960:
	s_mov_b32 s4, 0
.LBB120_961:
	s_andn2_b32 vcc_lo, exec_lo, s4
	s_cbranch_vccnz .LBB120_970
; %bb.962:
	s_sext_i32_i16 s6, s5
	s_mov_b32 s4, -1
	s_cmp_lt_i32 s6, 6
	s_cbranch_scc1 .LBB120_968
; %bb.963:
	s_cmp_gt_i32 s6, 6
	s_cbranch_scc0 .LBB120_965
; %bb.964:
	v_lshlrev_b32_e32 v3, 16, v0
	s_mov_b32 s4, 0
	v_cvt_f64_f32_e32 v[3:4], v3
	global_store_dwordx2 v[1:2], v[3:4], off
.LBB120_965:
	s_andn2_b32 vcc_lo, exec_lo, s4
	s_cbranch_vccnz .LBB120_967
; %bb.966:
	v_lshlrev_b32_e32 v3, 16, v0
	global_store_dword v[1:2], v3, off
.LBB120_967:
	s_mov_b32 s4, 0
.LBB120_968:
	s_andn2_b32 vcc_lo, exec_lo, s4
	s_cbranch_vccnz .LBB120_970
; %bb.969:
	v_lshlrev_b32_e32 v3, 16, v0
	v_cvt_f16_f32_e32 v3, v3
	global_store_short v[1:2], v3, off
.LBB120_970:
	s_mov_b32 s4, 0
.LBB120_971:
	s_andn2_b32 vcc_lo, exec_lo, s4
	s_cbranch_vccnz .LBB120_987
; %bb.972:
	s_sext_i32_i16 s6, s5
	s_mov_b32 s4, -1
	s_cmp_lt_i32 s6, 2
	s_cbranch_scc1 .LBB120_982
; %bb.973:
	s_cmp_lt_i32 s6, 3
	s_cbranch_scc1 .LBB120_979
; %bb.974:
	s_cmp_gt_i32 s6, 3
	s_cbranch_scc0 .LBB120_976
; %bb.975:
	v_lshlrev_b32_e32 v3, 16, v0
	s_mov_b32 s4, 0
	v_trunc_f32_e32 v3, v3
	v_mul_f32_e64 v4, 0x2f800000, |v3|
	v_ashrrev_i32_e32 v6, 31, v3
	v_floor_f32_e32 v4, v4
	v_fma_f32 v5, 0xcf800000, v4, |v3|
	v_cvt_u32_f32_e32 v4, v4
	v_cvt_u32_f32_e32 v3, v5
	v_xor_b32_e32 v4, v4, v6
	v_xor_b32_e32 v3, v3, v6
	v_sub_co_u32 v3, vcc_lo, v3, v6
	v_sub_co_ci_u32_e64 v4, null, v4, v6, vcc_lo
	global_store_dwordx2 v[1:2], v[3:4], off
.LBB120_976:
	s_andn2_b32 vcc_lo, exec_lo, s4
	s_cbranch_vccnz .LBB120_978
; %bb.977:
	v_lshlrev_b32_e32 v3, 16, v0
	v_cvt_i32_f32_e32 v3, v3
	global_store_dword v[1:2], v3, off
.LBB120_978:
	s_mov_b32 s4, 0
.LBB120_979:
	s_andn2_b32 vcc_lo, exec_lo, s4
	s_cbranch_vccnz .LBB120_981
; %bb.980:
	v_lshlrev_b32_e32 v3, 16, v0
	v_cvt_i32_f32_e32 v3, v3
	global_store_short v[1:2], v3, off
.LBB120_981:
	s_mov_b32 s4, 0
.LBB120_982:
	s_andn2_b32 vcc_lo, exec_lo, s4
	s_cbranch_vccnz .LBB120_987
; %bb.983:
	v_lshlrev_b32_e32 v0, 16, v0
	s_sext_i32_i16 s4, s5
	s_cmp_gt_i32 s4, 0
	s_mov_b32 s4, -1
	s_cbranch_scc0 .LBB120_985
; %bb.984:
	v_cvt_i32_f32_e32 v3, v0
	s_mov_b32 s4, 0
	global_store_byte v[1:2], v3, off
.LBB120_985:
	s_andn2_b32 vcc_lo, exec_lo, s4
	s_cbranch_vccnz .LBB120_987
; %bb.986:
	v_trunc_f32_e32 v0, v0
	v_mul_f32_e64 v3, 0x2f800000, |v0|
	v_floor_f32_e32 v3, v3
	v_fma_f32 v3, 0xcf800000, v3, |v0|
	v_ashrrev_i32_e32 v0, 31, v0
	v_cvt_u32_f32_e32 v3, v3
	v_xor_b32_e32 v3, v3, v0
	v_sub_nc_u32_e32 v0, v3, v0
	global_store_byte v[1:2], v0, off
	s_endpgm
.LBB120_987:
	s_endpgm
.LBB120_988:
	s_mov_b32 s8, 0
	s_mov_b32 s4, -1
	s_branch .LBB120_944
.LBB120_989:
	s_andn2_saveexec_b32 s10, s10
	s_cbranch_execz .LBB120_541
.LBB120_990:
	v_add_f32_e64 v5, 0x46000000, |v6|
	s_andn2_b32 s9, s9, exec_lo
	v_and_b32_e32 v5, 0xff, v5
	v_cmp_ne_u32_e32 vcc_lo, 0, v5
	s_and_b32 s11, vcc_lo, exec_lo
	s_or_b32 s9, s9, s11
	s_or_b32 exec_lo, exec_lo, s10
	v_mov_b32_e32 v7, 0
	s_and_saveexec_b32 s10, s9
	s_cbranch_execnz .LBB120_542
	s_branch .LBB120_543
.LBB120_991:
	s_or_b32 s6, s25, exec_lo
	s_trap 2
	s_cbranch_execz .LBB120_589
	s_branch .LBB120_590
.LBB120_992:
	s_andn2_saveexec_b32 s9, s9
	s_cbranch_execz .LBB120_554
.LBB120_993:
	v_add_f32_e64 v5, 0x42800000, |v6|
	s_andn2_b32 s8, s8, exec_lo
	v_and_b32_e32 v5, 0xff, v5
	v_cmp_ne_u32_e32 vcc_lo, 0, v5
	s_and_b32 s10, vcc_lo, exec_lo
	s_or_b32 s8, s8, s10
	s_or_b32 exec_lo, exec_lo, s9
	v_mov_b32_e32 v7, 0
	s_and_saveexec_b32 s9, s8
	s_cbranch_execnz .LBB120_555
	s_branch .LBB120_556
.LBB120_994:
	s_andn2_saveexec_b32 s12, s12
	s_cbranch_execz .LBB120_659
.LBB120_995:
	v_add_f32_e64 v5, 0x46000000, |v6|
	s_andn2_b32 s11, s11, exec_lo
	v_and_b32_e32 v5, 0xff, v5
	v_cmp_ne_u32_e32 vcc_lo, 0, v5
	s_and_b32 s13, vcc_lo, exec_lo
	s_or_b32 s11, s11, s13
	s_or_b32 exec_lo, exec_lo, s12
	v_mov_b32_e32 v7, 0
	s_and_saveexec_b32 s12, s11
	s_cbranch_execnz .LBB120_660
	s_branch .LBB120_661
.LBB120_996:
	s_or_b32 s6, s6, exec_lo
	s_trap 2
	s_cbranch_execz .LBB120_707
	s_branch .LBB120_708
.LBB120_997:
	s_andn2_saveexec_b32 s11, s11
	s_cbranch_execz .LBB120_672
.LBB120_998:
	v_add_f32_e64 v5, 0x42800000, |v6|
	s_andn2_b32 s10, s10, exec_lo
	v_and_b32_e32 v5, 0xff, v5
	v_cmp_ne_u32_e32 vcc_lo, 0, v5
	s_and_b32 s12, vcc_lo, exec_lo
	s_or_b32 s10, s10, s12
	s_or_b32 exec_lo, exec_lo, s11
	v_mov_b32_e32 v7, 0
	s_and_saveexec_b32 s11, s10
	s_cbranch_execnz .LBB120_673
	s_branch .LBB120_674
.LBB120_999:
	s_andn2_saveexec_b32 s12, s12
	s_cbranch_execz .LBB120_777
.LBB120_1000:
	v_add_f32_e64 v5, 0x46000000, |v6|
	s_andn2_b32 s11, s11, exec_lo
	v_and_b32_e32 v5, 0xff, v5
	v_cmp_ne_u32_e32 vcc_lo, 0, v5
	s_and_b32 s13, vcc_lo, exec_lo
	s_or_b32 s11, s11, s13
	s_or_b32 exec_lo, exec_lo, s12
	v_mov_b32_e32 v7, 0
	s_and_saveexec_b32 s12, s11
	s_cbranch_execnz .LBB120_778
	s_branch .LBB120_779
.LBB120_1001:
	s_or_b32 s6, s6, exec_lo
	s_trap 2
	s_cbranch_execz .LBB120_825
	s_branch .LBB120_826
.LBB120_1002:
	s_andn2_saveexec_b32 s11, s11
	s_cbranch_execz .LBB120_790
.LBB120_1003:
	v_add_f32_e64 v5, 0x42800000, |v6|
	s_andn2_b32 s10, s10, exec_lo
	v_and_b32_e32 v5, 0xff, v5
	v_cmp_ne_u32_e32 vcc_lo, 0, v5
	s_and_b32 s12, vcc_lo, exec_lo
	s_or_b32 s10, s10, s12
	s_or_b32 exec_lo, exec_lo, s11
	v_mov_b32_e32 v7, 0
	s_and_saveexec_b32 s11, s10
	s_cbranch_execnz .LBB120_791
	s_branch .LBB120_792
.LBB120_1004:
	s_andn2_saveexec_b32 s11, s11
	s_cbranch_execz .LBB120_857
.LBB120_1005:
	v_add_f32_e64 v4, 0x46000000, |v5|
	s_andn2_b32 s10, s10, exec_lo
	v_and_b32_e32 v4, 0xff, v4
	v_cmp_ne_u32_e32 vcc_lo, 0, v4
	s_and_b32 s12, vcc_lo, exec_lo
	s_or_b32 s10, s10, s12
	s_or_b32 exec_lo, exec_lo, s11
	v_mov_b32_e32 v6, 0
	s_and_saveexec_b32 s11, s10
	s_cbranch_execnz .LBB120_858
	s_branch .LBB120_859
.LBB120_1006:
	s_mov_b32 s8, 0
	s_or_b32 s6, s6, exec_lo
	s_trap 2
	s_branch .LBB120_903
.LBB120_1007:
	s_andn2_saveexec_b32 s9, s9
	s_cbranch_execz .LBB120_422
.LBB120_1008:
	v_add_f32_e64 v4, 0x46000000, |v5|
	s_andn2_b32 s8, s8, exec_lo
	v_and_b32_e32 v4, 0xff, v4
	v_cmp_ne_u32_e32 vcc_lo, 0, v4
	s_and_b32 s10, vcc_lo, exec_lo
	s_or_b32 s8, s8, s10
	s_or_b32 exec_lo, exec_lo, s9
	v_mov_b32_e32 v6, 0
	s_and_saveexec_b32 s9, s8
	s_cbranch_execnz .LBB120_423
	s_branch .LBB120_424
.LBB120_1009:
	s_andn2_saveexec_b32 s10, s10
	s_cbranch_execz .LBB120_869
.LBB120_1010:
	v_add_f32_e64 v4, 0x42800000, |v5|
	s_andn2_b32 s9, s9, exec_lo
	v_and_b32_e32 v4, 0xff, v4
	v_cmp_ne_u32_e32 vcc_lo, 0, v4
	s_and_b32 s11, vcc_lo, exec_lo
	s_or_b32 s9, s9, s11
	s_or_b32 exec_lo, exec_lo, s10
	v_mov_b32_e32 v6, 0
	s_and_saveexec_b32 s10, s9
	s_cbranch_execnz .LBB120_870
	s_branch .LBB120_871
.LBB120_1011:
	s_andn2_saveexec_b32 s10, s10
	s_cbranch_execz .LBB120_434
.LBB120_1012:
	v_add_f32_e64 v4, 0x42800000, |v5|
	s_andn2_b32 s9, s9, exec_lo
	v_and_b32_e32 v4, 0xff, v4
	v_cmp_ne_u32_e32 vcc_lo, 0, v4
	s_and_b32 s11, vcc_lo, exec_lo
	s_or_b32 s9, s9, s11
	s_or_b32 exec_lo, exec_lo, s10
	v_mov_b32_e32 v6, 0
	s_and_saveexec_b32 s10, s9
	s_cbranch_execnz .LBB120_435
	s_branch .LBB120_436
	.section	.rodata,"a",@progbits
	.p2align	6, 0x0
	.amdhsa_kernel _ZN2at6native32elementwise_kernel_manual_unrollILi128ELi4EZNS0_15gpu_kernel_implIZZZNS0_21polygamma_kernel_cudaERNS_18TensorIteratorBaseElENKUlvE_clEvENKUlvE2_clEvEUlN3c108BFloat16EE_EEvS4_RKT_EUlibE_EEviT1_
		.amdhsa_group_segment_fixed_size 0
		.amdhsa_private_segment_fixed_size 0
		.amdhsa_kernarg_size 48
		.amdhsa_user_sgpr_count 6
		.amdhsa_user_sgpr_private_segment_buffer 1
		.amdhsa_user_sgpr_dispatch_ptr 0
		.amdhsa_user_sgpr_queue_ptr 0
		.amdhsa_user_sgpr_kernarg_segment_ptr 1
		.amdhsa_user_sgpr_dispatch_id 0
		.amdhsa_user_sgpr_flat_scratch_init 0
		.amdhsa_user_sgpr_private_segment_size 0
		.amdhsa_wavefront_size32 1
		.amdhsa_uses_dynamic_stack 0
		.amdhsa_system_sgpr_private_segment_wavefront_offset 0
		.amdhsa_system_sgpr_workgroup_id_x 1
		.amdhsa_system_sgpr_workgroup_id_y 0
		.amdhsa_system_sgpr_workgroup_id_z 0
		.amdhsa_system_sgpr_workgroup_info 0
		.amdhsa_system_vgpr_workitem_id 0
		.amdhsa_next_free_vgpr 27
		.amdhsa_next_free_sgpr 44
		.amdhsa_reserve_vcc 1
		.amdhsa_reserve_flat_scratch 0
		.amdhsa_float_round_mode_32 0
		.amdhsa_float_round_mode_16_64 0
		.amdhsa_float_denorm_mode_32 3
		.amdhsa_float_denorm_mode_16_64 3
		.amdhsa_dx10_clamp 1
		.amdhsa_ieee_mode 1
		.amdhsa_fp16_overflow 0
		.amdhsa_workgroup_processor_mode 1
		.amdhsa_memory_ordered 1
		.amdhsa_forward_progress 1
		.amdhsa_shared_vgpr_count 0
		.amdhsa_exception_fp_ieee_invalid_op 0
		.amdhsa_exception_fp_denorm_src 0
		.amdhsa_exception_fp_ieee_div_zero 0
		.amdhsa_exception_fp_ieee_overflow 0
		.amdhsa_exception_fp_ieee_underflow 0
		.amdhsa_exception_fp_ieee_inexact 0
		.amdhsa_exception_int_div_zero 0
	.end_amdhsa_kernel
	.section	.text._ZN2at6native32elementwise_kernel_manual_unrollILi128ELi4EZNS0_15gpu_kernel_implIZZZNS0_21polygamma_kernel_cudaERNS_18TensorIteratorBaseElENKUlvE_clEvENKUlvE2_clEvEUlN3c108BFloat16EE_EEvS4_RKT_EUlibE_EEviT1_,"axG",@progbits,_ZN2at6native32elementwise_kernel_manual_unrollILi128ELi4EZNS0_15gpu_kernel_implIZZZNS0_21polygamma_kernel_cudaERNS_18TensorIteratorBaseElENKUlvE_clEvENKUlvE2_clEvEUlN3c108BFloat16EE_EEvS4_RKT_EUlibE_EEviT1_,comdat
.Lfunc_end120:
	.size	_ZN2at6native32elementwise_kernel_manual_unrollILi128ELi4EZNS0_15gpu_kernel_implIZZZNS0_21polygamma_kernel_cudaERNS_18TensorIteratorBaseElENKUlvE_clEvENKUlvE2_clEvEUlN3c108BFloat16EE_EEvS4_RKT_EUlibE_EEviT1_, .Lfunc_end120-_ZN2at6native32elementwise_kernel_manual_unrollILi128ELi4EZNS0_15gpu_kernel_implIZZZNS0_21polygamma_kernel_cudaERNS_18TensorIteratorBaseElENKUlvE_clEvENKUlvE2_clEvEUlN3c108BFloat16EE_EEvS4_RKT_EUlibE_EEviT1_
                                        ; -- End function
	.set _ZN2at6native32elementwise_kernel_manual_unrollILi128ELi4EZNS0_15gpu_kernel_implIZZZNS0_21polygamma_kernel_cudaERNS_18TensorIteratorBaseElENKUlvE_clEvENKUlvE2_clEvEUlN3c108BFloat16EE_EEvS4_RKT_EUlibE_EEviT1_.num_vgpr, max(27, .L_ZN2at6native6invokeIZZZNS0_21polygamma_kernel_cudaERNS_18TensorIteratorBaseElENKUlvE_clEvENKUlvE2_clEvEUlN3c108BFloat16EE_i15function_traitsIS8_EEENT1_11result_typeERKT_PrKPcPKT0_PKNS6_10ScalarTypeEi.num_vgpr)
	.set _ZN2at6native32elementwise_kernel_manual_unrollILi128ELi4EZNS0_15gpu_kernel_implIZZZNS0_21polygamma_kernel_cudaERNS_18TensorIteratorBaseElENKUlvE_clEvENKUlvE2_clEvEUlN3c108BFloat16EE_EEvS4_RKT_EUlibE_EEviT1_.num_agpr, max(0, .L_ZN2at6native6invokeIZZZNS0_21polygamma_kernel_cudaERNS_18TensorIteratorBaseElENKUlvE_clEvENKUlvE2_clEvEUlN3c108BFloat16EE_i15function_traitsIS8_EEENT1_11result_typeERKT_PrKPcPKT0_PKNS6_10ScalarTypeEi.num_agpr)
	.set _ZN2at6native32elementwise_kernel_manual_unrollILi128ELi4EZNS0_15gpu_kernel_implIZZZNS0_21polygamma_kernel_cudaERNS_18TensorIteratorBaseElENKUlvE_clEvENKUlvE2_clEvEUlN3c108BFloat16EE_EEvS4_RKT_EUlibE_EEviT1_.numbered_sgpr, max(44, .L_ZN2at6native6invokeIZZZNS0_21polygamma_kernel_cudaERNS_18TensorIteratorBaseElENKUlvE_clEvENKUlvE2_clEvEUlN3c108BFloat16EE_i15function_traitsIS8_EEENT1_11result_typeERKT_PrKPcPKT0_PKNS6_10ScalarTypeEi.numbered_sgpr)
	.set _ZN2at6native32elementwise_kernel_manual_unrollILi128ELi4EZNS0_15gpu_kernel_implIZZZNS0_21polygamma_kernel_cudaERNS_18TensorIteratorBaseElENKUlvE_clEvENKUlvE2_clEvEUlN3c108BFloat16EE_EEvS4_RKT_EUlibE_EEviT1_.num_named_barrier, max(0, .L_ZN2at6native6invokeIZZZNS0_21polygamma_kernel_cudaERNS_18TensorIteratorBaseElENKUlvE_clEvENKUlvE2_clEvEUlN3c108BFloat16EE_i15function_traitsIS8_EEENT1_11result_typeERKT_PrKPcPKT0_PKNS6_10ScalarTypeEi.num_named_barrier)
	.set _ZN2at6native32elementwise_kernel_manual_unrollILi128ELi4EZNS0_15gpu_kernel_implIZZZNS0_21polygamma_kernel_cudaERNS_18TensorIteratorBaseElENKUlvE_clEvENKUlvE2_clEvEUlN3c108BFloat16EE_EEvS4_RKT_EUlibE_EEviT1_.private_seg_size, 0+max(.L_ZN2at6native6invokeIZZZNS0_21polygamma_kernel_cudaERNS_18TensorIteratorBaseElENKUlvE_clEvENKUlvE2_clEvEUlN3c108BFloat16EE_i15function_traitsIS8_EEENT1_11result_typeERKT_PrKPcPKT0_PKNS6_10ScalarTypeEi.private_seg_size)
	.set _ZN2at6native32elementwise_kernel_manual_unrollILi128ELi4EZNS0_15gpu_kernel_implIZZZNS0_21polygamma_kernel_cudaERNS_18TensorIteratorBaseElENKUlvE_clEvENKUlvE2_clEvEUlN3c108BFloat16EE_EEvS4_RKT_EUlibE_EEviT1_.uses_vcc, or(1, .L_ZN2at6native6invokeIZZZNS0_21polygamma_kernel_cudaERNS_18TensorIteratorBaseElENKUlvE_clEvENKUlvE2_clEvEUlN3c108BFloat16EE_i15function_traitsIS8_EEENT1_11result_typeERKT_PrKPcPKT0_PKNS6_10ScalarTypeEi.uses_vcc)
	.set _ZN2at6native32elementwise_kernel_manual_unrollILi128ELi4EZNS0_15gpu_kernel_implIZZZNS0_21polygamma_kernel_cudaERNS_18TensorIteratorBaseElENKUlvE_clEvENKUlvE2_clEvEUlN3c108BFloat16EE_EEvS4_RKT_EUlibE_EEviT1_.uses_flat_scratch, or(0, .L_ZN2at6native6invokeIZZZNS0_21polygamma_kernel_cudaERNS_18TensorIteratorBaseElENKUlvE_clEvENKUlvE2_clEvEUlN3c108BFloat16EE_i15function_traitsIS8_EEENT1_11result_typeERKT_PrKPcPKT0_PKNS6_10ScalarTypeEi.uses_flat_scratch)
	.set _ZN2at6native32elementwise_kernel_manual_unrollILi128ELi4EZNS0_15gpu_kernel_implIZZZNS0_21polygamma_kernel_cudaERNS_18TensorIteratorBaseElENKUlvE_clEvENKUlvE2_clEvEUlN3c108BFloat16EE_EEvS4_RKT_EUlibE_EEviT1_.has_dyn_sized_stack, or(0, .L_ZN2at6native6invokeIZZZNS0_21polygamma_kernel_cudaERNS_18TensorIteratorBaseElENKUlvE_clEvENKUlvE2_clEvEUlN3c108BFloat16EE_i15function_traitsIS8_EEENT1_11result_typeERKT_PrKPcPKT0_PKNS6_10ScalarTypeEi.has_dyn_sized_stack)
	.set _ZN2at6native32elementwise_kernel_manual_unrollILi128ELi4EZNS0_15gpu_kernel_implIZZZNS0_21polygamma_kernel_cudaERNS_18TensorIteratorBaseElENKUlvE_clEvENKUlvE2_clEvEUlN3c108BFloat16EE_EEvS4_RKT_EUlibE_EEviT1_.has_recursion, or(0, .L_ZN2at6native6invokeIZZZNS0_21polygamma_kernel_cudaERNS_18TensorIteratorBaseElENKUlvE_clEvENKUlvE2_clEvEUlN3c108BFloat16EE_i15function_traitsIS8_EEENT1_11result_typeERKT_PrKPcPKT0_PKNS6_10ScalarTypeEi.has_recursion)
	.set _ZN2at6native32elementwise_kernel_manual_unrollILi128ELi4EZNS0_15gpu_kernel_implIZZZNS0_21polygamma_kernel_cudaERNS_18TensorIteratorBaseElENKUlvE_clEvENKUlvE2_clEvEUlN3c108BFloat16EE_EEvS4_RKT_EUlibE_EEviT1_.has_indirect_call, or(0, .L_ZN2at6native6invokeIZZZNS0_21polygamma_kernel_cudaERNS_18TensorIteratorBaseElENKUlvE_clEvENKUlvE2_clEvEUlN3c108BFloat16EE_i15function_traitsIS8_EEENT1_11result_typeERKT_PrKPcPKT0_PKNS6_10ScalarTypeEi.has_indirect_call)
	.section	.AMDGPU.csdata,"",@progbits
; Kernel info:
; codeLenInByte = 16720
; TotalNumSgprs: 46
; NumVgprs: 27
; ScratchSize: 0
; MemoryBound: 0
; FloatMode: 240
; IeeeMode: 1
; LDSByteSize: 0 bytes/workgroup (compile time only)
; SGPRBlocks: 0
; VGPRBlocks: 3
; NumSGPRsForWavesPerEU: 46
; NumVGPRsForWavesPerEU: 27
; Occupancy: 16
; WaveLimiterHint : 0
; COMPUTE_PGM_RSRC2:SCRATCH_EN: 0
; COMPUTE_PGM_RSRC2:USER_SGPR: 6
; COMPUTE_PGM_RSRC2:TRAP_HANDLER: 0
; COMPUTE_PGM_RSRC2:TGID_X_EN: 1
; COMPUTE_PGM_RSRC2:TGID_Y_EN: 0
; COMPUTE_PGM_RSRC2:TGID_Z_EN: 0
; COMPUTE_PGM_RSRC2:TIDIG_COMP_CNT: 0
	.text
	.p2align	2                               ; -- Begin function _ZN2at6native6invokeIZZZNS0_21polygamma_kernel_cudaERNS_18TensorIteratorBaseElENKUlvE_clEvENKUlvE2_clEvEUlN3c108BFloat16EE_j15function_traitsIS8_EEENT1_11result_typeERKT_PrKPcPKT0_PKNS6_10ScalarTypeEi
	.type	_ZN2at6native6invokeIZZZNS0_21polygamma_kernel_cudaERNS_18TensorIteratorBaseElENKUlvE_clEvENKUlvE2_clEvEUlN3c108BFloat16EE_j15function_traitsIS8_EEENT1_11result_typeERKT_PrKPcPKT0_PKNS6_10ScalarTypeEi,@function
_ZN2at6native6invokeIZZZNS0_21polygamma_kernel_cudaERNS_18TensorIteratorBaseElENKUlvE_clEvENKUlvE2_clEvEUlN3c108BFloat16EE_j15function_traitsIS8_EEENT1_11result_typeERKT_PrKPcPKT0_PKNS6_10ScalarTypeEi: ; @_ZN2at6native6invokeIZZZNS0_21polygamma_kernel_cudaERNS_18TensorIteratorBaseElENKUlvE_clEvENKUlvE2_clEvEUlN3c108BFloat16EE_j15function_traitsIS8_EEENT1_11result_typeERKT_PrKPcPKT0_PKNS6_10ScalarTypeEi
; %bb.0:
	s_waitcnt vmcnt(0) expcnt(0) lgkmcnt(0)
	v_mov_b32_e32 v6, 10
	v_add_co_u32 v1, vcc_lo, v2, v4
	v_add_co_ci_u32_e64 v2, null, 0, v3, vcc_lo
	v_cmp_gt_i16_sdwa s4, v5, v6 src0_sel:BYTE_0 src1_sel:DWORD
	s_mov_b32 s5, 0
                                        ; implicit-def: $vgpr3
	s_and_saveexec_b32 s6, s4
	s_xor_b32 s4, exec_lo, s6
	s_cbranch_execnz .LBB121_4
; %bb.1:
	s_andn2_saveexec_b32 s4, s4
	s_cbranch_execnz .LBB121_10
.LBB121_2:
	s_or_b32 exec_lo, exec_lo, s4
                                        ; implicit-def: $vgpr1
	s_and_saveexec_b32 s8, s5
	s_cbranch_execnz .LBB121_51
.LBB121_3:
	s_or_b32 exec_lo, exec_lo, s8
	v_mov_b32_e32 v0, v1
	s_waitcnt vmcnt(0) lgkmcnt(0)
	s_setpc_b64 s[30:31]
.LBB121_4:
	v_mov_b32_e32 v3, 25
	s_mov_b32 s8, 0
	s_mov_b32 s7, 0
	v_cmp_gt_i16_sdwa s6, v5, v3 src0_sel:BYTE_0 src1_sel:DWORD
                                        ; implicit-def: $vgpr3
	s_and_saveexec_b32 s9, s6
	s_xor_b32 s6, exec_lo, s9
	s_cbranch_execnz .LBB121_100
; %bb.5:
	s_andn2_saveexec_b32 s6, s6
	s_cbranch_execnz .LBB121_131
.LBB121_6:
	s_or_b32 exec_lo, exec_lo, s6
	s_and_saveexec_b32 s6, s8
	s_cbranch_execnz .LBB121_154
.LBB121_7:
	s_or_b32 exec_lo, exec_lo, s6
	s_and_saveexec_b32 s6, s5
	s_xor_b32 s5, exec_lo, s6
	s_cbranch_execz .LBB121_9
.LBB121_8:
	flat_load_ubyte v1, v[1:2]
	s_or_b32 s7, s7, exec_lo
	s_waitcnt vmcnt(0) lgkmcnt(0)
	v_cmp_ne_u16_e32 vcc_lo, 0, v1
	v_cndmask_b32_e64 v1, 0, 1.0, vcc_lo
	v_lshrrev_b32_e32 v3, 16, v1
.LBB121_9:
	s_or_b32 exec_lo, exec_lo, s5
	s_and_b32 s5, s7, exec_lo
                                        ; implicit-def: $vgpr5
                                        ; implicit-def: $vgpr1_vgpr2
	s_andn2_saveexec_b32 s4, s4
	s_cbranch_execz .LBB121_2
.LBB121_10:
	s_waitcnt vmcnt(0) lgkmcnt(0)
	v_mov_b32_e32 v3, 4
	v_cmp_gt_i16_sdwa s6, v5, v3 src0_sel:BYTE_0 src1_sel:DWORD
                                        ; implicit-def: $vgpr3
	s_and_saveexec_b32 s7, s6
	s_xor_b32 s6, exec_lo, s7
	s_cbranch_execz .LBB121_32
; %bb.11:
	v_mov_b32_e32 v3, 7
	v_cmp_gt_i16_sdwa s7, v5, v3 src0_sel:BYTE_0 src1_sel:DWORD
                                        ; implicit-def: $vgpr3
	s_and_saveexec_b32 s8, s7
	s_xor_b32 s7, exec_lo, s8
	s_cbranch_execz .LBB121_21
; %bb.12:
	;; [unrolled: 7-line block ×4, first 2 shown]
	flat_load_dwordx2 v[1:2], v[1:2]
	s_waitcnt vmcnt(0) lgkmcnt(0)
	v_cvt_f32_f64_e32 v1, v[1:2]
	v_bfe_u32 v2, v1, 16, 1
	v_cmp_o_f32_e32 vcc_lo, v1, v1
	v_add3_u32 v1, v1, v2, 0x7fff
	v_mov_b32_e32 v2, 0x7fc0
	v_cndmask_b32_sdwa v3, v2, v1, vcc_lo dst_sel:DWORD dst_unused:UNUSED_PAD src0_sel:DWORD src1_sel:WORD_1
                                        ; implicit-def: $vgpr1_vgpr2
.LBB121_15:
	s_andn2_saveexec_b32 s9, s9
	s_cbranch_execz .LBB121_17
; %bb.16:
	flat_load_dword v1, v[1:2]
	s_waitcnt vmcnt(0) lgkmcnt(0)
	v_bfe_u32 v2, v1, 16, 1
	v_cmp_o_f32_e32 vcc_lo, v1, v1
	v_add3_u32 v1, v1, v2, 0x7fff
	v_mov_b32_e32 v2, 0x7fc0
	v_cndmask_b32_sdwa v3, v2, v1, vcc_lo dst_sel:DWORD dst_unused:UNUSED_PAD src0_sel:DWORD src1_sel:WORD_1
.LBB121_17:
	s_or_b32 exec_lo, exec_lo, s9
                                        ; implicit-def: $vgpr1_vgpr2
.LBB121_18:
	s_andn2_saveexec_b32 s8, s8
	s_cbranch_execz .LBB121_20
; %bb.19:
	flat_load_dword v1, v[1:2]
	s_waitcnt vmcnt(0) lgkmcnt(0)
	v_cvt_f32_f16_e32 v2, v1
	v_cmp_o_f16_e32 vcc_lo, v1, v1
	v_bfe_u32 v3, v2, 16, 1
	v_add3_u32 v1, v2, v3, 0x7fff
	v_mov_b32_e32 v2, 0x7fc0
	v_cndmask_b32_sdwa v3, v2, v1, vcc_lo dst_sel:DWORD dst_unused:UNUSED_PAD src0_sel:DWORD src1_sel:WORD_1
.LBB121_20:
	s_or_b32 exec_lo, exec_lo, s8
                                        ; implicit-def: $vgpr1_vgpr2
                                        ; implicit-def: $vgpr5
.LBB121_21:
	s_andn2_saveexec_b32 s7, s7
	s_cbranch_execz .LBB121_31
; %bb.22:
	v_mov_b32_e32 v3, 5
	v_cmp_gt_i16_sdwa s8, v5, v3 src0_sel:BYTE_0 src1_sel:DWORD
                                        ; implicit-def: $vgpr3
	s_and_saveexec_b32 s9, s8
	s_xor_b32 s8, exec_lo, s9
	s_cbranch_execz .LBB121_28
; %bb.23:
	v_mov_b32_e32 v3, 6
	v_cmp_gt_i16_sdwa s9, v5, v3 src0_sel:BYTE_0 src1_sel:DWORD
                                        ; implicit-def: $vgpr3
	s_and_saveexec_b32 s10, s9
	s_xor_b32 s9, exec_lo, s10
	s_cbranch_execz .LBB121_25
; %bb.24:
	flat_load_dwordx2 v[1:2], v[1:2]
	s_waitcnt vmcnt(0) lgkmcnt(0)
	v_cvt_f32_f64_e32 v1, v[1:2]
	v_bfe_u32 v2, v1, 16, 1
	v_cmp_o_f32_e32 vcc_lo, v1, v1
	v_add3_u32 v1, v1, v2, 0x7fff
	v_mov_b32_e32 v2, 0x7fc0
	v_cndmask_b32_sdwa v3, v2, v1, vcc_lo dst_sel:DWORD dst_unused:UNUSED_PAD src0_sel:DWORD src1_sel:WORD_1
                                        ; implicit-def: $vgpr1_vgpr2
.LBB121_25:
	s_andn2_saveexec_b32 s9, s9
	s_cbranch_execz .LBB121_27
; %bb.26:
	flat_load_dword v1, v[1:2]
	s_waitcnt vmcnt(0) lgkmcnt(0)
	v_bfe_u32 v2, v1, 16, 1
	v_cmp_o_f32_e32 vcc_lo, v1, v1
	v_add3_u32 v1, v1, v2, 0x7fff
	v_mov_b32_e32 v2, 0x7fc0
	v_cndmask_b32_sdwa v3, v2, v1, vcc_lo dst_sel:DWORD dst_unused:UNUSED_PAD src0_sel:DWORD src1_sel:WORD_1
.LBB121_27:
	s_or_b32 exec_lo, exec_lo, s9
                                        ; implicit-def: $vgpr1_vgpr2
.LBB121_28:
	s_andn2_saveexec_b32 s8, s8
	s_cbranch_execz .LBB121_30
; %bb.29:
	flat_load_ushort v1, v[1:2]
	s_waitcnt vmcnt(0) lgkmcnt(0)
	v_cvt_f32_f16_e32 v2, v1
	v_cmp_o_f16_e32 vcc_lo, v1, v1
	v_bfe_u32 v3, v2, 16, 1
	v_add3_u32 v1, v2, v3, 0x7fff
	v_mov_b32_e32 v2, 0x7fc0
	v_cndmask_b32_sdwa v3, v2, v1, vcc_lo dst_sel:DWORD dst_unused:UNUSED_PAD src0_sel:DWORD src1_sel:WORD_1
.LBB121_30:
	s_or_b32 exec_lo, exec_lo, s8
.LBB121_31:
	s_or_b32 exec_lo, exec_lo, s7
                                        ; implicit-def: $vgpr5
                                        ; implicit-def: $vgpr1_vgpr2
.LBB121_32:
	s_andn2_saveexec_b32 s6, s6
	s_cbranch_execz .LBB121_50
; %bb.33:
	v_mov_b32_e32 v3, 1
	v_cmp_gt_i16_sdwa s7, v5, v3 src0_sel:BYTE_0 src1_sel:DWORD
                                        ; implicit-def: $vgpr3
	s_and_saveexec_b32 s8, s7
	s_xor_b32 s7, exec_lo, s8
	s_cbranch_execz .LBB121_43
; %bb.34:
	v_mov_b32_e32 v3, 2
	v_cmp_gt_i16_sdwa s8, v5, v3 src0_sel:BYTE_0 src1_sel:DWORD
                                        ; implicit-def: $vgpr3
	s_and_saveexec_b32 s9, s8
	s_xor_b32 s8, exec_lo, s9
	;; [unrolled: 7-line block ×3, first 2 shown]
	s_cbranch_execz .LBB121_37
; %bb.36:
	flat_load_dwordx2 v[1:2], v[1:2]
	s_waitcnt vmcnt(0) lgkmcnt(0)
	v_xor_b32_e32 v3, v1, v2
	v_ffbh_i32_e32 v4, v2
	v_ashrrev_i32_e32 v3, 31, v3
	v_add_nc_u32_e32 v4, -1, v4
	v_add_nc_u32_e32 v3, 32, v3
	v_min_u32_e32 v3, v4, v3
	v_lshlrev_b64 v[1:2], v3, v[1:2]
	v_min_u32_e32 v1, 1, v1
	v_or_b32_e32 v1, v2, v1
	v_sub_nc_u32_e32 v2, 32, v3
	v_cvt_f32_i32_e32 v1, v1
	v_ldexp_f32 v1, v1, v2
	v_bfe_u32 v2, v1, 16, 1
	v_add3_u32 v1, v1, v2, 0x7fff
	v_lshrrev_b32_e32 v3, 16, v1
                                        ; implicit-def: $vgpr1_vgpr2
.LBB121_37:
	s_andn2_saveexec_b32 s9, s9
	s_cbranch_execz .LBB121_39
; %bb.38:
	flat_load_dword v1, v[1:2]
	s_waitcnt vmcnt(0) lgkmcnt(0)
	v_cvt_f32_i32_e32 v1, v1
	v_bfe_u32 v2, v1, 16, 1
	v_add3_u32 v1, v1, v2, 0x7fff
	v_lshrrev_b32_e32 v3, 16, v1
.LBB121_39:
	s_or_b32 exec_lo, exec_lo, s9
                                        ; implicit-def: $vgpr1_vgpr2
.LBB121_40:
	s_andn2_saveexec_b32 s8, s8
	s_cbranch_execz .LBB121_42
; %bb.41:
	flat_load_sshort v1, v[1:2]
	s_waitcnt vmcnt(0) lgkmcnt(0)
	v_cvt_f32_i32_e32 v1, v1
	v_bfe_u32 v2, v1, 16, 1
	v_add3_u32 v1, v1, v2, 0x7fff
	v_lshrrev_b32_e32 v3, 16, v1
.LBB121_42:
	s_or_b32 exec_lo, exec_lo, s8
                                        ; implicit-def: $vgpr1_vgpr2
                                        ; implicit-def: $vgpr5
.LBB121_43:
	s_andn2_saveexec_b32 s7, s7
	s_cbranch_execz .LBB121_49
; %bb.44:
	v_mov_b32_e32 v3, 0
	v_cmp_gt_i16_sdwa s8, v5, v3 src0_sel:BYTE_0 src1_sel:DWORD
                                        ; implicit-def: $vgpr3
	s_and_saveexec_b32 s9, s8
	s_xor_b32 s8, exec_lo, s9
	s_cbranch_execz .LBB121_46
; %bb.45:
	flat_load_sbyte v1, v[1:2]
	s_waitcnt vmcnt(0) lgkmcnt(0)
	v_cvt_f32_i32_e32 v1, v1
	v_bfe_u32 v2, v1, 16, 1
	v_add3_u32 v1, v1, v2, 0x7fff
	v_lshrrev_b32_e32 v3, 16, v1
                                        ; implicit-def: $vgpr1_vgpr2
.LBB121_46:
	s_andn2_saveexec_b32 s8, s8
	s_cbranch_execz .LBB121_48
; %bb.47:
	flat_load_ubyte v1, v[1:2]
	s_waitcnt vmcnt(0) lgkmcnt(0)
	v_cvt_f32_ubyte0_e32 v1, v1
	v_bfe_u32 v2, v1, 16, 1
	v_add3_u32 v1, v1, v2, 0x7fff
	v_lshrrev_b32_e32 v3, 16, v1
.LBB121_48:
	s_or_b32 exec_lo, exec_lo, s8
.LBB121_49:
	s_or_b32 exec_lo, exec_lo, s7
.LBB121_50:
	s_or_b32 exec_lo, exec_lo, s6
	s_or_b32 s5, s5, exec_lo
	s_or_b32 exec_lo, exec_lo, s4
                                        ; implicit-def: $vgpr1
	s_and_saveexec_b32 s8, s5
	s_cbranch_execz .LBB121_3
.LBB121_51:
	v_cvt_f32_i32_e32 v1, v0
	s_mov_b32 s5, exec_lo
	v_bfe_u32 v2, v1, 16, 1
	v_add3_u32 v1, v1, v2, 0x7fff
	v_and_b32_e32 v1, 0xffff0000, v1
	v_add_f32_e32 v1, 1.0, v1
	v_bfe_u32 v2, v1, 16, 1
	v_cmp_o_f32_e32 vcc_lo, v1, v1
	v_add3_u32 v2, v1, v2, 0x7fff
	v_and_b32_e32 v2, 0xffff0000, v2
	v_cndmask_b32_e32 v1, 0x7fc00000, v2, vcc_lo
                                        ; implicit-def: $vgpr2
	v_and_b32_e32 v4, 0x7fffffff, v1
	v_cmpx_ngt_f32_e64 0x3c800000, |v1|
	s_xor_b32 s5, exec_lo, s5
	s_cbranch_execz .LBB121_81
; %bb.52:
	s_mov_b32 s6, exec_lo
                                        ; implicit-def: $vgpr2
	v_cmpx_nlt_f32_e64 |v1|, 2.0
	s_xor_b32 s6, exec_lo, s6
	s_cbranch_execz .LBB121_62
; %bb.53:
	v_cmp_ngt_f32_e64 s4, 0x41000000, |v1|
                                        ; implicit-def: $vgpr2
	s_and_saveexec_b32 s7, s4
	s_xor_b32 s4, exec_lo, s7
	s_cbranch_execz .LBB121_59
; %bb.54:
	v_cmp_ngt_f32_e64 s7, 0x5c800000, |v1|
                                        ; implicit-def: $vgpr2
	s_and_saveexec_b32 s9, s7
	s_xor_b32 s7, exec_lo, s9
	s_cbranch_execz .LBB121_56
; %bb.55:
	v_cmp_gt_f32_e64 s9, 0x800000, |v1|
	v_cndmask_b32_e64 v2, 0, 32, s9
	v_ldexp_f32 v2, |v1|, v2
	v_log_f32_e32 v2, v2
	v_mul_f32_e32 v5, 0x3f317217, v2
	v_cmp_gt_f32_e64 vcc_lo, 0x7f800000, |v2|
	v_fma_f32 v6, 0x3f317217, v2, -v5
	v_fmamk_f32 v6, v2, 0x3377d1cf, v6
	v_add_f32_e32 v5, v5, v6
	v_cndmask_b32_e32 v2, v2, v5, vcc_lo
	v_cndmask_b32_e64 v5, 0, 0x41b17218, s9
	v_sub_f32_e32 v2, v2, v5
	v_fma_f32 v2, |v1|, v2, -|v1|
.LBB121_56:
	s_andn2_saveexec_b32 s7, s7
	s_cbranch_execz .LBB121_58
; %bb.57:
	v_cmp_gt_f32_e64 s9, 0x800000, |v1|
	v_rcp_f32_e64 v5, |v1|
	s_mov_b32 s10, 0xbad5c4e8
	v_cndmask_b32_e64 v2, 0, 32, s9
	v_ldexp_f32 v2, |v1|, v2
	v_mul_f32_e32 v6, v5, v5
	v_log_f32_e32 v2, v2
	v_fmaak_f32 v8, s10, v6, 0x3a5b3dd2
	v_fmaak_f32 v8, v6, v8, 0xba1c065c
	v_mul_f32_e32 v7, 0x3f317217, v2
	v_fmaak_f32 v8, v6, v8, 0x3a500cfd
	v_cmp_gt_f32_e64 vcc_lo, 0x7f800000, |v2|
	v_fma_f32 v9, 0x3f317217, v2, -v7
	v_fmaak_f32 v8, v6, v8, 0xbb360b61
	v_fmamk_f32 v9, v2, 0x3377d1cf, v9
	v_fmaak_f32 v6, v6, v8, 0x3daaaaab
	v_add_f32_e32 v7, v7, v9
	v_cndmask_b32_e32 v2, v2, v7, vcc_lo
	v_cndmask_b32_e64 v7, 0, 0x41b17218, s9
	v_sub_f32_e32 v7, v2, v7
	v_fmaak_f32 v2, v5, v6, 0x3ed67f1d
	v_add_f32_e64 v5, |v1|, -0.5
	v_add_f32_e32 v6, -1.0, v7
	v_fmac_f32_e32 v2, v5, v6
.LBB121_58:
	s_or_b32 exec_lo, exec_lo, s7
.LBB121_59:
	s_andn2_saveexec_b32 s7, s4
	s_cbranch_execz .LBB121_61
; %bb.60:
	v_cvt_i32_f32_e32 v2, v4
	s_mov_b32 s4, 0x36f5d7bd
	s_mov_b32 s9, 0x3805ff67
	v_cvt_f32_i32_e32 v5, v2
	v_cmp_lt_i32_e32 vcc_lo, 2, v2
	v_sub_f32_e64 v5, |v1|, v5
	v_add_f32_e32 v6, 2.0, v5
	v_add_f32_e32 v7, 0x40400000, v5
	v_add_f32_e32 v8, 4.0, v5
	v_add_f32_e32 v9, 0x40a00000, v5
	v_cndmask_b32_e32 v6, 1.0, v6, vcc_lo
	v_cmp_lt_i32_e32 vcc_lo, 3, v2
	v_cndmask_b32_e32 v7, 1.0, v7, vcc_lo
	v_cmp_lt_i32_e32 vcc_lo, 4, v2
	v_mul_f32_e32 v6, v6, v7
	v_cndmask_b32_e32 v8, 1.0, v8, vcc_lo
	v_cmp_lt_i32_e32 vcc_lo, 5, v2
	v_add_f32_e32 v7, 0x40c00000, v5
	v_mul_f32_e32 v6, v8, v6
	v_cndmask_b32_e32 v9, 1.0, v9, vcc_lo
	v_cmp_lt_i32_e32 vcc_lo, 6, v2
	v_fmaak_f32 v8, s9, v5, 0x3af135b4
	v_mul_f32_e32 v6, v9, v6
	v_cndmask_b32_e32 v2, 1.0, v7, vcc_lo
	v_mul_f32_e32 v2, v2, v6
	v_fmaak_f32 v6, s4, v5, 0x3a4beed6
	v_cmp_gt_f32_e32 vcc_lo, 0x800000, v2
	v_fmaak_f32 v6, v5, v6, 0x3c98bf54
	v_cndmask_b32_e64 v7, 0, 32, vcc_lo
	v_fmaak_f32 v6, v5, v6, 0x3e300f6e
	v_ldexp_f32 v2, v2, v7
	v_fmaak_f32 v7, v5, v8, 0x3cda40e4
	v_fmaak_f32 v6, v5, v6, 0x3f38d0c5
	v_log_f32_e32 v2, v2
	v_fmaak_f32 v7, v5, v7, 0x3e15dce6
	v_fmaak_f32 v6, v5, v6, 0x3fb22d3b
	v_fmaak_f32 v7, v5, v7, 0x3ea6cc7a
	v_fma_f32 v6, v5, v6, 1.0
	v_mul_f32_e32 v8, 0x3f317217, v2
	v_fmaak_f32 v7, v5, v7, 0x3e5c245a
	v_rcp_f32_e32 v6, v6
	v_cmp_gt_f32_e64 s4, 0x7f800000, |v2|
	v_fma_f32 v9, 0x3f317217, v2, -v8
	v_fmaak_f32 v7, v5, v7, 0xbd9e233f
	v_fmamk_f32 v9, v2, 0x3377d1cf, v9
	v_mul_f32_e32 v7, v5, v7
	v_add_f32_e32 v8, v8, v9
	v_mul_f32_e32 v6, v7, v6
	v_cndmask_b32_e64 v7, 0, 0x41b17218, vcc_lo
	v_cndmask_b32_e64 v2, v2, v8, s4
	v_fmac_f32_e32 v6, 0.5, v5
	v_sub_f32_e32 v2, v2, v7
	v_add_f32_e32 v2, v2, v6
.LBB121_61:
	s_or_b32 exec_lo, exec_lo, s7
.LBB121_62:
	s_andn2_saveexec_b32 s6, s6
	s_cbranch_execz .LBB121_80
; %bb.63:
	s_mov_b32 s7, exec_lo
                                        ; implicit-def: $vgpr2
                                        ; implicit-def: $vgpr6
                                        ; implicit-def: $vgpr5
	v_cmpx_ge_f32_e64 0x3f666666, |v1|
	s_xor_b32 s7, exec_lo, s7
	s_cbranch_execz .LBB121_65
; %bb.64:
	v_cmp_gt_f32_e64 s4, 0x800000, |v1|
	v_sub_f32_e64 v7, 1.0, |v1|
	v_cmp_gt_f32_e64 vcc_lo, 0x3f3b4a23, |v1|
	v_cndmask_b32_e64 v2, 0, 32, s4
	v_cndmask_b32_e64 v8, 0, 0x41b17218, s4
	v_ldexp_f32 v2, |v1|, v2
	v_log_f32_e32 v2, v2
	v_mul_f32_e32 v5, 0x3f317217, v2
	v_cmp_gt_f32_e64 s4, 0x7f800000, |v2|
	v_fma_f32 v6, 0x3f317217, v2, -v5
	v_fmamk_f32 v6, v2, 0x3377d1cf, v6
	v_add_f32_e32 v5, v5, v6
	v_add_f32_e64 v6, 0xbeec5b0c, |v1|
	v_cndmask_b32_e64 v2, v2, v5, s4
	v_cndmask_b32_e32 v5, v7, v6, vcc_lo
	v_cndmask_b32_e64 v6, 0, 1, vcc_lo
	v_cmp_gt_f32_e64 s4, 0x3e6d3309, |v1|
	v_sub_f32_e32 v2, v2, v8
	v_cndmask_b32_e64 v5, v5, |v1|, s4
	v_cndmask_b32_e64 v6, v6, 2, s4
	v_xor_b32_e32 v2, 0x80000000, v2
.LBB121_65:
	s_andn2_saveexec_b32 s4, s7
	s_cbranch_execz .LBB121_67
; %bb.66:
	v_sub_f32_e64 v2, 2.0, |v1|
	v_add_f32_e64 v5, 0xbfbb16c3, |v1|
	v_cmp_gt_f32_e64 vcc_lo, 0x3fdda512, |v1|
	v_add_f32_e64 v6, |v1|, -1.0
	v_cndmask_b32_e32 v5, v2, v5, vcc_lo
	v_cndmask_b32_e64 v2, v2, 1.0, vcc_lo
	v_cmp_gt_f32_e64 vcc_lo, 0x3f9d70a4, |v1|
	v_cvt_i32_f32_e32 v2, v2
	v_cndmask_b32_e32 v5, v5, v6, vcc_lo
	v_cndmask_b32_e64 v6, v2, 2, vcc_lo
	v_mov_b32_e32 v2, 0
.LBB121_67:
	s_or_b32 exec_lo, exec_lo, s4
	s_mov_b32 s4, exec_lo
	v_cmpx_lt_i32_e32 0, v6
	s_xor_b32 s4, exec_lo, s4
	s_cbranch_execz .LBB121_75
; %bb.68:
	s_mov_b32 s7, exec_lo
	v_cmpx_lt_i32_e32 1, v6
	s_xor_b32 s7, exec_lo, s7
	s_cbranch_execz .LBB121_72
; %bb.69:
	s_mov_b32 s9, exec_lo
	v_cmpx_eq_u32_e32 2, v6
	s_cbranch_execz .LBB121_71
; %bb.70:
	s_mov_b32 s10, 0x3b52d5db
	v_fmaak_f32 v6, s10, v5, 0x3dd572af
	s_mov_b32 s10, 0x3c5b3c5e
	v_fmaak_f32 v7, s10, v5, 0x3e6a7578
	v_fmaak_f32 v6, v5, v6, 0x3f44efdf
	;; [unrolled: 1-line block ×7, first 2 shown]
	v_fma_f32 v6, v5, v6, 1.0
	v_fmaak_f32 v7, v5, v7, 0xbd9e233f
	v_rcp_f32_e32 v6, v6
	v_mul_f32_e32 v7, v5, v7
	v_mul_f32_e32 v6, v7, v6
	v_fmac_f32_e32 v6, -0.5, v5
	v_add_f32_e32 v2, v2, v6
.LBB121_71:
	s_or_b32 exec_lo, exec_lo, s9
                                        ; implicit-def: $vgpr5
.LBB121_72:
	s_andn2_saveexec_b32 s7, s7
	s_cbranch_execz .LBB121_74
; %bb.73:
	v_mul_f32_e32 v6, v5, v5
	s_mov_b32 s9, 0xb9a3f927
	s_mov_b32 s10, 0x39afe9f7
	v_mul_f32_e32 v7, v5, v6
	v_fmaak_f32 v8, s9, v7, 0x3a66f867
	v_fmaak_f32 v9, s10, v7, 0xba0d3085
	s_mov_b32 s9, 0x39a57b6b
	v_fmaak_f32 v10, s9, v7, 0xbab7f476
	v_fmaak_f32 v8, v7, v8, 0xbb7177fe
	;; [unrolled: 1-line block ×9, first 2 shown]
	v_fmac_f32_e32 v8, v5, v9
	v_fmaak_f32 v5, v7, v10, 0x3ef7b95e
	v_fma_f32 v7, v7, -v8, 0xa2863e55
	v_fma_f32 v5, v6, v5, -v7
	v_add_f32_e32 v5, 0xbdf8cdce, v5
	v_add_f32_e32 v2, v2, v5
.LBB121_74:
	s_or_b32 exec_lo, exec_lo, s7
                                        ; implicit-def: $vgpr6
                                        ; implicit-def: $vgpr5
.LBB121_75:
	s_andn2_saveexec_b32 s4, s4
	s_cbranch_execz .LBB121_79
; %bb.76:
	s_mov_b32 s7, exec_lo
	v_cmpx_eq_u32_e32 0, v6
	s_cbranch_execz .LBB121_78
; %bb.77:
	v_mul_f32_e32 v6, v5, v5
	s_mov_b32 s9, 0x383c2c75
	v_fmaak_f32 v7, s9, v6, 0x38e28445
	s_mov_b32 s9, 0x37d383a2
	v_fmaak_f32 v8, s9, v6, 0x39679767
	v_fmaak_f32 v7, v6, v7, 0x3a05b634
	;; [unrolled: 1-line block ×9, first 2 shown]
	v_mul_f32_e32 v6, v6, v7
	v_fmac_f32_e32 v6, v5, v8
	v_fmac_f32_e32 v6, -0.5, v5
	v_add_f32_e32 v2, v2, v6
.LBB121_78:
	s_or_b32 exec_lo, exec_lo, s7
.LBB121_79:
	s_or_b32 exec_lo, exec_lo, s4
.LBB121_80:
	s_or_b32 exec_lo, exec_lo, s6
.LBB121_81:
	s_andn2_saveexec_b32 s4, s5
	s_cbranch_execz .LBB121_83
; %bb.82:
	v_cmp_gt_f32_e64 s5, 0x800000, |v1|
	s_mov_b32 s6, 0x3e8a8991
	v_fma_f32 v7, |v1|, s6, 0xbecd26ab
	v_cndmask_b32_e64 v2, 0, 32, s5
	v_ldexp_f32 v2, |v1|, v2
	v_log_f32_e32 v2, v2
	v_mul_f32_e32 v5, 0x3f317217, v2
	v_cmp_gt_f32_e64 vcc_lo, 0x7f800000, |v2|
	v_fma_f32 v6, 0x3f317217, v2, -v5
	v_fmamk_f32 v6, v2, 0x3377d1cf, v6
	v_add_f32_e32 v5, v5, v6
	v_fma_f32 v6, |v1|, v7, 0x3f528d33
	v_cndmask_b32_e32 v2, v2, v5, vcc_lo
	v_cndmask_b32_e64 v5, 0, 0x41b17218, s5
	v_fma_f32 v6, |v1|, v6, 0xbf13c468
	v_sub_f32_e32 v2, v2, v5
	v_fma_f32 v2, |v1|, v6, -v2
.LBB121_83:
	s_or_b32 exec_lo, exec_lo, s4
	v_cmp_le_f32_e64 s4, 0, v1
	s_mov_b32 s5, exec_lo
	v_cmpx_nle_f32_e32 0, v1
	s_xor_b32 s6, exec_lo, s5
	s_cbranch_execz .LBB121_87
; %bb.84:
	v_cmp_gt_f32_e64 s5, 0x4b000000, |v1|
	v_cmp_lt_f32_e64 s7, 0x35000000, |v1|
	s_and_b32 s5, s5, s7
	s_and_saveexec_b32 s7, s5
	s_cbranch_execz .LBB121_86
; %bb.85:
	v_mul_f32_e64 v5, |v1|, 0.5
	v_cmp_gt_f32_e64 s5, |v1|, 1.0
	s_mov_b32 s9, 0x3d4be544
	v_floor_f32_e32 v6, v5
	v_cmp_neq_f32_e32 vcc_lo, 0x7f800000, v5
	v_sub_f32_e32 v6, v5, v6
	v_min_f32_e32 v6, 0x3f7fffff, v6
	v_add_f32_e32 v6, v6, v6
	v_cndmask_b32_e32 v5, 0, v6, vcc_lo
	v_cndmask_b32_e64 v5, |v1|, v5, s5
	s_mov_b32 s5, 0x3e75aa41
	v_add_f32_e32 v6, v5, v5
	v_rndne_f32_e32 v6, v6
	v_fmac_f32_e32 v5, -0.5, v6
	v_cvt_i32_f32_e32 v6, v6
	v_mul_f32_e32 v7, v5, v5
	v_fmaak_f32 v8, s5, v7, 0xbf1f24be
	v_fmaak_f32 v9, s9, v7, 0x3e642e9d
	v_mul_f32_e32 v10, v5, v7
	v_fmaak_f32 v8, v7, v8, 0x40234736
	v_fmaak_f32 v9, v7, v9, 0xbfaad1da
	;; [unrolled: 1-line block ×4, first 2 shown]
	v_mul_f32_e32 v8, v10, v8
	v_fmaak_f32 v9, v7, v9, 0xc09de9e6
	v_and_b32_e32 v10, 1, v6
	v_lshlrev_b32_e32 v6, 30, v6
	v_fmamk_f32 v5, v5, 0x40490fdb, v8
	v_fma_f32 v7, v7, v9, 1.0
	v_cmp_eq_u32_e32 vcc_lo, 0, v10
	v_and_or_b32 v4, 0x80000000, v6, v4
	v_cndmask_b32_e32 v5, v7, v5, vcc_lo
	v_xor3_b32 v4, v4, v5, v1
	v_mul_f32_e32 v4, v1, v4
	v_frexp_mant_f32_e64 v5, |v4|
	v_frexp_exp_i32_f32_e32 v4, v4
	v_rcp_f32_e32 v5, v5
	v_sub_nc_u32_e32 v4, 2, v4
	v_mul_f32_e32 v5, 0x3f490fdb, v5
	v_ldexp_f32 v4, v5, v4
	v_cmp_gt_f32_e32 vcc_lo, 0x800000, v4
	v_cndmask_b32_e64 v5, 0, 32, vcc_lo
	v_ldexp_f32 v4, v4, v5
	v_log_f32_e32 v4, v4
	v_mul_f32_e32 v5, 0x3f317217, v4
	v_cmp_gt_f32_e64 s5, 0x7f800000, |v4|
	v_fma_f32 v6, 0x3f317217, v4, -v5
	v_fmamk_f32 v6, v4, 0x3377d1cf, v6
	v_add_f32_e32 v5, v5, v6
	v_floor_f32_e32 v6, v1
	v_cndmask_b32_e64 v4, v4, v5, s5
	v_cndmask_b32_e64 v5, 0, 0x41b17218, vcc_lo
	v_sub_f32_e32 v6, v1, v6
	v_sub_f32_e32 v4, v4, v5
	v_min_f32_e32 v5, 0x3f7fffff, v6
	v_sub_f32_e32 v2, v4, v2
	v_cmp_neq_f32_e32 vcc_lo, 0, v5
	v_cndmask_b32_e32 v2, 0x7f800000, v2, vcc_lo
.LBB121_86:
	s_or_b32 exec_lo, exec_lo, s7
.LBB121_87:
	s_andn2_saveexec_b32 s6, s6
; %bb.88:
	v_cmp_eq_f32_e32 vcc_lo, 1.0, v1
	v_cmp_eq_f32_e64 s5, 2.0, v1
	s_or_b32 s5, vcc_lo, s5
	v_cndmask_b32_e64 v2, v2, 0, s5
; %bb.89:
	s_or_b32 exec_lo, exec_lo, s6
	v_add_nc_u32_e32 v4, 1, v0
	v_mov_b32_e32 v8, 0x7f800000
	s_mov_b32 s9, exec_lo
	v_cvt_f32_i32_e32 v4, v4
	v_bfe_u32 v5, v4, 16, 1
	v_add3_u32 v4, v4, v5, 0x7fff
	v_and_b32_e32 v4, 0xffff0000, v4
	v_cmpx_neq_f32_e32 1.0, v4
	s_cbranch_execz .LBB121_176
; %bb.90:
	v_mov_b32_e32 v8, 0x7fc00000
	s_mov_b32 s10, exec_lo
	v_cmpx_ngt_f32_e32 1.0, v4
	s_cbranch_execz .LBB121_175
; %bb.91:
	s_waitcnt vmcnt(0) lgkmcnt(0)
	v_lshlrev_b32_e32 v3, 16, v3
	s_mov_b32 s6, 0
	s_mov_b32 s7, -1
	s_mov_b32 s5, exec_lo
                                        ; implicit-def: $vgpr8
	v_cmpx_ge_f32_e32 0, v3
	s_cbranch_execz .LBB121_95
; %bb.92:
	v_floor_f32_e32 v5, v3
	v_mov_b32_e32 v8, 0x7f800000
	s_mov_b32 s7, exec_lo
	v_cmpx_neq_f32_e32 v5, v3
; %bb.93:
	v_floor_f32_e32 v5, v4
	v_mov_b32_e32 v8, 0x7fc00000
	v_cmp_eq_f32_e32 vcc_lo, v5, v4
	s_and_b32 s6, vcc_lo, exec_lo
; %bb.94:
	s_or_b32 exec_lo, exec_lo, s7
	s_orn2_b32 s7, s6, exec_lo
.LBB121_95:
	s_or_b32 exec_lo, exec_lo, s5
	s_and_saveexec_b32 s11, s7
	s_cbranch_execz .LBB121_174
; %bb.96:
	v_xor_b32_e32 v5, 0x80000000, v4
	v_cmp_o_f32_e32 vcc_lo, v4, v4
	s_mov_b32 s12, 0x3e76c4e1
	s_mov_b32 s17, 0
                                        ; implicit-def: $sgpr16
                                        ; implicit-def: $sgpr15
	v_bfe_u32 v6, v5, 16, 1
	v_add3_u32 v5, v5, v6, 0x7fff
	v_and_b32_e32 v5, 0xffff0000, v5
	v_cndmask_b32_e32 v6, 0x7fc00000, v5, vcc_lo
	v_cmp_neq_f32_e32 vcc_lo, 1.0, v3
	v_cndmask_b32_e32 v5, 1.0, v6, vcc_lo
	v_cmp_neq_f32_e32 vcc_lo, 0, v5
	v_cmp_neq_f32_e64 s13, v5, |v5|
	v_cndmask_b32_e32 v9, 1.0, v3, vcc_lo
	v_frexp_mant_f32_e64 v7, |v9|
	v_cmp_lt_f32_e64 s14, |v9|, 1.0
	v_cmp_eq_f32_e64 s7, 0, v9
	v_cmp_gt_f32_e32 vcc_lo, 0x3f2aaaab, v7
	s_xor_b32 s13, s13, s14
                                        ; implicit-def: $sgpr14
	v_cndmask_b32_e64 v8, 1.0, 2.0, vcc_lo
	v_mul_f32_e32 v7, v7, v8
	v_add_f32_e32 v8, 1.0, v7
	v_add_f32_e32 v11, -1.0, v7
	v_rcp_f32_e32 v10, v8
	v_add_f32_e32 v13, -1.0, v8
	v_sub_f32_e32 v7, v7, v13
	v_mul_f32_e32 v12, v11, v10
	v_mul_f32_e32 v14, v8, v12
	v_fma_f32 v8, v12, v8, -v14
	v_fmac_f32_e32 v8, v12, v7
	v_add_f32_e32 v7, v14, v8
	v_sub_f32_e32 v13, v11, v7
	v_sub_f32_e32 v14, v7, v14
	;; [unrolled: 1-line block ×5, first 2 shown]
	v_add_f32_e32 v7, v8, v7
	v_add_f32_e32 v7, v13, v7
	v_mul_f32_e32 v7, v10, v7
	v_add_f32_e32 v10, v12, v7
	v_sub_f32_e32 v8, v10, v12
	v_mul_f32_e32 v11, v10, v10
	v_sub_f32_e32 v12, v7, v8
	v_fma_f32 v7, v10, v10, -v11
	v_add_f32_e32 v8, v12, v12
	v_fmac_f32_e32 v7, v10, v8
	v_add_f32_e32 v13, v11, v7
	v_fmaak_f32 v8, s12, v13, 0x3e91f4c4
	v_sub_f32_e32 v11, v13, v11
	v_mul_f32_e32 v18, v10, v13
	v_fmaak_f32 v8, v13, v8, 0x3ecccdef
	v_sub_f32_e32 v11, v7, v11
	v_fma_f32 v19, v13, v10, -v18
	v_mul_f32_e32 v14, v13, v8
	v_fmac_f32_e32 v19, v13, v12
	v_ldexp_f32 v12, v12, 1
	v_fma_f32 v15, v13, v8, -v14
	v_fmac_f32_e32 v19, v11, v10
	v_fmac_f32_e32 v15, v11, v8
	v_cvt_f64_f32_e64 v[7:8], |v9|
	v_add_f32_e32 v16, v14, v15
	v_sub_f32_e32 v14, v16, v14
	v_add_f32_e32 v17, 0x3f2aaaaa, v16
	v_sub_f32_e32 v14, v15, v14
	v_add_f32_e32 v15, 0xbf2aaaaa, v17
	v_add_f32_e32 v14, 0x31739010, v14
	v_sub_f32_e32 v15, v16, v15
	v_frexp_exp_i32_f64_e32 v7, v[7:8]
	v_add_f32_e32 v13, v14, v15
	v_add_f32_e32 v14, v18, v19
	;; [unrolled: 1-line block ×3, first 2 shown]
	v_sub_f32_e32 v16, v14, v18
	v_sub_f32_e32 v8, v17, v11
	v_mul_f32_e32 v15, v14, v11
	v_sub_f32_e32 v16, v19, v16
	v_add_f32_e32 v8, v13, v8
	v_fma_f32 v13, v14, v11, -v15
	v_subrev_co_ci_u32_e64 v7, null, 0, v7, vcc_lo
	v_fmac_f32_e32 v13, v14, v8
	v_ldexp_f32 v8, v10, 1
	v_cvt_f32_i32_e32 v7, v7
	v_fmac_f32_e32 v13, v16, v11
	v_add_f32_e32 v10, v15, v13
	v_add_f32_e32 v11, v8, v10
	v_sub_f32_e32 v14, v10, v15
	v_mul_f32_e32 v15, 0x3f317218, v7
	v_sub_f32_e32 v8, v11, v8
	v_sub_f32_e32 v13, v13, v14
	v_fma_f32 v14, 0x3f317218, v7, -v15
	v_sub_f32_e32 v8, v10, v8
	v_add_f32_e32 v10, v12, v13
	v_fmac_f32_e32 v14, 0xb102e308, v7
	v_add_f32_e32 v7, v10, v8
	v_add_f32_e32 v8, v15, v14
	;; [unrolled: 1-line block ×3, first 2 shown]
	v_sub_f32_e32 v15, v8, v15
	v_add_f32_e32 v12, v8, v10
	v_sub_f32_e32 v11, v10, v11
	v_sub_f32_e32 v14, v14, v15
	;; [unrolled: 1-line block ×6, first 2 shown]
	v_add_f32_e32 v11, v14, v7
	v_sub_f32_e32 v8, v8, v16
	v_add_f32_e32 v8, v10, v8
	v_sub_f32_e32 v10, v11, v14
	;; [unrolled: 2-line block ×3, first 2 shown]
	v_sub_f32_e32 v7, v7, v10
	v_add_f32_e32 v13, v12, v8
	v_sub_f32_e32 v10, v14, v11
	v_sub_f32_e32 v11, v13, v12
	v_add_f32_e32 v7, v7, v10
	v_sub_f32_e32 v8, v8, v11
	v_add_f32_e32 v7, v7, v8
	v_add_f32_e32 v8, v13, v7
	v_sub_f32_e32 v10, v8, v13
	v_mul_f32_e32 v11, v5, v8
	v_sub_f32_e32 v7, v7, v10
	v_fma_f32 v8, v5, v8, -v11
	v_cmp_class_f32_e64 vcc_lo, v11, 0x204
	v_fmac_f32_e32 v8, v5, v7
	v_add_f32_e32 v7, v11, v8
	v_cndmask_b32_e32 v10, v7, v11, vcc_lo
	v_sub_f32_e32 v7, v7, v11
	v_cmp_eq_f32_e32 vcc_lo, 0x42b17218, v10
	v_sub_f32_e32 v7, v8, v7
	v_cndmask_b32_e64 v12, 0, 0x37000000, vcc_lo
	v_cmp_neq_f32_e64 vcc_lo, 0x7f800000, |v10|
	v_sub_f32_e32 v13, v10, v12
	v_cndmask_b32_e32 v7, 0, v7, vcc_lo
	v_trunc_f32_e32 v10, v5
	v_mul_f32_e32 v14, 0x3fb8aa3b, v13
	v_cmp_ngt_f32_e32 vcc_lo, 0xc2ce8ed0, v13
	v_add_f32_e32 v7, v12, v7
	v_fma_f32 v15, 0x3fb8aa3b, v13, -v14
	v_rndne_f32_e32 v16, v14
	v_fmac_f32_e32 v15, 0x32a5705f, v13
	v_sub_f32_e32 v14, v14, v16
	v_cvt_i32_f32_e32 v11, v16
	v_add_f32_e32 v14, v14, v15
	v_exp_f32_e32 v14, v14
	v_ldexp_f32 v8, v14, v11
	v_mul_f32_e32 v11, 0.5, v5
	v_cndmask_b32_e32 v8, 0, v8, vcc_lo
	v_cmp_nlt_f32_e32 vcc_lo, 0x42b17218, v13
	v_trunc_f32_e32 v14, v11
	v_cndmask_b32_e32 v8, 0x7f800000, v8, vcc_lo
	v_cmp_eq_f32_e32 vcc_lo, v10, v5
	v_cmp_neq_f32_e64 s5, v14, v11
	v_fma_f32 v7, v8, v7, v8
	v_cmp_class_f32_e64 s6, v8, 0x204
	s_and_b32 s5, vcc_lo, s5
	v_cndmask_b32_e64 v10, 1.0, v9, s5
	v_cndmask_b32_e64 v7, v7, v8, s6
	v_cndmask_b32_e64 v8, 0x7f800000, 0, s13
	v_cmp_gt_f32_e64 s6, 0, v5
	s_mov_b32 s13, 0
	v_bfi_b32 v7, 0x7fffffff, v7, v10
	s_xor_b32 s6, s6, s7
	v_cndmask_b32_e64 v11, 0x7f800000, 0, s6
	v_cndmask_b32_e32 v10, 0x7fc00000, v7, vcc_lo
	v_cmp_neq_f32_e64 vcc_lo, |v9|, 1.0
	v_cndmask_b32_e32 v8, 1.0, v8, vcc_lo
	v_cmp_gt_f32_e32 vcc_lo, 0, v9
	v_cndmask_b32_e32 v7, v7, v10, vcc_lo
	v_cndmask_b32_e64 v10, 0, v9, s5
	v_cmp_class_f32_e64 vcc_lo, v5, 0x204
	v_cmp_class_f32_e64 s5, v9, 0x204
	v_cndmask_b32_e32 v7, v7, v8, vcc_lo
	v_bfi_b32 v8, 0x7fffffff, v11, v10
	s_or_b32 vcc_lo, s7, s5
	v_cndmask_b32_e32 v7, v7, v8, vcc_lo
	v_cmp_o_f32_e32 vcc_lo, v9, v5
	v_cndmask_b32_e32 v5, 0x7fc00000, v7, vcc_lo
	s_branch .LBB121_98
.LBB121_97:                             ;   in Loop: Header=BB121_98 Depth=1
	s_or_b32 exec_lo, exec_lo, s5
	s_and_b32 s5, exec_lo, s16
	s_or_b32 s13, s5, s13
	s_andn2_b32 s5, s14, exec_lo
	s_and_b32 s6, s15, exec_lo
	s_or_b32 s14, s5, s6
	s_andn2_b32 exec_lo, exec_lo, s13
	s_cbranch_execz .LBB121_155
.LBB121_98:                             ; =>This Inner Loop Header: Depth=1
	v_add_f32_e32 v3, 1.0, v3
	s_or_b32 s15, s15, exec_lo
	s_or_b32 s16, s16, exec_lo
	v_cmp_neq_f32_e32 vcc_lo, 1.0, v3
	v_cndmask_b32_e32 v9, 1.0, v6, vcc_lo
	v_cmp_neq_f32_e32 vcc_lo, 0, v9
	v_cmp_neq_f32_e64 s18, v9, |v9|
	v_cndmask_b32_e32 v10, 1.0, v3, vcc_lo
	v_frexp_mant_f32_e64 v7, |v10|
	v_cmp_lt_f32_e64 s19, |v10|, 1.0
	v_cmp_eq_f32_e64 s7, 0, v10
	v_cmp_gt_f32_e32 vcc_lo, 0x3f2aaaab, v7
	s_xor_b32 s18, s18, s19
	v_cndmask_b32_e64 v8, 1.0, 2.0, vcc_lo
	v_mul_f32_e32 v7, v7, v8
	v_add_f32_e32 v8, 1.0, v7
	v_add_f32_e32 v12, -1.0, v7
	v_rcp_f32_e32 v11, v8
	v_add_f32_e32 v14, -1.0, v8
	v_sub_f32_e32 v7, v7, v14
	v_mul_f32_e32 v13, v12, v11
	v_mul_f32_e32 v15, v8, v13
	v_fma_f32 v8, v13, v8, -v15
	v_fmac_f32_e32 v8, v13, v7
	v_add_f32_e32 v7, v15, v8
	v_sub_f32_e32 v14, v12, v7
	v_sub_f32_e32 v15, v7, v15
	;; [unrolled: 1-line block ×5, first 2 shown]
	v_add_f32_e32 v7, v8, v7
	v_add_f32_e32 v7, v14, v7
	v_mul_f32_e32 v7, v11, v7
	v_add_f32_e32 v11, v13, v7
	v_sub_f32_e32 v8, v11, v13
	v_mul_f32_e32 v12, v11, v11
	v_sub_f32_e32 v13, v7, v8
	v_fma_f32 v7, v11, v11, -v12
	v_add_f32_e32 v8, v13, v13
	v_fmac_f32_e32 v7, v11, v8
	v_add_f32_e32 v14, v12, v7
	v_fmaak_f32 v8, s12, v14, 0x3e91f4c4
	v_sub_f32_e32 v12, v14, v12
	v_mul_f32_e32 v19, v11, v14
	v_fmaak_f32 v8, v14, v8, 0x3ecccdef
	v_sub_f32_e32 v12, v7, v12
	v_fma_f32 v20, v14, v11, -v19
	v_mul_f32_e32 v15, v14, v8
	v_fmac_f32_e32 v20, v14, v13
	v_ldexp_f32 v13, v13, 1
	v_fma_f32 v16, v14, v8, -v15
	v_fmac_f32_e32 v20, v12, v11
	v_fmac_f32_e32 v16, v12, v8
	v_cvt_f64_f32_e64 v[7:8], |v10|
	v_add_f32_e32 v17, v15, v16
	v_sub_f32_e32 v15, v17, v15
	v_add_f32_e32 v18, 0x3f2aaaaa, v17
	v_sub_f32_e32 v15, v16, v15
	v_add_f32_e32 v16, 0xbf2aaaaa, v18
	v_add_f32_e32 v15, 0x31739010, v15
	v_sub_f32_e32 v16, v17, v16
	v_frexp_exp_i32_f64_e32 v7, v[7:8]
	v_add_f32_e32 v14, v15, v16
	v_add_f32_e32 v15, v19, v20
	;; [unrolled: 1-line block ×3, first 2 shown]
	v_sub_f32_e32 v17, v15, v19
	v_sub_f32_e32 v8, v18, v12
	v_mul_f32_e32 v16, v15, v12
	v_sub_f32_e32 v17, v20, v17
	v_add_f32_e32 v8, v14, v8
	v_fma_f32 v14, v15, v12, -v16
	v_subrev_co_ci_u32_e64 v7, null, 0, v7, vcc_lo
	v_fmac_f32_e32 v14, v15, v8
	v_ldexp_f32 v8, v11, 1
	v_cvt_f32_i32_e32 v7, v7
	v_fmac_f32_e32 v14, v17, v12
	v_add_f32_e32 v11, v16, v14
	v_add_f32_e32 v12, v8, v11
	v_sub_f32_e32 v15, v11, v16
	v_mul_f32_e32 v16, 0x3f317218, v7
	v_sub_f32_e32 v8, v12, v8
	v_sub_f32_e32 v14, v14, v15
	v_fma_f32 v15, 0x3f317218, v7, -v16
	v_sub_f32_e32 v8, v11, v8
	v_add_f32_e32 v11, v13, v14
	v_fmac_f32_e32 v15, 0xb102e308, v7
	v_add_f32_e32 v7, v11, v8
	v_add_f32_e32 v8, v16, v15
	;; [unrolled: 1-line block ×3, first 2 shown]
	v_sub_f32_e32 v16, v8, v16
	v_add_f32_e32 v13, v8, v11
	v_sub_f32_e32 v12, v11, v12
	v_sub_f32_e32 v15, v15, v16
	;; [unrolled: 1-line block ×6, first 2 shown]
	v_add_f32_e32 v12, v15, v7
	v_sub_f32_e32 v8, v8, v17
	v_add_f32_e32 v8, v11, v8
	v_sub_f32_e32 v11, v12, v15
	;; [unrolled: 2-line block ×3, first 2 shown]
	v_sub_f32_e32 v7, v7, v11
	v_add_f32_e32 v14, v13, v8
	v_sub_f32_e32 v11, v15, v12
	v_sub_f32_e32 v12, v14, v13
	v_add_f32_e32 v7, v7, v11
	v_sub_f32_e32 v8, v8, v12
	v_add_f32_e32 v7, v7, v8
	v_add_f32_e32 v8, v14, v7
	v_sub_f32_e32 v11, v8, v14
	v_mul_f32_e32 v12, v9, v8
	v_sub_f32_e32 v7, v7, v11
	v_fma_f32 v8, v9, v8, -v12
	v_cmp_class_f32_e64 vcc_lo, v12, 0x204
	v_fmac_f32_e32 v8, v9, v7
	v_add_f32_e32 v7, v12, v8
	v_cndmask_b32_e32 v11, v7, v12, vcc_lo
	v_sub_f32_e32 v7, v7, v12
	v_cmp_eq_f32_e32 vcc_lo, 0x42b17218, v11
	v_sub_f32_e32 v7, v8, v7
	v_cndmask_b32_e64 v13, 0, 0x37000000, vcc_lo
	v_cmp_neq_f32_e64 vcc_lo, 0x7f800000, |v11|
	v_sub_f32_e32 v14, v11, v13
	v_cndmask_b32_e32 v7, 0, v7, vcc_lo
	v_trunc_f32_e32 v11, v9
	v_mul_f32_e32 v15, 0x3fb8aa3b, v14
	v_cmp_ngt_f32_e32 vcc_lo, 0xc2ce8ed0, v14
	v_add_f32_e32 v7, v13, v7
	v_fma_f32 v16, 0x3fb8aa3b, v14, -v15
	v_rndne_f32_e32 v17, v15
	v_fmac_f32_e32 v16, 0x32a5705f, v14
	v_sub_f32_e32 v15, v15, v17
	v_cvt_i32_f32_e32 v12, v17
	v_add_f32_e32 v15, v15, v16
	v_exp_f32_e32 v15, v15
	v_ldexp_f32 v8, v15, v12
	v_mul_f32_e32 v12, 0.5, v9
	v_cndmask_b32_e32 v8, 0, v8, vcc_lo
	v_cmp_nlt_f32_e32 vcc_lo, 0x42b17218, v14
	v_trunc_f32_e32 v15, v12
	v_cndmask_b32_e32 v8, 0x7f800000, v8, vcc_lo
	v_cmp_eq_f32_e32 vcc_lo, v11, v9
	v_cmp_neq_f32_e64 s5, v15, v12
	v_fma_f32 v7, v8, v7, v8
	v_cmp_class_f32_e64 s6, v8, 0x204
	s_and_b32 s5, vcc_lo, s5
	v_cndmask_b32_e64 v11, 1.0, v10, s5
	v_cndmask_b32_e64 v13, 0, v10, s5
	v_cndmask_b32_e64 v7, v7, v8, s6
	v_cndmask_b32_e64 v8, 0x7f800000, 0, s18
	v_cmp_gt_f32_e64 s6, 0, v9
	v_cmp_class_f32_e64 s5, v10, 0x204
	v_bfi_b32 v7, 0x7fffffff, v7, v11
	s_xor_b32 s6, s6, s7
	v_cndmask_b32_e64 v11, 0x7f800000, 0, s6
	v_cndmask_b32_e32 v12, 0x7fc00000, v7, vcc_lo
	v_cmp_neq_f32_e64 vcc_lo, |v10|, 1.0
	v_bfi_b32 v11, 0x7fffffff, v11, v13
	v_cndmask_b32_e32 v8, 1.0, v8, vcc_lo
	v_cmp_gt_f32_e32 vcc_lo, 0, v10
	v_cndmask_b32_e32 v7, v7, v12, vcc_lo
	v_cmp_class_f32_e64 vcc_lo, v9, 0x204
	v_cndmask_b32_e32 v7, v7, v8, vcc_lo
	s_or_b32 vcc_lo, s7, s5
	v_cndmask_b32_e32 v7, v7, v11, vcc_lo
	v_cmp_o_f32_e32 vcc_lo, v10, v9
	v_cndmask_b32_e32 v7, 0x7fc00000, v7, vcc_lo
	v_add_f32_e32 v5, v5, v7
	v_mul_f32_e32 v8, 0xa5000000, v5
	v_mul_f32_e32 v9, 0x25000000, v5
	v_cmp_nlt_f32_e32 vcc_lo, v8, v7
	v_cmp_nlt_f32_e64 s5, v7, v9
	s_or_b32 s6, vcc_lo, s5
	s_and_saveexec_b32 s5, s6
	s_cbranch_execz .LBB121_97
; %bb.99:                               ;   in Loop: Header=BB121_98 Depth=1
	s_add_i32 s6, s17, 1
	v_cmp_nge_f32_e32 vcc_lo, 0x41100000, v3
	s_cmp_gt_u32 s17, 7
	s_mov_b32 s17, s6
	s_cselect_b32 s7, -1, 0
	s_andn2_b32 s16, s16, exec_lo
	s_and_b32 s7, s7, vcc_lo
	s_andn2_b32 s15, s15, exec_lo
	s_and_b32 s7, s7, exec_lo
	s_or_b32 s16, s16, s7
	s_branch .LBB121_97
.LBB121_100:
	v_mov_b32_e32 v3, 28
	s_mov_b32 s9, 0
	v_cmp_gt_i16_sdwa s7, v5, v3 src0_sel:BYTE_0 src1_sel:DWORD
                                        ; implicit-def: $vgpr3
	s_and_saveexec_b32 s10, s7
	s_xor_b32 s7, exec_lo, s10
	s_cbranch_execz .LBB121_116
; %bb.101:
	v_mov_b32_e32 v3, 43
	s_mov_b32 s10, 0
	s_mov_b32 s11, 0
	v_cmp_gt_i16_sdwa s8, v5, v3 src0_sel:BYTE_0 src1_sel:DWORD
                                        ; implicit-def: $vgpr3
	s_and_saveexec_b32 s9, s8
	s_xor_b32 s8, exec_lo, s9
	s_cbranch_execz .LBB121_111
; %bb.102:
	v_mov_b32_e32 v3, 45
	s_mov_b32 s9, 0
	v_cmp_gt_i16_sdwa s11, v5, v3 src0_sel:BYTE_0 src1_sel:DWORD
                                        ; implicit-def: $vgpr3
	s_and_saveexec_b32 s12, s11
	s_xor_b32 s11, exec_lo, s12
	s_cbranch_execz .LBB121_106
; %bb.103:
	v_mov_b32_e32 v3, 46
	s_mov_b32 s12, -1
	v_cmp_eq_u16_sdwa s13, v5, v3 src0_sel:BYTE_0 src1_sel:DWORD
                                        ; implicit-def: $vgpr3
	s_and_saveexec_b32 s10, s13
	s_cbranch_execz .LBB121_105
; %bb.104:
	flat_load_dword v3, v[1:2]
	s_mov_b32 s9, exec_lo
	s_xor_b32 s12, exec_lo, -1
.LBB121_105:
	s_or_b32 exec_lo, exec_lo, s10
	s_and_b32 s10, s9, exec_lo
	s_and_b32 s9, s12, exec_lo
                                        ; implicit-def: $vgpr5
.LBB121_106:
	s_andn2_saveexec_b32 s11, s11
	s_cbranch_execz .LBB121_110
; %bb.107:
	s_waitcnt vmcnt(0) lgkmcnt(0)
	v_mov_b32_e32 v3, 44
	s_mov_b32 s13, -1
	s_mov_b32 s14, s10
	v_cmp_eq_u16_sdwa s15, v5, v3 src0_sel:BYTE_0 src1_sel:DWORD
                                        ; implicit-def: $vgpr3
	s_and_saveexec_b32 s12, s15
	s_cbranch_execz .LBB121_109
; %bb.108:
	flat_load_ubyte v3, v[1:2]
	s_or_b32 s14, s10, exec_lo
	s_xor_b32 s13, exec_lo, -1
	s_waitcnt vmcnt(0) lgkmcnt(0)
	v_lshlrev_b32_e32 v4, 23, v3
	v_cmp_ne_u32_e32 vcc_lo, 0xff, v3
	v_cndmask_b32_e32 v4, 0x7f800001, v4, vcc_lo
	v_cmp_ne_u32_e32 vcc_lo, 0, v3
	v_cndmask_b32_e32 v3, 0x400000, v4, vcc_lo
	v_mov_b32_e32 v4, 0x7fc0
	v_cmp_o_f32_e32 vcc_lo, v3, v3
	v_add_nc_u32_e32 v3, 0x7fff, v3
	v_cndmask_b32_sdwa v3, v4, v3, vcc_lo dst_sel:DWORD dst_unused:UNUSED_PAD src0_sel:DWORD src1_sel:WORD_1
.LBB121_109:
	s_or_b32 exec_lo, exec_lo, s12
	s_andn2_b32 s10, s10, exec_lo
	s_and_b32 s12, s14, exec_lo
	s_andn2_b32 s9, s9, exec_lo
	s_and_b32 s13, s13, exec_lo
	s_or_b32 s10, s10, s12
	s_or_b32 s9, s9, s13
.LBB121_110:
	s_or_b32 exec_lo, exec_lo, s11
	s_and_b32 s11, s10, exec_lo
	s_and_b32 s10, s9, exec_lo
                                        ; implicit-def: $vgpr5
.LBB121_111:
	s_andn2_saveexec_b32 s8, s8
	s_cbranch_execz .LBB121_115
; %bb.112:
	s_waitcnt vmcnt(0) lgkmcnt(0)
	v_mov_b32_e32 v3, 29
	s_mov_b32 s12, -1
	s_mov_b32 s13, s11
	v_cmp_eq_u16_sdwa s14, v5, v3 src0_sel:BYTE_0 src1_sel:DWORD
                                        ; implicit-def: $vgpr3
	s_and_saveexec_b32 s9, s14
	s_cbranch_execz .LBB121_114
; %bb.113:
	flat_load_dwordx2 v[3:4], v[1:2]
	s_or_b32 s13, s11, exec_lo
	s_xor_b32 s12, exec_lo, -1
	s_waitcnt vmcnt(0) lgkmcnt(0)
	v_ffbh_u32_e32 v5, v4
	v_min_u32_e32 v5, 32, v5
	v_lshlrev_b64 v[3:4], v5, v[3:4]
	v_min_u32_e32 v3, 1, v3
	v_or_b32_e32 v3, v4, v3
	v_sub_nc_u32_e32 v4, 32, v5
	v_cvt_f32_u32_e32 v3, v3
	v_ldexp_f32 v3, v3, v4
	v_bfe_u32 v4, v3, 16, 1
	v_add3_u32 v3, v3, v4, 0x7fff
	v_lshrrev_b32_e32 v3, 16, v3
.LBB121_114:
	s_or_b32 exec_lo, exec_lo, s9
	s_andn2_b32 s9, s11, exec_lo
	s_and_b32 s11, s13, exec_lo
	s_andn2_b32 s10, s10, exec_lo
	s_and_b32 s12, s12, exec_lo
	s_or_b32 s11, s9, s11
	s_or_b32 s10, s10, s12
.LBB121_115:
	s_or_b32 exec_lo, exec_lo, s8
	s_and_b32 s9, s11, exec_lo
	s_and_b32 s8, s10, exec_lo
                                        ; implicit-def: $vgpr5
.LBB121_116:
	s_andn2_saveexec_b32 s7, s7
	s_cbranch_execz .LBB121_130
; %bb.117:
	s_waitcnt vmcnt(0) lgkmcnt(0)
	v_mov_b32_e32 v3, 26
	v_cmp_gt_i16_sdwa s10, v5, v3 src0_sel:BYTE_0 src1_sel:DWORD
                                        ; implicit-def: $vgpr3
	s_and_saveexec_b32 s11, s10
	s_xor_b32 s10, exec_lo, s11
	s_cbranch_execz .LBB121_123
; %bb.118:
	v_mov_b32_e32 v3, 27
	v_cmp_gt_i16_sdwa s11, v5, v3 src0_sel:BYTE_0 src1_sel:DWORD
                                        ; implicit-def: $vgpr3
	s_and_saveexec_b32 s12, s11
	s_xor_b32 s11, exec_lo, s12
	s_cbranch_execz .LBB121_120
; %bb.119:
	flat_load_dword v3, v[1:2]
	s_waitcnt vmcnt(0) lgkmcnt(0)
	v_cvt_f32_u32_e32 v3, v3
	v_bfe_u32 v4, v3, 16, 1
	v_add3_u32 v3, v3, v4, 0x7fff
	v_lshrrev_b32_e32 v3, 16, v3
.LBB121_120:
	s_andn2_saveexec_b32 s11, s11
	s_cbranch_execz .LBB121_122
; %bb.121:
	flat_load_ushort v3, v[1:2]
	s_waitcnt vmcnt(0) lgkmcnt(0)
	v_cvt_f32_u32_e32 v3, v3
	v_bfe_u32 v4, v3, 16, 1
	v_add3_u32 v3, v3, v4, 0x7fff
	v_lshrrev_b32_e32 v3, 16, v3
.LBB121_122:
	s_or_b32 exec_lo, exec_lo, s11
.LBB121_123:
	s_andn2_saveexec_b32 s10, s10
	s_cbranch_execz .LBB121_129
; %bb.124:
	flat_load_ubyte v3, v[1:2]
	s_mov_b32 s11, 0
	s_mov_b32 s12, exec_lo
	s_waitcnt vmcnt(0) lgkmcnt(0)
	v_cmpx_lt_i16_e32 0x7f, v3
	s_xor_b32 s12, exec_lo, s12
	s_cbranch_execnz .LBB121_162
; %bb.125:
	s_or_saveexec_b32 s12, s12
	v_mov_b32_e32 v4, 0x7f800001
	s_xor_b32 exec_lo, exec_lo, s12
	s_cbranch_execnz .LBB121_165
.LBB121_126:
	s_or_b32 exec_lo, exec_lo, s12
	s_and_saveexec_b32 s12, s11
	s_cbranch_execz .LBB121_128
.LBB121_127:
	v_and_b32_e32 v4, 0xffff, v3
	v_lshlrev_b32_e32 v3, 24, v3
	v_and_b32_e32 v5, 7, v4
	v_bfe_u32 v8, v4, 3, 4
	v_and_b32_e32 v3, 0x80000000, v3
	v_ffbh_u32_e32 v6, v5
	v_cmp_eq_u32_e32 vcc_lo, 0, v8
	v_min_u32_e32 v6, 32, v6
	v_subrev_nc_u32_e32 v7, 28, v6
	v_sub_nc_u32_e32 v6, 29, v6
	v_lshlrev_b32_e32 v4, v7, v4
	v_cndmask_b32_e32 v6, v8, v6, vcc_lo
	v_and_b32_e32 v4, 7, v4
	v_cndmask_b32_e32 v4, v5, v4, vcc_lo
	v_lshl_add_u32 v5, v6, 23, 0x3b800000
	v_lshlrev_b32_e32 v4, 20, v4
	v_or3_b32 v4, v3, v5, v4
.LBB121_128:
	s_or_b32 exec_lo, exec_lo, s12
	v_bfe_u32 v3, v4, 16, 1
	v_cmp_o_f32_e32 vcc_lo, v4, v4
	v_add3_u32 v3, v4, v3, 0x7fff
	v_mov_b32_e32 v4, 0x7fc0
	v_cndmask_b32_sdwa v3, v4, v3, vcc_lo dst_sel:DWORD dst_unused:UNUSED_PAD src0_sel:DWORD src1_sel:WORD_1
.LBB121_129:
	s_or_b32 exec_lo, exec_lo, s10
	s_or_b32 s9, s9, exec_lo
.LBB121_130:
	s_or_b32 exec_lo, exec_lo, s7
	s_and_b32 s7, s9, exec_lo
	s_and_b32 s8, s8, exec_lo
                                        ; implicit-def: $vgpr5
	s_andn2_saveexec_b32 s6, s6
	s_cbranch_execz .LBB121_6
.LBB121_131:
	s_waitcnt vmcnt(0) lgkmcnt(0)
	v_mov_b32_e32 v3, 22
	s_mov_b32 s9, s7
	v_cmp_gt_i16_sdwa s5, v5, v3 src0_sel:BYTE_0 src1_sel:DWORD
                                        ; implicit-def: $vgpr3
	s_and_saveexec_b32 s10, s5
	s_xor_b32 s5, exec_lo, s10
	s_cbranch_execz .LBB121_145
; %bb.132:
	v_mov_b32_e32 v3, 23
	v_cmp_gt_i16_sdwa s9, v5, v3 src0_sel:BYTE_0 src1_sel:DWORD
                                        ; implicit-def: $vgpr3
	s_and_saveexec_b32 s10, s9
	s_xor_b32 s9, exec_lo, s10
	s_cbranch_execz .LBB121_142
; %bb.133:
	v_mov_b32_e32 v3, 24
	v_cmp_gt_i16_sdwa s10, v5, v3 src0_sel:BYTE_0 src1_sel:DWORD
                                        ; implicit-def: $vgpr3
	s_and_saveexec_b32 s11, s10
	s_xor_b32 s10, exec_lo, s11
	s_cbranch_execz .LBB121_139
; %bb.134:
	flat_load_ubyte v3, v[1:2]
	s_mov_b32 s11, 0
	s_mov_b32 s12, exec_lo
	s_waitcnt vmcnt(0) lgkmcnt(0)
	v_cmpx_lt_i16_e32 0x7f, v3
	s_xor_b32 s12, exec_lo, s12
	s_cbranch_execnz .LBB121_177
; %bb.135:
	s_or_saveexec_b32 s12, s12
	v_mov_b32_e32 v4, 0x7f800001
	s_xor_b32 exec_lo, exec_lo, s12
	s_cbranch_execnz .LBB121_180
.LBB121_136:
	s_or_b32 exec_lo, exec_lo, s12
	s_and_saveexec_b32 s12, s11
	s_cbranch_execz .LBB121_138
.LBB121_137:
	v_and_b32_e32 v4, 0xffff, v3
	v_lshlrev_b32_e32 v3, 24, v3
	v_and_b32_e32 v5, 3, v4
	v_bfe_u32 v8, v4, 2, 5
	v_and_b32_e32 v3, 0x80000000, v3
	v_ffbh_u32_e32 v6, v5
	v_cmp_eq_u32_e32 vcc_lo, 0, v8
	v_min_u32_e32 v6, 32, v6
	v_subrev_nc_u32_e32 v7, 29, v6
	v_sub_nc_u32_e32 v6, 30, v6
	v_lshlrev_b32_e32 v4, v7, v4
	v_cndmask_b32_e32 v6, v8, v6, vcc_lo
	v_and_b32_e32 v4, 3, v4
	v_cndmask_b32_e32 v4, v5, v4, vcc_lo
	v_lshl_add_u32 v5, v6, 23, 0x37800000
	v_lshlrev_b32_e32 v4, 21, v4
	v_or3_b32 v4, v3, v5, v4
.LBB121_138:
	s_or_b32 exec_lo, exec_lo, s12
	v_bfe_u32 v3, v4, 16, 1
	v_cmp_o_f32_e32 vcc_lo, v4, v4
	v_add3_u32 v3, v4, v3, 0x7fff
	v_mov_b32_e32 v4, 0x7fc0
	v_cndmask_b32_sdwa v3, v4, v3, vcc_lo dst_sel:DWORD dst_unused:UNUSED_PAD src0_sel:DWORD src1_sel:WORD_1
.LBB121_139:
	s_andn2_saveexec_b32 s10, s10
	s_cbranch_execz .LBB121_141
; %bb.140:
	flat_load_ubyte v3, v[1:2]
	s_waitcnt vmcnt(0) lgkmcnt(0)
	v_lshlrev_b32_e32 v3, 24, v3
	v_and_b32_e32 v4, 0x7f000000, v3
	v_ffbh_u32_e32 v5, v4
	v_add_nc_u32_e32 v7, 0x1000000, v4
	v_cmp_ne_u32_e32 vcc_lo, 0, v4
	v_min_u32_e32 v5, 32, v5
	v_sub_nc_u32_e64 v5, v5, 4 clamp
	v_lshlrev_b32_e32 v6, v5, v4
	v_lshlrev_b32_e32 v5, 23, v5
	v_lshrrev_b32_e32 v6, 4, v6
	v_sub_nc_u32_e32 v5, v6, v5
	v_ashrrev_i32_e32 v6, 8, v7
	v_add_nc_u32_e32 v5, 0x3c000000, v5
	v_and_or_b32 v5, 0x7f800000, v6, v5
	v_cndmask_b32_e32 v4, 0, v5, vcc_lo
	v_and_or_b32 v3, 0x80000000, v3, v4
	v_bfe_u32 v4, v4, 16, 1
	v_cmp_o_f32_e32 vcc_lo, v3, v3
	v_add3_u32 v3, v3, v4, 0x7fff
	v_mov_b32_e32 v4, 0x7fc0
	v_cndmask_b32_sdwa v3, v4, v3, vcc_lo dst_sel:DWORD dst_unused:UNUSED_PAD src0_sel:DWORD src1_sel:WORD_1
.LBB121_141:
	s_or_b32 exec_lo, exec_lo, s10
.LBB121_142:
	s_andn2_saveexec_b32 s9, s9
	s_cbranch_execz .LBB121_144
; %bb.143:
	flat_load_ubyte v3, v[1:2]
	s_waitcnt vmcnt(0) lgkmcnt(0)
	v_lshlrev_b32_e32 v4, 25, v3
	v_lshlrev_b16 v3, 8, v3
	v_lshrrev_b32_e32 v5, 4, v4
	v_and_or_b32 v6, 0x7f00, v3, 0.5
	v_cmp_gt_u32_e32 vcc_lo, 0x8000000, v4
	v_bfe_i32 v3, v3, 0, 16
	v_or_b32_e32 v5, 0x70000000, v5
	v_add_f32_e32 v6, -0.5, v6
	v_mul_f32_e32 v5, 0x7800000, v5
	v_cndmask_b32_e32 v4, v5, v6, vcc_lo
	v_and_or_b32 v3, 0x80000000, v3, v4
	v_bfe_u32 v4, v4, 16, 1
	v_cmp_o_f32_e32 vcc_lo, v3, v3
	v_add3_u32 v3, v3, v4, 0x7fff
	v_mov_b32_e32 v4, 0x7fc0
	v_cndmask_b32_sdwa v3, v4, v3, vcc_lo dst_sel:DWORD dst_unused:UNUSED_PAD src0_sel:DWORD src1_sel:WORD_1
.LBB121_144:
	s_or_b32 exec_lo, exec_lo, s9
	s_or_b32 s9, s7, exec_lo
                                        ; implicit-def: $vgpr5
.LBB121_145:
	s_or_saveexec_b32 s5, s5
	s_mov_b32 s10, 0
	s_mov_b32 s11, s8
	s_xor_b32 exec_lo, exec_lo, s5
	s_cbranch_execz .LBB121_153
; %bb.146:
	v_mov_b32_e32 v3, 14
	s_mov_b32 s10, s8
	s_mov_b32 s11, s9
	v_cmp_gt_i16_sdwa s12, v5, v3 src0_sel:BYTE_0 src1_sel:DWORD
                                        ; implicit-def: $vgpr3
	s_and_saveexec_b32 s13, s12
	s_xor_b32 s12, exec_lo, s13
	s_cbranch_execz .LBB121_150
; %bb.147:
	v_mov_b32_e32 v3, 15
	s_mov_b32 s10, -1
	s_mov_b32 s11, s9
	v_cmp_eq_u16_sdwa s14, v5, v3 src0_sel:BYTE_0 src1_sel:DWORD
                                        ; implicit-def: $vgpr3
	s_and_saveexec_b32 s13, s14
	s_cbranch_execz .LBB121_149
; %bb.148:
	flat_load_ushort v3, v[1:2]
	s_or_b32 s11, s9, exec_lo
	s_xor_b32 s10, exec_lo, -1
.LBB121_149:
	s_or_b32 exec_lo, exec_lo, s13
	s_andn2_b32 s13, s9, exec_lo
	s_and_b32 s11, s11, exec_lo
	s_andn2_b32 s14, s8, exec_lo
	s_and_b32 s10, s10, exec_lo
	s_or_b32 s11, s13, s11
	s_or_b32 s10, s14, s10
                                        ; implicit-def: $vgpr5
.LBB121_150:
	s_or_saveexec_b32 s12, s12
	s_mov_b32 s13, 0
	s_xor_b32 exec_lo, exec_lo, s12
; %bb.151:
	v_mov_b32_e32 v4, 11
	s_andn2_b32 s10, s10, exec_lo
	s_mov_b32 s13, exec_lo
	v_cmp_ne_u16_sdwa s14, v5, v4 src0_sel:BYTE_0 src1_sel:DWORD
	s_and_b32 s14, s14, exec_lo
	s_or_b32 s10, s10, s14
; %bb.152:
	s_or_b32 exec_lo, exec_lo, s12
	s_andn2_b32 s9, s9, exec_lo
	s_and_b32 s11, s11, exec_lo
	s_and_b32 s12, s10, exec_lo
	s_or_b32 s9, s9, s11
	s_andn2_b32 s11, s8, exec_lo
	s_and_b32 s10, s13, exec_lo
	s_or_b32 s11, s11, s12
.LBB121_153:
	s_or_b32 exec_lo, exec_lo, s5
	s_andn2_b32 s5, s7, exec_lo
	s_and_b32 s7, s9, exec_lo
	s_andn2_b32 s8, s8, exec_lo
	s_and_b32 s9, s11, exec_lo
	s_or_b32 s7, s5, s7
	s_and_b32 s5, s10, exec_lo
	s_or_b32 s8, s8, s9
	s_or_b32 exec_lo, exec_lo, s6
	s_and_saveexec_b32 s6, s8
	s_cbranch_execz .LBB121_7
.LBB121_154:
	s_trap 2
	; divergent unreachable
	s_andn2_b32 s5, s5, exec_lo
	s_or_b32 exec_lo, exec_lo, s6
	s_and_saveexec_b32 s6, s5
	s_xor_b32 s5, exec_lo, s6
	s_cbranch_execnz .LBB121_8
	s_branch .LBB121_9
.LBB121_155:
	s_or_b32 exec_lo, exec_lo, s13
	s_xor_b32 s5, s14, -1
                                        ; implicit-def: $vgpr8
	s_and_saveexec_b32 s6, s5
	s_xor_b32 s5, exec_lo, s6
	s_cbranch_execz .LBB121_171
; %bb.156:
	v_mul_f32_e32 v6, v3, v7
	v_add_f32_e32 v8, -1.0, v4
	s_mov_b64 s[6:7], 0
	s_mov_b32 s12, 0
                                        ; implicit-def: $sgpr13
                                        ; implicit-def: $sgpr14
                                        ; implicit-def: $sgpr15
	v_div_scale_f32 v9, null, v8, v8, v6
	v_div_scale_f32 v12, vcc_lo, v6, v8, v6
	v_rcp_f32_e32 v10, v9
	v_fma_f32 v11, -v9, v10, 1.0
	v_fmac_f32_e32 v10, v11, v10
	v_mul_f32_e32 v11, v12, v10
	v_fma_f32 v13, -v9, v11, v12
	v_fmac_f32_e32 v11, v13, v10
	v_fma_f32 v9, -v9, v11, v12
	v_div_fmas_f32 v9, v9, v10, v11
	v_div_fixup_f32 v6, v9, v8, v6
	v_mov_b32_e32 v9, 1.0
	v_mov_b32_e32 v8, 0
	v_add_f32_e32 v6, v5, v6
	v_fmac_f32_e32 v6, -0.5, v7
	s_branch .LBB121_159
.LBB121_157:                            ;   in Loop: Header=BB121_159 Depth=1
	s_or_b32 exec_lo, exec_lo, s17
	s_andn2_b32 s15, s15, exec_lo
	s_and_b32 s17, s19, exec_lo
	s_andn2_b32 s14, s14, exec_lo
	s_and_b32 s18, s18, exec_lo
	s_or_b32 s15, s15, s17
	s_or_b32 s14, s14, s18
.LBB121_158:                            ;   in Loop: Header=BB121_159 Depth=1
	s_or_b32 exec_lo, exec_lo, s16
	s_and_b32 s16, exec_lo, s14
	s_or_b32 s12, s16, s12
	s_andn2_b32 s13, s13, exec_lo
	s_and_b32 s16, s15, exec_lo
	s_or_b32 s13, s13, s16
	s_andn2_b32 exec_lo, exec_lo, s12
	s_cbranch_execz .LBB121_166
.LBB121_159:                            ; =>This Inner Loop Header: Depth=1
	v_div_scale_f32 v10, null, v3, v3, v7
	v_div_scale_f32 v13, vcc_lo, v7, v3, v7
	s_getpc_b64 s[16:17]
	s_add_u32 s16, s16, _ZZ4zetaIN3c108BFloat16ELb1EET_S2_S2_E1A@rel32@lo+4
	s_addc_u32 s17, s17, _ZZ4zetaIN3c108BFloat16ELb1EET_S2_S2_E1A@rel32@hi+12
	v_rcp_f32_e32 v11, v10
	s_add_u32 s16, s16, s6
	s_addc_u32 s17, s17, s7
	s_or_b32 s15, s15, exec_lo
	s_load_dword s16, s[16:17], 0x0
	s_or_b32 s14, s14, exec_lo
	v_fma_f32 v12, -v10, v11, 1.0
	v_fmac_f32_e32 v11, v12, v11
	v_mul_f32_e32 v12, v13, v11
	v_fma_f32 v14, -v10, v12, v13
	v_fmac_f32_e32 v12, v14, v11
	v_fma_f32 v10, -v10, v12, v13
	v_add_f32_e32 v13, v8, v4
	v_div_fmas_f32 v11, v10, v11, v12
	v_mul_f32_e32 v10, v9, v13
	v_div_fixup_f32 v11, v11, v3, v7
	v_mul_f32_e32 v7, v11, v10
	s_waitcnt lgkmcnt(0)
	v_div_scale_f32 v9, null, s16, s16, v7
	v_div_scale_f32 v14, vcc_lo, v7, s16, v7
	v_rcp_f32_e32 v12, v9
	v_fma_f32 v13, -v9, v12, 1.0
	v_fmac_f32_e32 v12, v13, v12
	v_mul_f32_e32 v13, v14, v12
	v_fma_f32 v15, -v9, v13, v14
	v_fmac_f32_e32 v13, v15, v12
	v_fma_f32 v9, -v9, v13, v14
	v_div_fmas_f32 v9, v9, v12, v13
	v_div_fixup_f32 v7, v9, s16, v7
	v_add_f32_e32 v6, v6, v7
	v_div_scale_f32 v9, null, v6, v6, v7
	v_rcp_f32_e32 v12, v9
	v_fma_f32 v13, -v9, v12, 1.0
	v_fmac_f32_e32 v12, v13, v12
	v_div_scale_f32 v13, vcc_lo, v7, v6, v7
	v_mul_f32_e32 v14, v13, v12
	v_fma_f32 v15, -v9, v14, v13
	v_fmac_f32_e32 v14, v15, v12
	v_fma_f32 v9, -v9, v14, v13
	v_div_fmas_f32 v9, v9, v12, v14
	v_div_fixup_f32 v7, v9, v6, v7
                                        ; implicit-def: $vgpr9
	v_cmp_ngt_f32_e64 s17, 0x25000000, |v7|
                                        ; implicit-def: $vgpr7
	s_and_saveexec_b32 s16, s17
	s_cbranch_execz .LBB121_158
; %bb.160:                              ;   in Loop: Header=BB121_159 Depth=1
	v_div_scale_f32 v7, null, v3, v3, v11
	v_div_scale_f32 v13, vcc_lo, v11, v3, v11
	v_add_f32_e32 v8, 1.0, v8
	v_rcp_f32_e32 v9, v7
	s_getpc_b64 s[18:19]
	s_add_u32 s18, s18, _ZZ4zetaIN3c108BFloat16ELb1EET_S2_S2_E1A@rel32@lo+8
	s_addc_u32 s19, s19, _ZZ4zetaIN3c108BFloat16ELb1EET_S2_S2_E1A@rel32@hi+16
	s_add_u32 s18, s18, s6
	s_addc_u32 s19, s19, s7
	v_add_f32_e32 v16, v8, v4
	s_load_dword s17, s[18:19], 0x0
	s_mov_b32 s18, -1
	s_mov_b32 s19, -1
	v_fma_f32 v12, -v7, v9, 1.0
	v_fmac_f32_e32 v9, v12, v9
	v_mul_f32_e32 v12, v13, v9
	v_fma_f32 v14, -v7, v12, v13
	v_fmac_f32_e32 v12, v14, v9
	v_fma_f32 v7, -v7, v12, v13
	v_div_fmas_f32 v7, v7, v9, v12
	v_div_fixup_f32 v7, v7, v3, v11
	v_div_scale_f32 v9, null, v3, v3, v7
	v_div_scale_f32 v13, vcc_lo, v7, v3, v7
	v_rcp_f32_e32 v11, v9
	v_fma_f32 v12, -v9, v11, 1.0
	v_fmac_f32_e32 v11, v12, v11
	v_add_f32_e32 v12, 1.0, v8
	v_mul_f32_e32 v14, v13, v11
	v_fma_f32 v15, -v9, v14, v13
	v_fmac_f32_e32 v14, v15, v11
	v_fma_f32 v8, -v9, v14, v13
	v_mul_f32_e32 v9, v16, v10
	v_add_f32_e32 v10, v12, v4
	v_div_fmas_f32 v8, v8, v11, v14
	v_mul_f32_e32 v10, v9, v10
	v_div_fixup_f32 v11, v8, v3, v7
	v_mul_f32_e32 v7, v11, v10
	s_waitcnt lgkmcnt(0)
	v_div_scale_f32 v8, null, s17, s17, v7
	v_div_scale_f32 v14, vcc_lo, v7, s17, v7
	v_rcp_f32_e32 v9, v8
	v_fma_f32 v13, -v8, v9, 1.0
	v_fmac_f32_e32 v9, v13, v9
	v_mul_f32_e32 v13, v14, v9
	v_fma_f32 v15, -v8, v13, v14
	v_fmac_f32_e32 v13, v15, v9
	v_fma_f32 v8, -v8, v13, v14
	v_div_fmas_f32 v8, v8, v9, v13
	v_div_fixup_f32 v7, v8, s17, v7
	v_add_f32_e32 v6, v6, v7
	v_div_scale_f32 v8, null, v6, v6, v7
	v_rcp_f32_e32 v9, v8
	v_fma_f32 v13, -v8, v9, 1.0
	v_fmac_f32_e32 v9, v13, v9
	v_div_scale_f32 v13, vcc_lo, v7, v6, v7
	v_mul_f32_e32 v14, v13, v9
	v_fma_f32 v15, -v8, v14, v13
	v_fmac_f32_e32 v14, v15, v9
	v_fma_f32 v8, -v8, v14, v13
	v_div_fmas_f32 v8, v8, v9, v14
                                        ; implicit-def: $vgpr9
	v_div_fixup_f32 v7, v8, v6, v7
                                        ; implicit-def: $vgpr8
	v_cmp_ngt_f32_e64 s20, 0x25000000, |v7|
                                        ; implicit-def: $vgpr7
	s_and_saveexec_b32 s17, s20
	s_cbranch_execz .LBB121_157
; %bb.161:                              ;   in Loop: Header=BB121_159 Depth=1
	v_div_scale_f32 v7, null, v3, v3, v11
	v_div_scale_f32 v13, vcc_lo, v11, v3, v11
	v_add_f32_e32 v12, 1.0, v12
	v_rcp_f32_e32 v8, v7
	s_add_u32 s6, s6, 8
	s_addc_u32 s7, s7, 0
	s_cmp_eq_u32 s6, 48
	s_cselect_b32 s18, -1, 0
	s_xor_b32 s19, exec_lo, -1
	s_orn2_b32 s18, s18, exec_lo
	v_fma_f32 v9, -v7, v8, 1.0
	v_fmac_f32_e32 v8, v9, v8
	v_mul_f32_e32 v9, v13, v8
	v_fma_f32 v14, -v7, v9, v13
	v_fmac_f32_e32 v9, v14, v8
	v_fma_f32 v7, -v7, v9, v13
	v_add_f32_e32 v13, v12, v4
	v_div_fmas_f32 v7, v7, v8, v9
	v_mul_f32_e32 v9, v13, v10
	v_add_f32_e32 v8, 1.0, v12
	v_div_fixup_f32 v7, v7, v3, v11
	s_branch .LBB121_157
.LBB121_162:
	s_mov_b32 s11, -1
	s_mov_b32 s13, exec_lo
	v_cmpx_eq_u16_e32 0x80, v3
; %bb.163:
	s_xor_b32 s11, exec_lo, -1
; %bb.164:
	s_or_b32 exec_lo, exec_lo, s13
	s_and_b32 s11, s11, exec_lo
	s_or_saveexec_b32 s12, s12
	v_mov_b32_e32 v4, 0x7f800001
	s_xor_b32 exec_lo, exec_lo, s12
	s_cbranch_execz .LBB121_126
.LBB121_165:
	v_cmp_ne_u16_e32 vcc_lo, 0, v3
	v_mov_b32_e32 v4, 0
	s_andn2_b32 s11, s11, exec_lo
	s_and_b32 s13, vcc_lo, exec_lo
	s_or_b32 s11, s11, s13
	s_or_b32 exec_lo, exec_lo, s12
	s_and_saveexec_b32 s12, s11
	s_cbranch_execnz .LBB121_127
	s_branch .LBB121_128
.LBB121_166:
	s_or_b32 exec_lo, exec_lo, s12
	s_xor_b32 s6, s13, -1
                                        ; implicit-def: $vgpr8
	s_and_saveexec_b32 s7, s6
	s_xor_b32 s6, exec_lo, s7
; %bb.167:
	v_bfe_u32 v3, v6, 16, 1
	v_cmp_o_f32_e32 vcc_lo, v6, v6
	v_add3_u32 v3, v6, v3, 0x7fff
	v_and_b32_e32 v3, 0xffff0000, v3
	v_cndmask_b32_e32 v8, 0x7fc00000, v3, vcc_lo
; %bb.168:
	s_andn2_saveexec_b32 s6, s6
; %bb.169:
	v_bfe_u32 v3, v6, 16, 1
	v_cmp_o_f32_e32 vcc_lo, v6, v6
	v_add3_u32 v3, v6, v3, 0x7fff
	v_and_b32_e32 v3, 0xffff0000, v3
	v_cndmask_b32_e32 v8, 0x7fc00000, v3, vcc_lo
; %bb.170:
	s_or_b32 exec_lo, exec_lo, s6
.LBB121_171:
	s_andn2_saveexec_b32 s5, s5
; %bb.172:
	v_bfe_u32 v3, v5, 16, 1
	v_cmp_o_f32_e32 vcc_lo, v5, v5
	v_add3_u32 v3, v5, v3, 0x7fff
	v_and_b32_e32 v3, 0xffff0000, v3
	v_cndmask_b32_e32 v8, 0x7fc00000, v3, vcc_lo
; %bb.173:
	s_or_b32 exec_lo, exec_lo, s5
.LBB121_174:
	s_or_b32 exec_lo, exec_lo, s11
.LBB121_175:
	s_or_b32 exec_lo, exec_lo, s10
.LBB121_176:
	s_or_b32 exec_lo, exec_lo, s9
	v_cmp_gt_f32_e64 s5, 0x4b000000, |v1|
	v_and_b32_e32 v0, 1, v0
	s_or_b32 vcc_lo, s4, s5
	v_cmp_class_f32_e64 s4, v1, 0x264
	v_cndmask_b32_e32 v2, 0x7f800000, v2, vcc_lo
	v_cmp_u_f32_e32 vcc_lo, v1, v1
	v_cndmask_b32_e64 v2, v2, 0x7f800000, s4
	v_cndmask_b32_e32 v1, v2, v1, vcc_lo
	v_mul_f32_e32 v2, 0x3fb8aa3b, v1
	v_cmp_ngt_f32_e32 vcc_lo, 0xc2ce8ed0, v1
	s_waitcnt vmcnt(0) lgkmcnt(0)
	v_fma_f32 v3, 0x3fb8aa3b, v1, -v2
	v_rndne_f32_e32 v4, v2
	v_fmamk_f32 v3, v1, 0x32a5705f, v3
	v_sub_f32_e32 v2, v2, v4
	v_add_f32_e32 v2, v2, v3
	v_cvt_i32_f32_e32 v3, v4
	v_exp_f32_e32 v2, v2
	v_ldexp_f32 v2, v2, v3
	v_cndmask_b32_e32 v2, 0, v2, vcc_lo
	v_cmp_eq_u32_e32 vcc_lo, 0, v0
	v_cndmask_b32_e64 v0, 1.0, -1.0, vcc_lo
	v_cmp_nlt_f32_e32 vcc_lo, 0x42b17218, v1
	v_cndmask_b32_e32 v1, 0x7f800000, v2, vcc_lo
	v_mul_f32_e32 v0, v1, v0
	v_mul_f32_e32 v0, v0, v8
	v_bfe_u32 v1, v0, 16, 1
	v_cmp_o_f32_e32 vcc_lo, v0, v0
	v_add3_u32 v0, v0, v1, 0x7fff
	v_mov_b32_e32 v1, 0x7fc0
	v_cndmask_b32_sdwa v1, v1, v0, vcc_lo dst_sel:DWORD dst_unused:UNUSED_PAD src0_sel:DWORD src1_sel:WORD_1
	s_or_b32 exec_lo, exec_lo, s8
	v_mov_b32_e32 v0, v1
	s_setpc_b64 s[30:31]
.LBB121_177:
	s_mov_b32 s11, -1
	s_mov_b32 s13, exec_lo
	v_cmpx_eq_u16_e32 0x80, v3
; %bb.178:
	s_xor_b32 s11, exec_lo, -1
; %bb.179:
	s_or_b32 exec_lo, exec_lo, s13
	s_and_b32 s11, s11, exec_lo
	s_or_saveexec_b32 s12, s12
	v_mov_b32_e32 v4, 0x7f800001
	s_xor_b32 exec_lo, exec_lo, s12
	s_cbranch_execz .LBB121_136
.LBB121_180:
	v_cmp_ne_u16_e32 vcc_lo, 0, v3
	v_mov_b32_e32 v4, 0
	s_andn2_b32 s11, s11, exec_lo
	s_and_b32 s13, vcc_lo, exec_lo
	s_or_b32 s11, s11, s13
	s_or_b32 exec_lo, exec_lo, s12
	s_and_saveexec_b32 s12, s11
	s_cbranch_execnz .LBB121_137
	s_branch .LBB121_138
.Lfunc_end121:
	.size	_ZN2at6native6invokeIZZZNS0_21polygamma_kernel_cudaERNS_18TensorIteratorBaseElENKUlvE_clEvENKUlvE2_clEvEUlN3c108BFloat16EE_j15function_traitsIS8_EEENT1_11result_typeERKT_PrKPcPKT0_PKNS6_10ScalarTypeEi, .Lfunc_end121-_ZN2at6native6invokeIZZZNS0_21polygamma_kernel_cudaERNS_18TensorIteratorBaseElENKUlvE_clEvENKUlvE2_clEvEUlN3c108BFloat16EE_j15function_traitsIS8_EEENT1_11result_typeERKT_PrKPcPKT0_PKNS6_10ScalarTypeEi
                                        ; -- End function
	.set .L_ZN2at6native6invokeIZZZNS0_21polygamma_kernel_cudaERNS_18TensorIteratorBaseElENKUlvE_clEvENKUlvE2_clEvEUlN3c108BFloat16EE_j15function_traitsIS8_EEENT1_11result_typeERKT_PrKPcPKT0_PKNS6_10ScalarTypeEi.num_vgpr, 21
	.set .L_ZN2at6native6invokeIZZZNS0_21polygamma_kernel_cudaERNS_18TensorIteratorBaseElENKUlvE_clEvENKUlvE2_clEvEUlN3c108BFloat16EE_j15function_traitsIS8_EEENT1_11result_typeERKT_PrKPcPKT0_PKNS6_10ScalarTypeEi.num_agpr, 0
	.set .L_ZN2at6native6invokeIZZZNS0_21polygamma_kernel_cudaERNS_18TensorIteratorBaseElENKUlvE_clEvENKUlvE2_clEvEUlN3c108BFloat16EE_j15function_traitsIS8_EEENT1_11result_typeERKT_PrKPcPKT0_PKNS6_10ScalarTypeEi.numbered_sgpr, 32
	.set .L_ZN2at6native6invokeIZZZNS0_21polygamma_kernel_cudaERNS_18TensorIteratorBaseElENKUlvE_clEvENKUlvE2_clEvEUlN3c108BFloat16EE_j15function_traitsIS8_EEENT1_11result_typeERKT_PrKPcPKT0_PKNS6_10ScalarTypeEi.num_named_barrier, 0
	.set .L_ZN2at6native6invokeIZZZNS0_21polygamma_kernel_cudaERNS_18TensorIteratorBaseElENKUlvE_clEvENKUlvE2_clEvEUlN3c108BFloat16EE_j15function_traitsIS8_EEENT1_11result_typeERKT_PrKPcPKT0_PKNS6_10ScalarTypeEi.private_seg_size, 0
	.set .L_ZN2at6native6invokeIZZZNS0_21polygamma_kernel_cudaERNS_18TensorIteratorBaseElENKUlvE_clEvENKUlvE2_clEvEUlN3c108BFloat16EE_j15function_traitsIS8_EEENT1_11result_typeERKT_PrKPcPKT0_PKNS6_10ScalarTypeEi.uses_vcc, 1
	.set .L_ZN2at6native6invokeIZZZNS0_21polygamma_kernel_cudaERNS_18TensorIteratorBaseElENKUlvE_clEvENKUlvE2_clEvEUlN3c108BFloat16EE_j15function_traitsIS8_EEENT1_11result_typeERKT_PrKPcPKT0_PKNS6_10ScalarTypeEi.uses_flat_scratch, 0
	.set .L_ZN2at6native6invokeIZZZNS0_21polygamma_kernel_cudaERNS_18TensorIteratorBaseElENKUlvE_clEvENKUlvE2_clEvEUlN3c108BFloat16EE_j15function_traitsIS8_EEENT1_11result_typeERKT_PrKPcPKT0_PKNS6_10ScalarTypeEi.has_dyn_sized_stack, 0
	.set .L_ZN2at6native6invokeIZZZNS0_21polygamma_kernel_cudaERNS_18TensorIteratorBaseElENKUlvE_clEvENKUlvE2_clEvEUlN3c108BFloat16EE_j15function_traitsIS8_EEENT1_11result_typeERKT_PrKPcPKT0_PKNS6_10ScalarTypeEi.has_recursion, 0
	.set .L_ZN2at6native6invokeIZZZNS0_21polygamma_kernel_cudaERNS_18TensorIteratorBaseElENKUlvE_clEvENKUlvE2_clEvEUlN3c108BFloat16EE_j15function_traitsIS8_EEENT1_11result_typeERKT_PrKPcPKT0_PKNS6_10ScalarTypeEi.has_indirect_call, 0
	.section	.AMDGPU.csdata,"",@progbits
; Function info:
; codeLenInByte = 8864
; TotalNumSgprs: 34
; NumVgprs: 21
; ScratchSize: 0
; MemoryBound: 0
	.section	.text._ZN2at6native32elementwise_kernel_manual_unrollILi128ELi4EZNS0_15gpu_kernel_implIZZZNS0_21polygamma_kernel_cudaERNS_18TensorIteratorBaseElENKUlvE_clEvENKUlvE2_clEvEUlN3c108BFloat16EE_EEvS4_RKT_EUlibE0_EEviT1_,"axG",@progbits,_ZN2at6native32elementwise_kernel_manual_unrollILi128ELi4EZNS0_15gpu_kernel_implIZZZNS0_21polygamma_kernel_cudaERNS_18TensorIteratorBaseElENKUlvE_clEvENKUlvE2_clEvEUlN3c108BFloat16EE_EEvS4_RKT_EUlibE0_EEviT1_,comdat
	.globl	_ZN2at6native32elementwise_kernel_manual_unrollILi128ELi4EZNS0_15gpu_kernel_implIZZZNS0_21polygamma_kernel_cudaERNS_18TensorIteratorBaseElENKUlvE_clEvENKUlvE2_clEvEUlN3c108BFloat16EE_EEvS4_RKT_EUlibE0_EEviT1_ ; -- Begin function _ZN2at6native32elementwise_kernel_manual_unrollILi128ELi4EZNS0_15gpu_kernel_implIZZZNS0_21polygamma_kernel_cudaERNS_18TensorIteratorBaseElENKUlvE_clEvENKUlvE2_clEvEUlN3c108BFloat16EE_EEvS4_RKT_EUlibE0_EEviT1_
	.p2align	8
	.type	_ZN2at6native32elementwise_kernel_manual_unrollILi128ELi4EZNS0_15gpu_kernel_implIZZZNS0_21polygamma_kernel_cudaERNS_18TensorIteratorBaseElENKUlvE_clEvENKUlvE2_clEvEUlN3c108BFloat16EE_EEvS4_RKT_EUlibE0_EEviT1_,@function
_ZN2at6native32elementwise_kernel_manual_unrollILi128ELi4EZNS0_15gpu_kernel_implIZZZNS0_21polygamma_kernel_cudaERNS_18TensorIteratorBaseElENKUlvE_clEvENKUlvE2_clEvEUlN3c108BFloat16EE_EEvS4_RKT_EUlibE0_EEviT1_: ; @_ZN2at6native32elementwise_kernel_manual_unrollILi128ELi4EZNS0_15gpu_kernel_implIZZZNS0_21polygamma_kernel_cudaERNS_18TensorIteratorBaseElENKUlvE_clEvENKUlvE2_clEvEUlN3c108BFloat16EE_EEvS4_RKT_EUlibE0_EEviT1_
; %bb.0:
	s_clause 0x1
	s_load_dword s21, s[4:5], 0x8
	s_load_dword s54, s[4:5], 0x0
	v_lshl_or_b32 v23, s6, 9, v0
	s_add_u32 s0, s0, s7
	s_mov_b64 s[22:23], s[4:5]
	s_addc_u32 s1, s1, 0
	s_add_u32 s28, s22, 8
	s_addc_u32 s29, s23, 0
	v_or_b32_e32 v3, 0x180, v23
	s_mov_b32 s4, -1
	s_mov_b32 s48, 0
	s_mov_b32 s34, 0
	;; [unrolled: 1-line block ×3, first 2 shown]
	s_mov_b32 s5, exec_lo
	s_waitcnt lgkmcnt(0)
	s_add_i32 s33, s21, -1
	s_cmp_gt_u32 s33, 1
	s_cselect_b32 s49, -1, 0
	v_cmpx_le_i32_e64 s54, v3
	s_xor_b32 s50, exec_lo, s5
	s_cbranch_execz .LBB122_570
; %bb.1:
	s_clause 0x5
	s_load_dwordx2 s[34:35], s[28:29], 0x158
	s_load_dword s51, s[28:29], 0x160
	s_load_dwordx4 s[40:43], s[28:29], 0x4
	s_load_dwordx2 s[44:45], s[28:29], 0x14
	s_load_dwordx4 s[36:39], s[28:29], 0xc4
	s_load_dwordx4 s[24:27], s[28:29], 0x148
	s_cmp_lg_u32 s21, 0
	s_mov_b32 s59, 0
	s_cselect_b32 s56, -1, 0
	s_add_u32 s46, s28, 0xc4
	s_addc_u32 s47, s29, 0
	s_min_u32 s55, s33, 15
	s_cmp_gt_u32 s21, 1
	s_mov_b32 s57, 0
	s_cselect_b32 s53, -1, 0
	s_mov_b32 s58, exec_lo
	s_waitcnt lgkmcnt(0)
	s_bfe_u32 s52, s51, 0x80008
	v_cmpx_gt_i32_e64 s54, v23
	s_cbranch_execz .LBB122_138
; %bb.2:
	s_andn2_b32 vcc_lo, exec_lo, s49
	s_cbranch_vccnz .LBB122_7
; %bb.3:
	s_andn2_b32 vcc_lo, exec_lo, s56
	s_cbranch_vccnz .LBB122_8
; %bb.4:
	s_add_i32 s9, s55, 1
	s_cmp_eq_u32 s33, 2
	s_cbranch_scc1 .LBB122_9
; %bb.5:
	v_mov_b32_e32 v4, 0
	v_mov_b32_e32 v21, 0
	;; [unrolled: 1-line block ×3, first 2 shown]
	s_and_b32 s8, s9, 28
	s_mov_b32 s10, 0
	s_mov_b64 s[4:5], s[28:29]
	s_mov_b64 s[6:7], s[46:47]
.LBB122_6:                              ; =>This Inner Loop Header: Depth=1
	s_clause 0x1
	s_load_dwordx8 s[12:19], s[4:5], 0x4
	s_load_dwordx4 s[68:71], s[4:5], 0x24
	s_load_dwordx8 s[60:67], s[6:7], 0x0
	s_add_u32 s4, s4, 48
	s_addc_u32 s5, s5, 0
	s_add_i32 s10, s10, 4
	s_add_u32 s6, s6, 32
	s_addc_u32 s7, s7, 0
	s_cmp_lg_u32 s8, s10
	s_waitcnt lgkmcnt(0)
	v_mul_hi_u32 v1, s13, v0
	v_add_nc_u32_e32 v1, v0, v1
	v_lshrrev_b32_e32 v1, s14, v1
	v_mul_hi_u32 v2, s16, v1
	v_mul_lo_u32 v5, v1, s12
	v_add_nc_u32_e32 v2, v1, v2
	v_sub_nc_u32_e32 v0, v0, v5
	v_lshrrev_b32_e32 v2, s17, v2
	v_mul_lo_u32 v5, v0, s60
	v_mul_lo_u32 v7, v0, s61
	v_mul_hi_u32 v3, s19, v2
	v_add_nc_u32_e32 v3, v2, v3
	v_lshrrev_b32_e32 v3, s68, v3
	v_mul_hi_u32 v6, s70, v3
	v_mul_lo_u32 v8, v3, s18
	v_add_nc_u32_e32 v0, v3, v6
	v_mul_lo_u32 v6, v2, s15
	v_sub_nc_u32_e32 v2, v2, v8
	v_lshrrev_b32_e32 v0, s71, v0
	v_mul_lo_u32 v8, v2, s64
	v_mul_lo_u32 v2, v2, s65
	v_sub_nc_u32_e32 v1, v1, v6
	v_mul_lo_u32 v9, v0, s69
	v_mul_lo_u32 v6, v1, s62
	;; [unrolled: 1-line block ×3, first 2 shown]
	v_sub_nc_u32_e32 v3, v3, v9
	v_add3_u32 v5, v5, v21, v6
	v_mul_lo_u32 v9, v3, s66
	v_mul_lo_u32 v3, v3, s67
	v_add3_u32 v1, v7, v4, v1
	v_add3_u32 v21, v8, v5, v9
	;; [unrolled: 1-line block ×3, first 2 shown]
	s_cbranch_scc1 .LBB122_6
	s_branch .LBB122_10
.LBB122_7:
                                        ; implicit-def: $vgpr21
                                        ; implicit-def: $vgpr4
	s_andn2_b32 vcc_lo, exec_lo, s4
	s_cbranch_vccz .LBB122_14
	s_branch .LBB122_16
.LBB122_8:
	v_mov_b32_e32 v21, 0
	v_mov_b32_e32 v4, 0
	s_branch .LBB122_13
.LBB122_9:
	v_mov_b32_e32 v21, 0
	v_mov_b32_e32 v4, 0
	;; [unrolled: 1-line block ×3, first 2 shown]
	s_mov_b32 s8, 0
.LBB122_10:
	s_and_b32 s9, s9, 3
	s_cmp_eq_u32 s9, 0
	s_cbranch_scc1 .LBB122_13
; %bb.11:
	s_lshl_b32 s4, s8, 3
	s_mul_i32 s6, s8, 12
	s_add_u32 s4, s28, s4
	s_addc_u32 s5, s29, 0
	s_add_u32 s4, s4, 0xc4
	s_addc_u32 s5, s5, 0
	;; [unrolled: 2-line block ×3, first 2 shown]
	.p2align	6
.LBB122_12:                             ; =>This Inner Loop Header: Depth=1
	s_clause 0x1
	s_load_dwordx2 s[10:11], s[6:7], 0x4
	s_load_dword s8, s[6:7], 0xc
	s_load_dwordx2 s[12:13], s[4:5], 0x0
	s_add_u32 s6, s6, 12
	s_addc_u32 s7, s7, 0
	s_add_u32 s4, s4, 8
	s_addc_u32 s5, s5, 0
	s_add_i32 s9, s9, -1
	s_cmp_lg_u32 s9, 0
	s_waitcnt lgkmcnt(0)
	v_mul_hi_u32 v1, s11, v0
	v_add_nc_u32_e32 v1, v0, v1
	v_lshrrev_b32_e32 v1, s8, v1
	v_mul_lo_u32 v2, v1, s10
	v_sub_nc_u32_e32 v0, v0, v2
	v_mad_u64_u32 v[21:22], null, v0, s12, v[21:22]
	v_mad_u64_u32 v[4:5], null, v0, s13, v[4:5]
	v_mov_b32_e32 v0, v1
	s_cbranch_scc1 .LBB122_12
.LBB122_13:
	s_cbranch_execnz .LBB122_16
.LBB122_14:
	v_mul_hi_u32 v0, s41, v23
	s_andn2_b32 vcc_lo, exec_lo, s53
	v_add_nc_u32_e32 v0, v23, v0
	v_lshrrev_b32_e32 v0, s42, v0
	v_mul_lo_u32 v1, v0, s40
	v_sub_nc_u32_e32 v1, v23, v1
	v_mul_lo_u32 v21, v1, s36
	v_mul_lo_u32 v4, v1, s37
	s_cbranch_vccnz .LBB122_16
; %bb.15:
	v_mul_hi_u32 v1, s44, v0
	v_add_nc_u32_e32 v1, v0, v1
	v_lshrrev_b32_e32 v1, s45, v1
	v_mul_lo_u32 v1, v1, s43
	v_sub_nc_u32_e32 v0, v0, v1
	v_mad_u64_u32 v[21:22], null, v0, s38, v[21:22]
	v_mad_u64_u32 v[4:5], null, v0, s39, v[4:5]
.LBB122_16:
	v_mov_b32_e32 v0, s34
	v_mov_b32_e32 v1, s35
	;; [unrolled: 1-line block ×5, first 2 shown]
	s_getpc_b64 s[4:5]
	s_add_u32 s4, s4, _ZN2at6native6invokeIZZZNS0_21polygamma_kernel_cudaERNS_18TensorIteratorBaseElENKUlvE_clEvENKUlvE2_clEvEUlN3c108BFloat16EE_j15function_traitsIS8_EEENT1_11result_typeERKT_PrKPcPKT0_PKNS6_10ScalarTypeEi@rel32@lo+4
	s_addc_u32 s5, s5, _ZN2at6native6invokeIZZZNS0_21polygamma_kernel_cudaERNS_18TensorIteratorBaseElENKUlvE_clEvENKUlvE2_clEvEUlN3c108BFloat16EE_j15function_traitsIS8_EEENT1_11result_typeERKT_PrKPcPKT0_PKNS6_10ScalarTypeEi@rel32@hi+12
	s_swappc_b64 s[30:31], s[4:5]
	v_add_co_u32 v1, s4, s24, v21
	v_add_co_ci_u32_e64 v2, null, s25, 0, s4
	s_and_b32 s5, s51, 0xff
	s_cmp_lt_i32 s5, 11
	s_cbranch_scc1 .LBB122_23
; %bb.17:
	s_and_b32 s6, 0xffff, s5
	s_cmp_gt_i32 s6, 25
	s_cbranch_scc0 .LBB122_26
; %bb.18:
	s_cmp_gt_i32 s6, 28
	s_cbranch_scc0 .LBB122_27
; %bb.19:
	;; [unrolled: 3-line block ×4, first 2 shown]
	s_mov_b32 s8, 0
	s_mov_b32 s4, -1
	s_cmp_eq_u32 s6, 46
	s_mov_b32 s7, 0
	s_cbranch_scc0 .LBB122_30
; %bb.22:
	v_and_b32_e32 v3, 0xffff, v0
	s_mov_b32 s7, -1
	s_mov_b32 s4, 0
	global_store_dword v[1:2], v3, off
	s_branch .LBB122_30
.LBB122_23:
	s_mov_b32 s4, 0
	s_mov_b32 s7, 0
	s_cbranch_execnz .LBB122_98
.LBB122_24:
	s_andn2_b32 vcc_lo, exec_lo, s7
	s_cbranch_vccnz .LBB122_136
.LBB122_25:
	v_add_nc_u32_e32 v23, 0x80, v23
	s_mov_b32 s5, -1
	s_branch .LBB122_137
.LBB122_26:
	s_mov_b32 s4, 0
	s_mov_b32 s7, 0
	s_cbranch_execnz .LBB122_57
	s_branch .LBB122_97
.LBB122_27:
	s_mov_b32 s8, -1
	s_mov_b32 s4, 0
	s_mov_b32 s7, 0
	s_branch .LBB122_40
.LBB122_28:
	s_mov_b32 s8, -1
	s_mov_b32 s4, 0
	s_mov_b32 s7, 0
	s_branch .LBB122_36
.LBB122_29:
	s_mov_b32 s8, -1
	s_mov_b32 s4, 0
	s_mov_b32 s7, 0
.LBB122_30:
	s_and_b32 vcc_lo, exec_lo, s8
	s_cbranch_vccz .LBB122_35
; %bb.31:
	s_cmp_eq_u32 s6, 44
	s_mov_b32 s4, -1
	s_cbranch_scc0 .LBB122_35
; %bb.32:
	v_and_b32_e32 v3, 0xffff, v0
	v_mov_b32_e32 v4, 0xff
	s_mov_b32 s7, exec_lo
	v_bfe_u32 v5, v3, 7, 8
	v_cmpx_ne_u32_e32 0xff, v5
	s_cbranch_execz .LBB122_34
; %bb.33:
	v_lshlrev_b32_e32 v4, 16, v3
	v_and_b32_e32 v6, 64, v3
	v_lshrrev_b32_e32 v3, 7, v3
	v_and_or_b32 v4, 0x3f0000, v4, v5
	v_cmp_ne_u32_e32 vcc_lo, 0, v6
	v_cmp_ne_u32_e64 s4, 0, v4
	s_and_b32 s4, vcc_lo, s4
	v_cndmask_b32_e64 v4, 0, 1, s4
	v_add_nc_u32_e32 v4, v3, v4
.LBB122_34:
	s_or_b32 exec_lo, exec_lo, s7
	s_mov_b32 s7, -1
	s_mov_b32 s4, 0
	global_store_byte v[1:2], v4, off
.LBB122_35:
	s_mov_b32 s8, 0
.LBB122_36:
	s_and_b32 vcc_lo, exec_lo, s8
	s_cbranch_vccz .LBB122_39
; %bb.37:
	s_cmp_eq_u32 s6, 29
	s_mov_b32 s4, -1
	s_cbranch_scc0 .LBB122_39
; %bb.38:
	v_lshlrev_b32_e32 v3, 16, v0
	s_mov_b32 s7, -1
	s_mov_b32 s4, 0
	s_mov_b32 s8, 0
	v_trunc_f32_e32 v3, v3
	v_mul_f32_e32 v4, 0x2f800000, v3
	v_floor_f32_e32 v4, v4
	v_fmamk_f32 v3, v4, 0xcf800000, v3
	v_cvt_u32_f32_e32 v4, v4
	v_cvt_u32_f32_e32 v3, v3
	global_store_dwordx2 v[1:2], v[3:4], off
	s_branch .LBB122_40
.LBB122_39:
	s_mov_b32 s8, 0
.LBB122_40:
	s_and_b32 vcc_lo, exec_lo, s8
	s_cbranch_vccz .LBB122_56
; %bb.41:
	s_cmp_lt_i32 s6, 27
	s_mov_b32 s7, -1
	s_cbranch_scc1 .LBB122_47
; %bb.42:
	s_cmp_gt_i32 s6, 27
	s_cbranch_scc0 .LBB122_44
; %bb.43:
	v_lshlrev_b32_e32 v3, 16, v0
	s_mov_b32 s7, 0
	v_cvt_u32_f32_e32 v3, v3
	global_store_dword v[1:2], v3, off
.LBB122_44:
	s_andn2_b32 vcc_lo, exec_lo, s7
	s_cbranch_vccnz .LBB122_46
; %bb.45:
	v_lshlrev_b32_e32 v3, 16, v0
	v_cvt_u32_f32_e32 v3, v3
	global_store_short v[1:2], v3, off
.LBB122_46:
	s_mov_b32 s7, 0
.LBB122_47:
	s_andn2_b32 vcc_lo, exec_lo, s7
	s_cbranch_vccnz .LBB122_55
; %bb.48:
	v_lshlrev_b32_e32 v5, 16, v0
	v_mov_b32_e32 v6, 0x80
	s_mov_b32 s7, exec_lo
	v_and_b32_e32 v4, 0x7fffffff, v5
	v_cmpx_gt_u32_e32 0x43800000, v4
	s_cbranch_execz .LBB122_54
; %bb.49:
	v_and_b32_e32 v3, 0xffff, v0
	v_cmp_lt_u32_e32 vcc_lo, 0x3bffffff, v4
	s_mov_b32 s8, 0
                                        ; implicit-def: $vgpr4
	s_and_saveexec_b32 s9, vcc_lo
	s_xor_b32 s9, exec_lo, s9
	s_cbranch_execz .LBB122_169
; %bb.50:
	v_bfe_u32 v4, v3, 4, 1
	s_mov_b32 s8, exec_lo
	v_add3_u32 v4, v5, v4, 0x487ffff
                                        ; implicit-def: $vgpr5
	v_lshrrev_b32_e32 v4, 20, v4
	s_andn2_saveexec_b32 s9, s9
	s_cbranch_execnz .LBB122_170
.LBB122_51:
	s_or_b32 exec_lo, exec_lo, s9
	v_mov_b32_e32 v6, 0
	s_and_saveexec_b32 s9, s8
.LBB122_52:
	v_lshrrev_b32_e32 v3, 8, v3
	v_and_or_b32 v6, 0x80, v3, v4
.LBB122_53:
	s_or_b32 exec_lo, exec_lo, s9
.LBB122_54:
	s_or_b32 exec_lo, exec_lo, s7
	global_store_byte v[1:2], v6, off
.LBB122_55:
	s_mov_b32 s7, -1
.LBB122_56:
	s_branch .LBB122_97
.LBB122_57:
	s_cmp_gt_i32 s6, 22
	s_mov_b32 s8, -1
	s_cbranch_scc0 .LBB122_89
; %bb.58:
	s_cmp_lt_i32 s6, 24
	s_mov_b32 s7, -1
	s_cbranch_scc1 .LBB122_78
; %bb.59:
	s_cmp_gt_i32 s6, 24
	s_cbranch_scc0 .LBB122_67
; %bb.60:
	v_lshlrev_b32_e32 v5, 16, v0
	v_mov_b32_e32 v6, 0x80
	s_mov_b32 s7, exec_lo
	v_and_b32_e32 v4, 0x7fffffff, v5
	v_cmpx_gt_u32_e32 0x47800000, v4
	s_cbranch_execz .LBB122_66
; %bb.61:
	v_and_b32_e32 v3, 0xffff, v0
	v_cmp_lt_u32_e32 vcc_lo, 0x37ffffff, v4
	s_mov_b32 s8, 0
                                        ; implicit-def: $vgpr4
	s_and_saveexec_b32 s9, vcc_lo
	s_xor_b32 s9, exec_lo, s9
	s_cbranch_execz .LBB122_172
; %bb.62:
	v_bfe_u32 v4, v3, 5, 1
	s_mov_b32 s8, exec_lo
	v_add3_u32 v4, v5, v4, 0x88fffff
                                        ; implicit-def: $vgpr5
	v_lshrrev_b32_e32 v4, 21, v4
	s_andn2_saveexec_b32 s9, s9
	s_cbranch_execnz .LBB122_173
.LBB122_63:
	s_or_b32 exec_lo, exec_lo, s9
	v_mov_b32_e32 v6, 0
	s_and_saveexec_b32 s9, s8
.LBB122_64:
	v_lshrrev_b32_e32 v3, 8, v3
	v_and_or_b32 v6, 0x80, v3, v4
.LBB122_65:
	s_or_b32 exec_lo, exec_lo, s9
.LBB122_66:
	s_or_b32 exec_lo, exec_lo, s7
	s_mov_b32 s7, 0
	global_store_byte v[1:2], v6, off
.LBB122_67:
	s_and_b32 vcc_lo, exec_lo, s7
	s_cbranch_vccz .LBB122_77
; %bb.68:
	v_lshlrev_b32_e32 v5, 16, v0
	v_and_b32_e32 v3, 0xffff, v0
	s_mov_b32 s7, exec_lo
                                        ; implicit-def: $vgpr4
	v_and_b32_e32 v6, 0x7fffffff, v5
	v_cmpx_gt_u32_e32 0x43f00000, v6
	s_xor_b32 s7, exec_lo, s7
	s_cbranch_execz .LBB122_74
; %bb.69:
	s_mov_b32 s8, exec_lo
                                        ; implicit-def: $vgpr4
	v_cmpx_lt_u32_e32 0x3c7fffff, v6
	s_xor_b32 s8, exec_lo, s8
; %bb.70:
	v_bfe_u32 v4, v3, 4, 1
	v_add3_u32 v4, v5, v4, 0x407ffff
	v_and_b32_e32 v5, 0xff00000, v4
	v_lshrrev_b32_e32 v4, 20, v4
	v_cmp_ne_u32_e32 vcc_lo, 0x7f00000, v5
                                        ; implicit-def: $vgpr5
	v_cndmask_b32_e32 v4, 0x7e, v4, vcc_lo
; %bb.71:
	s_andn2_saveexec_b32 s8, s8
; %bb.72:
	v_add_f32_e64 v4, 0x46800000, |v5|
; %bb.73:
	s_or_b32 exec_lo, exec_lo, s8
                                        ; implicit-def: $vgpr6
.LBB122_74:
	s_andn2_saveexec_b32 s7, s7
; %bb.75:
	v_mov_b32_e32 v4, 0x7f
	v_cmp_lt_u32_e32 vcc_lo, 0x7f800000, v6
	v_cndmask_b32_e32 v4, 0x7e, v4, vcc_lo
; %bb.76:
	s_or_b32 exec_lo, exec_lo, s7
	v_lshrrev_b32_e32 v3, 8, v3
	v_and_or_b32 v3, 0x80, v3, v4
	global_store_byte v[1:2], v3, off
.LBB122_77:
	s_mov_b32 s7, 0
.LBB122_78:
	s_andn2_b32 vcc_lo, exec_lo, s7
	s_cbranch_vccnz .LBB122_88
; %bb.79:
	v_lshlrev_b32_e32 v5, 16, v0
	v_and_b32_e32 v3, 0xffff, v0
	s_mov_b32 s7, exec_lo
                                        ; implicit-def: $vgpr4
	v_and_b32_e32 v6, 0x7fffffff, v5
	v_cmpx_gt_u32_e32 0x47800000, v6
	s_xor_b32 s7, exec_lo, s7
	s_cbranch_execz .LBB122_85
; %bb.80:
	s_mov_b32 s8, exec_lo
                                        ; implicit-def: $vgpr4
	v_cmpx_lt_u32_e32 0x387fffff, v6
	s_xor_b32 s8, exec_lo, s8
; %bb.81:
	v_bfe_u32 v4, v3, 5, 1
	v_add3_u32 v4, v5, v4, 0x80fffff
                                        ; implicit-def: $vgpr5
	v_lshrrev_b32_e32 v4, 21, v4
; %bb.82:
	s_andn2_saveexec_b32 s8, s8
; %bb.83:
	v_add_f32_e64 v4, 0x43000000, |v5|
; %bb.84:
	s_or_b32 exec_lo, exec_lo, s8
                                        ; implicit-def: $vgpr6
.LBB122_85:
	s_andn2_saveexec_b32 s7, s7
; %bb.86:
	v_mov_b32_e32 v4, 0x7f
	v_cmp_lt_u32_e32 vcc_lo, 0x7f800000, v6
	v_cndmask_b32_e32 v4, 0x7c, v4, vcc_lo
; %bb.87:
	s_or_b32 exec_lo, exec_lo, s7
	v_lshrrev_b32_e32 v3, 8, v3
	v_and_or_b32 v3, 0x80, v3, v4
	global_store_byte v[1:2], v3, off
.LBB122_88:
	s_mov_b32 s8, 0
	s_mov_b32 s7, -1
.LBB122_89:
	s_andn2_b32 vcc_lo, exec_lo, s8
	s_cbranch_vccnz .LBB122_97
; %bb.90:
	s_cmp_gt_i32 s6, 14
	s_mov_b32 s8, -1
	s_cbranch_scc0 .LBB122_94
; %bb.91:
	s_cmp_eq_u32 s6, 15
	s_mov_b32 s4, -1
	s_cbranch_scc0 .LBB122_93
; %bb.92:
	s_mov_b32 s7, -1
	s_mov_b32 s4, 0
	global_store_short v[1:2], v0, off
.LBB122_93:
	s_mov_b32 s8, 0
.LBB122_94:
	s_and_b32 vcc_lo, exec_lo, s8
	s_cbranch_vccz .LBB122_97
; %bb.95:
	s_cmp_eq_u32 s6, 11
	s_mov_b32 s4, -1
	s_cbranch_scc0 .LBB122_97
; %bb.96:
	v_and_b32_e32 v3, 0x7fff, v0
	s_mov_b32 s4, 0
	s_mov_b32 s7, -1
	v_cmp_ne_u16_e32 vcc_lo, 0, v3
	v_cndmask_b32_e64 v3, 0, 1, vcc_lo
	global_store_byte v[1:2], v3, off
.LBB122_97:
	s_branch .LBB122_24
.LBB122_98:
	s_and_b32 s5, 0xffff, s5
	s_mov_b32 s6, -1
	s_cmp_lt_i32 s5, 5
	s_cbranch_scc1 .LBB122_119
; %bb.99:
	s_cmp_lt_i32 s5, 8
	s_cbranch_scc1 .LBB122_109
; %bb.100:
	;; [unrolled: 3-line block ×3, first 2 shown]
	s_cmp_gt_i32 s5, 9
	s_cbranch_scc0 .LBB122_103
; %bb.102:
	v_lshlrev_b32_e32 v3, 16, v0
	v_mov_b32_e32 v5, 0
	s_mov_b32 s6, 0
	v_cvt_f64_f32_e32 v[3:4], v3
	v_mov_b32_e32 v6, v5
	global_store_dwordx4 v[1:2], v[3:6], off
.LBB122_103:
	s_andn2_b32 vcc_lo, exec_lo, s6
	s_cbranch_vccnz .LBB122_105
; %bb.104:
	v_lshlrev_b32_e32 v3, 16, v0
	v_mov_b32_e32 v4, 0
	global_store_dwordx2 v[1:2], v[3:4], off
.LBB122_105:
	s_mov_b32 s6, 0
.LBB122_106:
	s_andn2_b32 vcc_lo, exec_lo, s6
	s_cbranch_vccnz .LBB122_108
; %bb.107:
	v_lshlrev_b32_e32 v3, 16, v0
	v_cvt_f16_f32_e32 v3, v3
	v_and_b32_e32 v3, 0xffff, v3
	global_store_dword v[1:2], v3, off
.LBB122_108:
	s_mov_b32 s6, 0
.LBB122_109:
	s_andn2_b32 vcc_lo, exec_lo, s6
	s_cbranch_vccnz .LBB122_118
; %bb.110:
	s_cmp_lt_i32 s5, 6
	s_mov_b32 s6, -1
	s_cbranch_scc1 .LBB122_116
; %bb.111:
	s_cmp_gt_i32 s5, 6
	s_cbranch_scc0 .LBB122_113
; %bb.112:
	v_lshlrev_b32_e32 v3, 16, v0
	s_mov_b32 s6, 0
	v_cvt_f64_f32_e32 v[3:4], v3
	global_store_dwordx2 v[1:2], v[3:4], off
.LBB122_113:
	s_andn2_b32 vcc_lo, exec_lo, s6
	s_cbranch_vccnz .LBB122_115
; %bb.114:
	v_lshlrev_b32_e32 v3, 16, v0
	global_store_dword v[1:2], v3, off
.LBB122_115:
	s_mov_b32 s6, 0
.LBB122_116:
	s_andn2_b32 vcc_lo, exec_lo, s6
	s_cbranch_vccnz .LBB122_118
; %bb.117:
	v_lshlrev_b32_e32 v3, 16, v0
	v_cvt_f16_f32_e32 v3, v3
	global_store_short v[1:2], v3, off
.LBB122_118:
	s_mov_b32 s6, 0
.LBB122_119:
	s_andn2_b32 vcc_lo, exec_lo, s6
	s_cbranch_vccnz .LBB122_135
; %bb.120:
	s_cmp_lt_i32 s5, 2
	s_mov_b32 s6, -1
	s_cbranch_scc1 .LBB122_130
; %bb.121:
	s_cmp_lt_i32 s5, 3
	s_cbranch_scc1 .LBB122_127
; %bb.122:
	s_cmp_gt_i32 s5, 3
	s_cbranch_scc0 .LBB122_124
; %bb.123:
	v_lshlrev_b32_e32 v3, 16, v0
	s_mov_b32 s6, 0
	v_trunc_f32_e32 v3, v3
	v_mul_f32_e64 v4, 0x2f800000, |v3|
	v_ashrrev_i32_e32 v6, 31, v3
	v_floor_f32_e32 v4, v4
	v_fma_f32 v5, 0xcf800000, v4, |v3|
	v_cvt_u32_f32_e32 v4, v4
	v_cvt_u32_f32_e32 v3, v5
	v_xor_b32_e32 v4, v4, v6
	v_xor_b32_e32 v3, v3, v6
	v_sub_co_u32 v3, vcc_lo, v3, v6
	v_sub_co_ci_u32_e64 v4, null, v4, v6, vcc_lo
	global_store_dwordx2 v[1:2], v[3:4], off
.LBB122_124:
	s_andn2_b32 vcc_lo, exec_lo, s6
	s_cbranch_vccnz .LBB122_126
; %bb.125:
	v_lshlrev_b32_e32 v3, 16, v0
	v_cvt_i32_f32_e32 v3, v3
	global_store_dword v[1:2], v3, off
.LBB122_126:
	s_mov_b32 s6, 0
.LBB122_127:
	s_andn2_b32 vcc_lo, exec_lo, s6
	s_cbranch_vccnz .LBB122_129
; %bb.128:
	v_lshlrev_b32_e32 v3, 16, v0
	v_cvt_i32_f32_e32 v3, v3
	global_store_short v[1:2], v3, off
.LBB122_129:
	s_mov_b32 s6, 0
.LBB122_130:
	s_andn2_b32 vcc_lo, exec_lo, s6
	s_cbranch_vccnz .LBB122_135
; %bb.131:
	s_cmp_gt_i32 s5, 0
	s_mov_b32 s5, -1
	s_cbranch_scc0 .LBB122_133
; %bb.132:
	v_lshlrev_b32_e32 v3, 16, v0
	s_mov_b32 s5, 0
	v_cvt_i32_f32_e32 v3, v3
	global_store_byte v[1:2], v3, off
.LBB122_133:
	s_andn2_b32 vcc_lo, exec_lo, s5
	s_cbranch_vccnz .LBB122_135
; %bb.134:
	v_lshlrev_b32_e32 v0, 16, v0
	v_trunc_f32_e32 v0, v0
	v_mul_f32_e64 v3, 0x2f800000, |v0|
	v_floor_f32_e32 v3, v3
	v_fma_f32 v3, 0xcf800000, v3, |v0|
	v_ashrrev_i32_e32 v0, 31, v0
	v_cvt_u32_f32_e32 v3, v3
	v_xor_b32_e32 v3, v3, v0
	v_sub_nc_u32_e32 v0, v3, v0
	global_store_byte v[1:2], v0, off
.LBB122_135:
	s_branch .LBB122_25
.LBB122_136:
	s_mov_b32 s5, 0
                                        ; implicit-def: $vgpr23
.LBB122_137:
	s_and_b32 s57, s4, exec_lo
	s_orn2_b32 s4, s5, exec_lo
.LBB122_138:
	s_or_b32 exec_lo, exec_lo, s58
	s_mov_b32 s6, 0
                                        ; implicit-def: $sgpr5
                                        ; implicit-def: $vgpr1_vgpr2
                                        ; implicit-def: $vgpr0
	s_and_saveexec_b32 s58, s4
	s_cbranch_execz .LBB122_145
; %bb.139:
	s_mov_b32 s7, -1
	s_mov_b32 s59, s57
	s_mov_b32 s60, exec_lo
	v_cmpx_gt_i32_e64 s54, v23
	s_cbranch_execz .LBB122_284
; %bb.140:
	s_andn2_b32 vcc_lo, exec_lo, s49
	s_cbranch_vccnz .LBB122_148
; %bb.141:
	s_andn2_b32 vcc_lo, exec_lo, s56
	s_cbranch_vccnz .LBB122_149
; %bb.142:
	s_add_i32 s9, s55, 1
	s_cmp_eq_u32 s33, 2
	s_cbranch_scc1 .LBB122_150
; %bb.143:
	v_mov_b32_e32 v4, 0
	v_mov_b32_e32 v21, 0
	;; [unrolled: 1-line block ×3, first 2 shown]
	s_and_b32 s8, s9, 28
	s_mov_b32 s10, 0
	s_mov_b64 s[4:5], s[28:29]
	s_mov_b64 s[6:7], s[46:47]
.LBB122_144:                            ; =>This Inner Loop Header: Depth=1
	s_clause 0x1
	s_load_dwordx8 s[12:19], s[4:5], 0x4
	s_load_dwordx4 s[72:75], s[4:5], 0x24
	s_load_dwordx8 s[64:71], s[6:7], 0x0
	s_add_u32 s4, s4, 48
	s_addc_u32 s5, s5, 0
	s_add_i32 s10, s10, 4
	s_add_u32 s6, s6, 32
	s_addc_u32 s7, s7, 0
	s_cmp_eq_u32 s8, s10
	s_waitcnt lgkmcnt(0)
	v_mul_hi_u32 v1, s13, v0
	v_add_nc_u32_e32 v1, v0, v1
	v_lshrrev_b32_e32 v1, s14, v1
	v_mul_hi_u32 v2, s16, v1
	v_mul_lo_u32 v5, v1, s12
	v_add_nc_u32_e32 v2, v1, v2
	v_sub_nc_u32_e32 v0, v0, v5
	v_lshrrev_b32_e32 v2, s17, v2
	v_mul_lo_u32 v5, v0, s64
	v_mul_lo_u32 v7, v0, s65
	v_mul_hi_u32 v3, s19, v2
	v_add_nc_u32_e32 v3, v2, v3
	v_lshrrev_b32_e32 v3, s72, v3
	v_mul_hi_u32 v6, s74, v3
	v_mul_lo_u32 v8, v3, s18
	v_add_nc_u32_e32 v0, v3, v6
	v_mul_lo_u32 v6, v2, s15
	v_sub_nc_u32_e32 v2, v2, v8
	v_lshrrev_b32_e32 v0, s75, v0
	v_mul_lo_u32 v8, v2, s68
	v_mul_lo_u32 v2, v2, s69
	v_sub_nc_u32_e32 v1, v1, v6
	v_mul_lo_u32 v9, v0, s73
	v_mul_lo_u32 v6, v1, s66
	v_mul_lo_u32 v1, v1, s67
	v_sub_nc_u32_e32 v3, v3, v9
	v_add3_u32 v5, v5, v21, v6
	v_mul_lo_u32 v9, v3, s70
	v_mul_lo_u32 v3, v3, s71
	v_add3_u32 v1, v7, v4, v1
	v_add3_u32 v21, v8, v5, v9
	;; [unrolled: 1-line block ×3, first 2 shown]
	s_cbranch_scc0 .LBB122_144
	s_branch .LBB122_151
.LBB122_145:
	s_or_b32 exec_lo, exec_lo, s58
	s_mov_b32 s4, 0
	s_and_saveexec_b32 s7, s57
	s_cbranch_execnz .LBB122_530
.LBB122_146:
	s_or_b32 exec_lo, exec_lo, s7
	s_and_saveexec_b32 s7, s59
	s_xor_b32 s7, exec_lo, s7
	s_cbranch_execz .LBB122_531
.LBB122_147:
	v_and_b32_e32 v3, 0x7fff, v0
	v_cmp_ne_u16_e32 vcc_lo, 0, v3
	v_cndmask_b32_e64 v3, 0, 1, vcc_lo
	global_store_byte v[1:2], v3, off
	s_or_b32 exec_lo, exec_lo, s7
	s_and_saveexec_b32 s7, s6
	s_xor_b32 s6, exec_lo, s7
	s_cbranch_execz .LBB122_569
	s_branch .LBB122_532
.LBB122_148:
                                        ; implicit-def: $vgpr21
                                        ; implicit-def: $vgpr4
	s_branch .LBB122_155
.LBB122_149:
	v_mov_b32_e32 v21, 0
	v_mov_b32_e32 v4, 0
	s_branch .LBB122_154
.LBB122_150:
	v_mov_b32_e32 v21, 0
	v_mov_b32_e32 v4, 0
	;; [unrolled: 1-line block ×3, first 2 shown]
	s_mov_b32 s8, 0
.LBB122_151:
	s_and_b32 s9, s9, 3
	s_cmp_eq_u32 s9, 0
	s_cbranch_scc1 .LBB122_154
; %bb.152:
	s_lshl_b32 s4, s8, 3
	s_mul_i32 s6, s8, 12
	s_add_u32 s4, s28, s4
	s_addc_u32 s5, s29, 0
	s_add_u32 s4, s4, 0xc4
	s_addc_u32 s5, s5, 0
	s_add_u32 s6, s28, s6
	s_addc_u32 s7, s29, 0
	.p2align	6
.LBB122_153:                            ; =>This Inner Loop Header: Depth=1
	s_clause 0x1
	s_load_dwordx2 s[10:11], s[6:7], 0x4
	s_load_dword s8, s[6:7], 0xc
	s_load_dwordx2 s[12:13], s[4:5], 0x0
	s_add_u32 s6, s6, 12
	s_addc_u32 s7, s7, 0
	s_add_u32 s4, s4, 8
	s_addc_u32 s5, s5, 0
	s_add_i32 s9, s9, -1
	s_cmp_lg_u32 s9, 0
	s_waitcnt lgkmcnt(0)
	v_mul_hi_u32 v1, s11, v0
	v_add_nc_u32_e32 v1, v0, v1
	v_lshrrev_b32_e32 v1, s8, v1
	v_mul_lo_u32 v2, v1, s10
	v_sub_nc_u32_e32 v0, v0, v2
	v_mad_u64_u32 v[21:22], null, v0, s12, v[21:22]
	v_mad_u64_u32 v[4:5], null, v0, s13, v[4:5]
	v_mov_b32_e32 v0, v1
	s_cbranch_scc1 .LBB122_153
.LBB122_154:
	s_cbranch_execnz .LBB122_157
.LBB122_155:
	v_mul_hi_u32 v0, s41, v23
	s_andn2_b32 vcc_lo, exec_lo, s53
	v_add_nc_u32_e32 v0, v23, v0
	v_lshrrev_b32_e32 v0, s42, v0
	v_mul_lo_u32 v1, v0, s40
	v_sub_nc_u32_e32 v1, v23, v1
	v_mul_lo_u32 v21, v1, s36
	v_mul_lo_u32 v4, v1, s37
	s_cbranch_vccnz .LBB122_157
; %bb.156:
	v_mul_hi_u32 v1, s44, v0
	v_add_nc_u32_e32 v1, v0, v1
	v_lshrrev_b32_e32 v1, s45, v1
	v_mul_lo_u32 v1, v1, s43
	v_sub_nc_u32_e32 v0, v0, v1
	v_mad_u64_u32 v[21:22], null, v0, s38, v[21:22]
	v_mad_u64_u32 v[4:5], null, v0, s39, v[4:5]
.LBB122_157:
	v_mov_b32_e32 v0, s34
	v_mov_b32_e32 v1, s35
	;; [unrolled: 1-line block ×5, first 2 shown]
	s_getpc_b64 s[4:5]
	s_add_u32 s4, s4, _ZN2at6native6invokeIZZZNS0_21polygamma_kernel_cudaERNS_18TensorIteratorBaseElENKUlvE_clEvENKUlvE2_clEvEUlN3c108BFloat16EE_j15function_traitsIS8_EEENT1_11result_typeERKT_PrKPcPKT0_PKNS6_10ScalarTypeEi@rel32@lo+4
	s_addc_u32 s5, s5, _ZN2at6native6invokeIZZZNS0_21polygamma_kernel_cudaERNS_18TensorIteratorBaseElENKUlvE_clEvENKUlvE2_clEvEUlN3c108BFloat16EE_j15function_traitsIS8_EEENT1_11result_typeERKT_PrKPcPKT0_PKNS6_10ScalarTypeEi@rel32@hi+12
	s_swappc_b64 s[30:31], s[4:5]
	v_add_co_u32 v1, s4, s24, v21
	v_add_co_ci_u32_e64 v2, null, s25, 0, s4
	s_and_b32 s5, s51, 0xff
	s_cmp_lt_i32 s5, 11
	s_cbranch_scc1 .LBB122_164
; %bb.158:
	s_and_b32 s6, 0xffff, s5
	s_cmp_gt_i32 s6, 25
	s_cbranch_scc0 .LBB122_167
; %bb.159:
	s_cmp_gt_i32 s6, 28
	s_cbranch_scc0 .LBB122_168
; %bb.160:
	;; [unrolled: 3-line block ×4, first 2 shown]
	s_mov_b32 s8, 0
	s_mov_b32 s4, -1
	s_cmp_eq_u32 s6, 46
	s_mov_b32 s7, 0
	s_cbranch_scc0 .LBB122_175
; %bb.163:
	v_and_b32_e32 v3, 0xffff, v0
	s_mov_b32 s7, -1
	s_mov_b32 s4, 0
	global_store_dword v[1:2], v3, off
	s_branch .LBB122_175
.LBB122_164:
	s_mov_b32 s7, 0
	s_mov_b32 s4, s57
	s_cbranch_execnz .LBB122_244
.LBB122_165:
	s_andn2_b32 vcc_lo, exec_lo, s7
	s_cbranch_vccnz .LBB122_282
.LBB122_166:
	v_add_nc_u32_e32 v23, 0x80, v23
	s_mov_b32 s5, -1
	s_branch .LBB122_283
.LBB122_167:
	s_mov_b32 s8, -1
	s_mov_b32 s7, 0
	s_mov_b32 s4, s57
	s_branch .LBB122_202
.LBB122_168:
	s_mov_b32 s8, -1
	s_mov_b32 s7, 0
	s_mov_b32 s4, s57
	s_branch .LBB122_185
.LBB122_169:
	s_andn2_saveexec_b32 s9, s9
	s_cbranch_execz .LBB122_51
.LBB122_170:
	v_add_f32_e64 v4, 0x46000000, |v5|
	s_andn2_b32 s8, s8, exec_lo
	v_and_b32_e32 v4, 0xff, v4
	v_cmp_ne_u32_e32 vcc_lo, 0, v4
	s_and_b32 s10, vcc_lo, exec_lo
	s_or_b32 s8, s8, s10
	s_or_b32 exec_lo, exec_lo, s9
	v_mov_b32_e32 v6, 0
	s_and_saveexec_b32 s9, s8
	s_cbranch_execnz .LBB122_52
	s_branch .LBB122_53
.LBB122_171:
	s_mov_b32 s8, -1
	s_mov_b32 s7, 0
	s_mov_b32 s4, s57
	s_branch .LBB122_181
.LBB122_172:
	s_andn2_saveexec_b32 s9, s9
	s_cbranch_execz .LBB122_63
.LBB122_173:
	v_add_f32_e64 v4, 0x42800000, |v5|
	s_andn2_b32 s8, s8, exec_lo
	v_and_b32_e32 v4, 0xff, v4
	v_cmp_ne_u32_e32 vcc_lo, 0, v4
	s_and_b32 s10, vcc_lo, exec_lo
	s_or_b32 s8, s8, s10
	s_or_b32 exec_lo, exec_lo, s9
	v_mov_b32_e32 v6, 0
	s_and_saveexec_b32 s9, s8
	s_cbranch_execnz .LBB122_64
	s_branch .LBB122_65
.LBB122_174:
	s_mov_b32 s8, -1
	s_mov_b32 s7, 0
	s_mov_b32 s4, s57
.LBB122_175:
	s_and_b32 vcc_lo, exec_lo, s8
	s_cbranch_vccz .LBB122_180
; %bb.176:
	s_cmp_eq_u32 s6, 44
	s_mov_b32 s4, -1
	s_cbranch_scc0 .LBB122_180
; %bb.177:
	v_and_b32_e32 v3, 0xffff, v0
	v_mov_b32_e32 v4, 0xff
	s_mov_b32 s7, exec_lo
	v_bfe_u32 v5, v3, 7, 8
	v_cmpx_ne_u32_e32 0xff, v5
	s_cbranch_execz .LBB122_179
; %bb.178:
	v_lshlrev_b32_e32 v4, 16, v3
	v_and_b32_e32 v6, 64, v3
	v_lshrrev_b32_e32 v3, 7, v3
	v_and_or_b32 v4, 0x3f0000, v4, v5
	v_cmp_ne_u32_e32 vcc_lo, 0, v6
	v_cmp_ne_u32_e64 s4, 0, v4
	s_and_b32 s4, vcc_lo, s4
	v_cndmask_b32_e64 v4, 0, 1, s4
	v_add_nc_u32_e32 v4, v3, v4
.LBB122_179:
	s_or_b32 exec_lo, exec_lo, s7
	s_mov_b32 s7, -1
	s_mov_b32 s4, 0
	global_store_byte v[1:2], v4, off
.LBB122_180:
	s_mov_b32 s8, 0
.LBB122_181:
	s_and_b32 vcc_lo, exec_lo, s8
	s_cbranch_vccz .LBB122_184
; %bb.182:
	s_cmp_eq_u32 s6, 29
	s_mov_b32 s4, -1
	s_cbranch_scc0 .LBB122_184
; %bb.183:
	v_lshlrev_b32_e32 v3, 16, v0
	s_mov_b32 s7, -1
	s_mov_b32 s4, 0
	s_mov_b32 s8, 0
	v_trunc_f32_e32 v3, v3
	v_mul_f32_e32 v4, 0x2f800000, v3
	v_floor_f32_e32 v4, v4
	v_fmamk_f32 v3, v4, 0xcf800000, v3
	v_cvt_u32_f32_e32 v4, v4
	v_cvt_u32_f32_e32 v3, v3
	global_store_dwordx2 v[1:2], v[3:4], off
	s_branch .LBB122_185
.LBB122_184:
	s_mov_b32 s8, 0
.LBB122_185:
	s_and_b32 vcc_lo, exec_lo, s8
	s_cbranch_vccz .LBB122_201
; %bb.186:
	s_cmp_lt_i32 s6, 27
	s_mov_b32 s7, -1
	s_cbranch_scc1 .LBB122_192
; %bb.187:
	s_cmp_gt_i32 s6, 27
	s_cbranch_scc0 .LBB122_189
; %bb.188:
	v_lshlrev_b32_e32 v3, 16, v0
	s_mov_b32 s7, 0
	v_cvt_u32_f32_e32 v3, v3
	global_store_dword v[1:2], v3, off
.LBB122_189:
	s_andn2_b32 vcc_lo, exec_lo, s7
	s_cbranch_vccnz .LBB122_191
; %bb.190:
	v_lshlrev_b32_e32 v3, 16, v0
	v_cvt_u32_f32_e32 v3, v3
	global_store_short v[1:2], v3, off
.LBB122_191:
	s_mov_b32 s7, 0
.LBB122_192:
	s_andn2_b32 vcc_lo, exec_lo, s7
	s_cbranch_vccnz .LBB122_200
; %bb.193:
	v_lshlrev_b32_e32 v5, 16, v0
	v_mov_b32_e32 v6, 0x80
	s_mov_b32 s7, exec_lo
	v_and_b32_e32 v4, 0x7fffffff, v5
	v_cmpx_gt_u32_e32 0x43800000, v4
	s_cbranch_execz .LBB122_199
; %bb.194:
	v_and_b32_e32 v3, 0xffff, v0
	v_cmp_lt_u32_e32 vcc_lo, 0x3bffffff, v4
	s_mov_b32 s8, 0
                                        ; implicit-def: $vgpr4
	s_and_saveexec_b32 s9, vcc_lo
	s_xor_b32 s9, exec_lo, s9
	s_cbranch_execz .LBB122_311
; %bb.195:
	v_bfe_u32 v4, v3, 4, 1
	s_mov_b32 s8, exec_lo
	v_add3_u32 v4, v5, v4, 0x487ffff
                                        ; implicit-def: $vgpr5
	v_lshrrev_b32_e32 v4, 20, v4
	s_andn2_saveexec_b32 s9, s9
	s_cbranch_execnz .LBB122_312
.LBB122_196:
	s_or_b32 exec_lo, exec_lo, s9
	v_mov_b32_e32 v6, 0
	s_and_saveexec_b32 s9, s8
.LBB122_197:
	v_lshrrev_b32_e32 v3, 8, v3
	v_and_or_b32 v6, 0x80, v3, v4
.LBB122_198:
	s_or_b32 exec_lo, exec_lo, s9
.LBB122_199:
	s_or_b32 exec_lo, exec_lo, s7
	global_store_byte v[1:2], v6, off
.LBB122_200:
	s_mov_b32 s7, -1
.LBB122_201:
	s_mov_b32 s8, 0
.LBB122_202:
	s_and_b32 vcc_lo, exec_lo, s8
	s_cbranch_vccz .LBB122_243
; %bb.203:
	s_cmp_gt_i32 s6, 22
	s_mov_b32 s8, -1
	s_cbranch_scc0 .LBB122_235
; %bb.204:
	s_cmp_lt_i32 s6, 24
	s_mov_b32 s7, -1
	s_cbranch_scc1 .LBB122_224
; %bb.205:
	s_cmp_gt_i32 s6, 24
	s_cbranch_scc0 .LBB122_213
; %bb.206:
	v_lshlrev_b32_e32 v5, 16, v0
	v_mov_b32_e32 v6, 0x80
	s_mov_b32 s7, exec_lo
	v_and_b32_e32 v4, 0x7fffffff, v5
	v_cmpx_gt_u32_e32 0x47800000, v4
	s_cbranch_execz .LBB122_212
; %bb.207:
	v_and_b32_e32 v3, 0xffff, v0
	v_cmp_lt_u32_e32 vcc_lo, 0x37ffffff, v4
	s_mov_b32 s8, 0
                                        ; implicit-def: $vgpr4
	s_and_saveexec_b32 s9, vcc_lo
	s_xor_b32 s9, exec_lo, s9
	s_cbranch_execz .LBB122_314
; %bb.208:
	v_bfe_u32 v4, v3, 5, 1
	s_mov_b32 s8, exec_lo
	v_add3_u32 v4, v5, v4, 0x88fffff
                                        ; implicit-def: $vgpr5
	v_lshrrev_b32_e32 v4, 21, v4
	s_andn2_saveexec_b32 s9, s9
	s_cbranch_execnz .LBB122_315
.LBB122_209:
	s_or_b32 exec_lo, exec_lo, s9
	v_mov_b32_e32 v6, 0
	s_and_saveexec_b32 s9, s8
.LBB122_210:
	v_lshrrev_b32_e32 v3, 8, v3
	v_and_or_b32 v6, 0x80, v3, v4
.LBB122_211:
	s_or_b32 exec_lo, exec_lo, s9
.LBB122_212:
	s_or_b32 exec_lo, exec_lo, s7
	s_mov_b32 s7, 0
	global_store_byte v[1:2], v6, off
.LBB122_213:
	s_and_b32 vcc_lo, exec_lo, s7
	s_cbranch_vccz .LBB122_223
; %bb.214:
	v_lshlrev_b32_e32 v5, 16, v0
	v_and_b32_e32 v3, 0xffff, v0
	s_mov_b32 s7, exec_lo
                                        ; implicit-def: $vgpr4
	v_and_b32_e32 v6, 0x7fffffff, v5
	v_cmpx_gt_u32_e32 0x43f00000, v6
	s_xor_b32 s7, exec_lo, s7
	s_cbranch_execz .LBB122_220
; %bb.215:
	s_mov_b32 s8, exec_lo
                                        ; implicit-def: $vgpr4
	v_cmpx_lt_u32_e32 0x3c7fffff, v6
	s_xor_b32 s8, exec_lo, s8
; %bb.216:
	v_bfe_u32 v4, v3, 4, 1
	v_add3_u32 v4, v5, v4, 0x407ffff
	v_and_b32_e32 v5, 0xff00000, v4
	v_lshrrev_b32_e32 v4, 20, v4
	v_cmp_ne_u32_e32 vcc_lo, 0x7f00000, v5
                                        ; implicit-def: $vgpr5
	v_cndmask_b32_e32 v4, 0x7e, v4, vcc_lo
; %bb.217:
	s_andn2_saveexec_b32 s8, s8
; %bb.218:
	v_add_f32_e64 v4, 0x46800000, |v5|
; %bb.219:
	s_or_b32 exec_lo, exec_lo, s8
                                        ; implicit-def: $vgpr6
.LBB122_220:
	s_andn2_saveexec_b32 s7, s7
; %bb.221:
	v_mov_b32_e32 v4, 0x7f
	v_cmp_lt_u32_e32 vcc_lo, 0x7f800000, v6
	v_cndmask_b32_e32 v4, 0x7e, v4, vcc_lo
; %bb.222:
	s_or_b32 exec_lo, exec_lo, s7
	v_lshrrev_b32_e32 v3, 8, v3
	v_and_or_b32 v3, 0x80, v3, v4
	global_store_byte v[1:2], v3, off
.LBB122_223:
	s_mov_b32 s7, 0
.LBB122_224:
	s_andn2_b32 vcc_lo, exec_lo, s7
	s_cbranch_vccnz .LBB122_234
; %bb.225:
	v_lshlrev_b32_e32 v5, 16, v0
	v_and_b32_e32 v3, 0xffff, v0
	s_mov_b32 s7, exec_lo
                                        ; implicit-def: $vgpr4
	v_and_b32_e32 v6, 0x7fffffff, v5
	v_cmpx_gt_u32_e32 0x47800000, v6
	s_xor_b32 s7, exec_lo, s7
	s_cbranch_execz .LBB122_231
; %bb.226:
	s_mov_b32 s8, exec_lo
                                        ; implicit-def: $vgpr4
	v_cmpx_lt_u32_e32 0x387fffff, v6
	s_xor_b32 s8, exec_lo, s8
; %bb.227:
	v_bfe_u32 v4, v3, 5, 1
	v_add3_u32 v4, v5, v4, 0x80fffff
                                        ; implicit-def: $vgpr5
	v_lshrrev_b32_e32 v4, 21, v4
; %bb.228:
	s_andn2_saveexec_b32 s8, s8
; %bb.229:
	v_add_f32_e64 v4, 0x43000000, |v5|
; %bb.230:
	s_or_b32 exec_lo, exec_lo, s8
                                        ; implicit-def: $vgpr6
.LBB122_231:
	s_andn2_saveexec_b32 s7, s7
; %bb.232:
	v_mov_b32_e32 v4, 0x7f
	v_cmp_lt_u32_e32 vcc_lo, 0x7f800000, v6
	v_cndmask_b32_e32 v4, 0x7c, v4, vcc_lo
; %bb.233:
	s_or_b32 exec_lo, exec_lo, s7
	v_lshrrev_b32_e32 v3, 8, v3
	v_and_or_b32 v3, 0x80, v3, v4
	global_store_byte v[1:2], v3, off
.LBB122_234:
	s_mov_b32 s8, 0
	s_mov_b32 s7, -1
.LBB122_235:
	s_andn2_b32 vcc_lo, exec_lo, s8
	s_cbranch_vccnz .LBB122_243
; %bb.236:
	s_cmp_gt_i32 s6, 14
	s_mov_b32 s8, -1
	s_cbranch_scc0 .LBB122_240
; %bb.237:
	s_cmp_eq_u32 s6, 15
	s_mov_b32 s4, -1
	s_cbranch_scc0 .LBB122_239
; %bb.238:
	s_mov_b32 s7, -1
	s_mov_b32 s4, 0
	global_store_short v[1:2], v0, off
.LBB122_239:
	s_mov_b32 s8, 0
.LBB122_240:
	s_and_b32 vcc_lo, exec_lo, s8
	s_cbranch_vccz .LBB122_243
; %bb.241:
	s_cmp_eq_u32 s6, 11
	s_mov_b32 s4, -1
	s_cbranch_scc0 .LBB122_243
; %bb.242:
	v_and_b32_e32 v3, 0x7fff, v0
	s_mov_b32 s4, 0
	s_mov_b32 s7, -1
	v_cmp_ne_u16_e32 vcc_lo, 0, v3
	v_cndmask_b32_e64 v3, 0, 1, vcc_lo
	global_store_byte v[1:2], v3, off
.LBB122_243:
	s_branch .LBB122_165
.LBB122_244:
	s_and_b32 s5, 0xffff, s5
	s_mov_b32 s6, -1
	s_cmp_lt_i32 s5, 5
	s_cbranch_scc1 .LBB122_265
; %bb.245:
	s_cmp_lt_i32 s5, 8
	s_cbranch_scc1 .LBB122_255
; %bb.246:
	;; [unrolled: 3-line block ×3, first 2 shown]
	s_cmp_gt_i32 s5, 9
	s_cbranch_scc0 .LBB122_249
; %bb.248:
	v_lshlrev_b32_e32 v3, 16, v0
	v_mov_b32_e32 v5, 0
	s_mov_b32 s6, 0
	v_cvt_f64_f32_e32 v[3:4], v3
	v_mov_b32_e32 v6, v5
	global_store_dwordx4 v[1:2], v[3:6], off
.LBB122_249:
	s_andn2_b32 vcc_lo, exec_lo, s6
	s_cbranch_vccnz .LBB122_251
; %bb.250:
	v_lshlrev_b32_e32 v3, 16, v0
	v_mov_b32_e32 v4, 0
	global_store_dwordx2 v[1:2], v[3:4], off
.LBB122_251:
	s_mov_b32 s6, 0
.LBB122_252:
	s_andn2_b32 vcc_lo, exec_lo, s6
	s_cbranch_vccnz .LBB122_254
; %bb.253:
	v_lshlrev_b32_e32 v3, 16, v0
	v_cvt_f16_f32_e32 v3, v3
	v_and_b32_e32 v3, 0xffff, v3
	global_store_dword v[1:2], v3, off
.LBB122_254:
	s_mov_b32 s6, 0
.LBB122_255:
	s_andn2_b32 vcc_lo, exec_lo, s6
	s_cbranch_vccnz .LBB122_264
; %bb.256:
	s_cmp_lt_i32 s5, 6
	s_mov_b32 s6, -1
	s_cbranch_scc1 .LBB122_262
; %bb.257:
	s_cmp_gt_i32 s5, 6
	s_cbranch_scc0 .LBB122_259
; %bb.258:
	v_lshlrev_b32_e32 v3, 16, v0
	s_mov_b32 s6, 0
	v_cvt_f64_f32_e32 v[3:4], v3
	global_store_dwordx2 v[1:2], v[3:4], off
.LBB122_259:
	s_andn2_b32 vcc_lo, exec_lo, s6
	s_cbranch_vccnz .LBB122_261
; %bb.260:
	v_lshlrev_b32_e32 v3, 16, v0
	global_store_dword v[1:2], v3, off
.LBB122_261:
	s_mov_b32 s6, 0
.LBB122_262:
	s_andn2_b32 vcc_lo, exec_lo, s6
	s_cbranch_vccnz .LBB122_264
; %bb.263:
	v_lshlrev_b32_e32 v3, 16, v0
	v_cvt_f16_f32_e32 v3, v3
	global_store_short v[1:2], v3, off
.LBB122_264:
	s_mov_b32 s6, 0
.LBB122_265:
	s_andn2_b32 vcc_lo, exec_lo, s6
	s_cbranch_vccnz .LBB122_281
; %bb.266:
	s_cmp_lt_i32 s5, 2
	s_mov_b32 s6, -1
	s_cbranch_scc1 .LBB122_276
; %bb.267:
	s_cmp_lt_i32 s5, 3
	s_cbranch_scc1 .LBB122_273
; %bb.268:
	s_cmp_gt_i32 s5, 3
	s_cbranch_scc0 .LBB122_270
; %bb.269:
	v_lshlrev_b32_e32 v3, 16, v0
	s_mov_b32 s6, 0
	v_trunc_f32_e32 v3, v3
	v_mul_f32_e64 v4, 0x2f800000, |v3|
	v_ashrrev_i32_e32 v6, 31, v3
	v_floor_f32_e32 v4, v4
	v_fma_f32 v5, 0xcf800000, v4, |v3|
	v_cvt_u32_f32_e32 v4, v4
	v_cvt_u32_f32_e32 v3, v5
	v_xor_b32_e32 v4, v4, v6
	v_xor_b32_e32 v3, v3, v6
	v_sub_co_u32 v3, vcc_lo, v3, v6
	v_sub_co_ci_u32_e64 v4, null, v4, v6, vcc_lo
	global_store_dwordx2 v[1:2], v[3:4], off
.LBB122_270:
	s_andn2_b32 vcc_lo, exec_lo, s6
	s_cbranch_vccnz .LBB122_272
; %bb.271:
	v_lshlrev_b32_e32 v3, 16, v0
	v_cvt_i32_f32_e32 v3, v3
	global_store_dword v[1:2], v3, off
.LBB122_272:
	s_mov_b32 s6, 0
.LBB122_273:
	s_andn2_b32 vcc_lo, exec_lo, s6
	s_cbranch_vccnz .LBB122_275
; %bb.274:
	v_lshlrev_b32_e32 v3, 16, v0
	v_cvt_i32_f32_e32 v3, v3
	global_store_short v[1:2], v3, off
.LBB122_275:
	s_mov_b32 s6, 0
.LBB122_276:
	s_andn2_b32 vcc_lo, exec_lo, s6
	s_cbranch_vccnz .LBB122_281
; %bb.277:
	s_cmp_gt_i32 s5, 0
	s_mov_b32 s5, -1
	s_cbranch_scc0 .LBB122_279
; %bb.278:
	v_lshlrev_b32_e32 v3, 16, v0
	s_mov_b32 s5, 0
	v_cvt_i32_f32_e32 v3, v3
	global_store_byte v[1:2], v3, off
.LBB122_279:
	s_andn2_b32 vcc_lo, exec_lo, s5
	s_cbranch_vccnz .LBB122_281
; %bb.280:
	v_lshlrev_b32_e32 v0, 16, v0
	v_trunc_f32_e32 v0, v0
	v_mul_f32_e64 v3, 0x2f800000, |v0|
	v_floor_f32_e32 v3, v3
	v_fma_f32 v3, 0xcf800000, v3, |v0|
	v_ashrrev_i32_e32 v0, 31, v0
	v_cvt_u32_f32_e32 v3, v3
	v_xor_b32_e32 v3, v3, v0
	v_sub_nc_u32_e32 v0, v3, v0
	global_store_byte v[1:2], v0, off
.LBB122_281:
	s_branch .LBB122_166
.LBB122_282:
	s_mov_b32 s5, 0
                                        ; implicit-def: $vgpr23
.LBB122_283:
	s_andn2_b32 s6, s57, exec_lo
	s_and_b32 s4, s4, exec_lo
	s_orn2_b32 s7, s5, exec_lo
	s_or_b32 s59, s6, s4
.LBB122_284:
	s_or_b32 exec_lo, exec_lo, s60
	s_mov_b32 s4, 0
	s_mov_b32 s6, 0
                                        ; implicit-def: $sgpr5
                                        ; implicit-def: $vgpr1_vgpr2
                                        ; implicit-def: $vgpr0
	s_and_saveexec_b32 s60, s7
	s_cbranch_execz .LBB122_529
; %bb.285:
	s_mov_b32 s7, -1
	s_mov_b32 s62, s59
	s_mov_b32 s61, exec_lo
	v_cmpx_gt_i32_e64 s54, v23
	s_cbranch_execz .LBB122_429
; %bb.286:
	s_andn2_b32 vcc_lo, exec_lo, s49
	s_cbranch_vccnz .LBB122_291
; %bb.287:
	s_andn2_b32 vcc_lo, exec_lo, s56
	s_cbranch_vccnz .LBB122_292
; %bb.288:
	s_add_i32 s9, s55, 1
	s_cmp_eq_u32 s33, 2
	s_cbranch_scc1 .LBB122_293
; %bb.289:
	v_mov_b32_e32 v4, 0
	v_mov_b32_e32 v21, 0
	;; [unrolled: 1-line block ×3, first 2 shown]
	s_and_b32 s8, s9, 28
	s_mov_b32 s10, 0
	s_mov_b64 s[4:5], s[28:29]
	s_mov_b64 s[6:7], s[46:47]
.LBB122_290:                            ; =>This Inner Loop Header: Depth=1
	s_clause 0x1
	s_load_dwordx8 s[12:19], s[4:5], 0x4
	s_load_dwordx4 s[72:75], s[4:5], 0x24
	s_load_dwordx8 s[64:71], s[6:7], 0x0
	s_add_u32 s4, s4, 48
	s_addc_u32 s5, s5, 0
	s_add_i32 s10, s10, 4
	s_add_u32 s6, s6, 32
	s_addc_u32 s7, s7, 0
	s_cmp_eq_u32 s8, s10
	s_waitcnt lgkmcnt(0)
	v_mul_hi_u32 v1, s13, v0
	v_add_nc_u32_e32 v1, v0, v1
	v_lshrrev_b32_e32 v1, s14, v1
	v_mul_hi_u32 v2, s16, v1
	v_mul_lo_u32 v5, v1, s12
	v_add_nc_u32_e32 v2, v1, v2
	v_sub_nc_u32_e32 v0, v0, v5
	v_lshrrev_b32_e32 v2, s17, v2
	v_mul_lo_u32 v5, v0, s64
	v_mul_lo_u32 v7, v0, s65
	v_mul_hi_u32 v3, s19, v2
	v_add_nc_u32_e32 v3, v2, v3
	v_lshrrev_b32_e32 v3, s72, v3
	v_mul_hi_u32 v6, s74, v3
	v_mul_lo_u32 v8, v3, s18
	v_add_nc_u32_e32 v0, v3, v6
	v_mul_lo_u32 v6, v2, s15
	v_sub_nc_u32_e32 v2, v2, v8
	v_lshrrev_b32_e32 v0, s75, v0
	v_mul_lo_u32 v8, v2, s68
	v_mul_lo_u32 v2, v2, s69
	v_sub_nc_u32_e32 v1, v1, v6
	v_mul_lo_u32 v9, v0, s73
	v_mul_lo_u32 v6, v1, s66
	;; [unrolled: 1-line block ×3, first 2 shown]
	v_sub_nc_u32_e32 v3, v3, v9
	v_add3_u32 v5, v5, v21, v6
	v_mul_lo_u32 v9, v3, s70
	v_mul_lo_u32 v3, v3, s71
	v_add3_u32 v1, v7, v4, v1
	v_add3_u32 v21, v8, v5, v9
	;; [unrolled: 1-line block ×3, first 2 shown]
	s_cbranch_scc0 .LBB122_290
	s_branch .LBB122_294
.LBB122_291:
	s_mov_b32 s4, -1
                                        ; implicit-def: $vgpr21
                                        ; implicit-def: $vgpr4
	s_branch .LBB122_298
.LBB122_292:
	v_mov_b32_e32 v21, 0
	v_mov_b32_e32 v4, 0
	s_branch .LBB122_297
.LBB122_293:
	v_mov_b32_e32 v21, 0
	v_mov_b32_e32 v4, 0
	;; [unrolled: 1-line block ×3, first 2 shown]
	s_mov_b32 s8, 0
.LBB122_294:
	s_and_b32 s9, s9, 3
	s_cmp_eq_u32 s9, 0
	s_cbranch_scc1 .LBB122_297
; %bb.295:
	s_lshl_b32 s4, s8, 3
	s_mul_i32 s6, s8, 12
	s_add_u32 s4, s28, s4
	s_addc_u32 s5, s29, 0
	s_add_u32 s4, s4, 0xc4
	s_addc_u32 s5, s5, 0
	;; [unrolled: 2-line block ×3, first 2 shown]
	.p2align	6
.LBB122_296:                            ; =>This Inner Loop Header: Depth=1
	s_clause 0x1
	s_load_dwordx2 s[10:11], s[6:7], 0x4
	s_load_dword s8, s[6:7], 0xc
	s_load_dwordx2 s[12:13], s[4:5], 0x0
	s_add_u32 s6, s6, 12
	s_addc_u32 s7, s7, 0
	s_add_u32 s4, s4, 8
	s_addc_u32 s5, s5, 0
	s_add_i32 s9, s9, -1
	s_cmp_lg_u32 s9, 0
	s_waitcnt lgkmcnt(0)
	v_mul_hi_u32 v1, s11, v0
	v_add_nc_u32_e32 v1, v0, v1
	v_lshrrev_b32_e32 v1, s8, v1
	v_mul_lo_u32 v2, v1, s10
	v_sub_nc_u32_e32 v0, v0, v2
	v_mad_u64_u32 v[21:22], null, v0, s12, v[21:22]
	v_mad_u64_u32 v[4:5], null, v0, s13, v[4:5]
	v_mov_b32_e32 v0, v1
	s_cbranch_scc1 .LBB122_296
.LBB122_297:
	s_mov_b32 s4, 0
.LBB122_298:
	s_andn2_b32 vcc_lo, exec_lo, s4
	s_cbranch_vccnz .LBB122_301
; %bb.299:
	v_mul_hi_u32 v0, s41, v23
	s_andn2_b32 vcc_lo, exec_lo, s53
	v_add_nc_u32_e32 v0, v23, v0
	v_lshrrev_b32_e32 v0, s42, v0
	v_mul_lo_u32 v1, v0, s40
	v_sub_nc_u32_e32 v1, v23, v1
	v_mul_lo_u32 v21, v1, s36
	v_mul_lo_u32 v4, v1, s37
	s_cbranch_vccnz .LBB122_301
; %bb.300:
	v_mul_hi_u32 v1, s44, v0
	v_add_nc_u32_e32 v1, v0, v1
	v_lshrrev_b32_e32 v1, s45, v1
	v_mul_lo_u32 v1, v1, s43
	v_sub_nc_u32_e32 v0, v0, v1
	v_mad_u64_u32 v[21:22], null, v0, s38, v[21:22]
	v_mad_u64_u32 v[4:5], null, v0, s39, v[4:5]
.LBB122_301:
	v_mov_b32_e32 v0, s34
	v_mov_b32_e32 v1, s35
	;; [unrolled: 1-line block ×5, first 2 shown]
	s_getpc_b64 s[4:5]
	s_add_u32 s4, s4, _ZN2at6native6invokeIZZZNS0_21polygamma_kernel_cudaERNS_18TensorIteratorBaseElENKUlvE_clEvENKUlvE2_clEvEUlN3c108BFloat16EE_j15function_traitsIS8_EEENT1_11result_typeERKT_PrKPcPKT0_PKNS6_10ScalarTypeEi@rel32@lo+4
	s_addc_u32 s5, s5, _ZN2at6native6invokeIZZZNS0_21polygamma_kernel_cudaERNS_18TensorIteratorBaseElENKUlvE_clEvENKUlvE2_clEvEUlN3c108BFloat16EE_j15function_traitsIS8_EEENT1_11result_typeERKT_PrKPcPKT0_PKNS6_10ScalarTypeEi@rel32@hi+12
	s_swappc_b64 s[30:31], s[4:5]
	v_add_co_u32 v1, s4, s24, v21
	v_add_co_ci_u32_e64 v2, null, s25, 0, s4
	s_and_b32 s5, s51, 0xff
	s_cmp_lt_i32 s5, 11
	s_cbranch_scc1 .LBB122_308
; %bb.302:
	s_and_b32 s6, 0xffff, s5
	s_cmp_gt_i32 s6, 25
	s_cbranch_scc0 .LBB122_309
; %bb.303:
	s_cmp_gt_i32 s6, 28
	s_cbranch_scc0 .LBB122_310
; %bb.304:
	;; [unrolled: 3-line block ×4, first 2 shown]
	s_mov_b32 s8, 0
	s_mov_b32 s4, -1
	s_cmp_eq_u32 s6, 46
	s_mov_b32 s7, 0
	s_cbranch_scc0 .LBB122_317
; %bb.307:
	v_and_b32_e32 v3, 0xffff, v0
	s_mov_b32 s7, -1
	s_mov_b32 s4, 0
	global_store_dword v[1:2], v3, off
	s_branch .LBB122_317
.LBB122_308:
	s_mov_b32 s6, -1
	s_mov_b32 s7, 0
	s_mov_b32 s4, s59
	s_branch .LBB122_386
.LBB122_309:
	s_mov_b32 s8, -1
	s_mov_b32 s7, 0
	s_mov_b32 s4, s59
	s_branch .LBB122_344
.LBB122_310:
	s_mov_b32 s8, -1
	s_mov_b32 s7, 0
	s_mov_b32 s4, s59
	s_branch .LBB122_327
.LBB122_311:
	s_andn2_saveexec_b32 s9, s9
	s_cbranch_execz .LBB122_196
.LBB122_312:
	v_add_f32_e64 v4, 0x46000000, |v5|
	s_andn2_b32 s8, s8, exec_lo
	v_and_b32_e32 v4, 0xff, v4
	v_cmp_ne_u32_e32 vcc_lo, 0, v4
	s_and_b32 s10, vcc_lo, exec_lo
	s_or_b32 s8, s8, s10
	s_or_b32 exec_lo, exec_lo, s9
	v_mov_b32_e32 v6, 0
	s_and_saveexec_b32 s9, s8
	s_cbranch_execnz .LBB122_197
	s_branch .LBB122_198
.LBB122_313:
	s_mov_b32 s8, -1
	s_mov_b32 s7, 0
	s_mov_b32 s4, s59
	s_branch .LBB122_323
.LBB122_314:
	s_andn2_saveexec_b32 s9, s9
	s_cbranch_execz .LBB122_209
.LBB122_315:
	v_add_f32_e64 v4, 0x42800000, |v5|
	s_andn2_b32 s8, s8, exec_lo
	v_and_b32_e32 v4, 0xff, v4
	v_cmp_ne_u32_e32 vcc_lo, 0, v4
	s_and_b32 s10, vcc_lo, exec_lo
	s_or_b32 s8, s8, s10
	s_or_b32 exec_lo, exec_lo, s9
	v_mov_b32_e32 v6, 0
	s_and_saveexec_b32 s9, s8
	s_cbranch_execnz .LBB122_210
	s_branch .LBB122_211
.LBB122_316:
	s_mov_b32 s8, -1
	s_mov_b32 s7, 0
	s_mov_b32 s4, s59
.LBB122_317:
	s_and_b32 vcc_lo, exec_lo, s8
	s_cbranch_vccz .LBB122_322
; %bb.318:
	s_cmp_eq_u32 s6, 44
	s_mov_b32 s4, -1
	s_cbranch_scc0 .LBB122_322
; %bb.319:
	v_and_b32_e32 v3, 0xffff, v0
	v_mov_b32_e32 v4, 0xff
	s_mov_b32 s7, exec_lo
	v_bfe_u32 v5, v3, 7, 8
	v_cmpx_ne_u32_e32 0xff, v5
	s_cbranch_execz .LBB122_321
; %bb.320:
	v_lshlrev_b32_e32 v4, 16, v3
	v_and_b32_e32 v6, 64, v3
	v_lshrrev_b32_e32 v3, 7, v3
	v_and_or_b32 v4, 0x3f0000, v4, v5
	v_cmp_ne_u32_e32 vcc_lo, 0, v6
	v_cmp_ne_u32_e64 s4, 0, v4
	s_and_b32 s4, vcc_lo, s4
	v_cndmask_b32_e64 v4, 0, 1, s4
	v_add_nc_u32_e32 v4, v3, v4
.LBB122_321:
	s_or_b32 exec_lo, exec_lo, s7
	s_mov_b32 s7, -1
	s_mov_b32 s4, 0
	global_store_byte v[1:2], v4, off
.LBB122_322:
	s_mov_b32 s8, 0
.LBB122_323:
	s_and_b32 vcc_lo, exec_lo, s8
	s_cbranch_vccz .LBB122_326
; %bb.324:
	s_cmp_eq_u32 s6, 29
	s_mov_b32 s4, -1
	s_cbranch_scc0 .LBB122_326
; %bb.325:
	v_lshlrev_b32_e32 v3, 16, v0
	s_mov_b32 s7, -1
	s_mov_b32 s4, 0
	s_mov_b32 s8, 0
	v_trunc_f32_e32 v3, v3
	v_mul_f32_e32 v4, 0x2f800000, v3
	v_floor_f32_e32 v4, v4
	v_fmamk_f32 v3, v4, 0xcf800000, v3
	v_cvt_u32_f32_e32 v4, v4
	v_cvt_u32_f32_e32 v3, v3
	global_store_dwordx2 v[1:2], v[3:4], off
	s_branch .LBB122_327
.LBB122_326:
	s_mov_b32 s8, 0
.LBB122_327:
	s_and_b32 vcc_lo, exec_lo, s8
	s_cbranch_vccz .LBB122_343
; %bb.328:
	s_cmp_lt_i32 s6, 27
	s_mov_b32 s7, -1
	s_cbranch_scc1 .LBB122_334
; %bb.329:
	s_cmp_gt_i32 s6, 27
	s_cbranch_scc0 .LBB122_331
; %bb.330:
	v_lshlrev_b32_e32 v3, 16, v0
	s_mov_b32 s7, 0
	v_cvt_u32_f32_e32 v3, v3
	global_store_dword v[1:2], v3, off
.LBB122_331:
	s_andn2_b32 vcc_lo, exec_lo, s7
	s_cbranch_vccnz .LBB122_333
; %bb.332:
	v_lshlrev_b32_e32 v3, 16, v0
	v_cvt_u32_f32_e32 v3, v3
	global_store_short v[1:2], v3, off
.LBB122_333:
	s_mov_b32 s7, 0
.LBB122_334:
	s_andn2_b32 vcc_lo, exec_lo, s7
	s_cbranch_vccnz .LBB122_342
; %bb.335:
	v_lshlrev_b32_e32 v5, 16, v0
	v_mov_b32_e32 v6, 0x80
	s_mov_b32 s7, exec_lo
	v_and_b32_e32 v4, 0x7fffffff, v5
	v_cmpx_gt_u32_e32 0x43800000, v4
	s_cbranch_execz .LBB122_341
; %bb.336:
	v_and_b32_e32 v3, 0xffff, v0
	v_cmp_lt_u32_e32 vcc_lo, 0x3bffffff, v4
	s_mov_b32 s8, 0
                                        ; implicit-def: $vgpr4
	s_and_saveexec_b32 s9, vcc_lo
	s_xor_b32 s9, exec_lo, s9
	s_cbranch_execz .LBB122_454
; %bb.337:
	v_bfe_u32 v4, v3, 4, 1
	s_mov_b32 s8, exec_lo
	v_add3_u32 v4, v5, v4, 0x487ffff
                                        ; implicit-def: $vgpr5
	v_lshrrev_b32_e32 v4, 20, v4
	s_andn2_saveexec_b32 s9, s9
	s_cbranch_execnz .LBB122_455
.LBB122_338:
	s_or_b32 exec_lo, exec_lo, s9
	v_mov_b32_e32 v6, 0
	s_and_saveexec_b32 s9, s8
.LBB122_339:
	v_lshrrev_b32_e32 v3, 8, v3
	v_and_or_b32 v6, 0x80, v3, v4
.LBB122_340:
	s_or_b32 exec_lo, exec_lo, s9
.LBB122_341:
	s_or_b32 exec_lo, exec_lo, s7
	global_store_byte v[1:2], v6, off
.LBB122_342:
	s_mov_b32 s7, -1
.LBB122_343:
	s_mov_b32 s8, 0
.LBB122_344:
	s_and_b32 vcc_lo, exec_lo, s8
	s_cbranch_vccz .LBB122_385
; %bb.345:
	s_cmp_gt_i32 s6, 22
	s_mov_b32 s8, -1
	s_cbranch_scc0 .LBB122_377
; %bb.346:
	s_cmp_lt_i32 s6, 24
	s_mov_b32 s7, -1
	s_cbranch_scc1 .LBB122_366
; %bb.347:
	s_cmp_gt_i32 s6, 24
	s_cbranch_scc0 .LBB122_355
; %bb.348:
	v_lshlrev_b32_e32 v5, 16, v0
	v_mov_b32_e32 v6, 0x80
	s_mov_b32 s7, exec_lo
	v_and_b32_e32 v4, 0x7fffffff, v5
	v_cmpx_gt_u32_e32 0x47800000, v4
	s_cbranch_execz .LBB122_354
; %bb.349:
	v_and_b32_e32 v3, 0xffff, v0
	v_cmp_lt_u32_e32 vcc_lo, 0x37ffffff, v4
	s_mov_b32 s8, 0
                                        ; implicit-def: $vgpr4
	s_and_saveexec_b32 s9, vcc_lo
	s_xor_b32 s9, exec_lo, s9
	s_cbranch_execz .LBB122_456
; %bb.350:
	v_bfe_u32 v4, v3, 5, 1
	s_mov_b32 s8, exec_lo
	v_add3_u32 v4, v5, v4, 0x88fffff
                                        ; implicit-def: $vgpr5
	v_lshrrev_b32_e32 v4, 21, v4
	s_andn2_saveexec_b32 s9, s9
	s_cbranch_execnz .LBB122_457
.LBB122_351:
	s_or_b32 exec_lo, exec_lo, s9
	v_mov_b32_e32 v6, 0
	s_and_saveexec_b32 s9, s8
.LBB122_352:
	v_lshrrev_b32_e32 v3, 8, v3
	v_and_or_b32 v6, 0x80, v3, v4
.LBB122_353:
	s_or_b32 exec_lo, exec_lo, s9
.LBB122_354:
	s_or_b32 exec_lo, exec_lo, s7
	s_mov_b32 s7, 0
	global_store_byte v[1:2], v6, off
.LBB122_355:
	s_and_b32 vcc_lo, exec_lo, s7
	s_cbranch_vccz .LBB122_365
; %bb.356:
	v_lshlrev_b32_e32 v5, 16, v0
	v_and_b32_e32 v3, 0xffff, v0
	s_mov_b32 s7, exec_lo
                                        ; implicit-def: $vgpr4
	v_and_b32_e32 v6, 0x7fffffff, v5
	v_cmpx_gt_u32_e32 0x43f00000, v6
	s_xor_b32 s7, exec_lo, s7
	s_cbranch_execz .LBB122_362
; %bb.357:
	s_mov_b32 s8, exec_lo
                                        ; implicit-def: $vgpr4
	v_cmpx_lt_u32_e32 0x3c7fffff, v6
	s_xor_b32 s8, exec_lo, s8
; %bb.358:
	v_bfe_u32 v4, v3, 4, 1
	v_add3_u32 v4, v5, v4, 0x407ffff
	v_and_b32_e32 v5, 0xff00000, v4
	v_lshrrev_b32_e32 v4, 20, v4
	v_cmp_ne_u32_e32 vcc_lo, 0x7f00000, v5
                                        ; implicit-def: $vgpr5
	v_cndmask_b32_e32 v4, 0x7e, v4, vcc_lo
; %bb.359:
	s_andn2_saveexec_b32 s8, s8
; %bb.360:
	v_add_f32_e64 v4, 0x46800000, |v5|
; %bb.361:
	s_or_b32 exec_lo, exec_lo, s8
                                        ; implicit-def: $vgpr6
.LBB122_362:
	s_andn2_saveexec_b32 s7, s7
; %bb.363:
	v_mov_b32_e32 v4, 0x7f
	v_cmp_lt_u32_e32 vcc_lo, 0x7f800000, v6
	v_cndmask_b32_e32 v4, 0x7e, v4, vcc_lo
; %bb.364:
	s_or_b32 exec_lo, exec_lo, s7
	v_lshrrev_b32_e32 v3, 8, v3
	v_and_or_b32 v3, 0x80, v3, v4
	global_store_byte v[1:2], v3, off
.LBB122_365:
	s_mov_b32 s7, 0
.LBB122_366:
	s_andn2_b32 vcc_lo, exec_lo, s7
	s_cbranch_vccnz .LBB122_376
; %bb.367:
	v_lshlrev_b32_e32 v5, 16, v0
	v_and_b32_e32 v3, 0xffff, v0
	s_mov_b32 s7, exec_lo
                                        ; implicit-def: $vgpr4
	v_and_b32_e32 v6, 0x7fffffff, v5
	v_cmpx_gt_u32_e32 0x47800000, v6
	s_xor_b32 s7, exec_lo, s7
	s_cbranch_execz .LBB122_373
; %bb.368:
	s_mov_b32 s8, exec_lo
                                        ; implicit-def: $vgpr4
	v_cmpx_lt_u32_e32 0x387fffff, v6
	s_xor_b32 s8, exec_lo, s8
; %bb.369:
	v_bfe_u32 v4, v3, 5, 1
	v_add3_u32 v4, v5, v4, 0x80fffff
                                        ; implicit-def: $vgpr5
	v_lshrrev_b32_e32 v4, 21, v4
; %bb.370:
	s_andn2_saveexec_b32 s8, s8
; %bb.371:
	v_add_f32_e64 v4, 0x43000000, |v5|
; %bb.372:
	s_or_b32 exec_lo, exec_lo, s8
                                        ; implicit-def: $vgpr6
.LBB122_373:
	s_andn2_saveexec_b32 s7, s7
; %bb.374:
	v_mov_b32_e32 v4, 0x7f
	v_cmp_lt_u32_e32 vcc_lo, 0x7f800000, v6
	v_cndmask_b32_e32 v4, 0x7c, v4, vcc_lo
; %bb.375:
	s_or_b32 exec_lo, exec_lo, s7
	v_lshrrev_b32_e32 v3, 8, v3
	v_and_or_b32 v3, 0x80, v3, v4
	global_store_byte v[1:2], v3, off
.LBB122_376:
	s_mov_b32 s8, 0
	s_mov_b32 s7, -1
.LBB122_377:
	s_andn2_b32 vcc_lo, exec_lo, s8
	s_cbranch_vccnz .LBB122_385
; %bb.378:
	s_cmp_gt_i32 s6, 14
	s_mov_b32 s8, -1
	s_cbranch_scc0 .LBB122_382
; %bb.379:
	s_cmp_eq_u32 s6, 15
	s_mov_b32 s4, -1
	s_cbranch_scc0 .LBB122_381
; %bb.380:
	s_mov_b32 s7, -1
	s_mov_b32 s4, 0
	global_store_short v[1:2], v0, off
.LBB122_381:
	s_mov_b32 s8, 0
.LBB122_382:
	s_and_b32 vcc_lo, exec_lo, s8
	s_cbranch_vccz .LBB122_385
; %bb.383:
	s_cmp_eq_u32 s6, 11
	s_mov_b32 s4, -1
	s_cbranch_scc0 .LBB122_385
; %bb.384:
	v_and_b32_e32 v3, 0x7fff, v0
	s_mov_b32 s4, 0
	s_mov_b32 s7, -1
	v_cmp_ne_u16_e32 vcc_lo, 0, v3
	v_cndmask_b32_e64 v3, 0, 1, vcc_lo
	global_store_byte v[1:2], v3, off
.LBB122_385:
	s_mov_b32 s6, 0
.LBB122_386:
	s_and_b32 vcc_lo, exec_lo, s6
	s_cbranch_vccz .LBB122_425
; %bb.387:
	s_and_b32 s5, 0xffff, s5
	s_mov_b32 s6, -1
	s_cmp_lt_i32 s5, 5
	s_cbranch_scc1 .LBB122_408
; %bb.388:
	s_cmp_lt_i32 s5, 8
	s_cbranch_scc1 .LBB122_398
; %bb.389:
	;; [unrolled: 3-line block ×3, first 2 shown]
	s_cmp_gt_i32 s5, 9
	s_cbranch_scc0 .LBB122_392
; %bb.391:
	v_lshlrev_b32_e32 v3, 16, v0
	v_mov_b32_e32 v5, 0
	s_mov_b32 s6, 0
	v_cvt_f64_f32_e32 v[3:4], v3
	v_mov_b32_e32 v6, v5
	global_store_dwordx4 v[1:2], v[3:6], off
.LBB122_392:
	s_andn2_b32 vcc_lo, exec_lo, s6
	s_cbranch_vccnz .LBB122_394
; %bb.393:
	v_lshlrev_b32_e32 v3, 16, v0
	v_mov_b32_e32 v4, 0
	global_store_dwordx2 v[1:2], v[3:4], off
.LBB122_394:
	s_mov_b32 s6, 0
.LBB122_395:
	s_andn2_b32 vcc_lo, exec_lo, s6
	s_cbranch_vccnz .LBB122_397
; %bb.396:
	v_lshlrev_b32_e32 v3, 16, v0
	v_cvt_f16_f32_e32 v3, v3
	v_and_b32_e32 v3, 0xffff, v3
	global_store_dword v[1:2], v3, off
.LBB122_397:
	s_mov_b32 s6, 0
.LBB122_398:
	s_andn2_b32 vcc_lo, exec_lo, s6
	s_cbranch_vccnz .LBB122_407
; %bb.399:
	s_cmp_lt_i32 s5, 6
	s_mov_b32 s6, -1
	s_cbranch_scc1 .LBB122_405
; %bb.400:
	s_cmp_gt_i32 s5, 6
	s_cbranch_scc0 .LBB122_402
; %bb.401:
	v_lshlrev_b32_e32 v3, 16, v0
	s_mov_b32 s6, 0
	v_cvt_f64_f32_e32 v[3:4], v3
	global_store_dwordx2 v[1:2], v[3:4], off
.LBB122_402:
	s_andn2_b32 vcc_lo, exec_lo, s6
	s_cbranch_vccnz .LBB122_404
; %bb.403:
	v_lshlrev_b32_e32 v3, 16, v0
	global_store_dword v[1:2], v3, off
.LBB122_404:
	s_mov_b32 s6, 0
.LBB122_405:
	s_andn2_b32 vcc_lo, exec_lo, s6
	s_cbranch_vccnz .LBB122_407
; %bb.406:
	v_lshlrev_b32_e32 v3, 16, v0
	v_cvt_f16_f32_e32 v3, v3
	global_store_short v[1:2], v3, off
.LBB122_407:
	s_mov_b32 s6, 0
.LBB122_408:
	s_andn2_b32 vcc_lo, exec_lo, s6
	s_cbranch_vccnz .LBB122_424
; %bb.409:
	s_cmp_lt_i32 s5, 2
	s_mov_b32 s6, -1
	s_cbranch_scc1 .LBB122_419
; %bb.410:
	s_cmp_lt_i32 s5, 3
	s_cbranch_scc1 .LBB122_416
; %bb.411:
	s_cmp_gt_i32 s5, 3
	s_cbranch_scc0 .LBB122_413
; %bb.412:
	v_lshlrev_b32_e32 v3, 16, v0
	s_mov_b32 s6, 0
	v_trunc_f32_e32 v3, v3
	v_mul_f32_e64 v4, 0x2f800000, |v3|
	v_ashrrev_i32_e32 v6, 31, v3
	v_floor_f32_e32 v4, v4
	v_fma_f32 v5, 0xcf800000, v4, |v3|
	v_cvt_u32_f32_e32 v4, v4
	v_cvt_u32_f32_e32 v3, v5
	v_xor_b32_e32 v4, v4, v6
	v_xor_b32_e32 v3, v3, v6
	v_sub_co_u32 v3, vcc_lo, v3, v6
	v_sub_co_ci_u32_e64 v4, null, v4, v6, vcc_lo
	global_store_dwordx2 v[1:2], v[3:4], off
.LBB122_413:
	s_andn2_b32 vcc_lo, exec_lo, s6
	s_cbranch_vccnz .LBB122_415
; %bb.414:
	v_lshlrev_b32_e32 v3, 16, v0
	v_cvt_i32_f32_e32 v3, v3
	global_store_dword v[1:2], v3, off
.LBB122_415:
	s_mov_b32 s6, 0
.LBB122_416:
	s_andn2_b32 vcc_lo, exec_lo, s6
	s_cbranch_vccnz .LBB122_418
; %bb.417:
	v_lshlrev_b32_e32 v3, 16, v0
	v_cvt_i32_f32_e32 v3, v3
	global_store_short v[1:2], v3, off
.LBB122_418:
	s_mov_b32 s6, 0
.LBB122_419:
	s_andn2_b32 vcc_lo, exec_lo, s6
	s_cbranch_vccnz .LBB122_424
; %bb.420:
	v_lshlrev_b32_e32 v0, 16, v0
	s_cmp_gt_i32 s5, 0
	s_mov_b32 s5, -1
	s_cbranch_scc0 .LBB122_422
; %bb.421:
	v_cvt_i32_f32_e32 v3, v0
	s_mov_b32 s5, 0
	global_store_byte v[1:2], v3, off
.LBB122_422:
	s_andn2_b32 vcc_lo, exec_lo, s5
	s_cbranch_vccnz .LBB122_424
; %bb.423:
	v_trunc_f32_e32 v0, v0
	v_mul_f32_e64 v3, 0x2f800000, |v0|
	v_floor_f32_e32 v3, v3
	v_fma_f32 v3, 0xcf800000, v3, |v0|
	v_ashrrev_i32_e32 v0, 31, v0
	v_cvt_u32_f32_e32 v3, v3
	v_xor_b32_e32 v3, v3, v0
	v_sub_nc_u32_e32 v0, v3, v0
	global_store_byte v[1:2], v0, off
.LBB122_424:
	s_mov_b32 s7, -1
.LBB122_425:
	s_andn2_b32 vcc_lo, exec_lo, s7
	s_cbranch_vccnz .LBB122_427
; %bb.426:
	v_add_nc_u32_e32 v23, 0x80, v23
	s_mov_b32 s5, -1
	s_branch .LBB122_428
.LBB122_427:
	s_mov_b32 s5, 0
                                        ; implicit-def: $vgpr23
.LBB122_428:
	s_andn2_b32 s6, s59, exec_lo
	s_and_b32 s4, s4, exec_lo
	s_orn2_b32 s7, s5, exec_lo
	s_or_b32 s62, s6, s4
.LBB122_429:
	s_or_b32 exec_lo, exec_lo, s61
	s_mov_b32 s4, 0
	s_mov_b32 s6, 0
                                        ; implicit-def: $sgpr5
                                        ; implicit-def: $vgpr1_vgpr2
                                        ; implicit-def: $vgpr0
	s_and_saveexec_b32 s61, s7
	s_cbranch_execz .LBB122_528
; %bb.430:
	v_cmp_gt_i32_e32 vcc_lo, s54, v23
	s_mov_b32 s7, s62
                                        ; implicit-def: $sgpr5
                                        ; implicit-def: $vgpr1_vgpr2
                                        ; implicit-def: $vgpr0
	s_and_saveexec_b32 s54, vcc_lo
	s_cbranch_execz .LBB122_527
; %bb.431:
	s_andn2_b32 vcc_lo, exec_lo, s49
	s_cbranch_vccnz .LBB122_436
; %bb.432:
	s_andn2_b32 vcc_lo, exec_lo, s56
	s_cbranch_vccnz .LBB122_437
; %bb.433:
	s_add_i32 s55, s55, 1
	s_cmp_eq_u32 s33, 2
	s_cbranch_scc1 .LBB122_438
; %bb.434:
	v_mov_b32_e32 v4, 0
	v_mov_b32_e32 v21, 0
	;; [unrolled: 1-line block ×3, first 2 shown]
	s_and_b32 s6, s55, 28
	s_mov_b32 s7, 0
	s_mov_b64 s[4:5], s[28:29]
.LBB122_435:                            ; =>This Inner Loop Header: Depth=1
	s_clause 0x1
	s_load_dwordx8 s[8:15], s[4:5], 0x4
	s_load_dwordx4 s[16:19], s[4:5], 0x24
	s_load_dwordx8 s[64:71], s[46:47], 0x0
	s_add_u32 s4, s4, 48
	s_addc_u32 s5, s5, 0
	s_add_i32 s7, s7, 4
	s_add_u32 s46, s46, 32
	s_addc_u32 s47, s47, 0
	s_cmp_eq_u32 s6, s7
	s_waitcnt lgkmcnt(0)
	v_mul_hi_u32 v1, s9, v0
	v_add_nc_u32_e32 v1, v0, v1
	v_lshrrev_b32_e32 v1, s10, v1
	v_mul_hi_u32 v2, s12, v1
	v_mul_lo_u32 v5, v1, s8
	v_add_nc_u32_e32 v2, v1, v2
	v_sub_nc_u32_e32 v0, v0, v5
	v_lshrrev_b32_e32 v2, s13, v2
	v_mul_lo_u32 v5, v0, s64
	v_mul_lo_u32 v7, v0, s65
	v_mul_hi_u32 v3, s15, v2
	v_add_nc_u32_e32 v3, v2, v3
	v_lshrrev_b32_e32 v3, s16, v3
	v_mul_hi_u32 v6, s18, v3
	v_mul_lo_u32 v8, v3, s14
	v_add_nc_u32_e32 v0, v3, v6
	v_mul_lo_u32 v6, v2, s11
	v_sub_nc_u32_e32 v2, v2, v8
	v_lshrrev_b32_e32 v0, s19, v0
	v_mul_lo_u32 v8, v2, s68
	v_mul_lo_u32 v2, v2, s69
	v_sub_nc_u32_e32 v1, v1, v6
	v_mul_lo_u32 v9, v0, s17
	v_mul_lo_u32 v6, v1, s66
	;; [unrolled: 1-line block ×3, first 2 shown]
	v_sub_nc_u32_e32 v3, v3, v9
	v_add3_u32 v5, v5, v21, v6
	v_mul_lo_u32 v9, v3, s70
	v_mul_lo_u32 v3, v3, s71
	v_add3_u32 v1, v7, v4, v1
	v_add3_u32 v21, v8, v5, v9
	;; [unrolled: 1-line block ×3, first 2 shown]
	s_cbranch_scc0 .LBB122_435
	s_branch .LBB122_439
.LBB122_436:
	s_mov_b32 s4, -1
                                        ; implicit-def: $vgpr21
                                        ; implicit-def: $vgpr4
	s_branch .LBB122_443
.LBB122_437:
	v_mov_b32_e32 v21, 0
	v_mov_b32_e32 v4, 0
	s_branch .LBB122_442
.LBB122_438:
	v_mov_b32_e32 v21, 0
	v_mov_b32_e32 v4, 0
	v_mov_b32_e32 v0, v23
.LBB122_439:
	s_and_b32 s8, s55, 3
	s_cmp_eq_u32 s8, 0
	s_cbranch_scc1 .LBB122_442
; %bb.440:
	s_lshl_b32 s4, s6, 3
	s_mul_i32 s6, s6, 12
	s_add_u32 s4, s28, s4
	s_addc_u32 s5, s29, 0
	s_add_u32 s4, s4, 0xc4
	s_addc_u32 s5, s5, 0
	;; [unrolled: 2-line block ×3, first 2 shown]
.LBB122_441:                            ; =>This Inner Loop Header: Depth=1
	s_clause 0x1
	s_load_dwordx2 s[10:11], s[6:7], 0x4
	s_load_dword s9, s[6:7], 0xc
	s_load_dwordx2 s[12:13], s[4:5], 0x0
	s_add_u32 s6, s6, 12
	s_addc_u32 s7, s7, 0
	s_add_u32 s4, s4, 8
	s_addc_u32 s5, s5, 0
	s_add_i32 s8, s8, -1
	s_cmp_lg_u32 s8, 0
	s_waitcnt lgkmcnt(0)
	v_mul_hi_u32 v1, s11, v0
	v_add_nc_u32_e32 v1, v0, v1
	v_lshrrev_b32_e32 v1, s9, v1
	v_mul_lo_u32 v2, v1, s10
	v_sub_nc_u32_e32 v0, v0, v2
	v_mad_u64_u32 v[21:22], null, v0, s12, v[21:22]
	v_mad_u64_u32 v[4:5], null, v0, s13, v[4:5]
	v_mov_b32_e32 v0, v1
	s_cbranch_scc1 .LBB122_441
.LBB122_442:
	s_mov_b32 s4, 0
.LBB122_443:
	s_andn2_b32 vcc_lo, exec_lo, s4
	s_cbranch_vccnz .LBB122_446
; %bb.444:
	v_mul_hi_u32 v0, s41, v23
	s_andn2_b32 vcc_lo, exec_lo, s53
	v_add_nc_u32_e32 v0, v23, v0
	v_lshrrev_b32_e32 v0, s42, v0
	v_mul_lo_u32 v1, v0, s40
	v_sub_nc_u32_e32 v1, v23, v1
	v_mul_lo_u32 v21, v1, s36
	v_mul_lo_u32 v4, v1, s37
	s_cbranch_vccnz .LBB122_446
; %bb.445:
	v_mul_hi_u32 v1, s44, v0
	v_add_nc_u32_e32 v1, v0, v1
	v_lshrrev_b32_e32 v1, s45, v1
	v_mul_lo_u32 v1, v1, s43
	v_sub_nc_u32_e32 v0, v0, v1
	v_mad_u64_u32 v[21:22], null, v0, s38, v[21:22]
	v_mad_u64_u32 v[4:5], null, v0, s39, v[4:5]
.LBB122_446:
	v_mov_b32_e32 v0, s34
	v_mov_b32_e32 v1, s35
	;; [unrolled: 1-line block ×5, first 2 shown]
	s_getpc_b64 s[4:5]
	s_add_u32 s4, s4, _ZN2at6native6invokeIZZZNS0_21polygamma_kernel_cudaERNS_18TensorIteratorBaseElENKUlvE_clEvENKUlvE2_clEvEUlN3c108BFloat16EE_j15function_traitsIS8_EEENT1_11result_typeERKT_PrKPcPKT0_PKNS6_10ScalarTypeEi@rel32@lo+4
	s_addc_u32 s5, s5, _ZN2at6native6invokeIZZZNS0_21polygamma_kernel_cudaERNS_18TensorIteratorBaseElENKUlvE_clEvENKUlvE2_clEvEUlN3c108BFloat16EE_j15function_traitsIS8_EEENT1_11result_typeERKT_PrKPcPKT0_PKNS6_10ScalarTypeEi@rel32@hi+12
	s_swappc_b64 s[30:31], s[4:5]
	v_add_co_u32 v1, s4, s24, v21
	v_add_co_ci_u32_e64 v2, null, s25, 0, s4
	s_and_b32 s5, s51, 0xff
	s_cmp_lt_i32 s5, 11
	s_cbranch_scc1 .LBB122_453
; %bb.447:
	s_and_b32 s6, 0xffff, s5
	s_mov_b32 s7, -1
	s_cmp_gt_i32 s6, 25
	s_mov_b32 s4, s62
	s_cbranch_scc0 .LBB122_485
; %bb.448:
	s_cmp_gt_i32 s6, 28
	s_mov_b32 s4, s62
	s_cbranch_scc0 .LBB122_469
; %bb.449:
	;; [unrolled: 4-line block ×4, first 2 shown]
	s_cmp_eq_u32 s6, 46
	s_mov_b32 s4, -1
	s_cbranch_scc0 .LBB122_458
; %bb.452:
	v_and_b32_e32 v3, 0xffff, v0
	s_mov_b32 s4, 0
	s_mov_b32 s7, 0
	global_store_dword v[1:2], v3, off
	s_branch .LBB122_459
.LBB122_453:
	s_mov_b32 s8, 0
	s_mov_b32 s7, -1
	s_mov_b32 s4, s62
	s_branch .LBB122_526
.LBB122_454:
	s_andn2_saveexec_b32 s9, s9
	s_cbranch_execz .LBB122_338
.LBB122_455:
	v_add_f32_e64 v4, 0x46000000, |v5|
	s_andn2_b32 s8, s8, exec_lo
	v_and_b32_e32 v4, 0xff, v4
	v_cmp_ne_u32_e32 vcc_lo, 0, v4
	s_and_b32 s10, vcc_lo, exec_lo
	s_or_b32 s8, s8, s10
	s_or_b32 exec_lo, exec_lo, s9
	v_mov_b32_e32 v6, 0
	s_and_saveexec_b32 s9, s8
	s_cbranch_execnz .LBB122_339
	s_branch .LBB122_340
.LBB122_456:
	s_andn2_saveexec_b32 s9, s9
	s_cbranch_execz .LBB122_351
.LBB122_457:
	v_add_f32_e64 v4, 0x42800000, |v5|
	s_andn2_b32 s8, s8, exec_lo
	v_and_b32_e32 v4, 0xff, v4
	v_cmp_ne_u32_e32 vcc_lo, 0, v4
	s_and_b32 s10, vcc_lo, exec_lo
	s_or_b32 s8, s8, s10
	s_or_b32 exec_lo, exec_lo, s9
	v_mov_b32_e32 v6, 0
	s_and_saveexec_b32 s9, s8
	s_cbranch_execnz .LBB122_352
	s_branch .LBB122_353
.LBB122_458:
	s_mov_b32 s7, 0
.LBB122_459:
	s_and_b32 vcc_lo, exec_lo, s7
	s_cbranch_vccz .LBB122_464
; %bb.460:
	s_cmp_eq_u32 s6, 44
	s_mov_b32 s4, -1
	s_cbranch_scc0 .LBB122_464
; %bb.461:
	v_and_b32_e32 v3, 0xffff, v0
	v_mov_b32_e32 v4, 0xff
	s_mov_b32 s7, exec_lo
	v_bfe_u32 v5, v3, 7, 8
	v_cmpx_ne_u32_e32 0xff, v5
	s_cbranch_execz .LBB122_463
; %bb.462:
	v_lshlrev_b32_e32 v4, 16, v3
	v_and_b32_e32 v6, 64, v3
	v_lshrrev_b32_e32 v3, 7, v3
	v_and_or_b32 v4, 0x3f0000, v4, v5
	v_cmp_ne_u32_e32 vcc_lo, 0, v6
	v_cmp_ne_u32_e64 s4, 0, v4
	s_and_b32 s4, vcc_lo, s4
	v_cndmask_b32_e64 v4, 0, 1, s4
	v_add_nc_u32_e32 v4, v3, v4
.LBB122_463:
	s_or_b32 exec_lo, exec_lo, s7
	s_mov_b32 s4, 0
	global_store_byte v[1:2], v4, off
.LBB122_464:
	s_mov_b32 s7, 0
.LBB122_465:
	s_and_b32 vcc_lo, exec_lo, s7
	s_cbranch_vccz .LBB122_468
; %bb.466:
	s_cmp_eq_u32 s6, 29
	s_mov_b32 s4, -1
	s_cbranch_scc0 .LBB122_468
; %bb.467:
	v_lshlrev_b32_e32 v3, 16, v0
	s_mov_b32 s4, 0
	s_mov_b32 s7, 0
	v_trunc_f32_e32 v3, v3
	v_mul_f32_e32 v4, 0x2f800000, v3
	v_floor_f32_e32 v4, v4
	v_fmamk_f32 v3, v4, 0xcf800000, v3
	v_cvt_u32_f32_e32 v4, v4
	v_cvt_u32_f32_e32 v3, v3
	global_store_dwordx2 v[1:2], v[3:4], off
	s_branch .LBB122_469
.LBB122_468:
	s_mov_b32 s7, 0
.LBB122_469:
	s_and_b32 vcc_lo, exec_lo, s7
	s_cbranch_vccz .LBB122_484
; %bb.470:
	s_cmp_lt_i32 s6, 27
	s_mov_b32 s7, -1
	s_cbranch_scc1 .LBB122_476
; %bb.471:
	s_cmp_gt_i32 s6, 27
	s_cbranch_scc0 .LBB122_473
; %bb.472:
	v_lshlrev_b32_e32 v3, 16, v0
	s_mov_b32 s7, 0
	v_cvt_u32_f32_e32 v3, v3
	global_store_dword v[1:2], v3, off
.LBB122_473:
	s_andn2_b32 vcc_lo, exec_lo, s7
	s_cbranch_vccnz .LBB122_475
; %bb.474:
	v_lshlrev_b32_e32 v3, 16, v0
	v_cvt_u32_f32_e32 v3, v3
	global_store_short v[1:2], v3, off
.LBB122_475:
	s_mov_b32 s7, 0
.LBB122_476:
	s_andn2_b32 vcc_lo, exec_lo, s7
	s_cbranch_vccnz .LBB122_484
; %bb.477:
	v_lshlrev_b32_e32 v5, 16, v0
	v_mov_b32_e32 v6, 0x80
	s_mov_b32 s7, exec_lo
	v_and_b32_e32 v4, 0x7fffffff, v5
	v_cmpx_gt_u32_e32 0x43800000, v4
	s_cbranch_execz .LBB122_483
; %bb.478:
	v_and_b32_e32 v3, 0xffff, v0
	v_cmp_lt_u32_e32 vcc_lo, 0x3bffffff, v4
	s_mov_b32 s8, 0
                                        ; implicit-def: $vgpr4
	s_and_saveexec_b32 s9, vcc_lo
	s_xor_b32 s9, exec_lo, s9
	s_cbranch_execz .LBB122_1121
; %bb.479:
	v_bfe_u32 v4, v3, 4, 1
	s_mov_b32 s8, exec_lo
	v_add3_u32 v4, v5, v4, 0x487ffff
                                        ; implicit-def: $vgpr5
	v_lshrrev_b32_e32 v4, 20, v4
	s_andn2_saveexec_b32 s9, s9
	s_cbranch_execnz .LBB122_1122
.LBB122_480:
	s_or_b32 exec_lo, exec_lo, s9
	v_mov_b32_e32 v6, 0
	s_and_saveexec_b32 s9, s8
.LBB122_481:
	v_lshrrev_b32_e32 v3, 8, v3
	v_and_or_b32 v6, 0x80, v3, v4
.LBB122_482:
	s_or_b32 exec_lo, exec_lo, s9
.LBB122_483:
	s_or_b32 exec_lo, exec_lo, s7
	global_store_byte v[1:2], v6, off
.LBB122_484:
	s_mov_b32 s7, 0
.LBB122_485:
	s_and_b32 vcc_lo, exec_lo, s7
	s_mov_b32 s7, 0
	s_cbranch_vccz .LBB122_525
; %bb.486:
	s_cmp_gt_i32 s6, 22
	s_mov_b32 s8, -1
	s_cbranch_scc0 .LBB122_518
; %bb.487:
	s_cmp_lt_i32 s6, 24
	s_cbranch_scc1 .LBB122_507
; %bb.488:
	s_cmp_gt_i32 s6, 24
	s_cbranch_scc0 .LBB122_496
; %bb.489:
	v_lshlrev_b32_e32 v5, 16, v0
	v_mov_b32_e32 v6, 0x80
	s_mov_b32 s8, exec_lo
	v_and_b32_e32 v4, 0x7fffffff, v5
	v_cmpx_gt_u32_e32 0x47800000, v4
	s_cbranch_execz .LBB122_495
; %bb.490:
	v_and_b32_e32 v3, 0xffff, v0
	v_cmp_lt_u32_e32 vcc_lo, 0x37ffffff, v4
	s_mov_b32 s9, 0
                                        ; implicit-def: $vgpr4
	s_and_saveexec_b32 s10, vcc_lo
	s_xor_b32 s10, exec_lo, s10
	s_cbranch_execz .LBB122_1125
; %bb.491:
	v_bfe_u32 v4, v3, 5, 1
	s_mov_b32 s9, exec_lo
	v_add3_u32 v4, v5, v4, 0x88fffff
                                        ; implicit-def: $vgpr5
	v_lshrrev_b32_e32 v4, 21, v4
	s_andn2_saveexec_b32 s10, s10
	s_cbranch_execnz .LBB122_1126
.LBB122_492:
	s_or_b32 exec_lo, exec_lo, s10
	v_mov_b32_e32 v6, 0
	s_and_saveexec_b32 s10, s9
.LBB122_493:
	v_lshrrev_b32_e32 v3, 8, v3
	v_and_or_b32 v6, 0x80, v3, v4
.LBB122_494:
	s_or_b32 exec_lo, exec_lo, s10
.LBB122_495:
	s_or_b32 exec_lo, exec_lo, s8
	s_mov_b32 s8, 0
	global_store_byte v[1:2], v6, off
.LBB122_496:
	s_and_b32 vcc_lo, exec_lo, s8
	s_cbranch_vccz .LBB122_506
; %bb.497:
	v_lshlrev_b32_e32 v5, 16, v0
	v_and_b32_e32 v3, 0xffff, v0
	s_mov_b32 s8, exec_lo
                                        ; implicit-def: $vgpr4
	v_and_b32_e32 v6, 0x7fffffff, v5
	v_cmpx_gt_u32_e32 0x43f00000, v6
	s_xor_b32 s8, exec_lo, s8
	s_cbranch_execz .LBB122_503
; %bb.498:
	s_mov_b32 s9, exec_lo
                                        ; implicit-def: $vgpr4
	v_cmpx_lt_u32_e32 0x3c7fffff, v6
	s_xor_b32 s9, exec_lo, s9
; %bb.499:
	v_bfe_u32 v4, v3, 4, 1
	v_add3_u32 v4, v5, v4, 0x407ffff
	v_and_b32_e32 v5, 0xff00000, v4
	v_lshrrev_b32_e32 v4, 20, v4
	v_cmp_ne_u32_e32 vcc_lo, 0x7f00000, v5
                                        ; implicit-def: $vgpr5
	v_cndmask_b32_e32 v4, 0x7e, v4, vcc_lo
; %bb.500:
	s_andn2_saveexec_b32 s9, s9
; %bb.501:
	v_add_f32_e64 v4, 0x46800000, |v5|
; %bb.502:
	s_or_b32 exec_lo, exec_lo, s9
                                        ; implicit-def: $vgpr6
.LBB122_503:
	s_andn2_saveexec_b32 s8, s8
; %bb.504:
	v_mov_b32_e32 v4, 0x7f
	v_cmp_lt_u32_e32 vcc_lo, 0x7f800000, v6
	v_cndmask_b32_e32 v4, 0x7e, v4, vcc_lo
; %bb.505:
	s_or_b32 exec_lo, exec_lo, s8
	v_lshrrev_b32_e32 v3, 8, v3
	v_and_or_b32 v3, 0x80, v3, v4
	global_store_byte v[1:2], v3, off
.LBB122_506:
	s_mov_b32 s8, 0
.LBB122_507:
	s_andn2_b32 vcc_lo, exec_lo, s8
	s_cbranch_vccnz .LBB122_517
; %bb.508:
	v_lshlrev_b32_e32 v5, 16, v0
	v_and_b32_e32 v3, 0xffff, v0
	s_mov_b32 s8, exec_lo
                                        ; implicit-def: $vgpr4
	v_and_b32_e32 v6, 0x7fffffff, v5
	v_cmpx_gt_u32_e32 0x47800000, v6
	s_xor_b32 s8, exec_lo, s8
	s_cbranch_execz .LBB122_514
; %bb.509:
	s_mov_b32 s9, exec_lo
                                        ; implicit-def: $vgpr4
	v_cmpx_lt_u32_e32 0x387fffff, v6
	s_xor_b32 s9, exec_lo, s9
; %bb.510:
	v_bfe_u32 v4, v3, 5, 1
	v_add3_u32 v4, v5, v4, 0x80fffff
                                        ; implicit-def: $vgpr5
	v_lshrrev_b32_e32 v4, 21, v4
; %bb.511:
	s_andn2_saveexec_b32 s9, s9
; %bb.512:
	v_add_f32_e64 v4, 0x43000000, |v5|
; %bb.513:
	s_or_b32 exec_lo, exec_lo, s9
                                        ; implicit-def: $vgpr6
.LBB122_514:
	s_andn2_saveexec_b32 s8, s8
; %bb.515:
	v_mov_b32_e32 v4, 0x7f
	v_cmp_lt_u32_e32 vcc_lo, 0x7f800000, v6
	v_cndmask_b32_e32 v4, 0x7c, v4, vcc_lo
; %bb.516:
	s_or_b32 exec_lo, exec_lo, s8
	v_lshrrev_b32_e32 v3, 8, v3
	v_and_or_b32 v3, 0x80, v3, v4
	global_store_byte v[1:2], v3, off
.LBB122_517:
	s_mov_b32 s8, 0
.LBB122_518:
	s_andn2_b32 vcc_lo, exec_lo, s8
	s_mov_b32 s8, 0
	s_cbranch_vccnz .LBB122_526
; %bb.519:
	s_cmp_gt_i32 s6, 14
	s_mov_b32 s8, -1
	s_cbranch_scc0 .LBB122_523
; %bb.520:
	s_cmp_eq_u32 s6, 15
	s_mov_b32 s4, -1
	s_cbranch_scc0 .LBB122_522
; %bb.521:
	s_mov_b32 s4, 0
	global_store_short v[1:2], v0, off
.LBB122_522:
	s_mov_b32 s8, 0
.LBB122_523:
	s_and_b32 vcc_lo, exec_lo, s8
	s_mov_b32 s8, 0
	s_cbranch_vccz .LBB122_526
; %bb.524:
	s_cmp_lg_u32 s6, 11
	s_mov_b32 s8, -1
	s_cselect_b32 s6, -1, 0
	s_andn2_b32 s4, s4, exec_lo
	s_and_b32 s6, s6, exec_lo
	s_or_b32 s4, s4, s6
	s_branch .LBB122_526
.LBB122_525:
	s_mov_b32 s8, 0
.LBB122_526:
	s_and_b32 s6, s7, exec_lo
	s_andn2_b32 s7, s62, exec_lo
	s_and_b32 s9, s4, exec_lo
	s_and_b32 s4, s8, exec_lo
	s_or_b32 s7, s7, s9
.LBB122_527:
	s_or_b32 exec_lo, exec_lo, s54
	s_andn2_b32 s8, s62, exec_lo
	s_and_b32 s7, s7, exec_lo
	s_and_b32 s6, s6, exec_lo
	;; [unrolled: 1-line block ×3, first 2 shown]
	s_or_b32 s62, s8, s7
.LBB122_528:
	s_or_b32 exec_lo, exec_lo, s61
	s_andn2_b32 s7, s59, exec_lo
	s_and_b32 s8, s62, exec_lo
	s_and_b32 s6, s6, exec_lo
	;; [unrolled: 1-line block ×3, first 2 shown]
	s_or_b32 s59, s7, s8
.LBB122_529:
	s_or_b32 exec_lo, exec_lo, s60
	s_andn2_b32 s7, s57, exec_lo
	s_and_b32 s8, s59, exec_lo
	s_and_b32 s6, s6, exec_lo
	;; [unrolled: 1-line block ×3, first 2 shown]
	s_or_b32 s57, s7, s8
	s_or_b32 exec_lo, exec_lo, s58
	s_mov_b32 s4, 0
	s_and_saveexec_b32 s7, s57
	s_cbranch_execz .LBB122_146
.LBB122_530:
	s_mov_b32 s4, exec_lo
	s_andn2_b32 s59, s59, exec_lo
	s_trap 2
	s_or_b32 exec_lo, exec_lo, s7
	s_and_saveexec_b32 s7, s59
	s_xor_b32 s7, exec_lo, s7
	s_cbranch_execnz .LBB122_147
.LBB122_531:
	s_or_b32 exec_lo, exec_lo, s7
	s_and_saveexec_b32 s7, s6
	s_xor_b32 s6, exec_lo, s7
	s_cbranch_execz .LBB122_569
.LBB122_532:
	s_sext_i32_i16 s8, s5
	s_mov_b32 s7, -1
	s_cmp_lt_i32 s8, 5
	s_cbranch_scc1 .LBB122_553
; %bb.533:
	s_cmp_lt_i32 s8, 8
	s_cbranch_scc1 .LBB122_543
; %bb.534:
	;; [unrolled: 3-line block ×3, first 2 shown]
	s_cmp_gt_i32 s8, 9
	s_cbranch_scc0 .LBB122_537
; %bb.536:
	v_lshlrev_b32_e32 v3, 16, v0
	v_mov_b32_e32 v5, 0
	s_mov_b32 s7, 0
	v_cvt_f64_f32_e32 v[3:4], v3
	v_mov_b32_e32 v6, v5
	global_store_dwordx4 v[1:2], v[3:6], off
.LBB122_537:
	s_andn2_b32 vcc_lo, exec_lo, s7
	s_cbranch_vccnz .LBB122_539
; %bb.538:
	v_lshlrev_b32_e32 v3, 16, v0
	v_mov_b32_e32 v4, 0
	global_store_dwordx2 v[1:2], v[3:4], off
.LBB122_539:
	s_mov_b32 s7, 0
.LBB122_540:
	s_andn2_b32 vcc_lo, exec_lo, s7
	s_cbranch_vccnz .LBB122_542
; %bb.541:
	v_lshlrev_b32_e32 v3, 16, v0
	v_cvt_f16_f32_e32 v3, v3
	v_and_b32_e32 v3, 0xffff, v3
	global_store_dword v[1:2], v3, off
.LBB122_542:
	s_mov_b32 s7, 0
.LBB122_543:
	s_andn2_b32 vcc_lo, exec_lo, s7
	s_cbranch_vccnz .LBB122_552
; %bb.544:
	s_sext_i32_i16 s8, s5
	s_mov_b32 s7, -1
	s_cmp_lt_i32 s8, 6
	s_cbranch_scc1 .LBB122_550
; %bb.545:
	s_cmp_gt_i32 s8, 6
	s_cbranch_scc0 .LBB122_547
; %bb.546:
	v_lshlrev_b32_e32 v3, 16, v0
	s_mov_b32 s7, 0
	v_cvt_f64_f32_e32 v[3:4], v3
	global_store_dwordx2 v[1:2], v[3:4], off
.LBB122_547:
	s_andn2_b32 vcc_lo, exec_lo, s7
	s_cbranch_vccnz .LBB122_549
; %bb.548:
	v_lshlrev_b32_e32 v3, 16, v0
	global_store_dword v[1:2], v3, off
.LBB122_549:
	s_mov_b32 s7, 0
.LBB122_550:
	s_andn2_b32 vcc_lo, exec_lo, s7
	s_cbranch_vccnz .LBB122_552
; %bb.551:
	v_lshlrev_b32_e32 v3, 16, v0
	v_cvt_f16_f32_e32 v3, v3
	global_store_short v[1:2], v3, off
.LBB122_552:
	s_mov_b32 s7, 0
.LBB122_553:
	s_andn2_b32 vcc_lo, exec_lo, s7
	s_cbranch_vccnz .LBB122_569
; %bb.554:
	s_sext_i32_i16 s8, s5
	s_mov_b32 s7, -1
	s_cmp_lt_i32 s8, 2
	s_cbranch_scc1 .LBB122_564
; %bb.555:
	s_cmp_lt_i32 s8, 3
	s_cbranch_scc1 .LBB122_561
; %bb.556:
	s_cmp_gt_i32 s8, 3
	s_cbranch_scc0 .LBB122_558
; %bb.557:
	v_lshlrev_b32_e32 v3, 16, v0
	s_mov_b32 s7, 0
	v_trunc_f32_e32 v3, v3
	v_mul_f32_e64 v4, 0x2f800000, |v3|
	v_ashrrev_i32_e32 v6, 31, v3
	v_floor_f32_e32 v4, v4
	v_fma_f32 v5, 0xcf800000, v4, |v3|
	v_cvt_u32_f32_e32 v4, v4
	v_cvt_u32_f32_e32 v3, v5
	v_xor_b32_e32 v4, v4, v6
	v_xor_b32_e32 v3, v3, v6
	v_sub_co_u32 v3, vcc_lo, v3, v6
	v_sub_co_ci_u32_e64 v4, null, v4, v6, vcc_lo
	global_store_dwordx2 v[1:2], v[3:4], off
.LBB122_558:
	s_andn2_b32 vcc_lo, exec_lo, s7
	s_cbranch_vccnz .LBB122_560
; %bb.559:
	v_lshlrev_b32_e32 v3, 16, v0
	v_cvt_i32_f32_e32 v3, v3
	global_store_dword v[1:2], v3, off
.LBB122_560:
	s_mov_b32 s7, 0
.LBB122_561:
	s_andn2_b32 vcc_lo, exec_lo, s7
	s_cbranch_vccnz .LBB122_563
; %bb.562:
	v_lshlrev_b32_e32 v3, 16, v0
	v_cvt_i32_f32_e32 v3, v3
	global_store_short v[1:2], v3, off
.LBB122_563:
	s_mov_b32 s7, 0
.LBB122_564:
	s_andn2_b32 vcc_lo, exec_lo, s7
	s_cbranch_vccnz .LBB122_569
; %bb.565:
	s_sext_i32_i16 s5, s5
	s_cmp_gt_i32 s5, 0
	s_mov_b32 s5, -1
	s_cbranch_scc0 .LBB122_567
; %bb.566:
	v_lshlrev_b32_e32 v3, 16, v0
	s_mov_b32 s5, 0
	v_cvt_i32_f32_e32 v3, v3
	global_store_byte v[1:2], v3, off
.LBB122_567:
	s_andn2_b32 vcc_lo, exec_lo, s5
	s_cbranch_vccnz .LBB122_569
; %bb.568:
	v_lshlrev_b32_e32 v0, 16, v0
	v_trunc_f32_e32 v0, v0
	v_mul_f32_e64 v3, 0x2f800000, |v0|
	v_floor_f32_e32 v3, v3
	v_fma_f32 v3, 0xcf800000, v3, |v0|
	v_ashrrev_i32_e32 v0, 31, v0
	v_cvt_u32_f32_e32 v3, v3
	v_xor_b32_e32 v3, v3, v0
	v_sub_nc_u32_e32 v0, v3, v0
	global_store_byte v[1:2], v0, off
.LBB122_569:
	s_or_b32 exec_lo, exec_lo, s6
	s_and_b32 s34, s4, exec_lo
                                        ; implicit-def: $vgpr3
                                        ; implicit-def: $vgpr23
.LBB122_570:
	s_or_saveexec_b32 s35, s50
	s_mov_b32 s4, 0
                                        ; implicit-def: $sgpr5
                                        ; implicit-def: $vgpr1_vgpr2
                                        ; implicit-def: $vgpr0
	s_xor_b32 exec_lo, exec_lo, s35
	s_cbranch_execz .LBB122_1059
; %bb.571:
	v_cndmask_b32_e64 v0, 0, 1, s49
	s_andn2_b32 vcc_lo, exec_lo, s49
	s_cbranch_vccnz .LBB122_577
; %bb.572:
	s_cmp_lg_u32 s21, 0
	s_mov_b32 s8, 0
	s_cbranch_scc0 .LBB122_578
; %bb.573:
	s_min_u32 s10, s33, 15
	s_add_i32 s10, s10, 1
	s_cmp_eq_u32 s33, 2
	s_cbranch_scc1 .LBB122_579
; %bb.574:
	v_mov_b32_e32 v4, 0
	v_mov_b32_e32 v32, 0
	v_mov_b32_e32 v1, v23
	s_and_b32 s9, s10, 28
	s_add_u32 s4, s28, 0xc4
	s_addc_u32 s5, s29, 0
	s_mov_b32 s11, 0
	s_mov_b64 s[6:7], s[28:29]
.LBB122_575:                            ; =>This Inner Loop Header: Depth=1
	s_clause 0x1
	s_load_dwordx8 s[12:19], s[6:7], 0x4
	s_load_dwordx4 s[24:27], s[6:7], 0x24
	s_load_dwordx8 s[36:43], s[4:5], 0x0
	s_add_u32 s6, s6, 48
	s_addc_u32 s7, s7, 0
	s_add_i32 s11, s11, 4
	s_add_u32 s4, s4, 32
	s_addc_u32 s5, s5, 0
	s_cmp_lg_u32 s9, s11
	s_waitcnt lgkmcnt(0)
	v_mul_hi_u32 v2, s13, v1
	v_add_nc_u32_e32 v2, v1, v2
	v_lshrrev_b32_e32 v2, s14, v2
	v_mul_hi_u32 v5, s16, v2
	v_mul_lo_u32 v7, v2, s12
	v_add_nc_u32_e32 v5, v2, v5
	v_sub_nc_u32_e32 v1, v1, v7
	v_lshrrev_b32_e32 v5, s17, v5
	v_mul_lo_u32 v7, v1, s36
	v_mul_lo_u32 v9, v1, s37
	v_mul_hi_u32 v6, s19, v5
	v_add_nc_u32_e32 v6, v5, v6
	v_lshrrev_b32_e32 v6, s24, v6
	v_mul_hi_u32 v8, s26, v6
	v_mul_lo_u32 v10, v6, s18
	v_add_nc_u32_e32 v1, v6, v8
	v_mul_lo_u32 v8, v5, s15
	v_sub_nc_u32_e32 v5, v5, v10
	v_lshrrev_b32_e32 v1, s27, v1
	v_mul_lo_u32 v10, v5, s40
	v_mul_lo_u32 v5, v5, s41
	v_sub_nc_u32_e32 v2, v2, v8
	v_mul_lo_u32 v11, v1, s25
	v_mul_lo_u32 v8, v2, s38
	;; [unrolled: 1-line block ×3, first 2 shown]
	v_sub_nc_u32_e32 v6, v6, v11
	v_add3_u32 v7, v7, v32, v8
	v_mul_lo_u32 v11, v6, s42
	v_mul_lo_u32 v6, v6, s43
	v_add3_u32 v2, v9, v4, v2
	v_add3_u32 v32, v10, v7, v11
	v_add3_u32 v4, v5, v2, v6
	s_cbranch_scc1 .LBB122_575
; %bb.576:
	s_and_b32 s10, s10, 3
	s_cmp_eq_u32 s10, 0
	s_cbranch_scc0 .LBB122_580
	s_branch .LBB122_582
.LBB122_577:
	s_mov_b32 s8, -1
                                        ; implicit-def: $vgpr32
                                        ; implicit-def: $vgpr4
	s_branch .LBB122_582
.LBB122_578:
	v_mov_b32_e32 v32, 0
	v_mov_b32_e32 v4, 0
	s_branch .LBB122_582
.LBB122_579:
	v_mov_b32_e32 v32, 0
	v_mov_b32_e32 v4, 0
	;; [unrolled: 1-line block ×3, first 2 shown]
	s_mov_b32 s9, 0
	s_and_b32 s10, s10, 3
	s_cmp_eq_u32 s10, 0
	s_cbranch_scc1 .LBB122_582
.LBB122_580:
	s_lshl_b32 s4, s9, 3
	s_mul_i32 s6, s9, 12
	s_add_u32 s4, s28, s4
	s_addc_u32 s5, s29, 0
	s_add_u32 s4, s4, 0xc4
	s_addc_u32 s5, s5, 0
	;; [unrolled: 2-line block ×3, first 2 shown]
	.p2align	6
.LBB122_581:                            ; =>This Inner Loop Header: Depth=1
	s_clause 0x1
	s_load_dwordx2 s[12:13], s[6:7], 0x4
	s_load_dword s9, s[6:7], 0xc
	s_load_dwordx2 s[14:15], s[4:5], 0x0
	s_add_u32 s6, s6, 12
	s_addc_u32 s7, s7, 0
	s_add_u32 s4, s4, 8
	s_addc_u32 s5, s5, 0
	s_add_i32 s10, s10, -1
	s_cmp_lg_u32 s10, 0
	s_waitcnt lgkmcnt(0)
	v_mul_hi_u32 v2, s13, v1
	v_add_nc_u32_e32 v2, v1, v2
	v_lshrrev_b32_e32 v2, s9, v2
	v_mul_lo_u32 v5, v2, s12
	v_sub_nc_u32_e32 v1, v1, v5
	v_mad_u64_u32 v[32:33], null, v1, s14, v[32:33]
	v_mad_u64_u32 v[4:5], null, v1, s15, v[4:5]
	v_mov_b32_e32 v1, v2
	s_cbranch_scc1 .LBB122_581
.LBB122_582:
	s_andn2_b32 vcc_lo, exec_lo, s8
	s_cbranch_vccnz .LBB122_585
; %bb.583:
	s_clause 0x1
	s_load_dwordx4 s[4:7], s[28:29], 0x4
	s_load_dwordx2 s[8:9], s[28:29], 0xc4
	s_cmp_lt_u32 s21, 2
	s_waitcnt lgkmcnt(0)
	v_mul_hi_u32 v1, s5, v23
	v_add_nc_u32_e32 v1, v23, v1
	v_lshrrev_b32_e32 v1, s6, v1
	v_mul_lo_u32 v2, v1, s4
	v_sub_nc_u32_e32 v2, v23, v2
	v_mul_lo_u32 v32, v2, s8
	v_mul_lo_u32 v4, v2, s9
	s_cbranch_scc1 .LBB122_585
; %bb.584:
	s_clause 0x1
	s_load_dwordx4 s[4:7], s[28:29], 0x10
	s_load_dwordx2 s[8:9], s[28:29], 0xcc
	s_waitcnt lgkmcnt(0)
	v_mul_hi_u32 v2, s5, v1
	v_add_nc_u32_e32 v2, v1, v2
	v_lshrrev_b32_e32 v2, s6, v2
	v_mul_lo_u32 v2, v2, s4
	v_sub_nc_u32_e32 v1, v1, v2
	v_mad_u64_u32 v[32:33], null, v1, s8, v[32:33]
	v_mad_u64_u32 v[4:5], null, v1, s9, v[4:5]
.LBB122_585:
	v_cmp_ne_u32_e32 vcc_lo, 1, v0
	v_add_nc_u32_e32 v1, 0x80, v23
	s_cbranch_vccnz .LBB122_591
; %bb.586:
	s_cmp_lg_u32 s21, 0
	s_mov_b32 s8, 0
	s_cbranch_scc0 .LBB122_592
; %bb.587:
	s_min_u32 s10, s33, 15
	s_add_i32 s10, s10, 1
	s_cmp_eq_u32 s33, 2
	s_cbranch_scc1 .LBB122_593
; %bb.588:
	v_mov_b32_e32 v21, 0
	v_mov_b32_e32 v30, 0
	;; [unrolled: 1-line block ×3, first 2 shown]
	s_and_b32 s9, s10, 28
	s_add_u32 s4, s28, 0xc4
	s_addc_u32 s5, s29, 0
	s_mov_b32 s11, 0
	s_mov_b64 s[6:7], s[28:29]
.LBB122_589:                            ; =>This Inner Loop Header: Depth=1
	s_clause 0x1
	s_load_dwordx8 s[12:19], s[6:7], 0x4
	s_load_dwordx4 s[24:27], s[6:7], 0x24
	s_load_dwordx8 s[36:43], s[4:5], 0x0
	s_add_u32 s6, s6, 48
	s_addc_u32 s7, s7, 0
	s_add_i32 s11, s11, 4
	s_add_u32 s4, s4, 32
	s_addc_u32 s5, s5, 0
	s_cmp_lg_u32 s9, s11
	s_waitcnt lgkmcnt(0)
	v_mul_hi_u32 v5, s13, v2
	v_add_nc_u32_e32 v5, v2, v5
	v_lshrrev_b32_e32 v5, s14, v5
	v_mul_hi_u32 v6, s16, v5
	v_mul_lo_u32 v8, v5, s12
	v_add_nc_u32_e32 v6, v5, v6
	v_sub_nc_u32_e32 v2, v2, v8
	v_lshrrev_b32_e32 v6, s17, v6
	v_mul_lo_u32 v8, v2, s36
	v_mul_lo_u32 v10, v2, s37
	v_mul_hi_u32 v7, s19, v6
	v_add_nc_u32_e32 v7, v6, v7
	v_lshrrev_b32_e32 v7, s24, v7
	v_mul_hi_u32 v9, s26, v7
	v_mul_lo_u32 v11, v7, s18
	v_add_nc_u32_e32 v2, v7, v9
	v_mul_lo_u32 v9, v6, s15
	v_sub_nc_u32_e32 v6, v6, v11
	v_lshrrev_b32_e32 v2, s27, v2
	v_mul_lo_u32 v11, v6, s40
	v_mul_lo_u32 v6, v6, s41
	v_sub_nc_u32_e32 v5, v5, v9
	v_mul_lo_u32 v12, v2, s25
	v_mul_lo_u32 v9, v5, s38
	;; [unrolled: 1-line block ×3, first 2 shown]
	v_sub_nc_u32_e32 v7, v7, v12
	v_add3_u32 v8, v8, v30, v9
	v_mul_lo_u32 v12, v7, s42
	v_mul_lo_u32 v7, v7, s43
	v_add3_u32 v5, v10, v21, v5
	v_add3_u32 v30, v11, v8, v12
	;; [unrolled: 1-line block ×3, first 2 shown]
	s_cbranch_scc1 .LBB122_589
; %bb.590:
	s_and_b32 s10, s10, 3
	s_cmp_eq_u32 s10, 0
	s_cbranch_scc0 .LBB122_594
	s_branch .LBB122_596
.LBB122_591:
	s_mov_b32 s8, -1
                                        ; implicit-def: $vgpr30
                                        ; implicit-def: $vgpr21
	s_branch .LBB122_596
.LBB122_592:
	v_mov_b32_e32 v30, 0
	v_mov_b32_e32 v21, 0
	s_branch .LBB122_596
.LBB122_593:
	v_mov_b32_e32 v30, 0
	v_mov_b32_e32 v21, 0
	;; [unrolled: 1-line block ×3, first 2 shown]
	s_mov_b32 s9, 0
	s_and_b32 s10, s10, 3
	s_cmp_eq_u32 s10, 0
	s_cbranch_scc1 .LBB122_596
.LBB122_594:
	s_lshl_b32 s4, s9, 3
	s_mul_i32 s6, s9, 12
	s_add_u32 s4, s28, s4
	s_addc_u32 s5, s29, 0
	s_add_u32 s4, s4, 0xc4
	s_addc_u32 s5, s5, 0
	;; [unrolled: 2-line block ×3, first 2 shown]
	.p2align	6
.LBB122_595:                            ; =>This Inner Loop Header: Depth=1
	s_clause 0x1
	s_load_dwordx2 s[12:13], s[6:7], 0x4
	s_load_dword s9, s[6:7], 0xc
	s_load_dwordx2 s[14:15], s[4:5], 0x0
	s_add_u32 s6, s6, 12
	s_addc_u32 s7, s7, 0
	s_add_u32 s4, s4, 8
	s_addc_u32 s5, s5, 0
	s_add_i32 s10, s10, -1
	s_cmp_lg_u32 s10, 0
	s_waitcnt lgkmcnt(0)
	v_mul_hi_u32 v5, s13, v2
	v_add_nc_u32_e32 v5, v2, v5
	v_lshrrev_b32_e32 v5, s9, v5
	v_mul_lo_u32 v6, v5, s12
	v_sub_nc_u32_e32 v2, v2, v6
	v_mad_u64_u32 v[30:31], null, v2, s14, v[30:31]
	v_mad_u64_u32 v[21:22], null, v2, s15, v[21:22]
	v_mov_b32_e32 v2, v5
	s_cbranch_scc1 .LBB122_595
.LBB122_596:
	s_andn2_b32 vcc_lo, exec_lo, s8
	s_cbranch_vccnz .LBB122_599
; %bb.597:
	s_clause 0x1
	s_load_dwordx4 s[4:7], s[28:29], 0x4
	s_load_dwordx2 s[8:9], s[28:29], 0xc4
	s_cmp_lt_u32 s21, 2
	s_waitcnt lgkmcnt(0)
	v_mul_hi_u32 v2, s5, v1
	v_add_nc_u32_e32 v2, v1, v2
	v_lshrrev_b32_e32 v2, s6, v2
	v_mul_lo_u32 v5, v2, s4
	v_sub_nc_u32_e32 v1, v1, v5
	v_mul_lo_u32 v30, v1, s8
	v_mul_lo_u32 v21, v1, s9
	s_cbranch_scc1 .LBB122_599
; %bb.598:
	s_clause 0x1
	s_load_dwordx4 s[4:7], s[28:29], 0x10
	s_load_dwordx2 s[8:9], s[28:29], 0xcc
	s_waitcnt lgkmcnt(0)
	v_mul_hi_u32 v1, s5, v2
	v_add_nc_u32_e32 v1, v2, v1
	v_lshrrev_b32_e32 v1, s6, v1
	v_mul_lo_u32 v1, v1, s4
	v_sub_nc_u32_e32 v1, v2, v1
	v_mad_u64_u32 v[30:31], null, v1, s8, v[30:31]
	v_mad_u64_u32 v[21:22], null, v1, s9, v[21:22]
.LBB122_599:
	v_cmp_ne_u32_e32 vcc_lo, 1, v0
	v_add_nc_u32_e32 v1, 0x100, v23
	s_cbranch_vccnz .LBB122_605
; %bb.600:
	s_cmp_lg_u32 s21, 0
	s_mov_b32 s8, 0
	s_cbranch_scc0 .LBB122_606
; %bb.601:
	s_min_u32 s10, s33, 15
	s_add_i32 s10, s10, 1
	s_cmp_eq_u32 s33, 2
	s_cbranch_scc1 .LBB122_607
; %bb.602:
	v_mov_b32_e32 v22, 0
	v_mov_b32_e32 v28, 0
	;; [unrolled: 1-line block ×3, first 2 shown]
	s_and_b32 s9, s10, 28
	s_add_u32 s4, s28, 0xc4
	s_addc_u32 s5, s29, 0
	s_mov_b32 s11, 0
	s_mov_b64 s[6:7], s[28:29]
.LBB122_603:                            ; =>This Inner Loop Header: Depth=1
	s_clause 0x1
	s_load_dwordx8 s[12:19], s[6:7], 0x4
	s_load_dwordx4 s[24:27], s[6:7], 0x24
	s_load_dwordx8 s[36:43], s[4:5], 0x0
	s_add_u32 s6, s6, 48
	s_addc_u32 s7, s7, 0
	s_add_i32 s11, s11, 4
	s_add_u32 s4, s4, 32
	s_addc_u32 s5, s5, 0
	s_cmp_lg_u32 s9, s11
	s_waitcnt lgkmcnt(0)
	v_mul_hi_u32 v5, s13, v2
	v_add_nc_u32_e32 v5, v2, v5
	v_lshrrev_b32_e32 v5, s14, v5
	v_mul_hi_u32 v6, s16, v5
	v_mul_lo_u32 v8, v5, s12
	v_add_nc_u32_e32 v6, v5, v6
	v_sub_nc_u32_e32 v2, v2, v8
	v_lshrrev_b32_e32 v6, s17, v6
	v_mul_lo_u32 v8, v2, s36
	v_mul_lo_u32 v10, v2, s37
	v_mul_hi_u32 v7, s19, v6
	v_add_nc_u32_e32 v7, v6, v7
	v_lshrrev_b32_e32 v7, s24, v7
	v_mul_hi_u32 v9, s26, v7
	v_mul_lo_u32 v11, v7, s18
	v_add_nc_u32_e32 v2, v7, v9
	v_mul_lo_u32 v9, v6, s15
	v_sub_nc_u32_e32 v6, v6, v11
	v_lshrrev_b32_e32 v2, s27, v2
	v_mul_lo_u32 v11, v6, s40
	v_mul_lo_u32 v6, v6, s41
	v_sub_nc_u32_e32 v5, v5, v9
	v_mul_lo_u32 v12, v2, s25
	v_mul_lo_u32 v9, v5, s38
	;; [unrolled: 1-line block ×3, first 2 shown]
	v_sub_nc_u32_e32 v7, v7, v12
	v_add3_u32 v8, v8, v28, v9
	v_mul_lo_u32 v12, v7, s42
	v_mul_lo_u32 v7, v7, s43
	v_add3_u32 v5, v10, v22, v5
	v_add3_u32 v28, v11, v8, v12
	;; [unrolled: 1-line block ×3, first 2 shown]
	s_cbranch_scc1 .LBB122_603
; %bb.604:
	s_and_b32 s10, s10, 3
	s_cmp_eq_u32 s10, 0
	s_cbranch_scc0 .LBB122_608
	s_branch .LBB122_610
.LBB122_605:
	s_mov_b32 s8, -1
                                        ; implicit-def: $vgpr28
                                        ; implicit-def: $vgpr22
	s_branch .LBB122_610
.LBB122_606:
	v_mov_b32_e32 v28, 0
	v_mov_b32_e32 v22, 0
	s_branch .LBB122_610
.LBB122_607:
	v_mov_b32_e32 v28, 0
	v_mov_b32_e32 v22, 0
	v_mov_b32_e32 v2, v1
	s_mov_b32 s9, 0
	s_and_b32 s10, s10, 3
	s_cmp_eq_u32 s10, 0
	s_cbranch_scc1 .LBB122_610
.LBB122_608:
	s_lshl_b32 s4, s9, 3
	s_mul_i32 s6, s9, 12
	s_add_u32 s4, s28, s4
	s_addc_u32 s5, s29, 0
	s_add_u32 s4, s4, 0xc4
	s_addc_u32 s5, s5, 0
	;; [unrolled: 2-line block ×3, first 2 shown]
	.p2align	6
.LBB122_609:                            ; =>This Inner Loop Header: Depth=1
	s_clause 0x1
	s_load_dwordx2 s[12:13], s[6:7], 0x4
	s_load_dword s9, s[6:7], 0xc
	s_load_dwordx2 s[14:15], s[4:5], 0x0
	s_add_u32 s6, s6, 12
	s_addc_u32 s7, s7, 0
	s_add_u32 s4, s4, 8
	s_addc_u32 s5, s5, 0
	s_add_i32 s10, s10, -1
	s_cmp_lg_u32 s10, 0
	s_waitcnt lgkmcnt(0)
	v_mul_hi_u32 v5, s13, v2
	v_add_nc_u32_e32 v5, v2, v5
	v_lshrrev_b32_e32 v5, s9, v5
	v_mul_lo_u32 v6, v5, s12
	v_sub_nc_u32_e32 v2, v2, v6
	v_mad_u64_u32 v[28:29], null, v2, s14, v[28:29]
	v_mad_u64_u32 v[22:23], null, v2, s15, v[22:23]
	v_mov_b32_e32 v2, v5
	s_cbranch_scc1 .LBB122_609
.LBB122_610:
	s_andn2_b32 vcc_lo, exec_lo, s8
	s_cbranch_vccnz .LBB122_613
; %bb.611:
	s_clause 0x1
	s_load_dwordx4 s[4:7], s[28:29], 0x4
	s_load_dwordx2 s[8:9], s[28:29], 0xc4
	s_cmp_lt_u32 s21, 2
	s_waitcnt lgkmcnt(0)
	v_mul_hi_u32 v2, s5, v1
	v_add_nc_u32_e32 v2, v1, v2
	v_lshrrev_b32_e32 v2, s6, v2
	v_mul_lo_u32 v5, v2, s4
	v_sub_nc_u32_e32 v1, v1, v5
	v_mul_lo_u32 v28, v1, s8
	v_mul_lo_u32 v22, v1, s9
	s_cbranch_scc1 .LBB122_613
; %bb.612:
	s_clause 0x1
	s_load_dwordx4 s[4:7], s[28:29], 0x10
	s_load_dwordx2 s[8:9], s[28:29], 0xcc
	s_waitcnt lgkmcnt(0)
	v_mul_hi_u32 v1, s5, v2
	v_add_nc_u32_e32 v1, v2, v1
	v_lshrrev_b32_e32 v1, s6, v1
	v_mul_lo_u32 v1, v1, s4
	v_sub_nc_u32_e32 v1, v2, v1
	v_mad_u64_u32 v[28:29], null, v1, s8, v[28:29]
	v_mad_u64_u32 v[22:23], null, v1, s9, v[22:23]
.LBB122_613:
	v_cmp_ne_u32_e32 vcc_lo, 1, v0
	s_cbranch_vccnz .LBB122_619
; %bb.614:
	s_cmp_lg_u32 s21, 0
	s_mov_b32 s8, 0
	s_cbranch_scc0 .LBB122_620
; %bb.615:
	s_min_u32 s10, s33, 15
	s_add_i32 s10, s10, 1
	s_cmp_eq_u32 s33, 2
	s_cbranch_scc1 .LBB122_621
; %bb.616:
	v_mov_b32_e32 v23, 0
	v_mov_b32_e32 v26, 0
	v_mov_b32_e32 v0, v3
	s_and_b32 s9, s10, 28
	s_add_u32 s4, s28, 0xc4
	s_addc_u32 s5, s29, 0
	s_mov_b32 s11, 0
	s_mov_b64 s[6:7], s[28:29]
.LBB122_617:                            ; =>This Inner Loop Header: Depth=1
	s_clause 0x1
	s_load_dwordx8 s[12:19], s[6:7], 0x4
	s_load_dwordx4 s[24:27], s[6:7], 0x24
	s_load_dwordx8 s[36:43], s[4:5], 0x0
	s_add_u32 s6, s6, 48
	s_addc_u32 s7, s7, 0
	s_add_i32 s11, s11, 4
	s_add_u32 s4, s4, 32
	s_addc_u32 s5, s5, 0
	s_cmp_lg_u32 s9, s11
	s_waitcnt lgkmcnt(0)
	v_mul_hi_u32 v1, s13, v0
	v_add_nc_u32_e32 v1, v0, v1
	v_lshrrev_b32_e32 v1, s14, v1
	v_mul_hi_u32 v2, s16, v1
	v_mul_lo_u32 v6, v1, s12
	v_add_nc_u32_e32 v2, v1, v2
	v_sub_nc_u32_e32 v0, v0, v6
	v_lshrrev_b32_e32 v2, s17, v2
	v_mul_lo_u32 v6, v0, s36
	v_mul_lo_u32 v8, v0, s37
	v_mul_hi_u32 v5, s19, v2
	v_add_nc_u32_e32 v5, v2, v5
	v_lshrrev_b32_e32 v5, s24, v5
	v_mul_hi_u32 v7, s26, v5
	v_mul_lo_u32 v9, v5, s18
	v_add_nc_u32_e32 v0, v5, v7
	v_mul_lo_u32 v7, v2, s15
	v_sub_nc_u32_e32 v2, v2, v9
	v_lshrrev_b32_e32 v0, s27, v0
	v_mul_lo_u32 v9, v2, s40
	v_mul_lo_u32 v2, v2, s41
	v_sub_nc_u32_e32 v1, v1, v7
	v_mul_lo_u32 v10, v0, s25
	v_mul_lo_u32 v7, v1, s38
	;; [unrolled: 1-line block ×3, first 2 shown]
	v_sub_nc_u32_e32 v5, v5, v10
	v_add3_u32 v6, v6, v26, v7
	v_mul_lo_u32 v10, v5, s42
	v_mul_lo_u32 v5, v5, s43
	v_add3_u32 v1, v8, v23, v1
	v_add3_u32 v26, v9, v6, v10
	;; [unrolled: 1-line block ×3, first 2 shown]
	s_cbranch_scc1 .LBB122_617
; %bb.618:
	s_and_b32 s10, s10, 3
	s_cmp_eq_u32 s10, 0
	s_cbranch_scc0 .LBB122_622
	s_branch .LBB122_624
.LBB122_619:
	s_mov_b32 s8, -1
                                        ; implicit-def: $vgpr26
                                        ; implicit-def: $vgpr23
	s_branch .LBB122_624
.LBB122_620:
	v_mov_b32_e32 v26, 0
	v_mov_b32_e32 v23, 0
	s_branch .LBB122_624
.LBB122_621:
	v_mov_b32_e32 v26, 0
	v_mov_b32_e32 v23, 0
	;; [unrolled: 1-line block ×3, first 2 shown]
	s_mov_b32 s9, 0
	s_and_b32 s10, s10, 3
	s_cmp_eq_u32 s10, 0
	s_cbranch_scc1 .LBB122_624
.LBB122_622:
	s_lshl_b32 s4, s9, 3
	s_mul_i32 s6, s9, 12
	s_add_u32 s4, s28, s4
	s_addc_u32 s5, s29, 0
	s_add_u32 s4, s4, 0xc4
	s_addc_u32 s5, s5, 0
	;; [unrolled: 2-line block ×3, first 2 shown]
	.p2align	6
.LBB122_623:                            ; =>This Inner Loop Header: Depth=1
	s_clause 0x1
	s_load_dwordx2 s[12:13], s[6:7], 0x4
	s_load_dword s9, s[6:7], 0xc
	s_load_dwordx2 s[14:15], s[4:5], 0x0
	s_add_u32 s6, s6, 12
	s_addc_u32 s7, s7, 0
	s_add_u32 s4, s4, 8
	s_addc_u32 s5, s5, 0
	s_add_i32 s10, s10, -1
	s_cmp_lg_u32 s10, 0
	s_waitcnt lgkmcnt(0)
	v_mul_hi_u32 v1, s13, v0
	v_add_nc_u32_e32 v1, v0, v1
	v_lshrrev_b32_e32 v1, s9, v1
	v_mul_lo_u32 v2, v1, s12
	v_sub_nc_u32_e32 v0, v0, v2
	v_mad_u64_u32 v[26:27], null, v0, s14, v[26:27]
	v_mad_u64_u32 v[23:24], null, v0, s15, v[23:24]
	v_mov_b32_e32 v0, v1
	s_cbranch_scc1 .LBB122_623
.LBB122_624:
	s_andn2_b32 vcc_lo, exec_lo, s8
	s_cbranch_vccnz .LBB122_627
; %bb.625:
	s_clause 0x1
	s_load_dwordx4 s[4:7], s[28:29], 0x4
	s_load_dwordx2 s[8:9], s[28:29], 0xc4
	s_cmp_lt_u32 s21, 2
	s_waitcnt lgkmcnt(0)
	v_mul_hi_u32 v0, s5, v3
	v_add_nc_u32_e32 v0, v3, v0
	v_lshrrev_b32_e32 v0, s6, v0
	v_mul_lo_u32 v1, v0, s4
	v_sub_nc_u32_e32 v1, v3, v1
	v_mul_lo_u32 v26, v1, s8
	v_mul_lo_u32 v23, v1, s9
	s_cbranch_scc1 .LBB122_627
; %bb.626:
	s_clause 0x1
	s_load_dwordx4 s[4:7], s[28:29], 0x10
	s_load_dwordx2 s[8:9], s[28:29], 0xcc
	s_waitcnt lgkmcnt(0)
	v_mul_hi_u32 v1, s5, v0
	v_add_nc_u32_e32 v1, v0, v1
	v_lshrrev_b32_e32 v1, s6, v1
	v_mul_lo_u32 v1, v1, s4
	v_sub_nc_u32_e32 v0, v0, v1
	v_mad_u64_u32 v[26:27], null, v0, s8, v[26:27]
	v_mad_u64_u32 v[23:24], null, v0, s9, v[23:24]
.LBB122_627:
	s_clause 0x2
	s_load_dword s4, s[22:23], 0x168
	s_load_dwordx2 s[22:23], s[28:29], 0x158
	s_load_dwordx4 s[24:27], s[28:29], 0x148
	s_getpc_b64 s[36:37]
	s_add_u32 s36, s36, _ZN2at6native6invokeIZZZNS0_21polygamma_kernel_cudaERNS_18TensorIteratorBaseElENKUlvE_clEvENKUlvE2_clEvEUlN3c108BFloat16EE_j15function_traitsIS8_EEENT1_11result_typeERKT_PrKPcPKT0_PKNS6_10ScalarTypeEi@rel32@lo+4
	s_addc_u32 s37, s37, _ZN2at6native6invokeIZZZNS0_21polygamma_kernel_cudaERNS_18TensorIteratorBaseElENKUlvE_clEvENKUlvE2_clEvEUlN3c108BFloat16EE_j15function_traitsIS8_EEENT1_11result_typeERKT_PrKPcPKT0_PKNS6_10ScalarTypeEi@rel32@hi+12
	s_waitcnt lgkmcnt(0)
	s_lshr_b32 s21, s4, 8
	v_mov_b32_e32 v0, s22
	v_mov_b32_e32 v1, s23
	v_mov_b32_e32 v2, s26
	v_mov_b32_e32 v3, s27
	v_mov_b32_e32 v5, s21
	s_swappc_b64 s[30:31], s[36:37]
	v_mov_b32_e32 v25, v0
	v_mov_b32_e32 v0, s22
	v_mov_b32_e32 v1, s23
	v_mov_b32_e32 v2, s26
	v_mov_b32_e32 v3, s27
	v_mov_b32_e32 v4, v21
	v_mov_b32_e32 v5, s21
	s_swappc_b64 s[30:31], s[36:37]
	v_mov_b32_e32 v24, v0
	v_mov_b32_e32 v0, s22
	;; [unrolled: 8-line block ×3, first 2 shown]
	v_mov_b32_e32 v1, s23
	v_mov_b32_e32 v2, s26
	;; [unrolled: 1-line block ×5, first 2 shown]
	s_swappc_b64 s[30:31], s[36:37]
	s_load_dword s4, s[28:29], 0x160
	v_add_co_u32 v1, s5, s24, v32
	v_add_co_ci_u32_e64 v2, null, s25, 0, s5
	s_waitcnt lgkmcnt(0)
	s_and_b32 s5, s4, 0xff
	s_cmp_lt_i32 s5, 11
	s_cbranch_scc1 .LBB122_706
; %bb.628:
	s_and_b32 s6, 0xffff, s5
	s_mov_b32 s9, -1
	s_mov_b32 s7, 0
	s_cmp_gt_i32 s6, 25
	s_mov_b32 s8, 0
	s_mov_b32 s4, 0
	s_cbranch_scc0 .LBB122_661
; %bb.629:
	s_cmp_gt_i32 s6, 28
	s_cbranch_scc0 .LBB122_644
; %bb.630:
	s_cmp_gt_i32 s6, 43
	;; [unrolled: 3-line block ×3, first 2 shown]
	s_cbranch_scc0 .LBB122_634
; %bb.632:
	s_mov_b32 s4, -1
	s_mov_b32 s9, 0
	s_cmp_eq_u32 s6, 46
	s_cbranch_scc0 .LBB122_634
; %bb.633:
	v_and_b32_e32 v3, 0xffff, v25
	s_mov_b32 s4, 0
	s_mov_b32 s8, -1
	global_store_dword v[1:2], v3, off
.LBB122_634:
	s_and_b32 vcc_lo, exec_lo, s9
	s_cbranch_vccz .LBB122_639
; %bb.635:
	s_cmp_eq_u32 s6, 44
	s_mov_b32 s4, -1
	s_cbranch_scc0 .LBB122_639
; %bb.636:
	v_and_b32_e32 v3, 0xffff, v25
	v_mov_b32_e32 v4, 0xff
	s_mov_b32 s8, exec_lo
	v_bfe_u32 v5, v3, 7, 8
	v_cmpx_ne_u32_e32 0xff, v5
	s_cbranch_execz .LBB122_638
; %bb.637:
	v_lshlrev_b32_e32 v4, 16, v3
	v_and_b32_e32 v6, 64, v3
	v_lshrrev_b32_e32 v3, 7, v3
	v_and_or_b32 v4, 0x3f0000, v4, v5
	v_cmp_ne_u32_e32 vcc_lo, 0, v6
	v_cmp_ne_u32_e64 s4, 0, v4
	s_and_b32 s4, vcc_lo, s4
	v_cndmask_b32_e64 v4, 0, 1, s4
	v_add_nc_u32_e32 v4, v3, v4
.LBB122_638:
	s_or_b32 exec_lo, exec_lo, s8
	s_mov_b32 s4, 0
	s_mov_b32 s8, -1
	global_store_byte v[1:2], v4, off
.LBB122_639:
	s_mov_b32 s9, 0
.LBB122_640:
	s_and_b32 vcc_lo, exec_lo, s9
	s_cbranch_vccz .LBB122_643
; %bb.641:
	s_cmp_eq_u32 s6, 29
	s_mov_b32 s4, -1
	s_cbranch_scc0 .LBB122_643
; %bb.642:
	v_lshlrev_b32_e32 v3, 16, v25
	s_mov_b32 s4, 0
	s_mov_b32 s8, -1
	v_trunc_f32_e32 v3, v3
	v_mul_f32_e32 v4, 0x2f800000, v3
	v_floor_f32_e32 v4, v4
	v_fmamk_f32 v3, v4, 0xcf800000, v3
	v_cvt_u32_f32_e32 v4, v4
	v_cvt_u32_f32_e32 v3, v3
	global_store_dwordx2 v[1:2], v[3:4], off
.LBB122_643:
	s_mov_b32 s9, 0
.LBB122_644:
	s_and_b32 vcc_lo, exec_lo, s9
	s_cbranch_vccz .LBB122_660
; %bb.645:
	s_cmp_lt_i32 s6, 27
	s_mov_b32 s8, -1
	s_cbranch_scc1 .LBB122_651
; %bb.646:
	s_cmp_gt_i32 s6, 27
	s_cbranch_scc0 .LBB122_648
; %bb.647:
	v_lshlrev_b32_e32 v3, 16, v25
	s_mov_b32 s8, 0
	v_cvt_u32_f32_e32 v3, v3
	global_store_dword v[1:2], v3, off
.LBB122_648:
	s_andn2_b32 vcc_lo, exec_lo, s8
	s_cbranch_vccnz .LBB122_650
; %bb.649:
	v_lshlrev_b32_e32 v3, 16, v25
	v_cvt_u32_f32_e32 v3, v3
	global_store_short v[1:2], v3, off
.LBB122_650:
	s_mov_b32 s8, 0
.LBB122_651:
	s_andn2_b32 vcc_lo, exec_lo, s8
	s_cbranch_vccnz .LBB122_659
; %bb.652:
	v_lshlrev_b32_e32 v5, 16, v25
	v_mov_b32_e32 v6, 0x80
	s_mov_b32 s8, exec_lo
	v_and_b32_e32 v4, 0x7fffffff, v5
	v_cmpx_gt_u32_e32 0x43800000, v4
	s_cbranch_execz .LBB122_658
; %bb.653:
	v_and_b32_e32 v3, 0xffff, v25
	v_cmp_lt_u32_e32 vcc_lo, 0x3bffffff, v4
	s_mov_b32 s9, 0
                                        ; implicit-def: $vgpr4
	s_and_saveexec_b32 s10, vcc_lo
	s_xor_b32 s10, exec_lo, s10
	s_cbranch_execz .LBB122_1103
; %bb.654:
	v_bfe_u32 v4, v3, 4, 1
	s_mov_b32 s9, exec_lo
	v_add3_u32 v4, v5, v4, 0x487ffff
                                        ; implicit-def: $vgpr5
	v_lshrrev_b32_e32 v4, 20, v4
	s_andn2_saveexec_b32 s10, s10
	s_cbranch_execnz .LBB122_1104
.LBB122_655:
	s_or_b32 exec_lo, exec_lo, s10
	v_mov_b32_e32 v6, 0
	s_and_saveexec_b32 s10, s9
.LBB122_656:
	v_lshrrev_b32_e32 v3, 8, v3
	v_and_or_b32 v6, 0x80, v3, v4
.LBB122_657:
	s_or_b32 exec_lo, exec_lo, s10
.LBB122_658:
	s_or_b32 exec_lo, exec_lo, s8
	global_store_byte v[1:2], v6, off
.LBB122_659:
	s_mov_b32 s8, -1
.LBB122_660:
	s_mov_b32 s9, 0
.LBB122_661:
	s_and_b32 vcc_lo, exec_lo, s9
	s_cbranch_vccz .LBB122_701
; %bb.662:
	s_cmp_gt_i32 s6, 22
	s_mov_b32 s7, -1
	s_cbranch_scc0 .LBB122_694
; %bb.663:
	s_cmp_lt_i32 s6, 24
	s_cbranch_scc1 .LBB122_683
; %bb.664:
	s_cmp_gt_i32 s6, 24
	s_cbranch_scc0 .LBB122_672
; %bb.665:
	v_lshlrev_b32_e32 v5, 16, v25
	v_mov_b32_e32 v6, 0x80
	s_mov_b32 s7, exec_lo
	v_and_b32_e32 v4, 0x7fffffff, v5
	v_cmpx_gt_u32_e32 0x47800000, v4
	s_cbranch_execz .LBB122_671
; %bb.666:
	v_and_b32_e32 v3, 0xffff, v25
	v_cmp_lt_u32_e32 vcc_lo, 0x37ffffff, v4
	s_mov_b32 s8, 0
                                        ; implicit-def: $vgpr4
	s_and_saveexec_b32 s9, vcc_lo
	s_xor_b32 s9, exec_lo, s9
	s_cbranch_execz .LBB122_1106
; %bb.667:
	v_bfe_u32 v4, v3, 5, 1
	s_mov_b32 s8, exec_lo
	v_add3_u32 v4, v5, v4, 0x88fffff
                                        ; implicit-def: $vgpr5
	v_lshrrev_b32_e32 v4, 21, v4
	s_andn2_saveexec_b32 s9, s9
	s_cbranch_execnz .LBB122_1107
.LBB122_668:
	s_or_b32 exec_lo, exec_lo, s9
	v_mov_b32_e32 v6, 0
	s_and_saveexec_b32 s9, s8
.LBB122_669:
	v_lshrrev_b32_e32 v3, 8, v3
	v_and_or_b32 v6, 0x80, v3, v4
.LBB122_670:
	s_or_b32 exec_lo, exec_lo, s9
.LBB122_671:
	s_or_b32 exec_lo, exec_lo, s7
	s_mov_b32 s7, 0
	global_store_byte v[1:2], v6, off
.LBB122_672:
	s_and_b32 vcc_lo, exec_lo, s7
	s_cbranch_vccz .LBB122_682
; %bb.673:
	v_lshlrev_b32_e32 v5, 16, v25
	v_and_b32_e32 v3, 0xffff, v25
	s_mov_b32 s7, exec_lo
                                        ; implicit-def: $vgpr4
	v_and_b32_e32 v6, 0x7fffffff, v5
	v_cmpx_gt_u32_e32 0x43f00000, v6
	s_xor_b32 s7, exec_lo, s7
	s_cbranch_execz .LBB122_679
; %bb.674:
	s_mov_b32 s8, exec_lo
                                        ; implicit-def: $vgpr4
	v_cmpx_lt_u32_e32 0x3c7fffff, v6
	s_xor_b32 s8, exec_lo, s8
; %bb.675:
	v_bfe_u32 v4, v3, 4, 1
	v_add3_u32 v4, v5, v4, 0x407ffff
	v_and_b32_e32 v5, 0xff00000, v4
	v_lshrrev_b32_e32 v4, 20, v4
	v_cmp_ne_u32_e32 vcc_lo, 0x7f00000, v5
                                        ; implicit-def: $vgpr5
	v_cndmask_b32_e32 v4, 0x7e, v4, vcc_lo
; %bb.676:
	s_andn2_saveexec_b32 s8, s8
; %bb.677:
	v_add_f32_e64 v4, 0x46800000, |v5|
; %bb.678:
	s_or_b32 exec_lo, exec_lo, s8
                                        ; implicit-def: $vgpr6
.LBB122_679:
	s_andn2_saveexec_b32 s7, s7
; %bb.680:
	v_mov_b32_e32 v4, 0x7f
	v_cmp_lt_u32_e32 vcc_lo, 0x7f800000, v6
	v_cndmask_b32_e32 v4, 0x7e, v4, vcc_lo
; %bb.681:
	s_or_b32 exec_lo, exec_lo, s7
	v_lshrrev_b32_e32 v3, 8, v3
	v_and_or_b32 v3, 0x80, v3, v4
	global_store_byte v[1:2], v3, off
.LBB122_682:
	s_mov_b32 s7, 0
.LBB122_683:
	s_andn2_b32 vcc_lo, exec_lo, s7
	s_cbranch_vccnz .LBB122_693
; %bb.684:
	v_lshlrev_b32_e32 v5, 16, v25
	v_and_b32_e32 v3, 0xffff, v25
	s_mov_b32 s7, exec_lo
                                        ; implicit-def: $vgpr4
	v_and_b32_e32 v6, 0x7fffffff, v5
	v_cmpx_gt_u32_e32 0x47800000, v6
	s_xor_b32 s7, exec_lo, s7
	s_cbranch_execz .LBB122_690
; %bb.685:
	s_mov_b32 s8, exec_lo
                                        ; implicit-def: $vgpr4
	v_cmpx_lt_u32_e32 0x387fffff, v6
	s_xor_b32 s8, exec_lo, s8
; %bb.686:
	v_bfe_u32 v4, v3, 5, 1
	v_add3_u32 v4, v5, v4, 0x80fffff
                                        ; implicit-def: $vgpr5
	v_lshrrev_b32_e32 v4, 21, v4
; %bb.687:
	s_andn2_saveexec_b32 s8, s8
; %bb.688:
	v_add_f32_e64 v4, 0x43000000, |v5|
; %bb.689:
	s_or_b32 exec_lo, exec_lo, s8
                                        ; implicit-def: $vgpr6
.LBB122_690:
	s_andn2_saveexec_b32 s7, s7
; %bb.691:
	v_mov_b32_e32 v4, 0x7f
	v_cmp_lt_u32_e32 vcc_lo, 0x7f800000, v6
	v_cndmask_b32_e32 v4, 0x7c, v4, vcc_lo
; %bb.692:
	s_or_b32 exec_lo, exec_lo, s7
	v_lshrrev_b32_e32 v3, 8, v3
	v_and_or_b32 v3, 0x80, v3, v4
	global_store_byte v[1:2], v3, off
.LBB122_693:
	s_mov_b32 s7, 0
	s_mov_b32 s8, -1
.LBB122_694:
	s_andn2_b32 vcc_lo, exec_lo, s7
	s_mov_b32 s7, 0
	s_cbranch_vccnz .LBB122_701
; %bb.695:
	s_cmp_gt_i32 s6, 14
	s_mov_b32 s7, -1
	s_cbranch_scc0 .LBB122_699
; %bb.696:
	s_cmp_eq_u32 s6, 15
	s_mov_b32 s4, -1
	s_cbranch_scc0 .LBB122_698
; %bb.697:
	s_mov_b32 s4, 0
	s_mov_b32 s8, -1
	global_store_short v[1:2], v25, off
.LBB122_698:
	s_mov_b32 s7, 0
.LBB122_699:
	s_and_b32 vcc_lo, exec_lo, s7
	s_mov_b32 s7, 0
	s_cbranch_vccz .LBB122_701
; %bb.700:
	s_cmp_lg_u32 s6, 11
	s_mov_b32 s7, -1
	s_cselect_b32 s4, -1, 0
.LBB122_701:
	s_and_b32 vcc_lo, exec_lo, s4
	s_mov_b32 s6, s34
	s_cbranch_vccnz .LBB122_1105
; %bb.702:
	s_andn2_b32 vcc_lo, exec_lo, s7
	s_cbranch_vccnz .LBB122_704
.LBB122_703:
	v_and_b32_e32 v3, 0x7fff, v25
	s_mov_b32 s8, -1
	v_cmp_ne_u16_e32 vcc_lo, 0, v3
	v_cndmask_b32_e64 v3, 0, 1, vcc_lo
	global_store_byte v[1:2], v3, off
.LBB122_704:
.LBB122_705:
	s_andn2_b32 vcc_lo, exec_lo, s8
	s_cbranch_vccz .LBB122_745
	s_branch .LBB122_1057
.LBB122_706:
	s_mov_b32 s8, 0
	s_mov_b32 s6, s34
	s_cbranch_execz .LBB122_705
; %bb.707:
	s_and_b32 s4, 0xffff, s5
	s_mov_b32 s7, -1
	s_cmp_lt_i32 s4, 5
	s_cbranch_scc1 .LBB122_728
; %bb.708:
	s_cmp_lt_i32 s4, 8
	s_cbranch_scc1 .LBB122_718
; %bb.709:
	;; [unrolled: 3-line block ×3, first 2 shown]
	s_cmp_gt_i32 s4, 9
	s_cbranch_scc0 .LBB122_712
; %bb.711:
	v_lshlrev_b32_e32 v3, 16, v25
	v_mov_b32_e32 v5, 0
	s_mov_b32 s7, 0
	v_cvt_f64_f32_e32 v[3:4], v3
	v_mov_b32_e32 v6, v5
	global_store_dwordx4 v[1:2], v[3:6], off
.LBB122_712:
	s_andn2_b32 vcc_lo, exec_lo, s7
	s_cbranch_vccnz .LBB122_714
; %bb.713:
	v_lshlrev_b32_e32 v3, 16, v25
	v_mov_b32_e32 v4, 0
	global_store_dwordx2 v[1:2], v[3:4], off
.LBB122_714:
	s_mov_b32 s7, 0
.LBB122_715:
	s_andn2_b32 vcc_lo, exec_lo, s7
	s_cbranch_vccnz .LBB122_717
; %bb.716:
	v_lshlrev_b32_e32 v3, 16, v25
	v_cvt_f16_f32_e32 v3, v3
	v_and_b32_e32 v3, 0xffff, v3
	global_store_dword v[1:2], v3, off
.LBB122_717:
	s_mov_b32 s7, 0
.LBB122_718:
	s_andn2_b32 vcc_lo, exec_lo, s7
	s_cbranch_vccnz .LBB122_727
; %bb.719:
	s_cmp_lt_i32 s4, 6
	s_mov_b32 s7, -1
	s_cbranch_scc1 .LBB122_725
; %bb.720:
	s_cmp_gt_i32 s4, 6
	s_cbranch_scc0 .LBB122_722
; %bb.721:
	v_lshlrev_b32_e32 v3, 16, v25
	s_mov_b32 s7, 0
	v_cvt_f64_f32_e32 v[3:4], v3
	global_store_dwordx2 v[1:2], v[3:4], off
.LBB122_722:
	s_andn2_b32 vcc_lo, exec_lo, s7
	s_cbranch_vccnz .LBB122_724
; %bb.723:
	v_lshlrev_b32_e32 v3, 16, v25
	global_store_dword v[1:2], v3, off
.LBB122_724:
	s_mov_b32 s7, 0
.LBB122_725:
	s_andn2_b32 vcc_lo, exec_lo, s7
	s_cbranch_vccnz .LBB122_727
; %bb.726:
	v_lshlrev_b32_e32 v3, 16, v25
	v_cvt_f16_f32_e32 v3, v3
	global_store_short v[1:2], v3, off
.LBB122_727:
	s_mov_b32 s7, 0
.LBB122_728:
	s_andn2_b32 vcc_lo, exec_lo, s7
	s_cbranch_vccnz .LBB122_744
; %bb.729:
	s_cmp_lt_i32 s4, 2
	s_mov_b32 s7, -1
	s_cbranch_scc1 .LBB122_739
; %bb.730:
	s_cmp_lt_i32 s4, 3
	s_cbranch_scc1 .LBB122_736
; %bb.731:
	s_cmp_gt_i32 s4, 3
	s_cbranch_scc0 .LBB122_733
; %bb.732:
	v_lshlrev_b32_e32 v3, 16, v25
	s_mov_b32 s7, 0
	v_trunc_f32_e32 v3, v3
	v_mul_f32_e64 v4, 0x2f800000, |v3|
	v_ashrrev_i32_e32 v6, 31, v3
	v_floor_f32_e32 v4, v4
	v_fma_f32 v5, 0xcf800000, v4, |v3|
	v_cvt_u32_f32_e32 v4, v4
	v_cvt_u32_f32_e32 v3, v5
	v_xor_b32_e32 v4, v4, v6
	v_xor_b32_e32 v3, v3, v6
	v_sub_co_u32 v3, vcc_lo, v3, v6
	v_sub_co_ci_u32_e64 v4, null, v4, v6, vcc_lo
	global_store_dwordx2 v[1:2], v[3:4], off
.LBB122_733:
	s_andn2_b32 vcc_lo, exec_lo, s7
	s_cbranch_vccnz .LBB122_735
; %bb.734:
	v_lshlrev_b32_e32 v3, 16, v25
	v_cvt_i32_f32_e32 v3, v3
	global_store_dword v[1:2], v3, off
.LBB122_735:
	s_mov_b32 s7, 0
.LBB122_736:
	s_andn2_b32 vcc_lo, exec_lo, s7
	s_cbranch_vccnz .LBB122_738
; %bb.737:
	v_lshlrev_b32_e32 v3, 16, v25
	v_cvt_i32_f32_e32 v3, v3
	global_store_short v[1:2], v3, off
.LBB122_738:
	s_mov_b32 s7, 0
.LBB122_739:
	s_andn2_b32 vcc_lo, exec_lo, s7
	s_cbranch_vccnz .LBB122_744
; %bb.740:
	s_cmp_gt_i32 s4, 0
	s_mov_b32 s4, -1
	s_cbranch_scc0 .LBB122_742
; %bb.741:
	v_lshlrev_b32_e32 v3, 16, v25
	s_mov_b32 s4, 0
	v_cvt_i32_f32_e32 v3, v3
	global_store_byte v[1:2], v3, off
.LBB122_742:
	s_andn2_b32 vcc_lo, exec_lo, s4
	s_cbranch_vccnz .LBB122_744
; %bb.743:
	v_lshlrev_b32_e32 v3, 16, v25
	v_trunc_f32_e32 v3, v3
	v_mul_f32_e64 v4, 0x2f800000, |v3|
	v_floor_f32_e32 v4, v4
	v_fma_f32 v4, 0xcf800000, v4, |v3|
	v_ashrrev_i32_e32 v3, 31, v3
	v_cvt_u32_f32_e32 v4, v4
	v_xor_b32_e32 v4, v4, v3
	v_sub_nc_u32_e32 v3, v4, v3
	global_store_byte v[1:2], v3, off
.LBB122_744:
.LBB122_745:
	v_add_co_u32 v1, s4, s24, v30
	v_add_co_ci_u32_e64 v2, null, s25, 0, s4
	s_and_b32 s7, 0xffff, s5
	s_cmp_lt_i32 s7, 11
	s_cbranch_scc1 .LBB122_824
; %bb.746:
	s_mov_b32 s10, -1
	s_mov_b32 s8, 0
	s_cmp_gt_i32 s7, 25
	s_mov_b32 s9, 0
	s_mov_b32 s4, 0
	s_cbranch_scc0 .LBB122_779
; %bb.747:
	s_cmp_gt_i32 s7, 28
	s_cbranch_scc0 .LBB122_762
; %bb.748:
	s_cmp_gt_i32 s7, 43
	;; [unrolled: 3-line block ×3, first 2 shown]
	s_cbranch_scc0 .LBB122_752
; %bb.750:
	s_mov_b32 s4, -1
	s_mov_b32 s10, 0
	s_cmp_eq_u32 s7, 46
	s_cbranch_scc0 .LBB122_752
; %bb.751:
	v_and_b32_e32 v3, 0xffff, v24
	s_mov_b32 s4, 0
	s_mov_b32 s9, -1
	global_store_dword v[1:2], v3, off
.LBB122_752:
	s_and_b32 vcc_lo, exec_lo, s10
	s_cbranch_vccz .LBB122_757
; %bb.753:
	s_cmp_eq_u32 s7, 44
	s_mov_b32 s4, -1
	s_cbranch_scc0 .LBB122_757
; %bb.754:
	v_and_b32_e32 v3, 0xffff, v24
	v_mov_b32_e32 v4, 0xff
	s_mov_b32 s9, exec_lo
	v_bfe_u32 v5, v3, 7, 8
	v_cmpx_ne_u32_e32 0xff, v5
	s_cbranch_execz .LBB122_756
; %bb.755:
	v_lshlrev_b32_e32 v4, 16, v3
	v_and_b32_e32 v6, 64, v3
	v_lshrrev_b32_e32 v3, 7, v3
	v_and_or_b32 v4, 0x3f0000, v4, v5
	v_cmp_ne_u32_e32 vcc_lo, 0, v6
	v_cmp_ne_u32_e64 s4, 0, v4
	s_and_b32 s4, vcc_lo, s4
	v_cndmask_b32_e64 v4, 0, 1, s4
	v_add_nc_u32_e32 v4, v3, v4
.LBB122_756:
	s_or_b32 exec_lo, exec_lo, s9
	s_mov_b32 s4, 0
	s_mov_b32 s9, -1
	global_store_byte v[1:2], v4, off
.LBB122_757:
	s_mov_b32 s10, 0
.LBB122_758:
	s_and_b32 vcc_lo, exec_lo, s10
	s_cbranch_vccz .LBB122_761
; %bb.759:
	s_cmp_eq_u32 s7, 29
	s_mov_b32 s4, -1
	s_cbranch_scc0 .LBB122_761
; %bb.760:
	v_lshlrev_b32_e32 v3, 16, v24
	s_mov_b32 s4, 0
	s_mov_b32 s9, -1
	v_trunc_f32_e32 v3, v3
	v_mul_f32_e32 v4, 0x2f800000, v3
	v_floor_f32_e32 v4, v4
	v_fmamk_f32 v3, v4, 0xcf800000, v3
	v_cvt_u32_f32_e32 v4, v4
	v_cvt_u32_f32_e32 v3, v3
	global_store_dwordx2 v[1:2], v[3:4], off
.LBB122_761:
	s_mov_b32 s10, 0
.LBB122_762:
	s_and_b32 vcc_lo, exec_lo, s10
	s_cbranch_vccz .LBB122_778
; %bb.763:
	s_cmp_lt_i32 s7, 27
	s_mov_b32 s9, -1
	s_cbranch_scc1 .LBB122_769
; %bb.764:
	s_cmp_gt_i32 s7, 27
	s_cbranch_scc0 .LBB122_766
; %bb.765:
	v_lshlrev_b32_e32 v3, 16, v24
	s_mov_b32 s9, 0
	v_cvt_u32_f32_e32 v3, v3
	global_store_dword v[1:2], v3, off
.LBB122_766:
	s_andn2_b32 vcc_lo, exec_lo, s9
	s_cbranch_vccnz .LBB122_768
; %bb.767:
	v_lshlrev_b32_e32 v3, 16, v24
	v_cvt_u32_f32_e32 v3, v3
	global_store_short v[1:2], v3, off
.LBB122_768:
	s_mov_b32 s9, 0
.LBB122_769:
	s_andn2_b32 vcc_lo, exec_lo, s9
	s_cbranch_vccnz .LBB122_777
; %bb.770:
	v_lshlrev_b32_e32 v5, 16, v24
	v_mov_b32_e32 v6, 0x80
	s_mov_b32 s9, exec_lo
	v_and_b32_e32 v4, 0x7fffffff, v5
	v_cmpx_gt_u32_e32 0x43800000, v4
	s_cbranch_execz .LBB122_776
; %bb.771:
	v_and_b32_e32 v3, 0xffff, v24
	v_cmp_lt_u32_e32 vcc_lo, 0x3bffffff, v4
	s_mov_b32 s10, 0
                                        ; implicit-def: $vgpr4
	s_and_saveexec_b32 s11, vcc_lo
	s_xor_b32 s11, exec_lo, s11
	s_cbranch_execz .LBB122_1108
; %bb.772:
	v_bfe_u32 v4, v3, 4, 1
	s_mov_b32 s10, exec_lo
	v_add3_u32 v4, v5, v4, 0x487ffff
                                        ; implicit-def: $vgpr5
	v_lshrrev_b32_e32 v4, 20, v4
	s_andn2_saveexec_b32 s11, s11
	s_cbranch_execnz .LBB122_1109
.LBB122_773:
	s_or_b32 exec_lo, exec_lo, s11
	v_mov_b32_e32 v6, 0
	s_and_saveexec_b32 s11, s10
.LBB122_774:
	v_lshrrev_b32_e32 v3, 8, v3
	v_and_or_b32 v6, 0x80, v3, v4
.LBB122_775:
	s_or_b32 exec_lo, exec_lo, s11
.LBB122_776:
	s_or_b32 exec_lo, exec_lo, s9
	global_store_byte v[1:2], v6, off
.LBB122_777:
	s_mov_b32 s9, -1
.LBB122_778:
	s_mov_b32 s10, 0
.LBB122_779:
	s_and_b32 vcc_lo, exec_lo, s10
	s_cbranch_vccz .LBB122_819
; %bb.780:
	s_cmp_gt_i32 s7, 22
	s_mov_b32 s8, -1
	s_cbranch_scc0 .LBB122_812
; %bb.781:
	s_cmp_lt_i32 s7, 24
	s_cbranch_scc1 .LBB122_801
; %bb.782:
	s_cmp_gt_i32 s7, 24
	s_cbranch_scc0 .LBB122_790
; %bb.783:
	v_lshlrev_b32_e32 v5, 16, v24
	v_mov_b32_e32 v6, 0x80
	s_mov_b32 s8, exec_lo
	v_and_b32_e32 v4, 0x7fffffff, v5
	v_cmpx_gt_u32_e32 0x47800000, v4
	s_cbranch_execz .LBB122_789
; %bb.784:
	v_and_b32_e32 v3, 0xffff, v24
	v_cmp_lt_u32_e32 vcc_lo, 0x37ffffff, v4
	s_mov_b32 s9, 0
                                        ; implicit-def: $vgpr4
	s_and_saveexec_b32 s10, vcc_lo
	s_xor_b32 s10, exec_lo, s10
	s_cbranch_execz .LBB122_1111
; %bb.785:
	v_bfe_u32 v4, v3, 5, 1
	s_mov_b32 s9, exec_lo
	v_add3_u32 v4, v5, v4, 0x88fffff
                                        ; implicit-def: $vgpr5
	v_lshrrev_b32_e32 v4, 21, v4
	s_andn2_saveexec_b32 s10, s10
	s_cbranch_execnz .LBB122_1112
.LBB122_786:
	s_or_b32 exec_lo, exec_lo, s10
	v_mov_b32_e32 v6, 0
	s_and_saveexec_b32 s10, s9
.LBB122_787:
	v_lshrrev_b32_e32 v3, 8, v3
	v_and_or_b32 v6, 0x80, v3, v4
.LBB122_788:
	s_or_b32 exec_lo, exec_lo, s10
.LBB122_789:
	s_or_b32 exec_lo, exec_lo, s8
	s_mov_b32 s8, 0
	global_store_byte v[1:2], v6, off
.LBB122_790:
	s_and_b32 vcc_lo, exec_lo, s8
	s_cbranch_vccz .LBB122_800
; %bb.791:
	v_lshlrev_b32_e32 v5, 16, v24
	v_and_b32_e32 v3, 0xffff, v24
	s_mov_b32 s8, exec_lo
                                        ; implicit-def: $vgpr4
	v_and_b32_e32 v6, 0x7fffffff, v5
	v_cmpx_gt_u32_e32 0x43f00000, v6
	s_xor_b32 s8, exec_lo, s8
	s_cbranch_execz .LBB122_797
; %bb.792:
	s_mov_b32 s9, exec_lo
                                        ; implicit-def: $vgpr4
	v_cmpx_lt_u32_e32 0x3c7fffff, v6
	s_xor_b32 s9, exec_lo, s9
; %bb.793:
	v_bfe_u32 v4, v3, 4, 1
	v_add3_u32 v4, v5, v4, 0x407ffff
	v_and_b32_e32 v5, 0xff00000, v4
	v_lshrrev_b32_e32 v4, 20, v4
	v_cmp_ne_u32_e32 vcc_lo, 0x7f00000, v5
                                        ; implicit-def: $vgpr5
	v_cndmask_b32_e32 v4, 0x7e, v4, vcc_lo
; %bb.794:
	s_andn2_saveexec_b32 s9, s9
; %bb.795:
	v_add_f32_e64 v4, 0x46800000, |v5|
; %bb.796:
	s_or_b32 exec_lo, exec_lo, s9
                                        ; implicit-def: $vgpr6
.LBB122_797:
	s_andn2_saveexec_b32 s8, s8
; %bb.798:
	v_mov_b32_e32 v4, 0x7f
	v_cmp_lt_u32_e32 vcc_lo, 0x7f800000, v6
	v_cndmask_b32_e32 v4, 0x7e, v4, vcc_lo
; %bb.799:
	s_or_b32 exec_lo, exec_lo, s8
	v_lshrrev_b32_e32 v3, 8, v3
	v_and_or_b32 v3, 0x80, v3, v4
	global_store_byte v[1:2], v3, off
.LBB122_800:
	s_mov_b32 s8, 0
.LBB122_801:
	s_andn2_b32 vcc_lo, exec_lo, s8
	s_cbranch_vccnz .LBB122_811
; %bb.802:
	v_lshlrev_b32_e32 v5, 16, v24
	v_and_b32_e32 v3, 0xffff, v24
	s_mov_b32 s8, exec_lo
                                        ; implicit-def: $vgpr4
	v_and_b32_e32 v6, 0x7fffffff, v5
	v_cmpx_gt_u32_e32 0x47800000, v6
	s_xor_b32 s8, exec_lo, s8
	s_cbranch_execz .LBB122_808
; %bb.803:
	s_mov_b32 s9, exec_lo
                                        ; implicit-def: $vgpr4
	v_cmpx_lt_u32_e32 0x387fffff, v6
	s_xor_b32 s9, exec_lo, s9
; %bb.804:
	v_bfe_u32 v4, v3, 5, 1
	v_add3_u32 v4, v5, v4, 0x80fffff
                                        ; implicit-def: $vgpr5
	v_lshrrev_b32_e32 v4, 21, v4
; %bb.805:
	s_andn2_saveexec_b32 s9, s9
; %bb.806:
	v_add_f32_e64 v4, 0x43000000, |v5|
; %bb.807:
	s_or_b32 exec_lo, exec_lo, s9
                                        ; implicit-def: $vgpr6
.LBB122_808:
	s_andn2_saveexec_b32 s8, s8
; %bb.809:
	v_mov_b32_e32 v4, 0x7f
	v_cmp_lt_u32_e32 vcc_lo, 0x7f800000, v6
	v_cndmask_b32_e32 v4, 0x7c, v4, vcc_lo
; %bb.810:
	s_or_b32 exec_lo, exec_lo, s8
	v_lshrrev_b32_e32 v3, 8, v3
	v_and_or_b32 v3, 0x80, v3, v4
	global_store_byte v[1:2], v3, off
.LBB122_811:
	s_mov_b32 s8, 0
	s_mov_b32 s9, -1
.LBB122_812:
	s_andn2_b32 vcc_lo, exec_lo, s8
	s_mov_b32 s8, 0
	s_cbranch_vccnz .LBB122_819
; %bb.813:
	s_cmp_gt_i32 s7, 14
	s_mov_b32 s8, -1
	s_cbranch_scc0 .LBB122_817
; %bb.814:
	s_cmp_eq_u32 s7, 15
	s_mov_b32 s4, -1
	s_cbranch_scc0 .LBB122_816
; %bb.815:
	s_mov_b32 s4, 0
	s_mov_b32 s9, -1
	global_store_short v[1:2], v24, off
.LBB122_816:
	s_mov_b32 s8, 0
.LBB122_817:
	s_and_b32 vcc_lo, exec_lo, s8
	s_mov_b32 s8, 0
	s_cbranch_vccz .LBB122_819
; %bb.818:
	s_cmp_lg_u32 s7, 11
	s_mov_b32 s8, -1
	s_cselect_b32 s4, -1, 0
.LBB122_819:
	s_and_b32 vcc_lo, exec_lo, s4
	s_cbranch_vccnz .LBB122_1110
; %bb.820:
	s_andn2_b32 vcc_lo, exec_lo, s8
	s_cbranch_vccnz .LBB122_822
.LBB122_821:
	v_and_b32_e32 v3, 0x7fff, v24
	s_mov_b32 s9, -1
	v_cmp_ne_u16_e32 vcc_lo, 0, v3
	v_cndmask_b32_e64 v3, 0, 1, vcc_lo
	global_store_byte v[1:2], v3, off
.LBB122_822:
.LBB122_823:
	s_andn2_b32 vcc_lo, exec_lo, s9
	s_cbranch_vccz .LBB122_863
	s_branch .LBB122_1057
.LBB122_824:
	s_mov_b32 s9, 0
	s_cbranch_execz .LBB122_823
; %bb.825:
	s_cmp_lt_i32 s7, 5
	s_mov_b32 s4, -1
	s_cbranch_scc1 .LBB122_846
; %bb.826:
	s_cmp_lt_i32 s7, 8
	s_cbranch_scc1 .LBB122_836
; %bb.827:
	s_cmp_lt_i32 s7, 9
	s_cbranch_scc1 .LBB122_833
; %bb.828:
	s_cmp_gt_i32 s7, 9
	s_cbranch_scc0 .LBB122_830
; %bb.829:
	v_lshlrev_b32_e32 v3, 16, v24
	v_mov_b32_e32 v5, 0
	s_mov_b32 s4, 0
	v_cvt_f64_f32_e32 v[3:4], v3
	v_mov_b32_e32 v6, v5
	global_store_dwordx4 v[1:2], v[3:6], off
.LBB122_830:
	s_andn2_b32 vcc_lo, exec_lo, s4
	s_cbranch_vccnz .LBB122_832
; %bb.831:
	v_lshlrev_b32_e32 v3, 16, v24
	v_mov_b32_e32 v4, 0
	global_store_dwordx2 v[1:2], v[3:4], off
.LBB122_832:
	s_mov_b32 s4, 0
.LBB122_833:
	s_andn2_b32 vcc_lo, exec_lo, s4
	s_cbranch_vccnz .LBB122_835
; %bb.834:
	v_lshlrev_b32_e32 v3, 16, v24
	v_cvt_f16_f32_e32 v3, v3
	v_and_b32_e32 v3, 0xffff, v3
	global_store_dword v[1:2], v3, off
.LBB122_835:
	s_mov_b32 s4, 0
.LBB122_836:
	s_andn2_b32 vcc_lo, exec_lo, s4
	s_cbranch_vccnz .LBB122_845
; %bb.837:
	s_cmp_lt_i32 s7, 6
	s_mov_b32 s4, -1
	s_cbranch_scc1 .LBB122_843
; %bb.838:
	s_cmp_gt_i32 s7, 6
	s_cbranch_scc0 .LBB122_840
; %bb.839:
	v_lshlrev_b32_e32 v3, 16, v24
	s_mov_b32 s4, 0
	v_cvt_f64_f32_e32 v[3:4], v3
	global_store_dwordx2 v[1:2], v[3:4], off
.LBB122_840:
	s_andn2_b32 vcc_lo, exec_lo, s4
	s_cbranch_vccnz .LBB122_842
; %bb.841:
	v_lshlrev_b32_e32 v3, 16, v24
	global_store_dword v[1:2], v3, off
.LBB122_842:
	s_mov_b32 s4, 0
.LBB122_843:
	s_andn2_b32 vcc_lo, exec_lo, s4
	s_cbranch_vccnz .LBB122_845
; %bb.844:
	v_lshlrev_b32_e32 v3, 16, v24
	v_cvt_f16_f32_e32 v3, v3
	global_store_short v[1:2], v3, off
.LBB122_845:
	s_mov_b32 s4, 0
.LBB122_846:
	s_andn2_b32 vcc_lo, exec_lo, s4
	s_cbranch_vccnz .LBB122_862
; %bb.847:
	s_cmp_lt_i32 s7, 2
	s_mov_b32 s4, -1
	s_cbranch_scc1 .LBB122_857
; %bb.848:
	s_cmp_lt_i32 s7, 3
	s_cbranch_scc1 .LBB122_854
; %bb.849:
	s_cmp_gt_i32 s7, 3
	s_cbranch_scc0 .LBB122_851
; %bb.850:
	v_lshlrev_b32_e32 v3, 16, v24
	s_mov_b32 s4, 0
	v_trunc_f32_e32 v3, v3
	v_mul_f32_e64 v4, 0x2f800000, |v3|
	v_ashrrev_i32_e32 v6, 31, v3
	v_floor_f32_e32 v4, v4
	v_fma_f32 v5, 0xcf800000, v4, |v3|
	v_cvt_u32_f32_e32 v4, v4
	v_cvt_u32_f32_e32 v3, v5
	v_xor_b32_e32 v4, v4, v6
	v_xor_b32_e32 v3, v3, v6
	v_sub_co_u32 v3, vcc_lo, v3, v6
	v_sub_co_ci_u32_e64 v4, null, v4, v6, vcc_lo
	global_store_dwordx2 v[1:2], v[3:4], off
.LBB122_851:
	s_andn2_b32 vcc_lo, exec_lo, s4
	s_cbranch_vccnz .LBB122_853
; %bb.852:
	v_lshlrev_b32_e32 v3, 16, v24
	v_cvt_i32_f32_e32 v3, v3
	global_store_dword v[1:2], v3, off
.LBB122_853:
	s_mov_b32 s4, 0
.LBB122_854:
	s_andn2_b32 vcc_lo, exec_lo, s4
	s_cbranch_vccnz .LBB122_856
; %bb.855:
	v_lshlrev_b32_e32 v3, 16, v24
	v_cvt_i32_f32_e32 v3, v3
	global_store_short v[1:2], v3, off
.LBB122_856:
	s_mov_b32 s4, 0
.LBB122_857:
	s_andn2_b32 vcc_lo, exec_lo, s4
	s_cbranch_vccnz .LBB122_862
; %bb.858:
	s_cmp_gt_i32 s7, 0
	s_mov_b32 s4, -1
	s_cbranch_scc0 .LBB122_860
; %bb.859:
	v_lshlrev_b32_e32 v3, 16, v24
	s_mov_b32 s4, 0
	v_cvt_i32_f32_e32 v3, v3
	global_store_byte v[1:2], v3, off
.LBB122_860:
	s_andn2_b32 vcc_lo, exec_lo, s4
	s_cbranch_vccnz .LBB122_862
; %bb.861:
	v_lshlrev_b32_e32 v3, 16, v24
	v_trunc_f32_e32 v3, v3
	v_mul_f32_e64 v4, 0x2f800000, |v3|
	v_floor_f32_e32 v4, v4
	v_fma_f32 v4, 0xcf800000, v4, |v3|
	v_ashrrev_i32_e32 v3, 31, v3
	v_cvt_u32_f32_e32 v4, v4
	v_xor_b32_e32 v4, v4, v3
	v_sub_nc_u32_e32 v3, v4, v3
	global_store_byte v[1:2], v3, off
.LBB122_862:
.LBB122_863:
	v_add_co_u32 v1, s4, s24, v28
	v_add_co_ci_u32_e64 v2, null, s25, 0, s4
	s_cmp_lt_i32 s7, 11
	s_cbranch_scc1 .LBB122_1018
; %bb.864:
	s_mov_b32 s10, -1
	s_mov_b32 s8, 0
	s_cmp_gt_i32 s7, 25
	s_mov_b32 s9, 0
	s_mov_b32 s4, 0
	s_cbranch_scc0 .LBB122_897
; %bb.865:
	s_cmp_gt_i32 s7, 28
	s_cbranch_scc0 .LBB122_880
; %bb.866:
	s_cmp_gt_i32 s7, 43
	;; [unrolled: 3-line block ×3, first 2 shown]
	s_cbranch_scc0 .LBB122_870
; %bb.868:
	s_mov_b32 s4, -1
	s_mov_b32 s10, 0
	s_cmp_eq_u32 s7, 46
	s_cbranch_scc0 .LBB122_870
; %bb.869:
	v_and_b32_e32 v3, 0xffff, v21
	s_mov_b32 s4, 0
	s_mov_b32 s9, -1
	global_store_dword v[1:2], v3, off
.LBB122_870:
	s_and_b32 vcc_lo, exec_lo, s10
	s_cbranch_vccz .LBB122_875
; %bb.871:
	s_cmp_eq_u32 s7, 44
	s_mov_b32 s4, -1
	s_cbranch_scc0 .LBB122_875
; %bb.872:
	v_and_b32_e32 v3, 0xffff, v21
	v_mov_b32_e32 v4, 0xff
	s_mov_b32 s9, exec_lo
	v_bfe_u32 v5, v3, 7, 8
	v_cmpx_ne_u32_e32 0xff, v5
	s_cbranch_execz .LBB122_874
; %bb.873:
	v_lshlrev_b32_e32 v4, 16, v3
	v_and_b32_e32 v6, 64, v3
	v_lshrrev_b32_e32 v3, 7, v3
	v_and_or_b32 v4, 0x3f0000, v4, v5
	v_cmp_ne_u32_e32 vcc_lo, 0, v6
	v_cmp_ne_u32_e64 s4, 0, v4
	s_and_b32 s4, vcc_lo, s4
	v_cndmask_b32_e64 v4, 0, 1, s4
	v_add_nc_u32_e32 v4, v3, v4
.LBB122_874:
	s_or_b32 exec_lo, exec_lo, s9
	s_mov_b32 s4, 0
	s_mov_b32 s9, -1
	global_store_byte v[1:2], v4, off
.LBB122_875:
	s_mov_b32 s10, 0
.LBB122_876:
	s_and_b32 vcc_lo, exec_lo, s10
	s_cbranch_vccz .LBB122_879
; %bb.877:
	s_cmp_eq_u32 s7, 29
	s_mov_b32 s4, -1
	s_cbranch_scc0 .LBB122_879
; %bb.878:
	v_lshlrev_b32_e32 v3, 16, v21
	s_mov_b32 s4, 0
	s_mov_b32 s9, -1
	v_trunc_f32_e32 v3, v3
	v_mul_f32_e32 v4, 0x2f800000, v3
	v_floor_f32_e32 v4, v4
	v_fmamk_f32 v3, v4, 0xcf800000, v3
	v_cvt_u32_f32_e32 v4, v4
	v_cvt_u32_f32_e32 v3, v3
	global_store_dwordx2 v[1:2], v[3:4], off
.LBB122_879:
	s_mov_b32 s10, 0
.LBB122_880:
	s_and_b32 vcc_lo, exec_lo, s10
	s_cbranch_vccz .LBB122_896
; %bb.881:
	s_cmp_lt_i32 s7, 27
	s_mov_b32 s9, -1
	s_cbranch_scc1 .LBB122_887
; %bb.882:
	s_cmp_gt_i32 s7, 27
	s_cbranch_scc0 .LBB122_884
; %bb.883:
	v_lshlrev_b32_e32 v3, 16, v21
	s_mov_b32 s9, 0
	v_cvt_u32_f32_e32 v3, v3
	global_store_dword v[1:2], v3, off
.LBB122_884:
	s_andn2_b32 vcc_lo, exec_lo, s9
	s_cbranch_vccnz .LBB122_886
; %bb.885:
	v_lshlrev_b32_e32 v3, 16, v21
	v_cvt_u32_f32_e32 v3, v3
	global_store_short v[1:2], v3, off
.LBB122_886:
	s_mov_b32 s9, 0
.LBB122_887:
	s_andn2_b32 vcc_lo, exec_lo, s9
	s_cbranch_vccnz .LBB122_895
; %bb.888:
	v_lshlrev_b32_e32 v5, 16, v21
	v_mov_b32_e32 v6, 0x80
	s_mov_b32 s9, exec_lo
	v_and_b32_e32 v4, 0x7fffffff, v5
	v_cmpx_gt_u32_e32 0x43800000, v4
	s_cbranch_execz .LBB122_894
; %bb.889:
	v_and_b32_e32 v3, 0xffff, v21
	v_cmp_lt_u32_e32 vcc_lo, 0x3bffffff, v4
	s_mov_b32 s10, 0
                                        ; implicit-def: $vgpr4
	s_and_saveexec_b32 s11, vcc_lo
	s_xor_b32 s11, exec_lo, s11
	s_cbranch_execz .LBB122_1113
; %bb.890:
	v_bfe_u32 v4, v3, 4, 1
	s_mov_b32 s10, exec_lo
	v_add3_u32 v4, v5, v4, 0x487ffff
                                        ; implicit-def: $vgpr5
	v_lshrrev_b32_e32 v4, 20, v4
	s_andn2_saveexec_b32 s11, s11
	s_cbranch_execnz .LBB122_1114
.LBB122_891:
	s_or_b32 exec_lo, exec_lo, s11
	v_mov_b32_e32 v6, 0
	s_and_saveexec_b32 s11, s10
.LBB122_892:
	v_lshrrev_b32_e32 v3, 8, v3
	v_and_or_b32 v6, 0x80, v3, v4
.LBB122_893:
	s_or_b32 exec_lo, exec_lo, s11
.LBB122_894:
	s_or_b32 exec_lo, exec_lo, s9
	global_store_byte v[1:2], v6, off
.LBB122_895:
	s_mov_b32 s9, -1
.LBB122_896:
	s_mov_b32 s10, 0
.LBB122_897:
	s_and_b32 vcc_lo, exec_lo, s10
	s_cbranch_vccz .LBB122_937
; %bb.898:
	s_cmp_gt_i32 s7, 22
	s_mov_b32 s8, -1
	s_cbranch_scc0 .LBB122_930
; %bb.899:
	s_cmp_lt_i32 s7, 24
	s_cbranch_scc1 .LBB122_919
; %bb.900:
	s_cmp_gt_i32 s7, 24
	s_cbranch_scc0 .LBB122_908
; %bb.901:
	v_lshlrev_b32_e32 v5, 16, v21
	v_mov_b32_e32 v6, 0x80
	s_mov_b32 s8, exec_lo
	v_and_b32_e32 v4, 0x7fffffff, v5
	v_cmpx_gt_u32_e32 0x47800000, v4
	s_cbranch_execz .LBB122_907
; %bb.902:
	v_and_b32_e32 v3, 0xffff, v21
	v_cmp_lt_u32_e32 vcc_lo, 0x37ffffff, v4
	s_mov_b32 s9, 0
                                        ; implicit-def: $vgpr4
	s_and_saveexec_b32 s10, vcc_lo
	s_xor_b32 s10, exec_lo, s10
	s_cbranch_execz .LBB122_1116
; %bb.903:
	v_bfe_u32 v4, v3, 5, 1
	s_mov_b32 s9, exec_lo
	v_add3_u32 v4, v5, v4, 0x88fffff
                                        ; implicit-def: $vgpr5
	v_lshrrev_b32_e32 v4, 21, v4
	s_andn2_saveexec_b32 s10, s10
	s_cbranch_execnz .LBB122_1117
.LBB122_904:
	s_or_b32 exec_lo, exec_lo, s10
	v_mov_b32_e32 v6, 0
	s_and_saveexec_b32 s10, s9
.LBB122_905:
	v_lshrrev_b32_e32 v3, 8, v3
	v_and_or_b32 v6, 0x80, v3, v4
.LBB122_906:
	s_or_b32 exec_lo, exec_lo, s10
.LBB122_907:
	s_or_b32 exec_lo, exec_lo, s8
	s_mov_b32 s8, 0
	global_store_byte v[1:2], v6, off
.LBB122_908:
	s_and_b32 vcc_lo, exec_lo, s8
	s_cbranch_vccz .LBB122_918
; %bb.909:
	v_lshlrev_b32_e32 v5, 16, v21
	v_and_b32_e32 v3, 0xffff, v21
	s_mov_b32 s8, exec_lo
                                        ; implicit-def: $vgpr4
	v_and_b32_e32 v6, 0x7fffffff, v5
	v_cmpx_gt_u32_e32 0x43f00000, v6
	s_xor_b32 s8, exec_lo, s8
	s_cbranch_execz .LBB122_915
; %bb.910:
	s_mov_b32 s9, exec_lo
                                        ; implicit-def: $vgpr4
	v_cmpx_lt_u32_e32 0x3c7fffff, v6
	s_xor_b32 s9, exec_lo, s9
; %bb.911:
	v_bfe_u32 v4, v3, 4, 1
	v_add3_u32 v4, v5, v4, 0x407ffff
	v_and_b32_e32 v5, 0xff00000, v4
	v_lshrrev_b32_e32 v4, 20, v4
	v_cmp_ne_u32_e32 vcc_lo, 0x7f00000, v5
                                        ; implicit-def: $vgpr5
	v_cndmask_b32_e32 v4, 0x7e, v4, vcc_lo
; %bb.912:
	s_andn2_saveexec_b32 s9, s9
; %bb.913:
	v_add_f32_e64 v4, 0x46800000, |v5|
; %bb.914:
	s_or_b32 exec_lo, exec_lo, s9
                                        ; implicit-def: $vgpr6
.LBB122_915:
	s_andn2_saveexec_b32 s8, s8
; %bb.916:
	v_mov_b32_e32 v4, 0x7f
	v_cmp_lt_u32_e32 vcc_lo, 0x7f800000, v6
	v_cndmask_b32_e32 v4, 0x7e, v4, vcc_lo
; %bb.917:
	s_or_b32 exec_lo, exec_lo, s8
	v_lshrrev_b32_e32 v3, 8, v3
	v_and_or_b32 v3, 0x80, v3, v4
	global_store_byte v[1:2], v3, off
.LBB122_918:
	s_mov_b32 s8, 0
.LBB122_919:
	s_andn2_b32 vcc_lo, exec_lo, s8
	s_cbranch_vccnz .LBB122_929
; %bb.920:
	v_lshlrev_b32_e32 v5, 16, v21
	v_and_b32_e32 v3, 0xffff, v21
	s_mov_b32 s8, exec_lo
                                        ; implicit-def: $vgpr4
	v_and_b32_e32 v6, 0x7fffffff, v5
	v_cmpx_gt_u32_e32 0x47800000, v6
	s_xor_b32 s8, exec_lo, s8
	s_cbranch_execz .LBB122_926
; %bb.921:
	s_mov_b32 s9, exec_lo
                                        ; implicit-def: $vgpr4
	v_cmpx_lt_u32_e32 0x387fffff, v6
	s_xor_b32 s9, exec_lo, s9
; %bb.922:
	v_bfe_u32 v4, v3, 5, 1
	v_add3_u32 v4, v5, v4, 0x80fffff
                                        ; implicit-def: $vgpr5
	v_lshrrev_b32_e32 v4, 21, v4
; %bb.923:
	s_andn2_saveexec_b32 s9, s9
; %bb.924:
	v_add_f32_e64 v4, 0x43000000, |v5|
; %bb.925:
	s_or_b32 exec_lo, exec_lo, s9
                                        ; implicit-def: $vgpr6
.LBB122_926:
	s_andn2_saveexec_b32 s8, s8
; %bb.927:
	v_mov_b32_e32 v4, 0x7f
	v_cmp_lt_u32_e32 vcc_lo, 0x7f800000, v6
	v_cndmask_b32_e32 v4, 0x7c, v4, vcc_lo
; %bb.928:
	s_or_b32 exec_lo, exec_lo, s8
	v_lshrrev_b32_e32 v3, 8, v3
	v_and_or_b32 v3, 0x80, v3, v4
	global_store_byte v[1:2], v3, off
.LBB122_929:
	s_mov_b32 s8, 0
	s_mov_b32 s9, -1
.LBB122_930:
	s_andn2_b32 vcc_lo, exec_lo, s8
	s_mov_b32 s8, 0
	s_cbranch_vccnz .LBB122_937
; %bb.931:
	s_cmp_gt_i32 s7, 14
	s_mov_b32 s8, -1
	s_cbranch_scc0 .LBB122_935
; %bb.932:
	s_cmp_eq_u32 s7, 15
	s_mov_b32 s4, -1
	s_cbranch_scc0 .LBB122_934
; %bb.933:
	s_mov_b32 s4, 0
	s_mov_b32 s9, -1
	global_store_short v[1:2], v21, off
.LBB122_934:
	s_mov_b32 s8, 0
.LBB122_935:
	s_and_b32 vcc_lo, exec_lo, s8
	s_mov_b32 s8, 0
	s_cbranch_vccz .LBB122_937
; %bb.936:
	s_cmp_lg_u32 s7, 11
	s_mov_b32 s8, -1
	s_cselect_b32 s4, -1, 0
.LBB122_937:
	s_and_b32 vcc_lo, exec_lo, s4
	s_cbranch_vccnz .LBB122_1115
; %bb.938:
	s_andn2_b32 vcc_lo, exec_lo, s8
	s_cbranch_vccnz .LBB122_940
.LBB122_939:
	v_and_b32_e32 v3, 0x7fff, v21
	s_mov_b32 s9, -1
	v_cmp_ne_u16_e32 vcc_lo, 0, v3
	v_cndmask_b32_e64 v3, 0, 1, vcc_lo
	global_store_byte v[1:2], v3, off
.LBB122_940:
.LBB122_941:
	s_andn2_b32 vcc_lo, exec_lo, s9
	s_cbranch_vccnz .LBB122_1057
.LBB122_942:
	v_add_co_u32 v1, s4, s24, v26
	v_add_co_ci_u32_e64 v2, null, s25, 0, s4
	s_cmp_lt_i32 s7, 11
	s_cbranch_scc1 .LBB122_1102
; %bb.943:
	s_mov_b32 s9, -1
	s_mov_b32 s8, 0
	s_cmp_gt_i32 s7, 25
	s_mov_b32 s4, 0
	s_cbranch_scc0 .LBB122_976
; %bb.944:
	s_cmp_gt_i32 s7, 28
	s_cbranch_scc0 .LBB122_960
; %bb.945:
	s_cmp_gt_i32 s7, 43
	;; [unrolled: 3-line block ×3, first 2 shown]
	s_cbranch_scc0 .LBB122_950
; %bb.947:
	s_cmp_eq_u32 s7, 46
	s_mov_b32 s4, -1
	s_cbranch_scc0 .LBB122_949
; %bb.948:
	v_and_b32_e32 v3, 0xffff, v0
	s_mov_b32 s4, 0
	global_store_dword v[1:2], v3, off
.LBB122_949:
	s_mov_b32 s9, 0
.LBB122_950:
	s_and_b32 vcc_lo, exec_lo, s9
	s_cbranch_vccz .LBB122_955
; %bb.951:
	s_cmp_eq_u32 s7, 44
	s_mov_b32 s4, -1
	s_cbranch_scc0 .LBB122_955
; %bb.952:
	v_and_b32_e32 v3, 0xffff, v0
	v_mov_b32_e32 v4, 0xff
	s_mov_b32 s9, exec_lo
	v_bfe_u32 v5, v3, 7, 8
	v_cmpx_ne_u32_e32 0xff, v5
	s_cbranch_execz .LBB122_954
; %bb.953:
	v_lshlrev_b32_e32 v4, 16, v3
	v_and_b32_e32 v6, 64, v3
	v_lshrrev_b32_e32 v3, 7, v3
	v_and_or_b32 v4, 0x3f0000, v4, v5
	v_cmp_ne_u32_e32 vcc_lo, 0, v6
	v_cmp_ne_u32_e64 s4, 0, v4
	s_and_b32 s4, vcc_lo, s4
	v_cndmask_b32_e64 v4, 0, 1, s4
	v_add_nc_u32_e32 v4, v3, v4
.LBB122_954:
	s_or_b32 exec_lo, exec_lo, s9
	s_mov_b32 s4, 0
	global_store_byte v[1:2], v4, off
.LBB122_955:
	s_mov_b32 s9, 0
.LBB122_956:
	s_and_b32 vcc_lo, exec_lo, s9
	s_cbranch_vccz .LBB122_959
; %bb.957:
	s_cmp_eq_u32 s7, 29
	s_mov_b32 s4, -1
	s_cbranch_scc0 .LBB122_959
; %bb.958:
	v_lshlrev_b32_e32 v3, 16, v0
	s_mov_b32 s4, 0
	v_trunc_f32_e32 v3, v3
	v_mul_f32_e32 v4, 0x2f800000, v3
	v_floor_f32_e32 v4, v4
	v_fmamk_f32 v3, v4, 0xcf800000, v3
	v_cvt_u32_f32_e32 v4, v4
	v_cvt_u32_f32_e32 v3, v3
	global_store_dwordx2 v[1:2], v[3:4], off
.LBB122_959:
	s_mov_b32 s9, 0
.LBB122_960:
	s_and_b32 vcc_lo, exec_lo, s9
	s_cbranch_vccz .LBB122_975
; %bb.961:
	s_cmp_lt_i32 s7, 27
	s_mov_b32 s9, -1
	s_cbranch_scc1 .LBB122_967
; %bb.962:
	s_cmp_gt_i32 s7, 27
	s_cbranch_scc0 .LBB122_964
; %bb.963:
	v_lshlrev_b32_e32 v3, 16, v0
	s_mov_b32 s9, 0
	v_cvt_u32_f32_e32 v3, v3
	global_store_dword v[1:2], v3, off
.LBB122_964:
	s_andn2_b32 vcc_lo, exec_lo, s9
	s_cbranch_vccnz .LBB122_966
; %bb.965:
	v_lshlrev_b32_e32 v3, 16, v0
	v_cvt_u32_f32_e32 v3, v3
	global_store_short v[1:2], v3, off
.LBB122_966:
	s_mov_b32 s9, 0
.LBB122_967:
	s_andn2_b32 vcc_lo, exec_lo, s9
	s_cbranch_vccnz .LBB122_975
; %bb.968:
	v_lshlrev_b32_e32 v5, 16, v0
	v_mov_b32_e32 v6, 0x80
	s_mov_b32 s9, exec_lo
	v_and_b32_e32 v4, 0x7fffffff, v5
	v_cmpx_gt_u32_e32 0x43800000, v4
	s_cbranch_execz .LBB122_974
; %bb.969:
	v_and_b32_e32 v3, 0xffff, v0
	v_cmp_lt_u32_e32 vcc_lo, 0x3bffffff, v4
	s_mov_b32 s10, 0
                                        ; implicit-def: $vgpr4
	s_and_saveexec_b32 s11, vcc_lo
	s_xor_b32 s11, exec_lo, s11
	s_cbranch_execz .LBB122_1118
; %bb.970:
	v_bfe_u32 v4, v3, 4, 1
	s_mov_b32 s10, exec_lo
	v_add3_u32 v4, v5, v4, 0x487ffff
                                        ; implicit-def: $vgpr5
	v_lshrrev_b32_e32 v4, 20, v4
	s_andn2_saveexec_b32 s11, s11
	s_cbranch_execnz .LBB122_1119
.LBB122_971:
	s_or_b32 exec_lo, exec_lo, s11
	v_mov_b32_e32 v6, 0
	s_and_saveexec_b32 s11, s10
.LBB122_972:
	v_lshrrev_b32_e32 v3, 8, v3
	v_and_or_b32 v6, 0x80, v3, v4
.LBB122_973:
	s_or_b32 exec_lo, exec_lo, s11
.LBB122_974:
	s_or_b32 exec_lo, exec_lo, s9
	global_store_byte v[1:2], v6, off
.LBB122_975:
	s_mov_b32 s9, 0
.LBB122_976:
	s_and_b32 vcc_lo, exec_lo, s9
	s_cbranch_vccz .LBB122_1016
; %bb.977:
	s_cmp_gt_i32 s7, 22
	s_mov_b32 s8, -1
	s_cbranch_scc0 .LBB122_1009
; %bb.978:
	s_cmp_lt_i32 s7, 24
	s_cbranch_scc1 .LBB122_998
; %bb.979:
	s_cmp_gt_i32 s7, 24
	s_cbranch_scc0 .LBB122_987
; %bb.980:
	v_lshlrev_b32_e32 v5, 16, v0
	v_mov_b32_e32 v6, 0x80
	s_mov_b32 s8, exec_lo
	v_and_b32_e32 v4, 0x7fffffff, v5
	v_cmpx_gt_u32_e32 0x47800000, v4
	s_cbranch_execz .LBB122_986
; %bb.981:
	v_and_b32_e32 v3, 0xffff, v0
	v_cmp_lt_u32_e32 vcc_lo, 0x37ffffff, v4
	s_mov_b32 s9, 0
                                        ; implicit-def: $vgpr4
	s_and_saveexec_b32 s10, vcc_lo
	s_xor_b32 s10, exec_lo, s10
	s_cbranch_execz .LBB122_1123
; %bb.982:
	v_bfe_u32 v4, v3, 5, 1
	s_mov_b32 s9, exec_lo
	v_add3_u32 v4, v5, v4, 0x88fffff
                                        ; implicit-def: $vgpr5
	v_lshrrev_b32_e32 v4, 21, v4
	s_andn2_saveexec_b32 s10, s10
	s_cbranch_execnz .LBB122_1124
.LBB122_983:
	s_or_b32 exec_lo, exec_lo, s10
	v_mov_b32_e32 v6, 0
	s_and_saveexec_b32 s10, s9
.LBB122_984:
	v_lshrrev_b32_e32 v3, 8, v3
	v_and_or_b32 v6, 0x80, v3, v4
.LBB122_985:
	s_or_b32 exec_lo, exec_lo, s10
.LBB122_986:
	s_or_b32 exec_lo, exec_lo, s8
	s_mov_b32 s8, 0
	global_store_byte v[1:2], v6, off
.LBB122_987:
	s_and_b32 vcc_lo, exec_lo, s8
	s_cbranch_vccz .LBB122_997
; %bb.988:
	v_lshlrev_b32_e32 v5, 16, v0
	v_and_b32_e32 v3, 0xffff, v0
	s_mov_b32 s8, exec_lo
                                        ; implicit-def: $vgpr4
	v_and_b32_e32 v6, 0x7fffffff, v5
	v_cmpx_gt_u32_e32 0x43f00000, v6
	s_xor_b32 s8, exec_lo, s8
	s_cbranch_execz .LBB122_994
; %bb.989:
	s_mov_b32 s9, exec_lo
                                        ; implicit-def: $vgpr4
	v_cmpx_lt_u32_e32 0x3c7fffff, v6
	s_xor_b32 s9, exec_lo, s9
; %bb.990:
	v_bfe_u32 v4, v3, 4, 1
	v_add3_u32 v4, v5, v4, 0x407ffff
	v_and_b32_e32 v5, 0xff00000, v4
	v_lshrrev_b32_e32 v4, 20, v4
	v_cmp_ne_u32_e32 vcc_lo, 0x7f00000, v5
                                        ; implicit-def: $vgpr5
	v_cndmask_b32_e32 v4, 0x7e, v4, vcc_lo
; %bb.991:
	s_andn2_saveexec_b32 s9, s9
; %bb.992:
	v_add_f32_e64 v4, 0x46800000, |v5|
; %bb.993:
	s_or_b32 exec_lo, exec_lo, s9
                                        ; implicit-def: $vgpr6
.LBB122_994:
	s_andn2_saveexec_b32 s8, s8
; %bb.995:
	v_mov_b32_e32 v4, 0x7f
	v_cmp_lt_u32_e32 vcc_lo, 0x7f800000, v6
	v_cndmask_b32_e32 v4, 0x7e, v4, vcc_lo
; %bb.996:
	s_or_b32 exec_lo, exec_lo, s8
	v_lshrrev_b32_e32 v3, 8, v3
	v_and_or_b32 v3, 0x80, v3, v4
	global_store_byte v[1:2], v3, off
.LBB122_997:
	s_mov_b32 s8, 0
.LBB122_998:
	s_andn2_b32 vcc_lo, exec_lo, s8
	s_cbranch_vccnz .LBB122_1008
; %bb.999:
	v_lshlrev_b32_e32 v5, 16, v0
	v_and_b32_e32 v3, 0xffff, v0
	s_mov_b32 s8, exec_lo
                                        ; implicit-def: $vgpr4
	v_and_b32_e32 v6, 0x7fffffff, v5
	v_cmpx_gt_u32_e32 0x47800000, v6
	s_xor_b32 s8, exec_lo, s8
	s_cbranch_execz .LBB122_1005
; %bb.1000:
	s_mov_b32 s9, exec_lo
                                        ; implicit-def: $vgpr4
	v_cmpx_lt_u32_e32 0x387fffff, v6
	s_xor_b32 s9, exec_lo, s9
; %bb.1001:
	v_bfe_u32 v4, v3, 5, 1
	v_add3_u32 v4, v5, v4, 0x80fffff
                                        ; implicit-def: $vgpr5
	v_lshrrev_b32_e32 v4, 21, v4
; %bb.1002:
	s_andn2_saveexec_b32 s9, s9
; %bb.1003:
	v_add_f32_e64 v4, 0x43000000, |v5|
; %bb.1004:
	s_or_b32 exec_lo, exec_lo, s9
                                        ; implicit-def: $vgpr6
.LBB122_1005:
	s_andn2_saveexec_b32 s8, s8
; %bb.1006:
	v_mov_b32_e32 v4, 0x7f
	v_cmp_lt_u32_e32 vcc_lo, 0x7f800000, v6
	v_cndmask_b32_e32 v4, 0x7c, v4, vcc_lo
; %bb.1007:
	s_or_b32 exec_lo, exec_lo, s8
	v_lshrrev_b32_e32 v3, 8, v3
	v_and_or_b32 v3, 0x80, v3, v4
	global_store_byte v[1:2], v3, off
.LBB122_1008:
	s_mov_b32 s8, 0
.LBB122_1009:
	s_andn2_b32 vcc_lo, exec_lo, s8
	s_mov_b32 s8, 0
	s_cbranch_vccnz .LBB122_1016
; %bb.1010:
	s_cmp_gt_i32 s7, 14
	s_mov_b32 s8, -1
	s_cbranch_scc0 .LBB122_1014
; %bb.1011:
	s_cmp_eq_u32 s7, 15
	s_mov_b32 s4, -1
	s_cbranch_scc0 .LBB122_1013
; %bb.1012:
	s_mov_b32 s4, 0
	global_store_short v[1:2], v0, off
.LBB122_1013:
	s_mov_b32 s8, 0
.LBB122_1014:
	s_and_b32 vcc_lo, exec_lo, s8
	s_mov_b32 s8, 0
	s_cbranch_vccz .LBB122_1016
; %bb.1015:
	s_cmp_lg_u32 s7, 11
	s_mov_b32 s8, -1
	s_cselect_b32 s4, -1, 0
.LBB122_1016:
	s_and_b32 vcc_lo, exec_lo, s4
	s_cbranch_vccnz .LBB122_1120
.LBB122_1017:
	s_mov_b32 s4, 0
	s_branch .LBB122_1058
.LBB122_1018:
	s_mov_b32 s9, 0
	s_cbranch_execz .LBB122_941
; %bb.1019:
	s_cmp_lt_i32 s7, 5
	s_mov_b32 s4, -1
	s_cbranch_scc1 .LBB122_1040
; %bb.1020:
	s_cmp_lt_i32 s7, 8
	s_cbranch_scc1 .LBB122_1030
; %bb.1021:
	s_cmp_lt_i32 s7, 9
	s_cbranch_scc1 .LBB122_1027
; %bb.1022:
	s_cmp_gt_i32 s7, 9
	s_cbranch_scc0 .LBB122_1024
; %bb.1023:
	v_lshlrev_b32_e32 v3, 16, v21
	v_mov_b32_e32 v5, 0
	s_mov_b32 s4, 0
	v_cvt_f64_f32_e32 v[3:4], v3
	v_mov_b32_e32 v6, v5
	global_store_dwordx4 v[1:2], v[3:6], off
.LBB122_1024:
	s_andn2_b32 vcc_lo, exec_lo, s4
	s_cbranch_vccnz .LBB122_1026
; %bb.1025:
	v_lshlrev_b32_e32 v3, 16, v21
	v_mov_b32_e32 v4, 0
	global_store_dwordx2 v[1:2], v[3:4], off
.LBB122_1026:
	s_mov_b32 s4, 0
.LBB122_1027:
	s_andn2_b32 vcc_lo, exec_lo, s4
	s_cbranch_vccnz .LBB122_1029
; %bb.1028:
	v_lshlrev_b32_e32 v3, 16, v21
	v_cvt_f16_f32_e32 v3, v3
	v_and_b32_e32 v3, 0xffff, v3
	global_store_dword v[1:2], v3, off
.LBB122_1029:
	s_mov_b32 s4, 0
.LBB122_1030:
	s_andn2_b32 vcc_lo, exec_lo, s4
	s_cbranch_vccnz .LBB122_1039
; %bb.1031:
	s_cmp_lt_i32 s7, 6
	s_mov_b32 s4, -1
	s_cbranch_scc1 .LBB122_1037
; %bb.1032:
	s_cmp_gt_i32 s7, 6
	s_cbranch_scc0 .LBB122_1034
; %bb.1033:
	v_lshlrev_b32_e32 v3, 16, v21
	s_mov_b32 s4, 0
	v_cvt_f64_f32_e32 v[3:4], v3
	global_store_dwordx2 v[1:2], v[3:4], off
.LBB122_1034:
	s_andn2_b32 vcc_lo, exec_lo, s4
	s_cbranch_vccnz .LBB122_1036
; %bb.1035:
	v_lshlrev_b32_e32 v3, 16, v21
	global_store_dword v[1:2], v3, off
.LBB122_1036:
	s_mov_b32 s4, 0
.LBB122_1037:
	s_andn2_b32 vcc_lo, exec_lo, s4
	s_cbranch_vccnz .LBB122_1039
; %bb.1038:
	v_lshlrev_b32_e32 v3, 16, v21
	v_cvt_f16_f32_e32 v3, v3
	global_store_short v[1:2], v3, off
.LBB122_1039:
	s_mov_b32 s4, 0
.LBB122_1040:
	s_andn2_b32 vcc_lo, exec_lo, s4
	s_cbranch_vccnz .LBB122_1056
; %bb.1041:
	s_cmp_lt_i32 s7, 2
	s_mov_b32 s4, -1
	s_cbranch_scc1 .LBB122_1051
; %bb.1042:
	s_cmp_lt_i32 s7, 3
	s_cbranch_scc1 .LBB122_1048
; %bb.1043:
	s_cmp_gt_i32 s7, 3
	s_cbranch_scc0 .LBB122_1045
; %bb.1044:
	v_lshlrev_b32_e32 v3, 16, v21
	s_mov_b32 s4, 0
	v_trunc_f32_e32 v3, v3
	v_mul_f32_e64 v4, 0x2f800000, |v3|
	v_ashrrev_i32_e32 v6, 31, v3
	v_floor_f32_e32 v4, v4
	v_fma_f32 v5, 0xcf800000, v4, |v3|
	v_cvt_u32_f32_e32 v4, v4
	v_cvt_u32_f32_e32 v3, v5
	v_xor_b32_e32 v4, v4, v6
	v_xor_b32_e32 v3, v3, v6
	v_sub_co_u32 v3, vcc_lo, v3, v6
	v_sub_co_ci_u32_e64 v4, null, v4, v6, vcc_lo
	global_store_dwordx2 v[1:2], v[3:4], off
.LBB122_1045:
	s_andn2_b32 vcc_lo, exec_lo, s4
	s_cbranch_vccnz .LBB122_1047
; %bb.1046:
	v_lshlrev_b32_e32 v3, 16, v21
	v_cvt_i32_f32_e32 v3, v3
	global_store_dword v[1:2], v3, off
.LBB122_1047:
	s_mov_b32 s4, 0
.LBB122_1048:
	s_andn2_b32 vcc_lo, exec_lo, s4
	s_cbranch_vccnz .LBB122_1050
; %bb.1049:
	v_lshlrev_b32_e32 v3, 16, v21
	v_cvt_i32_f32_e32 v3, v3
	global_store_short v[1:2], v3, off
.LBB122_1050:
	s_mov_b32 s4, 0
.LBB122_1051:
	s_andn2_b32 vcc_lo, exec_lo, s4
	s_cbranch_vccnz .LBB122_1056
; %bb.1052:
	s_cmp_gt_i32 s7, 0
	s_mov_b32 s4, -1
	s_cbranch_scc0 .LBB122_1054
; %bb.1053:
	v_lshlrev_b32_e32 v3, 16, v21
	s_mov_b32 s4, 0
	v_cvt_i32_f32_e32 v3, v3
	global_store_byte v[1:2], v3, off
.LBB122_1054:
	s_andn2_b32 vcc_lo, exec_lo, s4
	s_cbranch_vccnz .LBB122_1056
; %bb.1055:
	v_lshlrev_b32_e32 v3, 16, v21
	v_trunc_f32_e32 v3, v3
	v_mul_f32_e64 v4, 0x2f800000, |v3|
	v_floor_f32_e32 v4, v4
	v_fma_f32 v4, 0xcf800000, v4, |v3|
	v_ashrrev_i32_e32 v3, 31, v3
	v_cvt_u32_f32_e32 v4, v4
	v_xor_b32_e32 v4, v4, v3
	v_sub_nc_u32_e32 v3, v4, v3
	global_store_byte v[1:2], v3, off
.LBB122_1056:
	s_branch .LBB122_942
.LBB122_1057:
	s_mov_b32 s4, 0
	s_mov_b32 s8, 0
                                        ; implicit-def: $sgpr5
                                        ; implicit-def: $vgpr1_vgpr2
.LBB122_1058:
	s_andn2_b32 s7, s34, exec_lo
	s_and_b32 s6, s6, exec_lo
	s_and_b32 s4, s4, exec_lo
	s_and_b32 s48, s8, exec_lo
	s_or_b32 s34, s7, s6
.LBB122_1059:
	s_or_b32 exec_lo, exec_lo, s35
	s_and_saveexec_b32 s6, s34
	s_cbranch_execz .LBB122_1062
; %bb.1060:
	; divergent unreachable
	s_or_b32 exec_lo, exec_lo, s6
	s_and_saveexec_b32 s6, s48
	s_xor_b32 s6, exec_lo, s6
	s_cbranch_execnz .LBB122_1063
.LBB122_1061:
	s_or_b32 exec_lo, exec_lo, s6
	s_and_saveexec_b32 s6, s4
	s_cbranch_execnz .LBB122_1064
	s_branch .LBB122_1101
.LBB122_1062:
	s_or_b32 exec_lo, exec_lo, s6
	s_and_saveexec_b32 s6, s48
	s_xor_b32 s6, exec_lo, s6
	s_cbranch_execz .LBB122_1061
.LBB122_1063:
	v_and_b32_e32 v3, 0x7fff, v0
	v_cmp_ne_u16_e32 vcc_lo, 0, v3
	v_cndmask_b32_e64 v3, 0, 1, vcc_lo
	global_store_byte v[1:2], v3, off
	s_or_b32 exec_lo, exec_lo, s6
	s_and_saveexec_b32 s6, s4
	s_cbranch_execz .LBB122_1101
.LBB122_1064:
	s_sext_i32_i16 s6, s5
	s_mov_b32 s4, -1
	s_cmp_lt_i32 s6, 5
	s_cbranch_scc1 .LBB122_1085
; %bb.1065:
	s_cmp_lt_i32 s6, 8
	s_cbranch_scc1 .LBB122_1075
; %bb.1066:
	;; [unrolled: 3-line block ×3, first 2 shown]
	s_cmp_gt_i32 s6, 9
	s_cbranch_scc0 .LBB122_1069
; %bb.1068:
	v_lshlrev_b32_e32 v3, 16, v0
	v_mov_b32_e32 v5, 0
	s_mov_b32 s4, 0
	v_cvt_f64_f32_e32 v[3:4], v3
	v_mov_b32_e32 v6, v5
	global_store_dwordx4 v[1:2], v[3:6], off
.LBB122_1069:
	s_andn2_b32 vcc_lo, exec_lo, s4
	s_cbranch_vccnz .LBB122_1071
; %bb.1070:
	v_lshlrev_b32_e32 v3, 16, v0
	v_mov_b32_e32 v4, 0
	global_store_dwordx2 v[1:2], v[3:4], off
.LBB122_1071:
	s_mov_b32 s4, 0
.LBB122_1072:
	s_andn2_b32 vcc_lo, exec_lo, s4
	s_cbranch_vccnz .LBB122_1074
; %bb.1073:
	v_lshlrev_b32_e32 v3, 16, v0
	v_cvt_f16_f32_e32 v3, v3
	v_and_b32_e32 v3, 0xffff, v3
	global_store_dword v[1:2], v3, off
.LBB122_1074:
	s_mov_b32 s4, 0
.LBB122_1075:
	s_andn2_b32 vcc_lo, exec_lo, s4
	s_cbranch_vccnz .LBB122_1084
; %bb.1076:
	s_sext_i32_i16 s6, s5
	s_mov_b32 s4, -1
	s_cmp_lt_i32 s6, 6
	s_cbranch_scc1 .LBB122_1082
; %bb.1077:
	s_cmp_gt_i32 s6, 6
	s_cbranch_scc0 .LBB122_1079
; %bb.1078:
	v_lshlrev_b32_e32 v3, 16, v0
	s_mov_b32 s4, 0
	v_cvt_f64_f32_e32 v[3:4], v3
	global_store_dwordx2 v[1:2], v[3:4], off
.LBB122_1079:
	s_andn2_b32 vcc_lo, exec_lo, s4
	s_cbranch_vccnz .LBB122_1081
; %bb.1080:
	v_lshlrev_b32_e32 v3, 16, v0
	global_store_dword v[1:2], v3, off
.LBB122_1081:
	s_mov_b32 s4, 0
.LBB122_1082:
	s_andn2_b32 vcc_lo, exec_lo, s4
	s_cbranch_vccnz .LBB122_1084
; %bb.1083:
	v_lshlrev_b32_e32 v3, 16, v0
	v_cvt_f16_f32_e32 v3, v3
	global_store_short v[1:2], v3, off
.LBB122_1084:
	s_mov_b32 s4, 0
.LBB122_1085:
	s_andn2_b32 vcc_lo, exec_lo, s4
	s_cbranch_vccnz .LBB122_1101
; %bb.1086:
	s_sext_i32_i16 s6, s5
	s_mov_b32 s4, -1
	s_cmp_lt_i32 s6, 2
	s_cbranch_scc1 .LBB122_1096
; %bb.1087:
	s_cmp_lt_i32 s6, 3
	s_cbranch_scc1 .LBB122_1093
; %bb.1088:
	s_cmp_gt_i32 s6, 3
	s_cbranch_scc0 .LBB122_1090
; %bb.1089:
	v_lshlrev_b32_e32 v3, 16, v0
	s_mov_b32 s4, 0
	v_trunc_f32_e32 v3, v3
	v_mul_f32_e64 v4, 0x2f800000, |v3|
	v_ashrrev_i32_e32 v6, 31, v3
	v_floor_f32_e32 v4, v4
	v_fma_f32 v5, 0xcf800000, v4, |v3|
	v_cvt_u32_f32_e32 v4, v4
	v_cvt_u32_f32_e32 v3, v5
	v_xor_b32_e32 v4, v4, v6
	v_xor_b32_e32 v3, v3, v6
	v_sub_co_u32 v3, vcc_lo, v3, v6
	v_sub_co_ci_u32_e64 v4, null, v4, v6, vcc_lo
	global_store_dwordx2 v[1:2], v[3:4], off
.LBB122_1090:
	s_andn2_b32 vcc_lo, exec_lo, s4
	s_cbranch_vccnz .LBB122_1092
; %bb.1091:
	v_lshlrev_b32_e32 v3, 16, v0
	v_cvt_i32_f32_e32 v3, v3
	global_store_dword v[1:2], v3, off
.LBB122_1092:
	s_mov_b32 s4, 0
.LBB122_1093:
	s_andn2_b32 vcc_lo, exec_lo, s4
	s_cbranch_vccnz .LBB122_1095
; %bb.1094:
	v_lshlrev_b32_e32 v3, 16, v0
	v_cvt_i32_f32_e32 v3, v3
	global_store_short v[1:2], v3, off
.LBB122_1095:
	s_mov_b32 s4, 0
.LBB122_1096:
	s_andn2_b32 vcc_lo, exec_lo, s4
	s_cbranch_vccnz .LBB122_1101
; %bb.1097:
	s_sext_i32_i16 s4, s5
	s_cmp_gt_i32 s4, 0
	s_mov_b32 s4, -1
	s_cbranch_scc0 .LBB122_1099
; %bb.1098:
	v_lshlrev_b32_e32 v3, 16, v0
	s_mov_b32 s4, 0
	v_cvt_i32_f32_e32 v3, v3
	global_store_byte v[1:2], v3, off
.LBB122_1099:
	s_andn2_b32 vcc_lo, exec_lo, s4
	s_cbranch_vccnz .LBB122_1101
; %bb.1100:
	v_lshlrev_b32_e32 v0, 16, v0
	v_trunc_f32_e32 v0, v0
	v_mul_f32_e64 v3, 0x2f800000, |v0|
	v_floor_f32_e32 v3, v3
	v_fma_f32 v3, 0xcf800000, v3, |v0|
	v_ashrrev_i32_e32 v0, 31, v0
	v_cvt_u32_f32_e32 v3, v3
	v_xor_b32_e32 v3, v3, v0
	v_sub_nc_u32_e32 v0, v3, v0
	global_store_byte v[1:2], v0, off
	s_endpgm
.LBB122_1101:
	s_endpgm
.LBB122_1102:
	s_mov_b32 s8, 0
	s_mov_b32 s4, -1
	s_branch .LBB122_1058
.LBB122_1103:
	s_andn2_saveexec_b32 s10, s10
	s_cbranch_execz .LBB122_655
.LBB122_1104:
	v_add_f32_e64 v4, 0x46000000, |v5|
	s_andn2_b32 s9, s9, exec_lo
	v_and_b32_e32 v4, 0xff, v4
	v_cmp_ne_u32_e32 vcc_lo, 0, v4
	s_and_b32 s11, vcc_lo, exec_lo
	s_or_b32 s9, s9, s11
	s_or_b32 exec_lo, exec_lo, s10
	v_mov_b32_e32 v6, 0
	s_and_saveexec_b32 s10, s9
	s_cbranch_execnz .LBB122_656
	s_branch .LBB122_657
.LBB122_1105:
	s_or_b32 s6, s34, exec_lo
	s_trap 2
	s_cbranch_execz .LBB122_703
	s_branch .LBB122_704
.LBB122_1106:
	s_andn2_saveexec_b32 s9, s9
	s_cbranch_execz .LBB122_668
.LBB122_1107:
	v_add_f32_e64 v4, 0x42800000, |v5|
	s_andn2_b32 s8, s8, exec_lo
	v_and_b32_e32 v4, 0xff, v4
	v_cmp_ne_u32_e32 vcc_lo, 0, v4
	s_and_b32 s10, vcc_lo, exec_lo
	s_or_b32 s8, s8, s10
	s_or_b32 exec_lo, exec_lo, s9
	v_mov_b32_e32 v6, 0
	s_and_saveexec_b32 s9, s8
	s_cbranch_execnz .LBB122_669
	s_branch .LBB122_670
.LBB122_1108:
	s_andn2_saveexec_b32 s11, s11
	s_cbranch_execz .LBB122_773
.LBB122_1109:
	v_add_f32_e64 v4, 0x46000000, |v5|
	s_andn2_b32 s10, s10, exec_lo
	v_and_b32_e32 v4, 0xff, v4
	v_cmp_ne_u32_e32 vcc_lo, 0, v4
	s_and_b32 s12, vcc_lo, exec_lo
	s_or_b32 s10, s10, s12
	s_or_b32 exec_lo, exec_lo, s11
	v_mov_b32_e32 v6, 0
	s_and_saveexec_b32 s11, s10
	s_cbranch_execnz .LBB122_774
	s_branch .LBB122_775
.LBB122_1110:
	s_or_b32 s6, s6, exec_lo
	s_trap 2
	s_cbranch_execz .LBB122_821
	s_branch .LBB122_822
.LBB122_1111:
	s_andn2_saveexec_b32 s10, s10
	s_cbranch_execz .LBB122_786
.LBB122_1112:
	v_add_f32_e64 v4, 0x42800000, |v5|
	s_andn2_b32 s9, s9, exec_lo
	v_and_b32_e32 v4, 0xff, v4
	v_cmp_ne_u32_e32 vcc_lo, 0, v4
	s_and_b32 s11, vcc_lo, exec_lo
	s_or_b32 s9, s9, s11
	s_or_b32 exec_lo, exec_lo, s10
	v_mov_b32_e32 v6, 0
	s_and_saveexec_b32 s10, s9
	s_cbranch_execnz .LBB122_787
	s_branch .LBB122_788
.LBB122_1113:
	s_andn2_saveexec_b32 s11, s11
	s_cbranch_execz .LBB122_891
.LBB122_1114:
	v_add_f32_e64 v4, 0x46000000, |v5|
	s_andn2_b32 s10, s10, exec_lo
	v_and_b32_e32 v4, 0xff, v4
	v_cmp_ne_u32_e32 vcc_lo, 0, v4
	s_and_b32 s12, vcc_lo, exec_lo
	s_or_b32 s10, s10, s12
	s_or_b32 exec_lo, exec_lo, s11
	v_mov_b32_e32 v6, 0
	s_and_saveexec_b32 s11, s10
	s_cbranch_execnz .LBB122_892
	s_branch .LBB122_893
.LBB122_1115:
	s_or_b32 s6, s6, exec_lo
	s_trap 2
	s_cbranch_execz .LBB122_939
	s_branch .LBB122_940
.LBB122_1116:
	s_andn2_saveexec_b32 s10, s10
	s_cbranch_execz .LBB122_904
.LBB122_1117:
	v_add_f32_e64 v4, 0x42800000, |v5|
	s_andn2_b32 s9, s9, exec_lo
	v_and_b32_e32 v4, 0xff, v4
	v_cmp_ne_u32_e32 vcc_lo, 0, v4
	s_and_b32 s11, vcc_lo, exec_lo
	s_or_b32 s9, s9, s11
	s_or_b32 exec_lo, exec_lo, s10
	v_mov_b32_e32 v6, 0
	s_and_saveexec_b32 s10, s9
	s_cbranch_execnz .LBB122_905
	s_branch .LBB122_906
.LBB122_1118:
	s_andn2_saveexec_b32 s11, s11
	s_cbranch_execz .LBB122_971
.LBB122_1119:
	v_add_f32_e64 v4, 0x46000000, |v5|
	s_andn2_b32 s10, s10, exec_lo
	v_and_b32_e32 v4, 0xff, v4
	v_cmp_ne_u32_e32 vcc_lo, 0, v4
	s_and_b32 s12, vcc_lo, exec_lo
	s_or_b32 s10, s10, s12
	s_or_b32 exec_lo, exec_lo, s11
	v_mov_b32_e32 v6, 0
	s_and_saveexec_b32 s11, s10
	s_cbranch_execnz .LBB122_972
	s_branch .LBB122_973
.LBB122_1120:
	s_mov_b32 s8, 0
	s_or_b32 s6, s6, exec_lo
	s_trap 2
	s_branch .LBB122_1017
.LBB122_1121:
	s_andn2_saveexec_b32 s9, s9
	s_cbranch_execz .LBB122_480
.LBB122_1122:
	v_add_f32_e64 v4, 0x46000000, |v5|
	s_andn2_b32 s8, s8, exec_lo
	v_and_b32_e32 v4, 0xff, v4
	v_cmp_ne_u32_e32 vcc_lo, 0, v4
	s_and_b32 s10, vcc_lo, exec_lo
	s_or_b32 s8, s8, s10
	s_or_b32 exec_lo, exec_lo, s9
	v_mov_b32_e32 v6, 0
	s_and_saveexec_b32 s9, s8
	s_cbranch_execnz .LBB122_481
	s_branch .LBB122_482
.LBB122_1123:
	s_andn2_saveexec_b32 s10, s10
	s_cbranch_execz .LBB122_983
.LBB122_1124:
	v_add_f32_e64 v4, 0x42800000, |v5|
	s_andn2_b32 s9, s9, exec_lo
	v_and_b32_e32 v4, 0xff, v4
	v_cmp_ne_u32_e32 vcc_lo, 0, v4
	s_and_b32 s11, vcc_lo, exec_lo
	s_or_b32 s9, s9, s11
	s_or_b32 exec_lo, exec_lo, s10
	v_mov_b32_e32 v6, 0
	s_and_saveexec_b32 s10, s9
	s_cbranch_execnz .LBB122_984
	s_branch .LBB122_985
.LBB122_1125:
	s_andn2_saveexec_b32 s10, s10
	s_cbranch_execz .LBB122_492
.LBB122_1126:
	v_add_f32_e64 v4, 0x42800000, |v5|
	s_andn2_b32 s9, s9, exec_lo
	v_and_b32_e32 v4, 0xff, v4
	v_cmp_ne_u32_e32 vcc_lo, 0, v4
	s_and_b32 s11, vcc_lo, exec_lo
	s_or_b32 s9, s9, s11
	s_or_b32 exec_lo, exec_lo, s10
	v_mov_b32_e32 v6, 0
	s_and_saveexec_b32 s10, s9
	s_cbranch_execnz .LBB122_493
	s_branch .LBB122_494
	.section	.rodata,"a",@progbits
	.p2align	6, 0x0
	.amdhsa_kernel _ZN2at6native32elementwise_kernel_manual_unrollILi128ELi4EZNS0_15gpu_kernel_implIZZZNS0_21polygamma_kernel_cudaERNS_18TensorIteratorBaseElENKUlvE_clEvENKUlvE2_clEvEUlN3c108BFloat16EE_EEvS4_RKT_EUlibE0_EEviT1_
		.amdhsa_group_segment_fixed_size 0
		.amdhsa_private_segment_fixed_size 0
		.amdhsa_kernarg_size 368
		.amdhsa_user_sgpr_count 6
		.amdhsa_user_sgpr_private_segment_buffer 1
		.amdhsa_user_sgpr_dispatch_ptr 0
		.amdhsa_user_sgpr_queue_ptr 0
		.amdhsa_user_sgpr_kernarg_segment_ptr 1
		.amdhsa_user_sgpr_dispatch_id 0
		.amdhsa_user_sgpr_flat_scratch_init 0
		.amdhsa_user_sgpr_private_segment_size 0
		.amdhsa_wavefront_size32 1
		.amdhsa_uses_dynamic_stack 0
		.amdhsa_system_sgpr_private_segment_wavefront_offset 0
		.amdhsa_system_sgpr_workgroup_id_x 1
		.amdhsa_system_sgpr_workgroup_id_y 0
		.amdhsa_system_sgpr_workgroup_id_z 0
		.amdhsa_system_sgpr_workgroup_info 0
		.amdhsa_system_vgpr_workitem_id 0
		.amdhsa_next_free_vgpr 34
		.amdhsa_next_free_sgpr 76
		.amdhsa_reserve_vcc 1
		.amdhsa_reserve_flat_scratch 0
		.amdhsa_float_round_mode_32 0
		.amdhsa_float_round_mode_16_64 0
		.amdhsa_float_denorm_mode_32 3
		.amdhsa_float_denorm_mode_16_64 3
		.amdhsa_dx10_clamp 1
		.amdhsa_ieee_mode 1
		.amdhsa_fp16_overflow 0
		.amdhsa_workgroup_processor_mode 1
		.amdhsa_memory_ordered 1
		.amdhsa_forward_progress 1
		.amdhsa_shared_vgpr_count 0
		.amdhsa_exception_fp_ieee_invalid_op 0
		.amdhsa_exception_fp_denorm_src 0
		.amdhsa_exception_fp_ieee_div_zero 0
		.amdhsa_exception_fp_ieee_overflow 0
		.amdhsa_exception_fp_ieee_underflow 0
		.amdhsa_exception_fp_ieee_inexact 0
		.amdhsa_exception_int_div_zero 0
	.end_amdhsa_kernel
	.section	.text._ZN2at6native32elementwise_kernel_manual_unrollILi128ELi4EZNS0_15gpu_kernel_implIZZZNS0_21polygamma_kernel_cudaERNS_18TensorIteratorBaseElENKUlvE_clEvENKUlvE2_clEvEUlN3c108BFloat16EE_EEvS4_RKT_EUlibE0_EEviT1_,"axG",@progbits,_ZN2at6native32elementwise_kernel_manual_unrollILi128ELi4EZNS0_15gpu_kernel_implIZZZNS0_21polygamma_kernel_cudaERNS_18TensorIteratorBaseElENKUlvE_clEvENKUlvE2_clEvEUlN3c108BFloat16EE_EEvS4_RKT_EUlibE0_EEviT1_,comdat
.Lfunc_end122:
	.size	_ZN2at6native32elementwise_kernel_manual_unrollILi128ELi4EZNS0_15gpu_kernel_implIZZZNS0_21polygamma_kernel_cudaERNS_18TensorIteratorBaseElENKUlvE_clEvENKUlvE2_clEvEUlN3c108BFloat16EE_EEvS4_RKT_EUlibE0_EEviT1_, .Lfunc_end122-_ZN2at6native32elementwise_kernel_manual_unrollILi128ELi4EZNS0_15gpu_kernel_implIZZZNS0_21polygamma_kernel_cudaERNS_18TensorIteratorBaseElENKUlvE_clEvENKUlvE2_clEvEUlN3c108BFloat16EE_EEvS4_RKT_EUlibE0_EEviT1_
                                        ; -- End function
	.set _ZN2at6native32elementwise_kernel_manual_unrollILi128ELi4EZNS0_15gpu_kernel_implIZZZNS0_21polygamma_kernel_cudaERNS_18TensorIteratorBaseElENKUlvE_clEvENKUlvE2_clEvEUlN3c108BFloat16EE_EEvS4_RKT_EUlibE0_EEviT1_.num_vgpr, max(34, .L_ZN2at6native6invokeIZZZNS0_21polygamma_kernel_cudaERNS_18TensorIteratorBaseElENKUlvE_clEvENKUlvE2_clEvEUlN3c108BFloat16EE_j15function_traitsIS8_EEENT1_11result_typeERKT_PrKPcPKT0_PKNS6_10ScalarTypeEi.num_vgpr)
	.set _ZN2at6native32elementwise_kernel_manual_unrollILi128ELi4EZNS0_15gpu_kernel_implIZZZNS0_21polygamma_kernel_cudaERNS_18TensorIteratorBaseElENKUlvE_clEvENKUlvE2_clEvEUlN3c108BFloat16EE_EEvS4_RKT_EUlibE0_EEviT1_.num_agpr, max(0, .L_ZN2at6native6invokeIZZZNS0_21polygamma_kernel_cudaERNS_18TensorIteratorBaseElENKUlvE_clEvENKUlvE2_clEvEUlN3c108BFloat16EE_j15function_traitsIS8_EEENT1_11result_typeERKT_PrKPcPKT0_PKNS6_10ScalarTypeEi.num_agpr)
	.set _ZN2at6native32elementwise_kernel_manual_unrollILi128ELi4EZNS0_15gpu_kernel_implIZZZNS0_21polygamma_kernel_cudaERNS_18TensorIteratorBaseElENKUlvE_clEvENKUlvE2_clEvEUlN3c108BFloat16EE_EEvS4_RKT_EUlibE0_EEviT1_.numbered_sgpr, max(76, .L_ZN2at6native6invokeIZZZNS0_21polygamma_kernel_cudaERNS_18TensorIteratorBaseElENKUlvE_clEvENKUlvE2_clEvEUlN3c108BFloat16EE_j15function_traitsIS8_EEENT1_11result_typeERKT_PrKPcPKT0_PKNS6_10ScalarTypeEi.numbered_sgpr)
	.set _ZN2at6native32elementwise_kernel_manual_unrollILi128ELi4EZNS0_15gpu_kernel_implIZZZNS0_21polygamma_kernel_cudaERNS_18TensorIteratorBaseElENKUlvE_clEvENKUlvE2_clEvEUlN3c108BFloat16EE_EEvS4_RKT_EUlibE0_EEviT1_.num_named_barrier, max(0, .L_ZN2at6native6invokeIZZZNS0_21polygamma_kernel_cudaERNS_18TensorIteratorBaseElENKUlvE_clEvENKUlvE2_clEvEUlN3c108BFloat16EE_j15function_traitsIS8_EEENT1_11result_typeERKT_PrKPcPKT0_PKNS6_10ScalarTypeEi.num_named_barrier)
	.set _ZN2at6native32elementwise_kernel_manual_unrollILi128ELi4EZNS0_15gpu_kernel_implIZZZNS0_21polygamma_kernel_cudaERNS_18TensorIteratorBaseElENKUlvE_clEvENKUlvE2_clEvEUlN3c108BFloat16EE_EEvS4_RKT_EUlibE0_EEviT1_.private_seg_size, 0+max(.L_ZN2at6native6invokeIZZZNS0_21polygamma_kernel_cudaERNS_18TensorIteratorBaseElENKUlvE_clEvENKUlvE2_clEvEUlN3c108BFloat16EE_j15function_traitsIS8_EEENT1_11result_typeERKT_PrKPcPKT0_PKNS6_10ScalarTypeEi.private_seg_size)
	.set _ZN2at6native32elementwise_kernel_manual_unrollILi128ELi4EZNS0_15gpu_kernel_implIZZZNS0_21polygamma_kernel_cudaERNS_18TensorIteratorBaseElENKUlvE_clEvENKUlvE2_clEvEUlN3c108BFloat16EE_EEvS4_RKT_EUlibE0_EEviT1_.uses_vcc, or(1, .L_ZN2at6native6invokeIZZZNS0_21polygamma_kernel_cudaERNS_18TensorIteratorBaseElENKUlvE_clEvENKUlvE2_clEvEUlN3c108BFloat16EE_j15function_traitsIS8_EEENT1_11result_typeERKT_PrKPcPKT0_PKNS6_10ScalarTypeEi.uses_vcc)
	.set _ZN2at6native32elementwise_kernel_manual_unrollILi128ELi4EZNS0_15gpu_kernel_implIZZZNS0_21polygamma_kernel_cudaERNS_18TensorIteratorBaseElENKUlvE_clEvENKUlvE2_clEvEUlN3c108BFloat16EE_EEvS4_RKT_EUlibE0_EEviT1_.uses_flat_scratch, or(0, .L_ZN2at6native6invokeIZZZNS0_21polygamma_kernel_cudaERNS_18TensorIteratorBaseElENKUlvE_clEvENKUlvE2_clEvEUlN3c108BFloat16EE_j15function_traitsIS8_EEENT1_11result_typeERKT_PrKPcPKT0_PKNS6_10ScalarTypeEi.uses_flat_scratch)
	.set _ZN2at6native32elementwise_kernel_manual_unrollILi128ELi4EZNS0_15gpu_kernel_implIZZZNS0_21polygamma_kernel_cudaERNS_18TensorIteratorBaseElENKUlvE_clEvENKUlvE2_clEvEUlN3c108BFloat16EE_EEvS4_RKT_EUlibE0_EEviT1_.has_dyn_sized_stack, or(0, .L_ZN2at6native6invokeIZZZNS0_21polygamma_kernel_cudaERNS_18TensorIteratorBaseElENKUlvE_clEvENKUlvE2_clEvEUlN3c108BFloat16EE_j15function_traitsIS8_EEENT1_11result_typeERKT_PrKPcPKT0_PKNS6_10ScalarTypeEi.has_dyn_sized_stack)
	.set _ZN2at6native32elementwise_kernel_manual_unrollILi128ELi4EZNS0_15gpu_kernel_implIZZZNS0_21polygamma_kernel_cudaERNS_18TensorIteratorBaseElENKUlvE_clEvENKUlvE2_clEvEUlN3c108BFloat16EE_EEvS4_RKT_EUlibE0_EEviT1_.has_recursion, or(0, .L_ZN2at6native6invokeIZZZNS0_21polygamma_kernel_cudaERNS_18TensorIteratorBaseElENKUlvE_clEvENKUlvE2_clEvEUlN3c108BFloat16EE_j15function_traitsIS8_EEENT1_11result_typeERKT_PrKPcPKT0_PKNS6_10ScalarTypeEi.has_recursion)
	.set _ZN2at6native32elementwise_kernel_manual_unrollILi128ELi4EZNS0_15gpu_kernel_implIZZZNS0_21polygamma_kernel_cudaERNS_18TensorIteratorBaseElENKUlvE_clEvENKUlvE2_clEvEUlN3c108BFloat16EE_EEvS4_RKT_EUlibE0_EEviT1_.has_indirect_call, or(0, .L_ZN2at6native6invokeIZZZNS0_21polygamma_kernel_cudaERNS_18TensorIteratorBaseElENKUlvE_clEvENKUlvE2_clEvEUlN3c108BFloat16EE_j15function_traitsIS8_EEENT1_11result_typeERKT_PrKPcPKT0_PKNS6_10ScalarTypeEi.has_indirect_call)
	.section	.AMDGPU.csdata,"",@progbits
; Kernel info:
; codeLenInByte = 22332
; TotalNumSgprs: 78
; NumVgprs: 34
; ScratchSize: 0
; MemoryBound: 0
; FloatMode: 240
; IeeeMode: 1
; LDSByteSize: 0 bytes/workgroup (compile time only)
; SGPRBlocks: 0
; VGPRBlocks: 4
; NumSGPRsForWavesPerEU: 78
; NumVGPRsForWavesPerEU: 34
; Occupancy: 16
; WaveLimiterHint : 1
; COMPUTE_PGM_RSRC2:SCRATCH_EN: 0
; COMPUTE_PGM_RSRC2:USER_SGPR: 6
; COMPUTE_PGM_RSRC2:TRAP_HANDLER: 0
; COMPUTE_PGM_RSRC2:TGID_X_EN: 1
; COMPUTE_PGM_RSRC2:TGID_Y_EN: 0
; COMPUTE_PGM_RSRC2:TGID_Z_EN: 0
; COMPUTE_PGM_RSRC2:TIDIG_COMP_CNT: 0
	.text
	.p2align	2                               ; -- Begin function _ZN3c104guts5applyIRZZZN2at6native18lgamma_kernel_cudaERNS2_18TensorIteratorBaseEENKUlvE_clEvENKUlvE_clEvEUldE_RSt5tupleIJdEEEEDaOT_OT0_
	.type	_ZN3c104guts5applyIRZZZN2at6native18lgamma_kernel_cudaERNS2_18TensorIteratorBaseEENKUlvE_clEvENKUlvE_clEvEUldE_RSt5tupleIJdEEEEDaOT_OT0_,@function
_ZN3c104guts5applyIRZZZN2at6native18lgamma_kernel_cudaERNS2_18TensorIteratorBaseEENKUlvE_clEvENKUlvE_clEvEUldE_RSt5tupleIJdEEEEDaOT_OT0_: ; @_ZN3c104guts5applyIRZZZN2at6native18lgamma_kernel_cudaERNS2_18TensorIteratorBaseEENKUlvE_clEvENKUlvE_clEvEUldE_RSt5tupleIJdEEEEDaOT_OT0_
; %bb.0:
	s_waitcnt vmcnt(0) expcnt(0) lgkmcnt(0)
	v_and_b32_e32 v3, 0x7fffffff, v1
	v_mov_b32_e32 v2, v0
                                        ; implicit-def: $vgpr4_vgpr5
	s_mov_b32 s4, exec_lo
	v_cmpx_lt_u32_e32 0x3f6fffff, v3
	s_xor_b32 s7, exec_lo, s4
	s_cbranch_execz .LBB123_26
; %bb.1:
                                        ; implicit-def: $vgpr4_vgpr5
	s_mov_b32 s4, exec_lo
	v_cmpx_lt_u32_e32 0x3fffffff, v3
	s_xor_b32 s5, exec_lo, s4
	s_cbranch_execz .LBB123_11
; %bb.2:
	;; [unrolled: 6-line block ×4, first 2 shown]
	v_frexp_mant_f64_e64 v[4:5], |v[0:1]|
	s_mov_b32 s11, 0x3fe55555
	s_mov_b32 s10, 0x55555555
	;; [unrolled: 1-line block ×6, first 2 shown]
	v_cmp_neq_f64_e64 s4, 0, v[0:1]
	v_cmp_gt_f64_e32 vcc_lo, s[10:11], v[4:5]
	s_mov_b32 s10, 0x55555780
	v_cndmask_b32_e64 v2, 0, 1, vcc_lo
	v_ldexp_f64 v[4:5], v[4:5], v2
	v_frexp_exp_i32_f64_e32 v2, v[0:1]
	v_add_f64 v[6:7], v[4:5], 1.0
	v_add_f64 v[12:13], v[4:5], -1.0
	v_subrev_co_ci_u32_e64 v2, null, 0, v2, vcc_lo
	v_cmp_neq_f64_e64 vcc_lo, 0x7ff00000, |v[0:1]|
	v_rcp_f64_e32 v[8:9], v[6:7]
	v_add_f64 v[14:15], v[6:7], -1.0
	v_add_f64 v[4:5], v[4:5], -v[14:15]
	v_fma_f64 v[10:11], -v[6:7], v[8:9], 1.0
	v_fma_f64 v[8:9], v[10:11], v[8:9], v[8:9]
	v_fma_f64 v[10:11], -v[6:7], v[8:9], 1.0
	v_fma_f64 v[8:9], v[10:11], v[8:9], v[8:9]
	v_mul_f64 v[10:11], v[12:13], v[8:9]
	v_mul_f64 v[16:17], v[6:7], v[10:11]
	v_fma_f64 v[6:7], v[10:11], v[6:7], -v[16:17]
	v_fma_f64 v[4:5], v[10:11], v[4:5], v[6:7]
	v_add_f64 v[6:7], v[16:17], v[4:5]
	v_add_f64 v[14:15], v[12:13], -v[6:7]
	v_add_f64 v[16:17], v[6:7], -v[16:17]
	;; [unrolled: 1-line block ×5, first 2 shown]
	v_add_f64 v[4:5], v[4:5], v[6:7]
	v_add_f64 v[4:5], v[14:15], v[4:5]
	v_mul_f64 v[4:5], v[8:9], v[4:5]
	v_add_f64 v[6:7], v[10:11], v[4:5]
	v_mul_f64 v[8:9], v[6:7], v[6:7]
	v_fma_f64 v[12:13], v[8:9], s[14:15], s[12:13]
	s_mov_b32 s12, 0xd7f4df2e
	s_mov_b32 s13, 0x3fc7474d
	v_mul_f64 v[14:15], v[6:7], v[8:9]
	v_fma_f64 v[12:13], v[8:9], v[12:13], s[12:13]
	s_mov_b32 s12, 0x16291751
	s_mov_b32 s13, 0x3fcc71c0
	v_fma_f64 v[12:13], v[8:9], v[12:13], s[12:13]
	s_mov_b32 s12, 0x9b27acf1
	s_mov_b32 s13, 0x3fd24924
	;; [unrolled: 3-line block ×3, first 2 shown]
	v_fma_f64 v[12:13], v[8:9], v[12:13], s[12:13]
	v_fma_f64 v[8:9], v[8:9], v[12:13], s[10:11]
	v_ldexp_f64 v[12:13], v[6:7], 1
	v_add_f64 v[6:7], v[6:7], -v[10:11]
	s_mov_b32 s10, 0xfefa39ef
	s_mov_b32 s11, 0x3fe62e42
	v_mul_f64 v[8:9], v[14:15], v[8:9]
	v_cvt_f64_i32_e32 v[14:15], v2
	v_add_f64 v[4:5], v[4:5], -v[6:7]
	v_add_f64 v[10:11], v[12:13], v[8:9]
	v_mul_f64 v[16:17], v[14:15], s[10:11]
	v_ldexp_f64 v[4:5], v[4:5], 1
	v_add_f64 v[6:7], v[10:11], -v[12:13]
	v_fma_f64 v[12:13], v[14:15], s[10:11], -v[16:17]
	s_mov_b32 s10, 0x3b39803f
	s_mov_b32 s11, 0x3c7abc9e
	v_add_f64 v[6:7], v[8:9], -v[6:7]
	v_fma_f64 v[8:9], v[14:15], s[10:11], v[12:13]
	v_add_f64 v[4:5], v[4:5], v[6:7]
	v_add_f64 v[6:7], v[16:17], v[8:9]
	;; [unrolled: 1-line block ×3, first 2 shown]
	v_add_f64 v[16:17], v[6:7], -v[16:17]
	v_add_f64 v[14:15], v[6:7], v[12:13]
	v_add_f64 v[10:11], v[12:13], -v[10:11]
	v_add_f64 v[8:9], v[8:9], -v[16:17]
	;; [unrolled: 1-line block ×6, first 2 shown]
	v_add_f64 v[12:13], v[8:9], v[4:5]
	v_add_f64 v[6:7], v[6:7], -v[20:21]
	v_add_f64 v[6:7], v[10:11], v[6:7]
	v_add_f64 v[10:11], v[12:13], -v[8:9]
	;; [unrolled: 2-line block ×3, first 2 shown]
	v_add_f64 v[4:5], v[4:5], -v[10:11]
	v_add_f64 v[16:17], v[14:15], v[6:7]
	v_add_f64 v[8:9], v[8:9], -v[12:13]
	v_add_f64 v[10:11], v[16:17], -v[14:15]
	v_add_f64 v[4:5], v[4:5], v[8:9]
	v_add_f64 v[6:7], v[6:7], -v[10:11]
	v_add_f64 v[4:5], v[4:5], v[6:7]
	v_add_f64 v[4:5], v[16:17], v[4:5]
	v_cndmask_b32_e32 v2, 0x7ff00000, v5, vcc_lo
	s_and_b32 vcc_lo, s4, vcc_lo
	v_cndmask_b32_e32 v4, 0, v4, vcc_lo
	v_cndmask_b32_e64 v5, 0xfff00000, v2, s4
	v_fma_f64 v[4:5], |v[0:1]|, v[4:5], -|v[0:1]|
.LBB123_5:
	s_andn2_saveexec_b32 s8, s8
	s_cbranch_execz .LBB123_7
; %bb.6:
	v_frexp_mant_f64_e64 v[4:5], |v[0:1]|
	s_mov_b32 s11, 0x3fe55555
	s_mov_b32 s10, 0x55555555
	;; [unrolled: 1-line block ×6, first 2 shown]
	v_cmp_neq_f64_e64 s4, 0, v[0:1]
	v_cmp_gt_f64_e32 vcc_lo, s[10:11], v[4:5]
	s_mov_b32 s10, 0x55555780
	v_cndmask_b32_e64 v2, 0, 1, vcc_lo
	v_ldexp_f64 v[4:5], v[4:5], v2
	v_frexp_exp_i32_f64_e32 v2, v[0:1]
	v_add_f64 v[6:7], v[4:5], 1.0
	v_add_f64 v[12:13], v[4:5], -1.0
	v_subrev_co_ci_u32_e64 v2, null, 0, v2, vcc_lo
	v_rcp_f64_e32 v[8:9], v[6:7]
	v_add_f64 v[14:15], v[6:7], -1.0
	v_add_f64 v[4:5], v[4:5], -v[14:15]
	v_fma_f64 v[10:11], -v[6:7], v[8:9], 1.0
	v_fma_f64 v[8:9], v[10:11], v[8:9], v[8:9]
	v_fma_f64 v[10:11], -v[6:7], v[8:9], 1.0
	v_fma_f64 v[8:9], v[10:11], v[8:9], v[8:9]
	v_mul_f64 v[10:11], v[12:13], v[8:9]
	v_mul_f64 v[16:17], v[6:7], v[10:11]
	v_fma_f64 v[6:7], v[10:11], v[6:7], -v[16:17]
	v_fma_f64 v[4:5], v[10:11], v[4:5], v[6:7]
	v_add_f64 v[6:7], v[16:17], v[4:5]
	v_add_f64 v[14:15], v[12:13], -v[6:7]
	v_add_f64 v[16:17], v[6:7], -v[16:17]
	;; [unrolled: 1-line block ×4, first 2 shown]
	v_and_b32_e32 v17, 0x7fffffff, v1
	v_mov_b32_e32 v16, v0
	v_add_f64 v[6:7], v[12:13], -v[6:7]
	v_add_f64 v[4:5], v[4:5], v[6:7]
	v_add_f64 v[4:5], v[14:15], v[4:5]
	v_mul_f64 v[4:5], v[8:9], v[4:5]
	v_add_f64 v[6:7], v[10:11], v[4:5]
	v_mul_f64 v[8:9], v[6:7], v[6:7]
	v_fma_f64 v[12:13], v[8:9], s[14:15], s[12:13]
	s_mov_b32 s12, 0xd7f4df2e
	s_mov_b32 s13, 0x3fc7474d
	v_mul_f64 v[14:15], v[6:7], v[8:9]
	v_fma_f64 v[12:13], v[8:9], v[12:13], s[12:13]
	s_mov_b32 s12, 0x16291751
	s_mov_b32 s13, 0x3fcc71c0
	v_fma_f64 v[12:13], v[8:9], v[12:13], s[12:13]
	s_mov_b32 s12, 0x9b27acf1
	s_mov_b32 s13, 0x3fd24924
	;; [unrolled: 3-line block ×4, first 2 shown]
	v_fma_f64 v[8:9], v[8:9], v[12:13], s[10:11]
	v_ldexp_f64 v[12:13], v[6:7], 1
	v_add_f64 v[6:7], v[6:7], -v[10:11]
	s_mov_b32 s10, 0xfefa39ef
	s_mov_b32 s11, 0x3fe62e42
	v_mul_f64 v[8:9], v[14:15], v[8:9]
	v_cvt_f64_i32_e32 v[14:15], v2
	v_add_f64 v[4:5], v[4:5], -v[6:7]
	v_add_f64 v[10:11], v[12:13], v[8:9]
	v_mul_f64 v[18:19], v[14:15], s[10:11]
	v_ldexp_f64 v[4:5], v[4:5], 1
	v_add_f64 v[6:7], v[10:11], -v[12:13]
	v_div_scale_f64 v[12:13], null, v[16:17], v[16:17], 1.0
	v_fma_f64 v[20:21], v[14:15], s[10:11], -v[18:19]
	s_mov_b32 s10, 0x3b39803f
	s_mov_b32 s11, 0x3c7abc9e
	v_div_scale_f64 v[16:17], vcc_lo, 1.0, v[16:17], 1.0
	v_add_f64 v[6:7], v[8:9], -v[6:7]
	v_rcp_f64_e32 v[8:9], v[12:13]
	v_fma_f64 v[14:15], v[14:15], s[10:11], v[20:21]
	s_mov_b32 s10, 0x4cdad5d1
	s_mov_b32 s11, 0x3f4b67ba
	v_add_f64 v[4:5], v[4:5], v[6:7]
	v_add_f64 v[20:21], v[18:19], v[14:15]
	v_fma_f64 v[6:7], -v[12:13], v[8:9], 1.0
	v_add_f64 v[22:23], v[10:11], v[4:5]
	v_add_f64 v[18:19], v[20:21], -v[18:19]
	v_fma_f64 v[6:7], v[8:9], v[6:7], v[8:9]
	v_add_f64 v[8:9], v[20:21], v[22:23]
	v_add_f64 v[10:11], v[22:23], -v[10:11]
	v_add_f64 v[14:15], v[14:15], -v[18:19]
	v_fma_f64 v[24:25], -v[12:13], v[6:7], 1.0
	v_add_f64 v[26:27], v[8:9], -v[20:21]
	v_add_f64 v[4:5], v[4:5], -v[10:11]
	v_fma_f64 v[6:7], v[6:7], v[24:25], v[6:7]
	v_add_f64 v[24:25], v[8:9], -v[26:27]
	v_add_f64 v[10:11], v[22:23], -v[26:27]
	v_mul_f64 v[28:29], v[16:17], v[6:7]
	v_add_f64 v[18:19], v[20:21], -v[24:25]
	v_fma_f64 v[12:13], -v[12:13], v[28:29], v[16:17]
	v_add_f64 v[16:17], v[14:15], v[4:5]
	v_add_f64 v[10:11], v[10:11], v[18:19]
	v_div_fmas_f64 v[6:7], v[12:13], v[6:7], v[28:29]
	v_add_f64 v[12:13], v[16:17], -v[14:15]
	v_cmp_neq_f64_e64 vcc_lo, 0x7ff00000, |v[0:1]|
	v_add_f64 v[10:11], v[16:17], v[10:11]
	v_div_fixup_f64 v[6:7], v[6:7], |v[0:1]|, 1.0
	v_add_f64 v[16:17], v[16:17], -v[12:13]
	v_add_f64 v[4:5], v[4:5], -v[12:13]
	v_add_f64 v[18:19], v[8:9], v[10:11]
	v_mul_f64 v[20:21], v[6:7], v[6:7]
	v_add_f64 v[12:13], v[14:15], -v[16:17]
	v_add_f64 v[8:9], v[18:19], -v[8:9]
	v_fma_f64 v[14:15], v[20:21], s[12:13], s[10:11]
	s_mov_b32 s10, 0x8c0fe741
	s_mov_b32 s11, 0xbf4380cb
	v_add_f64 v[4:5], v[4:5], v[12:13]
	v_add_f64 v[8:9], v[10:11], -v[8:9]
	v_fma_f64 v[10:11], v[20:21], v[14:15], s[10:11]
	s_mov_b32 s10, 0x98cf38b6
	s_mov_b32 s11, 0x3f4a019f
	v_add_f64 v[4:5], v[4:5], v[8:9]
	v_fma_f64 v[8:9], v[20:21], v[10:11], s[10:11]
	s_mov_b32 s10, 0x16b02e5c
	s_mov_b32 s11, 0xbf66c16c
	v_add_f64 v[10:11], |v[0:1]|, -0.5
	v_add_f64 v[4:5], v[18:19], v[4:5]
	v_fma_f64 v[8:9], v[20:21], v[8:9], s[10:11]
	s_mov_b32 s10, 0x5555553b
	s_mov_b32 s11, 0x3fb55555
	v_add_f64 v[4:5], v[4:5], -1.0
	v_fma_f64 v[8:9], v[20:21], v[8:9], s[10:11]
	s_mov_b32 s10, 0x90c97d69
	s_mov_b32 s11, 0x3fdacfe3
	v_cndmask_b32_e32 v2, 0x7ff00000, v5, vcc_lo
	s_and_b32 vcc_lo, s4, vcc_lo
	v_fma_f64 v[5:6], v[6:7], v[8:9], s[10:11]
	v_cndmask_b32_e64 v8, 0xfff00000, v2, s4
	v_cndmask_b32_e32 v7, 0, v4, vcc_lo
	v_fma_f64 v[4:5], v[10:11], v[7:8], v[5:6]
.LBB123_7:
	s_or_b32 exec_lo, exec_lo, s8
.LBB123_8:
	s_andn2_saveexec_b32 s6, s6
	s_cbranch_execz .LBB123_10
; %bb.9:
	v_cvt_i32_f64_e32 v2, v[2:3]
	s_mov_b32 s9, 0x3fe55555
	s_mov_b32 s8, 0x55555555
	;; [unrolled: 1-line block ×6, first 2 shown]
	v_cvt_f64_i32_e32 v[4:5], v2
	v_cmp_lt_i32_e32 vcc_lo, 2, v2
	v_cmp_lt_i32_e64 s4, 3, v2
	v_add_f64 v[4:5], |v[0:1]|, -v[4:5]
	v_add_f64 v[6:7], v[4:5], 2.0
	v_add_f64 v[8:9], 0x40080000, v[4:5]
	v_add_f64 v[10:11], v[4:5], 4.0
	v_cndmask_b32_e32 v7, 0x3ff00000, v7, vcc_lo
	v_cndmask_b32_e32 v6, 0, v6, vcc_lo
	v_cndmask_b32_e64 v9, 0x3ff00000, v9, s4
	v_cndmask_b32_e64 v8, 0, v8, s4
	v_cmp_lt_i32_e32 vcc_lo, 4, v2
	v_mul_f64 v[6:7], v[6:7], v[8:9]
	v_add_f64 v[8:9], 0x40140000, v[4:5]
	v_cndmask_b32_e32 v11, 0x3ff00000, v11, vcc_lo
	v_cndmask_b32_e32 v10, 0, v10, vcc_lo
	v_cmp_lt_i32_e32 vcc_lo, 5, v2
	v_mul_f64 v[6:7], v[10:11], v[6:7]
	v_add_f64 v[10:11], 0x40180000, v[4:5]
	v_cndmask_b32_e32 v9, 0x3ff00000, v9, vcc_lo
	v_cndmask_b32_e32 v8, 0, v8, vcc_lo
	v_cmp_lt_i32_e32 vcc_lo, 6, v2
	v_mul_f64 v[6:7], v[8:9], v[6:7]
	v_cndmask_b32_e32 v9, 0x3ff00000, v11, vcc_lo
	v_cndmask_b32_e32 v8, 0, v10, vcc_lo
	v_mul_f64 v[6:7], v[8:9], v[6:7]
	v_frexp_mant_f64_e32 v[8:9], v[6:7]
	v_cmp_gt_f64_e32 vcc_lo, s[8:9], v[8:9]
	s_mov_b32 s8, 0x55555780
	v_cndmask_b32_e64 v2, 0, 1, vcc_lo
	v_ldexp_f64 v[8:9], v[8:9], v2
	v_frexp_exp_i32_f64_e32 v2, v[6:7]
	v_add_f64 v[10:11], v[8:9], 1.0
	v_add_f64 v[16:17], v[8:9], -1.0
	v_subrev_co_ci_u32_e64 v2, null, 0, v2, vcc_lo
	v_cvt_f64_i32_e32 v[22:23], v2
	v_rcp_f64_e32 v[12:13], v[10:11]
	v_add_f64 v[18:19], v[10:11], -1.0
	v_add_f64 v[8:9], v[8:9], -v[18:19]
	v_fma_f64 v[14:15], -v[10:11], v[12:13], 1.0
	v_fma_f64 v[12:13], v[14:15], v[12:13], v[12:13]
	v_fma_f64 v[14:15], -v[10:11], v[12:13], 1.0
	v_fma_f64 v[12:13], v[14:15], v[12:13], v[12:13]
	v_mul_f64 v[14:15], v[16:17], v[12:13]
	v_mul_f64 v[20:21], v[10:11], v[14:15]
	v_fma_f64 v[10:11], v[14:15], v[10:11], -v[20:21]
	v_fma_f64 v[8:9], v[14:15], v[8:9], v[10:11]
	v_add_f64 v[10:11], v[20:21], v[8:9]
	v_add_f64 v[18:19], v[16:17], -v[10:11]
	v_add_f64 v[20:21], v[10:11], -v[20:21]
	;; [unrolled: 1-line block ×5, first 2 shown]
	v_add_f64 v[8:9], v[8:9], v[10:11]
	v_add_f64 v[8:9], v[18:19], v[8:9]
	v_mul_f64 v[8:9], v[12:13], v[8:9]
	v_add_f64 v[10:11], v[14:15], v[8:9]
	v_mul_f64 v[12:13], v[10:11], v[10:11]
	v_ldexp_f64 v[20:21], v[10:11], 1
	v_fma_f64 v[16:17], v[12:13], s[12:13], s[10:11]
	s_mov_b32 s10, 0xd7f4df2e
	s_mov_b32 s11, 0x3fc7474d
	v_mul_f64 v[18:19], v[10:11], v[12:13]
	s_mov_b32 s12, 0xa5b38140
	s_mov_b32 s13, 0x3edebaf7
	v_add_f64 v[10:11], v[10:11], -v[14:15]
	v_fma_f64 v[16:17], v[12:13], v[16:17], s[10:11]
	s_mov_b32 s10, 0x16291751
	s_mov_b32 s11, 0x3fcc71c0
	v_add_f64 v[8:9], v[8:9], -v[10:11]
	v_fma_f64 v[16:17], v[12:13], v[16:17], s[10:11]
	s_mov_b32 s10, 0x9b27acf1
	s_mov_b32 s11, 0x3fd24924
	v_ldexp_f64 v[8:9], v[8:9], 1
	v_fma_f64 v[16:17], v[12:13], v[16:17], s[10:11]
	s_mov_b32 s10, 0x998ef7b6
	s_mov_b32 s11, 0x3fd99999
	v_fma_f64 v[16:17], v[12:13], v[16:17], s[10:11]
	s_mov_b32 s10, 0xdd17e945
	s_mov_b32 s11, 0x3f00bfec
	;; [unrolled: 3-line block ×4, first 2 shown]
	s_mov_b32 s10, 0xca41a95b
	s_mov_b32 s11, 0x3f497dda
	v_mul_f64 v[12:13], v[18:19], v[12:13]
	v_fma_f64 v[18:19], v[4:5], s[12:13], s[10:11]
	s_mov_b32 s10, 0x742ed475
	s_mov_b32 s11, 0x3f9317ea
	v_fma_f64 v[16:17], v[4:5], v[16:17], s[8:9]
	s_mov_b32 s8, 0xbee5f2f7
	s_mov_b32 s9, 0x3fc2bb9c
	;; [unrolled: 1-line block ×4, first 2 shown]
	v_add_f64 v[14:15], v[20:21], v[12:13]
	v_fma_f64 v[18:19], v[4:5], v[18:19], s[10:11]
	s_mov_b32 s10, 0x4f139f59
	s_mov_b32 s11, 0x3fd4d98f
	v_fma_f64 v[16:17], v[4:5], v[16:17], s[8:9]
	s_mov_b32 s8, 0xfefa39ef
	s_mov_b32 s9, 0x3fe62e42
	v_mul_f64 v[24:25], v[22:23], s[8:9]
	v_add_f64 v[10:11], v[14:15], -v[20:21]
	v_fma_f64 v[18:19], v[4:5], v[18:19], s[12:13]
	v_fma_f64 v[16:17], v[4:5], v[16:17], s[10:11]
	s_mov_b32 s10, 0x93d3dcdc
	s_mov_b32 s11, 0x3fe71a18
	v_fma_f64 v[20:21], v[22:23], s[8:9], -v[24:25]
	s_mov_b32 s8, 0x36e20878
	s_mov_b32 s9, 0x3fcb848b
	v_add_f64 v[10:11], v[12:13], -v[10:11]
	v_fma_f64 v[12:13], v[4:5], v[18:19], s[10:11]
	s_mov_b32 s10, 0x62c4ab74
	s_mov_b32 s11, 0x3ff645a7
	v_fma_f64 v[16:17], v[4:5], v[16:17], s[8:9]
	s_mov_b32 s8, 0x3b39803f
	s_mov_b32 s9, 0x3c7abc9e
	;; [unrolled: 3-line block ×3, first 2 shown]
	v_add_f64 v[8:9], v[8:9], v[10:11]
	v_fma_f64 v[10:11], v[4:5], v[12:13], s[10:11]
	v_fma_f64 v[12:13], v[4:5], v[16:17], s[8:9]
	v_add_f64 v[16:17], v[24:25], v[18:19]
	v_add_f64 v[20:21], v[14:15], v[8:9]
	v_fma_f64 v[10:11], v[4:5], v[10:11], 1.0
	v_mul_f64 v[12:13], v[4:5], v[12:13]
	v_add_f64 v[24:25], v[16:17], -v[24:25]
	v_add_f64 v[22:23], v[16:17], v[20:21]
	v_add_f64 v[14:15], v[20:21], -v[14:15]
	v_div_scale_f64 v[26:27], null, v[10:11], v[10:11], v[12:13]
	v_add_f64 v[18:19], v[18:19], -v[24:25]
	v_add_f64 v[28:29], v[22:23], -v[16:17]
	;; [unrolled: 1-line block ×3, first 2 shown]
	v_rcp_f64_e32 v[30:31], v[26:27]
	v_add_f64 v[32:33], v[22:23], -v[28:29]
	v_add_f64 v[14:15], v[20:21], -v[28:29]
	v_add_f64 v[24:25], v[18:19], v[8:9]
	v_fma_f64 v[34:35], -v[26:27], v[30:31], 1.0
	v_add_f64 v[16:17], v[16:17], -v[32:33]
	v_add_f64 v[28:29], v[24:25], -v[18:19]
	v_fma_f64 v[20:21], v[30:31], v[34:35], v[30:31]
	v_div_scale_f64 v[30:31], vcc_lo, v[12:13], v[10:11], v[12:13]
	v_add_f64 v[14:15], v[14:15], v[16:17]
	v_add_f64 v[8:9], v[8:9], -v[28:29]
	v_fma_f64 v[16:17], -v[26:27], v[20:21], 1.0
	v_add_f64 v[14:15], v[24:25], v[14:15]
	v_fma_f64 v[16:17], v[20:21], v[16:17], v[20:21]
	v_add_f64 v[20:21], v[24:25], -v[28:29]
	v_add_f64 v[24:25], v[22:23], v[14:15]
	v_mul_f64 v[32:33], v[30:31], v[16:17]
	v_add_f64 v[18:19], v[18:19], -v[20:21]
	v_add_f64 v[20:21], v[24:25], -v[22:23]
	v_fma_f64 v[22:23], -v[26:27], v[32:33], v[30:31]
	v_add_f64 v[8:9], v[8:9], v[18:19]
	v_add_f64 v[14:15], v[14:15], -v[20:21]
	v_div_fmas_f64 v[16:17], v[22:23], v[16:17], v[32:33]
	v_cmp_class_f64_e64 vcc_lo, v[6:7], 0x204
	v_add_f64 v[8:9], v[8:9], v[14:15]
	v_div_fixup_f64 v[10:11], v[16:17], v[10:11], v[12:13]
	v_add_f64 v[8:9], v[24:25], v[8:9]
	v_fma_f64 v[4:5], v[4:5], 0.5, v[10:11]
	v_cndmask_b32_e32 v2, v8, v6, vcc_lo
	v_cndmask_b32_e32 v8, v9, v7, vcc_lo
	v_cmp_ngt_f64_e32 vcc_lo, 0, v[6:7]
	v_cndmask_b32_e32 v9, 0x7ff80000, v8, vcc_lo
	v_cmp_nge_f64_e32 vcc_lo, 0, v[6:7]
	v_cndmask_b32_e32 v8, 0, v2, vcc_lo
	v_cmp_neq_f64_e32 vcc_lo, 0, v[6:7]
	v_cndmask_b32_e32 v9, 0xfff00000, v9, vcc_lo
	v_add_f64 v[4:5], v[4:5], v[8:9]
.LBB123_10:
	s_or_b32 exec_lo, exec_lo, s6
.LBB123_11:
	s_andn2_saveexec_b32 s8, s5
	s_cbranch_execz .LBB123_25
; %bb.12:
                                        ; implicit-def: $vgpr2
                                        ; implicit-def: $vgpr6_vgpr7
	s_mov_b32 s4, exec_lo
	v_cmpx_lt_u32_e32 0x3feccccc, v3
	s_xor_b32 s5, exec_lo, s4
	s_cbranch_execz .LBB123_14
; %bb.13:
	s_mov_b32 s10, 0x6356be3f
	s_mov_b32 s11, 0xbff762d8
	v_add_f64 v[4:5], -|v[0:1]|, 2.0
	v_add_f64 v[6:7], |v[0:1]|, s[10:11]
	v_add_f64 v[8:9], |v[0:1]|, -1.0
	v_cmp_gt_u32_e32 vcc_lo, 0x3ffbb4c3, v3
	v_cmp_gt_u32_e64 s4, 0x3ff3b4c4, v3
	v_cndmask_b32_e32 v2, v4, v6, vcc_lo
	v_cndmask_b32_e32 v4, v5, v7, vcc_lo
	v_cndmask_b32_e64 v5, 0, 1, vcc_lo
	v_cndmask_b32_e64 v6, v2, v8, s4
	v_cndmask_b32_e64 v7, v4, v9, s4
	;; [unrolled: 1-line block ×3, first 2 shown]
.LBB123_14:
	s_or_saveexec_b32 s9, s5
	v_mov_b32_e32 v4, 0
	v_mov_b32_e32 v5, 0
	s_xor_b32 exec_lo, exec_lo, s9
	s_cbranch_execz .LBB123_16
; %bb.15:
	v_frexp_mant_f64_e64 v[4:5], |v[0:1]|
	s_mov_b32 s5, 0x3fe55555
	s_mov_b32 s4, 0x55555555
	;; [unrolled: 1-line block ×6, first 2 shown]
	v_cmp_gt_u32_e64 s6, 0x3fcda661, v3
	v_cmp_gt_f64_e32 vcc_lo, s[4:5], v[4:5]
	s_mov_b32 s4, 0x55555780
	v_cndmask_b32_e64 v2, 0, 1, vcc_lo
	v_ldexp_f64 v[4:5], v[4:5], v2
	v_frexp_exp_i32_f64_e32 v2, v[0:1]
	v_add_f64 v[6:7], v[4:5], 1.0
	v_add_f64 v[12:13], v[4:5], -1.0
	v_subrev_co_ci_u32_e64 v2, null, 0, v2, vcc_lo
	v_cmp_neq_f64_e64 vcc_lo, 0x7ff00000, |v[0:1]|
	v_rcp_f64_e32 v[8:9], v[6:7]
	v_add_f64 v[14:15], v[6:7], -1.0
	v_add_f64 v[4:5], v[4:5], -v[14:15]
	v_fma_f64 v[10:11], -v[6:7], v[8:9], 1.0
	v_fma_f64 v[8:9], v[10:11], v[8:9], v[8:9]
	v_fma_f64 v[10:11], -v[6:7], v[8:9], 1.0
	v_fma_f64 v[8:9], v[10:11], v[8:9], v[8:9]
	v_mul_f64 v[10:11], v[12:13], v[8:9]
	v_mul_f64 v[16:17], v[6:7], v[10:11]
	v_fma_f64 v[6:7], v[10:11], v[6:7], -v[16:17]
	v_fma_f64 v[4:5], v[10:11], v[4:5], v[6:7]
	v_add_f64 v[6:7], v[16:17], v[4:5]
	v_add_f64 v[14:15], v[12:13], -v[6:7]
	v_add_f64 v[16:17], v[6:7], -v[16:17]
	;; [unrolled: 1-line block ×5, first 2 shown]
	v_add_f64 v[4:5], v[4:5], v[6:7]
	v_add_f64 v[4:5], v[14:15], v[4:5]
	v_mul_f64 v[4:5], v[8:9], v[4:5]
	v_add_f64 v[6:7], v[10:11], v[4:5]
	v_mul_f64 v[8:9], v[6:7], v[6:7]
	v_fma_f64 v[12:13], v[8:9], s[12:13], s[10:11]
	s_mov_b32 s10, 0xd7f4df2e
	s_mov_b32 s11, 0x3fc7474d
	v_mul_f64 v[14:15], v[6:7], v[8:9]
	v_fma_f64 v[12:13], v[8:9], v[12:13], s[10:11]
	s_mov_b32 s10, 0x16291751
	s_mov_b32 s11, 0x3fcc71c0
	v_fma_f64 v[12:13], v[8:9], v[12:13], s[10:11]
	s_mov_b32 s10, 0x9b27acf1
	s_mov_b32 s11, 0x3fd24924
	;; [unrolled: 3-line block ×3, first 2 shown]
	v_fma_f64 v[12:13], v[8:9], v[12:13], s[10:11]
	v_fma_f64 v[8:9], v[8:9], v[12:13], s[4:5]
	v_ldexp_f64 v[12:13], v[6:7], 1
	v_add_f64 v[6:7], v[6:7], -v[10:11]
	s_mov_b32 s4, 0xfefa39ef
	s_mov_b32 s5, 0x3fe62e42
	v_mul_f64 v[8:9], v[14:15], v[8:9]
	v_cvt_f64_i32_e32 v[14:15], v2
	v_add_f64 v[4:5], v[4:5], -v[6:7]
	v_add_f64 v[10:11], v[12:13], v[8:9]
	v_mul_f64 v[16:17], v[14:15], s[4:5]
	v_ldexp_f64 v[4:5], v[4:5], 1
	v_add_f64 v[6:7], v[10:11], -v[12:13]
	v_fma_f64 v[12:13], v[14:15], s[4:5], -v[16:17]
	s_mov_b32 s4, 0x3b39803f
	s_mov_b32 s5, 0x3c7abc9e
	v_add_f64 v[6:7], v[8:9], -v[6:7]
	v_fma_f64 v[8:9], v[14:15], s[4:5], v[12:13]
	s_mov_b32 s4, 0x8d5af8fc
	s_mov_b32 s5, 0xbfdd8b61
	v_add_f64 v[4:5], v[4:5], v[6:7]
	v_add_f64 v[6:7], v[16:17], v[8:9]
	;; [unrolled: 1-line block ×3, first 2 shown]
	v_add_f64 v[16:17], v[6:7], -v[16:17]
	v_add_f64 v[14:15], v[6:7], v[12:13]
	v_add_f64 v[10:11], v[12:13], -v[10:11]
	v_add_f64 v[8:9], v[8:9], -v[16:17]
	;; [unrolled: 1-line block ×6, first 2 shown]
	v_add_f64 v[12:13], v[8:9], v[4:5]
	v_add_f64 v[6:7], v[6:7], -v[20:21]
	v_add_f64 v[6:7], v[10:11], v[6:7]
	v_add_f64 v[10:11], v[12:13], -v[8:9]
	;; [unrolled: 2-line block ×3, first 2 shown]
	v_add_f64 v[4:5], v[4:5], -v[10:11]
	v_add_f64 v[16:17], v[14:15], v[6:7]
	v_add_f64 v[8:9], v[8:9], -v[12:13]
	v_add_f64 v[10:11], v[16:17], -v[14:15]
	v_add_f64 v[4:5], v[4:5], v[8:9]
	v_add_f64 v[8:9], |v[0:1]|, s[4:5]
	v_cmp_neq_f64_e64 s4, 0, v[0:1]
	v_cmp_gt_u32_e64 s5, 0x3fe76944, v3
	v_add_f64 v[6:7], v[6:7], -v[10:11]
	v_add_f64 v[4:5], v[4:5], v[6:7]
	v_add_f64 v[6:7], -|v[0:1]|, 1.0
	v_add_f64 v[4:5], v[16:17], v[4:5]
	v_cndmask_b32_e64 v6, v6, v8, s5
	v_cndmask_b32_e64 v7, v7, v9, s5
	;; [unrolled: 1-line block ×4, first 2 shown]
	v_xor_b32_e32 v2, 0x80000000, v5
	v_and_b32_e32 v5, 0x7fffffff, v1
	v_cndmask_b32_e32 v2, 0xfff00000, v2, vcc_lo
	s_and_b32 vcc_lo, s4, vcc_lo
	v_cndmask_b32_e64 v7, v7, v5, s6
	v_cndmask_b32_e32 v4, 0, v4, vcc_lo
	v_cndmask_b32_e64 v5, 0x7ff00000, v2, s4
	v_cndmask_b32_e64 v2, v8, 2, s6
.LBB123_16:
	s_or_b32 exec_lo, exec_lo, s9
	s_mov_b32 s4, exec_lo
                                        ; implicit-def: $vgpr10_vgpr11
	v_cmpx_lt_i32_e32 1, v2
	s_xor_b32 s4, exec_lo, s4
	s_cbranch_execz .LBB123_18
; %bb.17:
	s_mov_b32 s10, 0xf6010924
	s_mov_b32 s12, 0xbf2bab09
	;; [unrolled: 1-line block ×5, first 2 shown]
	v_fma_f64 v[8:9], v[6:7], s[12:13], s[10:11]
	s_mov_b32 s10, 0x44ea8450
	s_mov_b32 s12, 0xd6537c88
	;; [unrolled: 1-line block ×5, first 2 shown]
                                        ; implicit-def: $vgpr2
	v_fma_f64 v[10:11], v[6:7], s[14:15], s[12:13]
	s_mov_b32 s12, 0xe45050af
	s_mov_b32 s13, 0x3fe89dfb
	v_fma_f64 v[8:9], v[6:7], v[8:9], s[10:11]
	s_mov_b32 s10, 0xd119bd6f
	s_mov_b32 s11, 0x3ff7475c
	;; [unrolled: 3-line block ×6, first 2 shown]
	v_fma_f64 v[10:11], v[6:7], v[10:11], s[12:13]
	v_fma_f64 v[8:9], v[6:7], v[8:9], s[10:11]
	v_fma_f64 v[10:11], v[6:7], v[10:11], 1.0
	v_mul_f64 v[8:9], v[6:7], v[8:9]
	v_div_scale_f64 v[12:13], null, v[10:11], v[10:11], v[8:9]
	v_rcp_f64_e32 v[14:15], v[12:13]
	v_fma_f64 v[16:17], -v[12:13], v[14:15], 1.0
	v_fma_f64 v[14:15], v[14:15], v[16:17], v[14:15]
	v_fma_f64 v[16:17], -v[12:13], v[14:15], 1.0
	v_fma_f64 v[14:15], v[14:15], v[16:17], v[14:15]
	v_div_scale_f64 v[16:17], vcc_lo, v[8:9], v[10:11], v[8:9]
	v_mul_f64 v[18:19], v[16:17], v[14:15]
	v_fma_f64 v[12:13], -v[12:13], v[18:19], v[16:17]
	v_div_fmas_f64 v[12:13], v[12:13], v[14:15], v[18:19]
	v_div_fixup_f64 v[8:9], v[12:13], v[10:11], v[8:9]
	v_fma_f64 v[10:11], v[6:7], -0.5, v[8:9]
                                        ; implicit-def: $vgpr6_vgpr7
.LBB123_18:
	s_andn2_saveexec_b32 s4, s4
	s_cbranch_execz .LBB123_24
; %bb.19:
	v_mul_f64 v[8:9], v[6:7], v[6:7]
	s_mov_b32 s5, exec_lo
                                        ; implicit-def: $vgpr10_vgpr11
	v_cmpx_ne_u32_e32 1, v2
	s_xor_b32 s5, exec_lo, s5
	s_cbranch_execz .LBB123_21
; %bb.20:
	s_mov_b32 s10, 0x987dfb07
	s_mov_b32 s12, 0x90a45837
	;; [unrolled: 1-line block ×5, first 2 shown]
	v_fma_f64 v[10:11], v[8:9], s[12:13], s[10:11]
	s_mov_b32 s10, 0xed10e54d
	s_mov_b32 s12, 0x428cfa52
	;; [unrolled: 1-line block ×5, first 2 shown]
	v_fma_f64 v[12:13], v[8:9], s[12:13], s[10:11]
	s_mov_b32 s10, 0x116f3f5d
	s_mov_b32 s12, 0xccb7926b
	;; [unrolled: 1-line block ×4, first 2 shown]
	v_fma_f64 v[10:11], v[8:9], v[10:11], s[14:15]
	v_fma_f64 v[12:13], v[8:9], v[12:13], s[10:11]
	s_mov_b32 s10, 0xb68fefe8
	s_mov_b32 s11, 0x3f7e404f
	v_fma_f64 v[10:11], v[8:9], v[10:11], s[12:13]
	s_mov_b32 s12, 0xac92547b
	s_mov_b32 s13, 0x3f951322
	;; [unrolled: 3-line block ×5, first 2 shown]
	v_fma_f64 v[10:11], v[8:9], v[10:11], s[12:13]
	v_fma_f64 v[12:13], v[8:9], v[12:13], s[10:11]
	v_mul_f64 v[8:9], v[8:9], v[10:11]
	v_fma_f64 v[8:9], v[6:7], v[12:13], v[8:9]
	v_fma_f64 v[10:11], v[6:7], -0.5, v[8:9]
                                        ; implicit-def: $vgpr6_vgpr7
                                        ; implicit-def: $vgpr8_vgpr9
.LBB123_21:
	s_andn2_saveexec_b32 s5, s5
	s_cbranch_execz .LBB123_23
; %bb.22:
	v_mul_f64 v[10:11], v[6:7], v[8:9]
	s_mov_b32 s10, 0xef61a8e9
	s_mov_b32 s12, 0xecc38c38
	;; [unrolled: 1-line block ×8, first 2 shown]
	v_fma_f64 v[12:13], v[10:11], s[12:13], s[10:11]
	v_fma_f64 v[14:15], v[10:11], s[16:17], s[14:15]
	s_mov_b32 s10, 0xb3e914d7
	s_mov_b32 s12, 0x2e15c915
	;; [unrolled: 1-line block ×8, first 2 shown]
	v_fma_f64 v[12:13], v[10:11], v[12:13], s[10:11]
	v_fma_f64 v[14:15], v[10:11], v[14:15], s[12:13]
	s_mov_b32 s10, 0xbf2d1af1
	s_mov_b32 s12, 0x6c0ebbf7
	s_mov_b32 s11, 0xbf56fe8e
	s_mov_b32 s13, 0x3f34af6d
	v_fma_f64 v[16:17], v[10:11], s[12:13], s[10:11]
	s_mov_b32 s10, 0xe370e344
	s_mov_b32 s12, 0x8dc6c509
	;; [unrolled: 1-line block ×4, first 2 shown]
	v_fma_f64 v[12:13], v[10:11], v[12:13], s[14:15]
	v_fma_f64 v[14:15], v[10:11], v[14:15], s[16:17]
	s_mov_b32 s14, 0x94d5419b
	s_mov_b32 s15, 0x3fb08b42
	v_fma_f64 v[16:17], v[10:11], v[16:17], s[10:11]
	s_mov_b32 s10, 0xdf35b713
	s_mov_b32 s11, 0xbfa0c9a8
	v_fma_f64 v[12:13], v[10:11], v[12:13], s[12:13]
	v_fma_f64 v[14:15], v[10:11], v[14:15], s[14:15]
	s_mov_b32 s12, 0xa48a971f
	s_mov_b32 s13, 0xbc50c7ca
	v_fma_f64 v[16:17], v[10:11], v[16:17], s[10:11]
	s_mov_b32 s10, 0xc8ee38a2
	s_mov_b32 s11, 0x3fdef72b
	v_fma_f64 v[6:7], v[6:7], v[14:15], v[12:13]
	v_fma_f64 v[12:13], v[10:11], v[16:17], s[10:11]
	s_mov_b32 s10, 0xbcc38a42
	s_mov_b32 s11, 0xbfbf19b9
	v_fma_f64 v[6:7], v[10:11], -v[6:7], s[12:13]
	v_fma_f64 v[6:7], v[8:9], v[12:13], -v[6:7]
	v_add_f64 v[10:11], v[6:7], s[10:11]
.LBB123_23:
	s_or_b32 exec_lo, exec_lo, s5
.LBB123_24:
	s_or_b32 exec_lo, exec_lo, s4
	v_add_f64 v[4:5], v[4:5], v[10:11]
.LBB123_25:
	s_or_b32 exec_lo, exec_lo, s8
.LBB123_26:
	s_andn2_saveexec_b32 s5, s7
	s_cbranch_execz .LBB123_28
; %bb.27:
	v_frexp_mant_f64_e64 v[4:5], |v[0:1]|
	s_mov_b32 s7, 0x3fe55555
	s_mov_b32 s6, 0x55555555
	;; [unrolled: 1-line block ×6, first 2 shown]
	v_cmp_neq_f64_e64 s4, 0, v[0:1]
	v_cmp_gt_f64_e32 vcc_lo, s[6:7], v[4:5]
	s_mov_b32 s6, 0x55555780
	v_cndmask_b32_e64 v2, 0, 1, vcc_lo
	v_ldexp_f64 v[4:5], v[4:5], v2
	v_frexp_exp_i32_f64_e32 v2, v[0:1]
	v_add_f64 v[6:7], v[4:5], 1.0
	v_add_f64 v[12:13], v[4:5], -1.0
	v_subrev_co_ci_u32_e64 v2, null, 0, v2, vcc_lo
	v_cmp_neq_f64_e64 vcc_lo, 0x7ff00000, |v[0:1]|
	v_rcp_f64_e32 v[8:9], v[6:7]
	v_add_f64 v[14:15], v[6:7], -1.0
	v_add_f64 v[4:5], v[4:5], -v[14:15]
	v_fma_f64 v[10:11], -v[6:7], v[8:9], 1.0
	v_fma_f64 v[8:9], v[10:11], v[8:9], v[8:9]
	v_fma_f64 v[10:11], -v[6:7], v[8:9], 1.0
	v_fma_f64 v[8:9], v[10:11], v[8:9], v[8:9]
	v_mul_f64 v[10:11], v[12:13], v[8:9]
	v_mul_f64 v[16:17], v[6:7], v[10:11]
	v_fma_f64 v[6:7], v[10:11], v[6:7], -v[16:17]
	v_fma_f64 v[4:5], v[10:11], v[4:5], v[6:7]
	v_add_f64 v[6:7], v[16:17], v[4:5]
	v_add_f64 v[14:15], v[12:13], -v[6:7]
	v_add_f64 v[16:17], v[6:7], -v[16:17]
	v_add_f64 v[12:13], v[12:13], -v[14:15]
	v_add_f64 v[4:5], v[16:17], -v[4:5]
	v_add_f64 v[6:7], v[12:13], -v[6:7]
	v_add_f64 v[4:5], v[4:5], v[6:7]
	v_add_f64 v[4:5], v[14:15], v[4:5]
	v_mul_f64 v[4:5], v[8:9], v[4:5]
	v_add_f64 v[6:7], v[10:11], v[4:5]
	v_mul_f64 v[8:9], v[6:7], v[6:7]
	v_fma_f64 v[12:13], v[8:9], s[10:11], s[8:9]
	s_mov_b32 s8, 0xd7f4df2e
	s_mov_b32 s9, 0x3fc7474d
	v_mul_f64 v[14:15], v[6:7], v[8:9]
	v_fma_f64 v[12:13], v[8:9], v[12:13], s[8:9]
	s_mov_b32 s8, 0x16291751
	s_mov_b32 s9, 0x3fcc71c0
	v_fma_f64 v[12:13], v[8:9], v[12:13], s[8:9]
	s_mov_b32 s8, 0x9b27acf1
	s_mov_b32 s9, 0x3fd24924
	;; [unrolled: 3-line block ×4, first 2 shown]
	v_fma_f64 v[8:9], v[8:9], v[12:13], s[6:7]
	v_ldexp_f64 v[12:13], v[6:7], 1
	v_add_f64 v[6:7], v[6:7], -v[10:11]
	s_mov_b32 s6, 0xfefa39ef
	s_mov_b32 s7, 0x3fe62e42
	v_mul_f64 v[8:9], v[14:15], v[8:9]
	v_cvt_f64_i32_e32 v[14:15], v2
	v_add_f64 v[4:5], v[4:5], -v[6:7]
	v_add_f64 v[10:11], v[12:13], v[8:9]
	v_mul_f64 v[16:17], v[14:15], s[6:7]
	v_ldexp_f64 v[4:5], v[4:5], 1
	v_add_f64 v[6:7], v[10:11], -v[12:13]
	v_fma_f64 v[12:13], v[14:15], s[6:7], -v[16:17]
	s_mov_b32 s6, 0x3b39803f
	s_mov_b32 s7, 0x3c7abc9e
	v_add_f64 v[6:7], v[8:9], -v[6:7]
	v_fma_f64 v[8:9], v[14:15], s[6:7], v[12:13]
	s_mov_b32 s6, 0x2ac7d848
	s_mov_b32 s7, 0x3fd15132
	v_add_f64 v[4:5], v[4:5], v[6:7]
	v_add_f64 v[6:7], v[16:17], v[8:9]
	;; [unrolled: 1-line block ×3, first 2 shown]
	v_add_f64 v[16:17], v[6:7], -v[16:17]
	v_add_f64 v[14:15], v[6:7], v[12:13]
	v_add_f64 v[10:11], v[12:13], -v[10:11]
	v_add_f64 v[8:9], v[8:9], -v[16:17]
	;; [unrolled: 1-line block ×6, first 2 shown]
	v_add_f64 v[12:13], v[8:9], v[4:5]
	v_add_f64 v[6:7], v[6:7], -v[20:21]
	v_add_f64 v[6:7], v[10:11], v[6:7]
	v_add_f64 v[10:11], v[12:13], -v[8:9]
	;; [unrolled: 2-line block ×3, first 2 shown]
	v_add_f64 v[4:5], v[4:5], -v[10:11]
	v_add_f64 v[16:17], v[14:15], v[6:7]
	v_add_f64 v[8:9], v[8:9], -v[12:13]
	v_add_f64 v[10:11], v[16:17], -v[14:15]
	v_add_f64 v[4:5], v[4:5], v[8:9]
	v_fma_f64 v[8:9], |v[0:1]|, s[8:9], s[6:7]
	s_mov_b32 s6, 0x5beab2d7
	s_mov_b32 s7, 0xbfd9a4d5
	v_add_f64 v[6:7], v[6:7], -v[10:11]
	v_add_f64 v[4:5], v[4:5], v[6:7]
	v_fma_f64 v[6:7], |v[0:1]|, v[8:9], s[6:7]
	s_mov_b32 s6, 0x625307d3
	s_mov_b32 s7, 0x3fea51a6
	v_add_f64 v[4:5], v[16:17], v[4:5]
	v_fma_f64 v[6:7], |v[0:1]|, v[6:7], s[6:7]
	s_mov_b32 s6, 0xfc6fb619
	s_mov_b32 s7, 0xbfe2788c
	v_xor_b32_e32 v2, 0x80000000, v5
	v_fma_f64 v[5:6], |v[0:1]|, v[6:7], s[6:7]
	v_cndmask_b32_e32 v2, 0xfff00000, v2, vcc_lo
	s_and_b32 vcc_lo, s4, vcc_lo
	v_cndmask_b32_e32 v7, 0, v4, vcc_lo
	v_cndmask_b32_e64 v8, 0x7ff00000, v2, s4
	v_fma_f64 v[4:5], |v[0:1]|, v[5:6], v[7:8]
.LBB123_28:
	s_or_b32 exec_lo, exec_lo, s5
	s_mov_b32 s4, exec_lo
	v_cmpx_le_f64_e32 0, v[0:1]
	s_xor_b32 s5, exec_lo, s4
	s_cbranch_execz .LBB123_30
; %bb.29:
	v_cmp_eq_f64_e32 vcc_lo, 1.0, v[0:1]
	v_cmp_eq_f64_e64 s4, 2.0, v[0:1]
	s_or_b32 s4, vcc_lo, s4
	v_cndmask_b32_e64 v5, v5, 0, s4
	v_cndmask_b32_e64 v4, v4, 0, s4
.LBB123_30:
	s_andn2_saveexec_b32 s5, s5
	s_cbranch_execz .LBB123_34
; %bb.31:
	v_add_nc_u32_e32 v2, 0xc32fffff, v3
	s_mov_b32 s6, exec_lo
	v_cmpx_gt_u32_e32 0x65fffff, v2
	s_cbranch_execz .LBB123_33
; %bb.32:
	v_mul_f64 v[6:7], |v[0:1]|, 0.5
	v_and_b32_e32 v2, 0x7fffffff, v1
	s_mov_b32 s8, 0x6fdffd2b
	s_mov_b32 s10, 0xf99eb0bb
	;; [unrolled: 1-line block ×8, first 2 shown]
	v_cmp_class_f64_e64 s4, v[0:1], 0x1f8
	v_fract_f64_e32 v[8:9], v[6:7]
	v_cmp_neq_f64_e64 vcc_lo, 0x7ff00000, |v[6:7]|
	v_add_f64 v[8:9], v[8:9], v[8:9]
	v_cndmask_b32_e32 v6, 0, v8, vcc_lo
	v_cndmask_b32_e32 v7, 0, v9, vcc_lo
	v_cmp_gt_f64_e64 vcc_lo, |v[0:1]|, 1.0
	v_cndmask_b32_e32 v7, v2, v7, vcc_lo
	v_cndmask_b32_e32 v6, v0, v6, vcc_lo
	v_add_f64 v[8:9], v[6:7], v[6:7]
	v_rndne_f64_e32 v[8:9], v[8:9]
	v_fma_f64 v[6:7], v[8:9], -0.5, v[6:7]
	v_cvt_i32_f64_e32 v2, v[8:9]
	v_mul_f64 v[10:11], v[6:7], v[6:7]
	v_fma_f64 v[12:13], v[10:11], s[10:11], s[8:9]
	v_fma_f64 v[14:15], v[10:11], s[14:15], s[12:13]
	s_mov_b32 s8, 0xd5f14825
	s_mov_b32 s10, 0x7294bff9
	;; [unrolled: 1-line block ×4, first 2 shown]
	v_mul_f64 v[16:17], v[6:7], v[10:11]
	s_mov_b32 s12, 0xbf559e2b
	s_mov_b32 s13, 0x3fc3ab76
	v_fma_f64 v[12:13], v[10:11], v[12:13], s[8:9]
	v_fma_f64 v[14:15], v[10:11], v[14:15], s[10:11]
	s_mov_b32 s8, 0xcdfe9424
	s_mov_b32 s10, 0x67b90b37
	s_mov_b32 s9, 0xbfe32d2c
	s_mov_b32 s11, 0x3fce1f50
	v_fma_f64 v[12:13], v[10:11], v[12:13], s[8:9]
	v_fma_f64 v[14:15], v[10:11], v[14:15], s[10:11]
	s_mov_b32 s8, 0x67754fff
	s_mov_b32 s10, 0x7e3c325b
	;; [unrolled: 6-line block ×4, first 2 shown]
	s_mov_b32 s10, 0x6b47b09a
	s_mov_b32 s11, 0x3fc38538
	v_mul_f64 v[12:13], v[16:17], v[12:13]
	v_fma_f64 v[14:15], v[10:11], v[14:15], s[8:9]
	s_mov_b32 s8, 0x54442d18
	s_mov_b32 s9, 0x400921fb
	v_fma_f64 v[6:7], v[6:7], s[8:9], v[12:13]
	v_fma_f64 v[8:9], v[10:11], v[14:15], 1.0
	v_and_b32_e32 v10, 1, v2
	v_lshlrev_b32_e32 v2, 30, v2
	v_cmp_eq_u32_e32 vcc_lo, 0, v10
	v_xor_b32_e32 v2, v2, v1
	v_and_b32_e32 v2, 0x80000000, v2
	v_cndmask_b32_e32 v7, v9, v7, vcc_lo
	v_cndmask_b32_e32 v6, v8, v6, vcc_lo
	v_xor_b32_e32 v2, v7, v2
	v_cndmask_b32_e64 v6, 0, v6, s4
	v_cndmask_b32_e64 v7, 0x7ff80000, v2, s4
	v_cmp_class_f64_e64 s4, v[0:1], 0x204
	v_mul_f64 v[6:7], v[0:1], v[6:7]
	v_and_b32_e32 v9, 0x7fffffff, v7
	v_mov_b32_e32 v8, v6
	v_div_scale_f64 v[10:11], null, v[8:9], v[8:9], s[8:9]
	v_div_scale_f64 v[8:9], vcc_lo, s[8:9], v[8:9], s[8:9]
	v_rcp_f64_e32 v[12:13], v[10:11]
	v_fma_f64 v[14:15], -v[10:11], v[12:13], 1.0
	v_fma_f64 v[12:13], v[12:13], v[14:15], v[12:13]
	v_fma_f64 v[14:15], -v[10:11], v[12:13], 1.0
	v_fma_f64 v[12:13], v[12:13], v[14:15], v[12:13]
	v_mul_f64 v[14:15], v[8:9], v[12:13]
	v_fma_f64 v[8:9], -v[10:11], v[14:15], v[8:9]
	v_div_fmas_f64 v[8:9], v[8:9], v[12:13], v[14:15]
	v_div_fixup_f64 v[6:7], v[8:9], |v[6:7]|, s[8:9]
	s_mov_b32 s9, 0x3fe55555
	s_mov_b32 s8, 0x55555555
	v_frexp_mant_f64_e32 v[8:9], v[6:7]
	v_cmp_gt_f64_e32 vcc_lo, s[8:9], v[8:9]
	s_mov_b32 s8, 0x55555780
	v_cndmask_b32_e64 v2, 0, 1, vcc_lo
	v_ldexp_f64 v[8:9], v[8:9], v2
	v_frexp_exp_i32_f64_e32 v2, v[6:7]
	v_add_f64 v[10:11], v[8:9], 1.0
	v_add_f64 v[16:17], v[8:9], -1.0
	v_subrev_co_ci_u32_e64 v2, null, 0, v2, vcc_lo
	v_cmp_class_f64_e64 vcc_lo, v[6:7], 0x204
	v_rcp_f64_e32 v[12:13], v[10:11]
	v_add_f64 v[18:19], v[10:11], -1.0
	v_add_f64 v[8:9], v[8:9], -v[18:19]
	v_fma_f64 v[14:15], -v[10:11], v[12:13], 1.0
	v_fma_f64 v[12:13], v[14:15], v[12:13], v[12:13]
	v_fma_f64 v[14:15], -v[10:11], v[12:13], 1.0
	v_fma_f64 v[12:13], v[14:15], v[12:13], v[12:13]
	v_mul_f64 v[14:15], v[16:17], v[12:13]
	v_mul_f64 v[20:21], v[10:11], v[14:15]
	v_fma_f64 v[10:11], v[14:15], v[10:11], -v[20:21]
	v_fma_f64 v[8:9], v[14:15], v[8:9], v[10:11]
	v_add_f64 v[10:11], v[20:21], v[8:9]
	v_add_f64 v[18:19], v[16:17], -v[10:11]
	v_add_f64 v[20:21], v[10:11], -v[20:21]
	;; [unrolled: 1-line block ×5, first 2 shown]
	v_add_f64 v[8:9], v[8:9], v[10:11]
	v_add_f64 v[8:9], v[18:19], v[8:9]
	v_mul_f64 v[8:9], v[12:13], v[8:9]
	v_add_f64 v[10:11], v[14:15], v[8:9]
	v_mul_f64 v[12:13], v[10:11], v[10:11]
	v_fma_f64 v[16:17], v[12:13], s[12:13], s[10:11]
	s_mov_b32 s10, 0xd7f4df2e
	s_mov_b32 s11, 0x3fc7474d
	v_mul_f64 v[18:19], v[10:11], v[12:13]
	v_fma_f64 v[16:17], v[12:13], v[16:17], s[10:11]
	s_mov_b32 s10, 0x16291751
	s_mov_b32 s11, 0x3fcc71c0
	v_fma_f64 v[16:17], v[12:13], v[16:17], s[10:11]
	s_mov_b32 s10, 0x9b27acf1
	s_mov_b32 s11, 0x3fd24924
	;; [unrolled: 3-line block ×3, first 2 shown]
	v_fma_f64 v[16:17], v[12:13], v[16:17], s[10:11]
	v_fma_f64 v[12:13], v[12:13], v[16:17], s[8:9]
	v_ldexp_f64 v[16:17], v[10:11], 1
	v_add_f64 v[10:11], v[10:11], -v[14:15]
	s_mov_b32 s8, 0xfefa39ef
	s_mov_b32 s9, 0x3fe62e42
	v_mul_f64 v[12:13], v[18:19], v[12:13]
	v_cvt_f64_i32_e32 v[18:19], v2
	v_add_f64 v[8:9], v[8:9], -v[10:11]
	v_add_f64 v[14:15], v[16:17], v[12:13]
	v_mul_f64 v[20:21], v[18:19], s[8:9]
	v_ldexp_f64 v[8:9], v[8:9], 1
	v_add_f64 v[10:11], v[14:15], -v[16:17]
	v_fma_f64 v[16:17], v[18:19], s[8:9], -v[20:21]
	s_mov_b32 s8, 0x3b39803f
	s_mov_b32 s9, 0x3c7abc9e
	v_add_f64 v[10:11], v[12:13], -v[10:11]
	v_fma_f64 v[12:13], v[18:19], s[8:9], v[16:17]
	v_add_f64 v[8:9], v[8:9], v[10:11]
	v_add_f64 v[10:11], v[20:21], v[12:13]
	;; [unrolled: 1-line block ×3, first 2 shown]
	v_add_f64 v[20:21], v[10:11], -v[20:21]
	v_add_f64 v[18:19], v[10:11], v[16:17]
	v_add_f64 v[14:15], v[16:17], -v[14:15]
	v_add_f64 v[12:13], v[12:13], -v[20:21]
	;; [unrolled: 1-line block ×6, first 2 shown]
	v_add_f64 v[16:17], v[12:13], v[8:9]
	v_add_f64 v[10:11], v[10:11], -v[24:25]
	v_add_f64 v[10:11], v[14:15], v[10:11]
	v_add_f64 v[14:15], v[16:17], -v[12:13]
	;; [unrolled: 2-line block ×3, first 2 shown]
	v_add_f64 v[8:9], v[8:9], -v[14:15]
	v_add_f64 v[20:21], v[18:19], v[10:11]
	v_add_f64 v[12:13], v[12:13], -v[16:17]
	v_add_f64 v[14:15], v[20:21], -v[18:19]
	v_add_f64 v[8:9], v[8:9], v[12:13]
	v_add_f64 v[10:11], v[10:11], -v[14:15]
	v_add_f64 v[8:9], v[8:9], v[10:11]
	v_add_f64 v[8:9], v[20:21], v[8:9]
	v_cndmask_b32_e32 v2, v8, v6, vcc_lo
	v_cndmask_b32_e32 v8, v9, v7, vcc_lo
	v_cmp_neq_f64_e32 vcc_lo, 0, v[6:7]
	v_fract_f64_e32 v[6:7], v[0:1]
	v_cndmask_b32_e32 v9, 0xfff00000, v8, vcc_lo
	v_cndmask_b32_e32 v8, 0, v2, vcc_lo
	v_cmp_eq_f64_e32 vcc_lo, 0, v[6:7]
	v_add_f64 v[4:5], v[8:9], -v[4:5]
	s_or_b32 s4, s4, vcc_lo
	v_cndmask_b32_e64 v5, v5, 0x7ff00000, s4
	v_cndmask_b32_e64 v4, v4, 0, s4
.LBB123_33:
	s_or_b32 exec_lo, exec_lo, s6
.LBB123_34:
	s_or_b32 exec_lo, exec_lo, s5
	v_cmp_gt_f64_e32 vcc_lo, 0, v[0:1]
	v_cmp_class_f64_e64 s5, v[0:1], 0x264
	v_cmp_lt_u32_e64 s4, 0x432fffff, v3
	s_and_b32 s4, vcc_lo, s4
	v_cmp_u_f64_e32 vcc_lo, v[0:1], v[0:1]
	s_or_b32 s4, s5, s4
	v_cndmask_b32_e64 v2, v5, 0x7ff00000, s4
	v_cndmask_b32_e64 v3, v4, 0, s4
	v_cndmask_b32_e32 v0, v3, v0, vcc_lo
	v_cndmask_b32_e32 v1, v2, v1, vcc_lo
	s_setpc_b64 s[30:31]
.Lfunc_end123:
	.size	_ZN3c104guts5applyIRZZZN2at6native18lgamma_kernel_cudaERNS2_18TensorIteratorBaseEENKUlvE_clEvENKUlvE_clEvEUldE_RSt5tupleIJdEEEEDaOT_OT0_, .Lfunc_end123-_ZN3c104guts5applyIRZZZN2at6native18lgamma_kernel_cudaERNS2_18TensorIteratorBaseEENKUlvE_clEvENKUlvE_clEvEUldE_RSt5tupleIJdEEEEDaOT_OT0_
                                        ; -- End function
	.set .L_ZN3c104guts5applyIRZZZN2at6native18lgamma_kernel_cudaERNS2_18TensorIteratorBaseEENKUlvE_clEvENKUlvE_clEvEUldE_RSt5tupleIJdEEEEDaOT_OT0_.num_vgpr, 36
	.set .L_ZN3c104guts5applyIRZZZN2at6native18lgamma_kernel_cudaERNS2_18TensorIteratorBaseEENKUlvE_clEvENKUlvE_clEvEUldE_RSt5tupleIJdEEEEDaOT_OT0_.num_agpr, 0
	.set .L_ZN3c104guts5applyIRZZZN2at6native18lgamma_kernel_cudaERNS2_18TensorIteratorBaseEENKUlvE_clEvENKUlvE_clEvEUldE_RSt5tupleIJdEEEEDaOT_OT0_.numbered_sgpr, 32
	.set .L_ZN3c104guts5applyIRZZZN2at6native18lgamma_kernel_cudaERNS2_18TensorIteratorBaseEENKUlvE_clEvENKUlvE_clEvEUldE_RSt5tupleIJdEEEEDaOT_OT0_.num_named_barrier, 0
	.set .L_ZN3c104guts5applyIRZZZN2at6native18lgamma_kernel_cudaERNS2_18TensorIteratorBaseEENKUlvE_clEvENKUlvE_clEvEUldE_RSt5tupleIJdEEEEDaOT_OT0_.private_seg_size, 0
	.set .L_ZN3c104guts5applyIRZZZN2at6native18lgamma_kernel_cudaERNS2_18TensorIteratorBaseEENKUlvE_clEvENKUlvE_clEvEUldE_RSt5tupleIJdEEEEDaOT_OT0_.uses_vcc, 1
	.set .L_ZN3c104guts5applyIRZZZN2at6native18lgamma_kernel_cudaERNS2_18TensorIteratorBaseEENKUlvE_clEvENKUlvE_clEvEUldE_RSt5tupleIJdEEEEDaOT_OT0_.uses_flat_scratch, 0
	.set .L_ZN3c104guts5applyIRZZZN2at6native18lgamma_kernel_cudaERNS2_18TensorIteratorBaseEENKUlvE_clEvENKUlvE_clEvEUldE_RSt5tupleIJdEEEEDaOT_OT0_.has_dyn_sized_stack, 0
	.set .L_ZN3c104guts5applyIRZZZN2at6native18lgamma_kernel_cudaERNS2_18TensorIteratorBaseEENKUlvE_clEvENKUlvE_clEvEUldE_RSt5tupleIJdEEEEDaOT_OT0_.has_recursion, 0
	.set .L_ZN3c104guts5applyIRZZZN2at6native18lgamma_kernel_cudaERNS2_18TensorIteratorBaseEENKUlvE_clEvENKUlvE_clEvEUldE_RSt5tupleIJdEEEEDaOT_OT0_.has_indirect_call, 0
	.section	.AMDGPU.csdata,"",@progbits
; Function info:
; codeLenInByte = 8032
; TotalNumSgprs: 34
; NumVgprs: 36
; ScratchSize: 0
; MemoryBound: 0
	.section	.text._ZN2at6native29vectorized_elementwise_kernelILi16EZZZNS0_18lgamma_kernel_cudaERNS_18TensorIteratorBaseEENKUlvE_clEvENKUlvE_clEvEUldE_St5arrayIPcLm2EEEEviT0_T1_,"axG",@progbits,_ZN2at6native29vectorized_elementwise_kernelILi16EZZZNS0_18lgamma_kernel_cudaERNS_18TensorIteratorBaseEENKUlvE_clEvENKUlvE_clEvEUldE_St5arrayIPcLm2EEEEviT0_T1_,comdat
	.globl	_ZN2at6native29vectorized_elementwise_kernelILi16EZZZNS0_18lgamma_kernel_cudaERNS_18TensorIteratorBaseEENKUlvE_clEvENKUlvE_clEvEUldE_St5arrayIPcLm2EEEEviT0_T1_ ; -- Begin function _ZN2at6native29vectorized_elementwise_kernelILi16EZZZNS0_18lgamma_kernel_cudaERNS_18TensorIteratorBaseEENKUlvE_clEvENKUlvE_clEvEUldE_St5arrayIPcLm2EEEEviT0_T1_
	.p2align	8
	.type	_ZN2at6native29vectorized_elementwise_kernelILi16EZZZNS0_18lgamma_kernel_cudaERNS_18TensorIteratorBaseEENKUlvE_clEvENKUlvE_clEvEUldE_St5arrayIPcLm2EEEEviT0_T1_,@function
_ZN2at6native29vectorized_elementwise_kernelILi16EZZZNS0_18lgamma_kernel_cudaERNS_18TensorIteratorBaseEENKUlvE_clEvENKUlvE_clEvEUldE_St5arrayIPcLm2EEEEviT0_T1_: ; @_ZN2at6native29vectorized_elementwise_kernelILi16EZZZNS0_18lgamma_kernel_cudaERNS_18TensorIteratorBaseEENKUlvE_clEvENKUlvE_clEvEUldE_St5arrayIPcLm2EEEEviT0_T1_
; %bb.0:
	s_add_u32 s0, s0, s7
	s_clause 0x1
	s_load_dword s7, s[4:5], 0x0
	s_load_dwordx4 s[20:23], s[4:5], 0x8
	s_addc_u32 s1, s1, 0
	s_lshl_b32 s24, s6, 10
	v_mov_b32_e32 v42, v0
	s_mov_b32 s4, -1
	s_mov_b32 s32, 0
	s_waitcnt lgkmcnt(0)
	s_sub_i32 s19, s7, s24
	s_cmpk_gt_i32 s19, 0x3ff
	s_cbranch_scc0 .LBB124_2
; %bb.1:
	s_ashr_i32 s25, s24, 31
	v_lshlrev_b32_e32 v40, 5, v42
	s_lshl_b64 s[26:27], s[24:25], 3
	s_add_u32 s4, s22, s26
	s_addc_u32 s5, s23, s27
	s_getpc_b64 s[28:29]
	s_add_u32 s28, s28, _ZN3c104guts5applyIRZZZN2at6native18lgamma_kernel_cudaERNS2_18TensorIteratorBaseEENKUlvE_clEvENKUlvE_clEvEUldE_RSt5tupleIJdEEEEDaOT_OT0_@rel32@lo+4
	s_addc_u32 s29, s29, _ZN3c104guts5applyIRZZZN2at6native18lgamma_kernel_cudaERNS2_18TensorIteratorBaseEENKUlvE_clEvENKUlvE_clEvEUldE_RSt5tupleIJdEEEEDaOT_OT0_@rel32@hi+12
	s_clause 0x1
	global_load_dwordx4 v[36:39], v40, s[4:5]
	global_load_dwordx4 v[43:46], v40, s[4:5] offset:16
	s_waitcnt vmcnt(1)
	v_mov_b32_e32 v0, v36
	v_mov_b32_e32 v1, v37
	s_swappc_b64 s[30:31], s[28:29]
	v_mov_b32_e32 v36, v0
	v_mov_b32_e32 v37, v1
	v_mov_b32_e32 v0, v38
	v_mov_b32_e32 v1, v39
	s_swappc_b64 s[30:31], s[28:29]
	v_mov_b32_e32 v38, v0
	v_mov_b32_e32 v39, v1
	;; [unrolled: 5-line block ×4, first 2 shown]
	s_add_u32 s6, s20, s26
	s_addc_u32 s7, s21, s27
	s_mov_b32 s4, 0
	global_store_dwordx4 v40, v[36:39], s[6:7]
	global_store_dwordx4 v40, v[43:46], s[6:7] offset:16
.LBB124_2:
	s_andn2_b32 vcc_lo, exec_lo, s4
	s_cbranch_vccnz .LBB124_23
; %bb.3:
	v_mov_b32_e32 v38, 0
	v_mov_b32_e32 v0, 0
	v_cmp_gt_i32_e64 s18, s19, v42
	v_mov_b32_e32 v39, 0
	v_or_b32_e32 v51, s24, v42
	v_or_b32_e32 v53, 0x100, v42
	v_mov_b32_e32 v1, 0
	v_mov_b32_e32 v2, v42
	s_and_saveexec_b32 s4, s18
	s_cbranch_execz .LBB124_5
; %bb.4:
	v_mov_b32_e32 v52, 0
	v_or_b32_e32 v2, 0x100, v42
	v_lshlrev_b64 v[0:1], 3, v[51:52]
	v_add_co_u32 v0, vcc_lo, s22, v0
	v_add_co_ci_u32_e64 v1, null, s23, v1, vcc_lo
	global_load_dwordx2 v[0:1], v[0:1], off
.LBB124_5:
	s_or_b32 exec_lo, exec_lo, s4
	s_mov_b32 s4, exec_lo
	v_cmpx_gt_i32_e64 s19, v2
	s_cbranch_execz .LBB124_7
; %bb.6:
	v_add_nc_u32_e32 v3, s24, v2
	v_mov_b32_e32 v4, 0
	v_add_nc_u32_e32 v2, 0x100, v2
	v_lshlrev_b64 v[3:4], 3, v[3:4]
	v_add_co_u32 v3, vcc_lo, s22, v3
	v_add_co_ci_u32_e64 v4, null, s23, v4, vcc_lo
	global_load_dwordx2 v[38:39], v[3:4], off
.LBB124_7:
	s_or_b32 exec_lo, exec_lo, s4
	v_mov_b32_e32 v36, 0
	v_mov_b32_e32 v40, 0
	;; [unrolled: 1-line block ×4, first 2 shown]
	s_mov_b32 s4, exec_lo
	v_cmpx_gt_i32_e64 s19, v2
	s_cbranch_execz .LBB124_9
; %bb.8:
	v_add_nc_u32_e32 v3, s24, v2
	v_mov_b32_e32 v4, 0
	v_add_nc_u32_e32 v2, 0x100, v2
	v_lshlrev_b64 v[3:4], 3, v[3:4]
	v_add_co_u32 v3, vcc_lo, s22, v3
	v_add_co_ci_u32_e64 v4, null, s23, v4, vcc_lo
	global_load_dwordx2 v[40:41], v[3:4], off
.LBB124_9:
	s_or_b32 exec_lo, exec_lo, s4
	s_mov_b32 s4, exec_lo
	v_cmpx_gt_i32_e64 s19, v2
	s_cbranch_execz .LBB124_11
; %bb.10:
	v_add_nc_u32_e32 v2, s24, v2
	v_mov_b32_e32 v3, 0
	v_lshlrev_b64 v[2:3], 3, v[2:3]
	v_add_co_u32 v2, vcc_lo, s22, v2
	v_add_co_ci_u32_e64 v3, null, s23, v3, vcc_lo
	global_load_dwordx2 v[36:37], v[2:3], off
.LBB124_11:
	s_or_b32 exec_lo, exec_lo, s4
	v_mov_b32_e32 v43, 0
	v_mov_b32_e32 v44, v43
	;; [unrolled: 1-line block ×8, first 2 shown]
	s_and_saveexec_b32 s22, s18
	s_cbranch_execz .LBB124_13
; %bb.12:
	s_getpc_b64 s[4:5]
	s_add_u32 s4, s4, _ZN3c104guts5applyIRZZZN2at6native18lgamma_kernel_cudaERNS2_18TensorIteratorBaseEENKUlvE_clEvENKUlvE_clEvEUldE_RSt5tupleIJdEEEEDaOT_OT0_@rel32@lo+4
	s_addc_u32 s5, s5, _ZN3c104guts5applyIRZZZN2at6native18lgamma_kernel_cudaERNS2_18TensorIteratorBaseEENKUlvE_clEvENKUlvE_clEvEUldE_RSt5tupleIJdEEEEDaOT_OT0_@rel32@hi+12
	s_swappc_b64 s[30:31], s[4:5]
	v_mov_b32_e32 v7, v43
	v_mov_b32_e32 v2, v43
	v_mov_b32_e32 v3, v43
	v_mov_b32_e32 v4, v43
	v_mov_b32_e32 v5, v43
	v_mov_b32_e32 v6, v43
	v_mov_b32_e32 v50, v7
	v_mov_b32_e32 v46, v3
	v_mov_b32_e32 v47, v4
	v_mov_b32_e32 v48, v5
	v_mov_b32_e32 v49, v6
	v_mov_b32_e32 v45, v2
	v_mov_b32_e32 v44, v1
	v_mov_b32_e32 v43, v0
.LBB124_13:
	s_or_b32 exec_lo, exec_lo, s22
	s_mov_b32 s22, exec_lo
	v_cmpx_gt_i32_e64 s19, v53
	s_cbranch_execz .LBB124_15
; %bb.14:
	s_waitcnt vmcnt(0)
	v_mov_b32_e32 v0, v38
	v_mov_b32_e32 v1, v39
	s_getpc_b64 s[4:5]
	s_add_u32 s4, s4, _ZN3c104guts5applyIRZZZN2at6native18lgamma_kernel_cudaERNS2_18TensorIteratorBaseEENKUlvE_clEvENKUlvE_clEvEUldE_RSt5tupleIJdEEEEDaOT_OT0_@rel32@lo+4
	s_addc_u32 s5, s5, _ZN3c104guts5applyIRZZZN2at6native18lgamma_kernel_cudaERNS2_18TensorIteratorBaseEENKUlvE_clEvENKUlvE_clEvEUldE_RSt5tupleIJdEEEEDaOT_OT0_@rel32@hi+12
	s_swappc_b64 s[30:31], s[4:5]
	v_mov_b32_e32 v45, v0
	v_mov_b32_e32 v46, v1
.LBB124_15:
	s_or_b32 exec_lo, exec_lo, s22
	s_waitcnt vmcnt(0)
	v_or_b32_e32 v0, 0x200, v42
	s_mov_b32 s22, exec_lo
	v_cmpx_gt_i32_e64 s19, v0
	s_cbranch_execz .LBB124_17
; %bb.16:
	v_mov_b32_e32 v0, v40
	v_mov_b32_e32 v1, v41
	s_getpc_b64 s[4:5]
	s_add_u32 s4, s4, _ZN3c104guts5applyIRZZZN2at6native18lgamma_kernel_cudaERNS2_18TensorIteratorBaseEENKUlvE_clEvENKUlvE_clEvEUldE_RSt5tupleIJdEEEEDaOT_OT0_@rel32@lo+4
	s_addc_u32 s5, s5, _ZN3c104guts5applyIRZZZN2at6native18lgamma_kernel_cudaERNS2_18TensorIteratorBaseEENKUlvE_clEvENKUlvE_clEvEUldE_RSt5tupleIJdEEEEDaOT_OT0_@rel32@hi+12
	s_swappc_b64 s[30:31], s[4:5]
	v_mov_b32_e32 v47, v0
	v_mov_b32_e32 v48, v1
.LBB124_17:
	s_or_b32 exec_lo, exec_lo, s22
	v_or_b32_e32 v0, 0x300, v42
	s_mov_b32 s22, exec_lo
	v_cmpx_gt_i32_e64 s19, v0
	s_cbranch_execnz .LBB124_24
; %bb.18:
	s_or_b32 exec_lo, exec_lo, s22
	s_and_saveexec_b32 s4, s18
	s_xor_b32 s4, exec_lo, s4
	s_cbranch_execnz .LBB124_25
.LBB124_19:
	s_or_b32 exec_lo, exec_lo, s4
	s_mov_b32 s4, exec_lo
	v_cmpx_gt_i32_e64 s19, v42
	s_cbranch_execnz .LBB124_26
.LBB124_20:
	s_or_b32 exec_lo, exec_lo, s4
	s_mov_b32 s4, exec_lo
	v_cmpx_gt_i32_e64 s19, v42
	s_cbranch_execnz .LBB124_27
.LBB124_21:
	s_or_b32 exec_lo, exec_lo, s4
	s_mov_b32 s4, exec_lo
	v_cmpx_gt_i32_e64 s19, v42
	s_cbranch_execz .LBB124_23
.LBB124_22:
	v_add_nc_u32_e32 v0, s24, v42
	v_mov_b32_e32 v1, 0
	v_lshlrev_b64 v[0:1], 3, v[0:1]
	v_add_co_u32 v0, vcc_lo, s20, v0
	v_add_co_ci_u32_e64 v1, null, s21, v1, vcc_lo
	global_store_dwordx2 v[0:1], v[49:50], off
.LBB124_23:
	s_endpgm
.LBB124_24:
	v_mov_b32_e32 v0, v36
	v_mov_b32_e32 v1, v37
	s_getpc_b64 s[4:5]
	s_add_u32 s4, s4, _ZN3c104guts5applyIRZZZN2at6native18lgamma_kernel_cudaERNS2_18TensorIteratorBaseEENKUlvE_clEvENKUlvE_clEvEUldE_RSt5tupleIJdEEEEDaOT_OT0_@rel32@lo+4
	s_addc_u32 s5, s5, _ZN3c104guts5applyIRZZZN2at6native18lgamma_kernel_cudaERNS2_18TensorIteratorBaseEENKUlvE_clEvENKUlvE_clEvEUldE_RSt5tupleIJdEEEEDaOT_OT0_@rel32@hi+12
	s_swappc_b64 s[30:31], s[4:5]
	v_mov_b32_e32 v49, v0
	v_mov_b32_e32 v50, v1
	s_or_b32 exec_lo, exec_lo, s22
	s_and_saveexec_b32 s4, s18
	s_xor_b32 s4, exec_lo, s4
	s_cbranch_execz .LBB124_19
.LBB124_25:
	v_mov_b32_e32 v52, 0
	v_mov_b32_e32 v42, v53
	v_lshlrev_b64 v[0:1], 3, v[51:52]
	v_add_co_u32 v0, vcc_lo, s20, v0
	v_add_co_ci_u32_e64 v1, null, s21, v1, vcc_lo
	global_store_dwordx2 v[0:1], v[43:44], off
	s_or_b32 exec_lo, exec_lo, s4
	s_mov_b32 s4, exec_lo
	v_cmpx_gt_i32_e64 s19, v42
	s_cbranch_execz .LBB124_20
.LBB124_26:
	v_add_nc_u32_e32 v0, s24, v42
	v_mov_b32_e32 v1, 0
	v_add_nc_u32_e32 v42, 0x100, v42
	v_lshlrev_b64 v[0:1], 3, v[0:1]
	v_add_co_u32 v0, vcc_lo, s20, v0
	v_add_co_ci_u32_e64 v1, null, s21, v1, vcc_lo
	global_store_dwordx2 v[0:1], v[45:46], off
	s_or_b32 exec_lo, exec_lo, s4
	s_mov_b32 s4, exec_lo
	v_cmpx_gt_i32_e64 s19, v42
	s_cbranch_execz .LBB124_21
.LBB124_27:
	v_add_nc_u32_e32 v0, s24, v42
	v_mov_b32_e32 v1, 0
	v_add_nc_u32_e32 v42, 0x100, v42
	v_lshlrev_b64 v[0:1], 3, v[0:1]
	v_add_co_u32 v0, vcc_lo, s20, v0
	v_add_co_ci_u32_e64 v1, null, s21, v1, vcc_lo
	global_store_dwordx2 v[0:1], v[47:48], off
	s_or_b32 exec_lo, exec_lo, s4
	s_mov_b32 s4, exec_lo
	v_cmpx_gt_i32_e64 s19, v42
	s_cbranch_execnz .LBB124_22
	s_branch .LBB124_23
	.section	.rodata,"a",@progbits
	.p2align	6, 0x0
	.amdhsa_kernel _ZN2at6native29vectorized_elementwise_kernelILi16EZZZNS0_18lgamma_kernel_cudaERNS_18TensorIteratorBaseEENKUlvE_clEvENKUlvE_clEvEUldE_St5arrayIPcLm2EEEEviT0_T1_
		.amdhsa_group_segment_fixed_size 0
		.amdhsa_private_segment_fixed_size 0
		.amdhsa_kernarg_size 24
		.amdhsa_user_sgpr_count 6
		.amdhsa_user_sgpr_private_segment_buffer 1
		.amdhsa_user_sgpr_dispatch_ptr 0
		.amdhsa_user_sgpr_queue_ptr 0
		.amdhsa_user_sgpr_kernarg_segment_ptr 1
		.amdhsa_user_sgpr_dispatch_id 0
		.amdhsa_user_sgpr_flat_scratch_init 0
		.amdhsa_user_sgpr_private_segment_size 0
		.amdhsa_wavefront_size32 1
		.amdhsa_uses_dynamic_stack 0
		.amdhsa_system_sgpr_private_segment_wavefront_offset 0
		.amdhsa_system_sgpr_workgroup_id_x 1
		.amdhsa_system_sgpr_workgroup_id_y 0
		.amdhsa_system_sgpr_workgroup_id_z 0
		.amdhsa_system_sgpr_workgroup_info 0
		.amdhsa_system_vgpr_workitem_id 0
		.amdhsa_next_free_vgpr 54
		.amdhsa_next_free_sgpr 33
		.amdhsa_reserve_vcc 1
		.amdhsa_reserve_flat_scratch 0
		.amdhsa_float_round_mode_32 0
		.amdhsa_float_round_mode_16_64 0
		.amdhsa_float_denorm_mode_32 3
		.amdhsa_float_denorm_mode_16_64 3
		.amdhsa_dx10_clamp 1
		.amdhsa_ieee_mode 1
		.amdhsa_fp16_overflow 0
		.amdhsa_workgroup_processor_mode 1
		.amdhsa_memory_ordered 1
		.amdhsa_forward_progress 1
		.amdhsa_shared_vgpr_count 0
		.amdhsa_exception_fp_ieee_invalid_op 0
		.amdhsa_exception_fp_denorm_src 0
		.amdhsa_exception_fp_ieee_div_zero 0
		.amdhsa_exception_fp_ieee_overflow 0
		.amdhsa_exception_fp_ieee_underflow 0
		.amdhsa_exception_fp_ieee_inexact 0
		.amdhsa_exception_int_div_zero 0
	.end_amdhsa_kernel
	.section	.text._ZN2at6native29vectorized_elementwise_kernelILi16EZZZNS0_18lgamma_kernel_cudaERNS_18TensorIteratorBaseEENKUlvE_clEvENKUlvE_clEvEUldE_St5arrayIPcLm2EEEEviT0_T1_,"axG",@progbits,_ZN2at6native29vectorized_elementwise_kernelILi16EZZZNS0_18lgamma_kernel_cudaERNS_18TensorIteratorBaseEENKUlvE_clEvENKUlvE_clEvEUldE_St5arrayIPcLm2EEEEviT0_T1_,comdat
.Lfunc_end124:
	.size	_ZN2at6native29vectorized_elementwise_kernelILi16EZZZNS0_18lgamma_kernel_cudaERNS_18TensorIteratorBaseEENKUlvE_clEvENKUlvE_clEvEUldE_St5arrayIPcLm2EEEEviT0_T1_, .Lfunc_end124-_ZN2at6native29vectorized_elementwise_kernelILi16EZZZNS0_18lgamma_kernel_cudaERNS_18TensorIteratorBaseEENKUlvE_clEvENKUlvE_clEvEUldE_St5arrayIPcLm2EEEEviT0_T1_
                                        ; -- End function
	.set _ZN2at6native29vectorized_elementwise_kernelILi16EZZZNS0_18lgamma_kernel_cudaERNS_18TensorIteratorBaseEENKUlvE_clEvENKUlvE_clEvEUldE_St5arrayIPcLm2EEEEviT0_T1_.num_vgpr, max(54, .L_ZN3c104guts5applyIRZZZN2at6native18lgamma_kernel_cudaERNS2_18TensorIteratorBaseEENKUlvE_clEvENKUlvE_clEvEUldE_RSt5tupleIJdEEEEDaOT_OT0_.num_vgpr)
	.set _ZN2at6native29vectorized_elementwise_kernelILi16EZZZNS0_18lgamma_kernel_cudaERNS_18TensorIteratorBaseEENKUlvE_clEvENKUlvE_clEvEUldE_St5arrayIPcLm2EEEEviT0_T1_.num_agpr, max(0, .L_ZN3c104guts5applyIRZZZN2at6native18lgamma_kernel_cudaERNS2_18TensorIteratorBaseEENKUlvE_clEvENKUlvE_clEvEUldE_RSt5tupleIJdEEEEDaOT_OT0_.num_agpr)
	.set _ZN2at6native29vectorized_elementwise_kernelILi16EZZZNS0_18lgamma_kernel_cudaERNS_18TensorIteratorBaseEENKUlvE_clEvENKUlvE_clEvEUldE_St5arrayIPcLm2EEEEviT0_T1_.numbered_sgpr, max(33, .L_ZN3c104guts5applyIRZZZN2at6native18lgamma_kernel_cudaERNS2_18TensorIteratorBaseEENKUlvE_clEvENKUlvE_clEvEUldE_RSt5tupleIJdEEEEDaOT_OT0_.numbered_sgpr)
	.set _ZN2at6native29vectorized_elementwise_kernelILi16EZZZNS0_18lgamma_kernel_cudaERNS_18TensorIteratorBaseEENKUlvE_clEvENKUlvE_clEvEUldE_St5arrayIPcLm2EEEEviT0_T1_.num_named_barrier, max(0, .L_ZN3c104guts5applyIRZZZN2at6native18lgamma_kernel_cudaERNS2_18TensorIteratorBaseEENKUlvE_clEvENKUlvE_clEvEUldE_RSt5tupleIJdEEEEDaOT_OT0_.num_named_barrier)
	.set _ZN2at6native29vectorized_elementwise_kernelILi16EZZZNS0_18lgamma_kernel_cudaERNS_18TensorIteratorBaseEENKUlvE_clEvENKUlvE_clEvEUldE_St5arrayIPcLm2EEEEviT0_T1_.private_seg_size, 0+max(.L_ZN3c104guts5applyIRZZZN2at6native18lgamma_kernel_cudaERNS2_18TensorIteratorBaseEENKUlvE_clEvENKUlvE_clEvEUldE_RSt5tupleIJdEEEEDaOT_OT0_.private_seg_size)
	.set _ZN2at6native29vectorized_elementwise_kernelILi16EZZZNS0_18lgamma_kernel_cudaERNS_18TensorIteratorBaseEENKUlvE_clEvENKUlvE_clEvEUldE_St5arrayIPcLm2EEEEviT0_T1_.uses_vcc, or(1, .L_ZN3c104guts5applyIRZZZN2at6native18lgamma_kernel_cudaERNS2_18TensorIteratorBaseEENKUlvE_clEvENKUlvE_clEvEUldE_RSt5tupleIJdEEEEDaOT_OT0_.uses_vcc)
	.set _ZN2at6native29vectorized_elementwise_kernelILi16EZZZNS0_18lgamma_kernel_cudaERNS_18TensorIteratorBaseEENKUlvE_clEvENKUlvE_clEvEUldE_St5arrayIPcLm2EEEEviT0_T1_.uses_flat_scratch, or(0, .L_ZN3c104guts5applyIRZZZN2at6native18lgamma_kernel_cudaERNS2_18TensorIteratorBaseEENKUlvE_clEvENKUlvE_clEvEUldE_RSt5tupleIJdEEEEDaOT_OT0_.uses_flat_scratch)
	.set _ZN2at6native29vectorized_elementwise_kernelILi16EZZZNS0_18lgamma_kernel_cudaERNS_18TensorIteratorBaseEENKUlvE_clEvENKUlvE_clEvEUldE_St5arrayIPcLm2EEEEviT0_T1_.has_dyn_sized_stack, or(0, .L_ZN3c104guts5applyIRZZZN2at6native18lgamma_kernel_cudaERNS2_18TensorIteratorBaseEENKUlvE_clEvENKUlvE_clEvEUldE_RSt5tupleIJdEEEEDaOT_OT0_.has_dyn_sized_stack)
	.set _ZN2at6native29vectorized_elementwise_kernelILi16EZZZNS0_18lgamma_kernel_cudaERNS_18TensorIteratorBaseEENKUlvE_clEvENKUlvE_clEvEUldE_St5arrayIPcLm2EEEEviT0_T1_.has_recursion, or(0, .L_ZN3c104guts5applyIRZZZN2at6native18lgamma_kernel_cudaERNS2_18TensorIteratorBaseEENKUlvE_clEvENKUlvE_clEvEUldE_RSt5tupleIJdEEEEDaOT_OT0_.has_recursion)
	.set _ZN2at6native29vectorized_elementwise_kernelILi16EZZZNS0_18lgamma_kernel_cudaERNS_18TensorIteratorBaseEENKUlvE_clEvENKUlvE_clEvEUldE_St5arrayIPcLm2EEEEviT0_T1_.has_indirect_call, or(0, .L_ZN3c104guts5applyIRZZZN2at6native18lgamma_kernel_cudaERNS2_18TensorIteratorBaseEENKUlvE_clEvENKUlvE_clEvEUldE_RSt5tupleIJdEEEEDaOT_OT0_.has_indirect_call)
	.section	.AMDGPU.csdata,"",@progbits
; Kernel info:
; codeLenInByte = 1208
; TotalNumSgprs: 35
; NumVgprs: 54
; ScratchSize: 0
; MemoryBound: 0
; FloatMode: 240
; IeeeMode: 1
; LDSByteSize: 0 bytes/workgroup (compile time only)
; SGPRBlocks: 0
; VGPRBlocks: 6
; NumSGPRsForWavesPerEU: 35
; NumVGPRsForWavesPerEU: 54
; Occupancy: 16
; WaveLimiterHint : 0
; COMPUTE_PGM_RSRC2:SCRATCH_EN: 0
; COMPUTE_PGM_RSRC2:USER_SGPR: 6
; COMPUTE_PGM_RSRC2:TRAP_HANDLER: 0
; COMPUTE_PGM_RSRC2:TGID_X_EN: 1
; COMPUTE_PGM_RSRC2:TGID_Y_EN: 0
; COMPUTE_PGM_RSRC2:TGID_Z_EN: 0
; COMPUTE_PGM_RSRC2:TIDIG_COMP_CNT: 0
	.section	.text._ZN2at6native29vectorized_elementwise_kernelILi8EZZZNS0_18lgamma_kernel_cudaERNS_18TensorIteratorBaseEENKUlvE_clEvENKUlvE_clEvEUldE_St5arrayIPcLm2EEEEviT0_T1_,"axG",@progbits,_ZN2at6native29vectorized_elementwise_kernelILi8EZZZNS0_18lgamma_kernel_cudaERNS_18TensorIteratorBaseEENKUlvE_clEvENKUlvE_clEvEUldE_St5arrayIPcLm2EEEEviT0_T1_,comdat
	.globl	_ZN2at6native29vectorized_elementwise_kernelILi8EZZZNS0_18lgamma_kernel_cudaERNS_18TensorIteratorBaseEENKUlvE_clEvENKUlvE_clEvEUldE_St5arrayIPcLm2EEEEviT0_T1_ ; -- Begin function _ZN2at6native29vectorized_elementwise_kernelILi8EZZZNS0_18lgamma_kernel_cudaERNS_18TensorIteratorBaseEENKUlvE_clEvENKUlvE_clEvEUldE_St5arrayIPcLm2EEEEviT0_T1_
	.p2align	8
	.type	_ZN2at6native29vectorized_elementwise_kernelILi8EZZZNS0_18lgamma_kernel_cudaERNS_18TensorIteratorBaseEENKUlvE_clEvENKUlvE_clEvEUldE_St5arrayIPcLm2EEEEviT0_T1_,@function
_ZN2at6native29vectorized_elementwise_kernelILi8EZZZNS0_18lgamma_kernel_cudaERNS_18TensorIteratorBaseEENKUlvE_clEvENKUlvE_clEvEUldE_St5arrayIPcLm2EEEEviT0_T1_: ; @_ZN2at6native29vectorized_elementwise_kernelILi8EZZZNS0_18lgamma_kernel_cudaERNS_18TensorIteratorBaseEENKUlvE_clEvENKUlvE_clEvEUldE_St5arrayIPcLm2EEEEviT0_T1_
; %bb.0:
	s_add_u32 s0, s0, s7
	s_clause 0x1
	s_load_dword s7, s[4:5], 0x0
	s_load_dwordx4 s[20:23], s[4:5], 0x8
	s_addc_u32 s1, s1, 0
	s_lshl_b32 s24, s6, 10
	v_mov_b32_e32 v42, v0
	s_mov_b32 s4, -1
	s_mov_b32 s32, 0
	s_waitcnt lgkmcnt(0)
	s_sub_i32 s19, s7, s24
	s_cmpk_gt_i32 s19, 0x3ff
	s_cbranch_scc0 .LBB125_2
; %bb.1:
	s_ashr_i32 s25, s24, 31
	v_lshlrev_b32_e32 v40, 5, v42
	s_lshl_b64 s[26:27], s[24:25], 3
	s_add_u32 s4, s22, s26
	s_addc_u32 s5, s23, s27
	s_getpc_b64 s[28:29]
	s_add_u32 s28, s28, _ZN3c104guts5applyIRZZZN2at6native18lgamma_kernel_cudaERNS2_18TensorIteratorBaseEENKUlvE_clEvENKUlvE_clEvEUldE_RSt5tupleIJdEEEEDaOT_OT0_@rel32@lo+4
	s_addc_u32 s29, s29, _ZN3c104guts5applyIRZZZN2at6native18lgamma_kernel_cudaERNS2_18TensorIteratorBaseEENKUlvE_clEvENKUlvE_clEvEUldE_RSt5tupleIJdEEEEDaOT_OT0_@rel32@hi+12
	s_clause 0x1
	global_load_dwordx4 v[36:39], v40, s[4:5]
	global_load_dwordx4 v[43:46], v40, s[4:5] offset:16
	s_waitcnt vmcnt(1)
	v_mov_b32_e32 v0, v36
	v_mov_b32_e32 v1, v37
	s_swappc_b64 s[30:31], s[28:29]
	v_mov_b32_e32 v36, v0
	v_mov_b32_e32 v37, v1
	v_mov_b32_e32 v0, v38
	v_mov_b32_e32 v1, v39
	s_swappc_b64 s[30:31], s[28:29]
	v_mov_b32_e32 v38, v0
	v_mov_b32_e32 v39, v1
	;; [unrolled: 5-line block ×4, first 2 shown]
	s_add_u32 s6, s20, s26
	s_addc_u32 s7, s21, s27
	s_mov_b32 s4, 0
	global_store_dwordx4 v40, v[36:39], s[6:7]
	global_store_dwordx4 v40, v[43:46], s[6:7] offset:16
.LBB125_2:
	s_andn2_b32 vcc_lo, exec_lo, s4
	s_cbranch_vccnz .LBB125_23
; %bb.3:
	v_mov_b32_e32 v38, 0
	v_mov_b32_e32 v0, 0
	v_cmp_gt_i32_e64 s18, s19, v42
	v_mov_b32_e32 v39, 0
	v_or_b32_e32 v51, s24, v42
	v_or_b32_e32 v53, 0x100, v42
	v_mov_b32_e32 v1, 0
	v_mov_b32_e32 v2, v42
	s_and_saveexec_b32 s4, s18
	s_cbranch_execz .LBB125_5
; %bb.4:
	v_mov_b32_e32 v52, 0
	v_or_b32_e32 v2, 0x100, v42
	v_lshlrev_b64 v[0:1], 3, v[51:52]
	v_add_co_u32 v0, vcc_lo, s22, v0
	v_add_co_ci_u32_e64 v1, null, s23, v1, vcc_lo
	global_load_dwordx2 v[0:1], v[0:1], off
.LBB125_5:
	s_or_b32 exec_lo, exec_lo, s4
	s_mov_b32 s4, exec_lo
	v_cmpx_gt_i32_e64 s19, v2
	s_cbranch_execz .LBB125_7
; %bb.6:
	v_add_nc_u32_e32 v3, s24, v2
	v_mov_b32_e32 v4, 0
	v_add_nc_u32_e32 v2, 0x100, v2
	v_lshlrev_b64 v[3:4], 3, v[3:4]
	v_add_co_u32 v3, vcc_lo, s22, v3
	v_add_co_ci_u32_e64 v4, null, s23, v4, vcc_lo
	global_load_dwordx2 v[38:39], v[3:4], off
.LBB125_7:
	s_or_b32 exec_lo, exec_lo, s4
	v_mov_b32_e32 v36, 0
	v_mov_b32_e32 v40, 0
	;; [unrolled: 1-line block ×4, first 2 shown]
	s_mov_b32 s4, exec_lo
	v_cmpx_gt_i32_e64 s19, v2
	s_cbranch_execz .LBB125_9
; %bb.8:
	v_add_nc_u32_e32 v3, s24, v2
	v_mov_b32_e32 v4, 0
	v_add_nc_u32_e32 v2, 0x100, v2
	v_lshlrev_b64 v[3:4], 3, v[3:4]
	v_add_co_u32 v3, vcc_lo, s22, v3
	v_add_co_ci_u32_e64 v4, null, s23, v4, vcc_lo
	global_load_dwordx2 v[40:41], v[3:4], off
.LBB125_9:
	s_or_b32 exec_lo, exec_lo, s4
	s_mov_b32 s4, exec_lo
	v_cmpx_gt_i32_e64 s19, v2
	s_cbranch_execz .LBB125_11
; %bb.10:
	v_add_nc_u32_e32 v2, s24, v2
	v_mov_b32_e32 v3, 0
	v_lshlrev_b64 v[2:3], 3, v[2:3]
	v_add_co_u32 v2, vcc_lo, s22, v2
	v_add_co_ci_u32_e64 v3, null, s23, v3, vcc_lo
	global_load_dwordx2 v[36:37], v[2:3], off
.LBB125_11:
	s_or_b32 exec_lo, exec_lo, s4
	v_mov_b32_e32 v43, 0
	v_mov_b32_e32 v44, v43
	;; [unrolled: 1-line block ×8, first 2 shown]
	s_and_saveexec_b32 s22, s18
	s_cbranch_execz .LBB125_13
; %bb.12:
	s_getpc_b64 s[4:5]
	s_add_u32 s4, s4, _ZN3c104guts5applyIRZZZN2at6native18lgamma_kernel_cudaERNS2_18TensorIteratorBaseEENKUlvE_clEvENKUlvE_clEvEUldE_RSt5tupleIJdEEEEDaOT_OT0_@rel32@lo+4
	s_addc_u32 s5, s5, _ZN3c104guts5applyIRZZZN2at6native18lgamma_kernel_cudaERNS2_18TensorIteratorBaseEENKUlvE_clEvENKUlvE_clEvEUldE_RSt5tupleIJdEEEEDaOT_OT0_@rel32@hi+12
	s_swappc_b64 s[30:31], s[4:5]
	v_mov_b32_e32 v7, v43
	v_mov_b32_e32 v2, v43
	;; [unrolled: 1-line block ×14, first 2 shown]
.LBB125_13:
	s_or_b32 exec_lo, exec_lo, s22
	s_mov_b32 s22, exec_lo
	v_cmpx_gt_i32_e64 s19, v53
	s_cbranch_execz .LBB125_15
; %bb.14:
	s_waitcnt vmcnt(0)
	v_mov_b32_e32 v0, v38
	v_mov_b32_e32 v1, v39
	s_getpc_b64 s[4:5]
	s_add_u32 s4, s4, _ZN3c104guts5applyIRZZZN2at6native18lgamma_kernel_cudaERNS2_18TensorIteratorBaseEENKUlvE_clEvENKUlvE_clEvEUldE_RSt5tupleIJdEEEEDaOT_OT0_@rel32@lo+4
	s_addc_u32 s5, s5, _ZN3c104guts5applyIRZZZN2at6native18lgamma_kernel_cudaERNS2_18TensorIteratorBaseEENKUlvE_clEvENKUlvE_clEvEUldE_RSt5tupleIJdEEEEDaOT_OT0_@rel32@hi+12
	s_swappc_b64 s[30:31], s[4:5]
	v_mov_b32_e32 v45, v0
	v_mov_b32_e32 v46, v1
.LBB125_15:
	s_or_b32 exec_lo, exec_lo, s22
	s_waitcnt vmcnt(0)
	v_or_b32_e32 v0, 0x200, v42
	s_mov_b32 s22, exec_lo
	v_cmpx_gt_i32_e64 s19, v0
	s_cbranch_execz .LBB125_17
; %bb.16:
	v_mov_b32_e32 v0, v40
	v_mov_b32_e32 v1, v41
	s_getpc_b64 s[4:5]
	s_add_u32 s4, s4, _ZN3c104guts5applyIRZZZN2at6native18lgamma_kernel_cudaERNS2_18TensorIteratorBaseEENKUlvE_clEvENKUlvE_clEvEUldE_RSt5tupleIJdEEEEDaOT_OT0_@rel32@lo+4
	s_addc_u32 s5, s5, _ZN3c104guts5applyIRZZZN2at6native18lgamma_kernel_cudaERNS2_18TensorIteratorBaseEENKUlvE_clEvENKUlvE_clEvEUldE_RSt5tupleIJdEEEEDaOT_OT0_@rel32@hi+12
	s_swappc_b64 s[30:31], s[4:5]
	v_mov_b32_e32 v47, v0
	v_mov_b32_e32 v48, v1
.LBB125_17:
	s_or_b32 exec_lo, exec_lo, s22
	v_or_b32_e32 v0, 0x300, v42
	s_mov_b32 s22, exec_lo
	v_cmpx_gt_i32_e64 s19, v0
	s_cbranch_execnz .LBB125_24
; %bb.18:
	s_or_b32 exec_lo, exec_lo, s22
	s_and_saveexec_b32 s4, s18
	s_xor_b32 s4, exec_lo, s4
	s_cbranch_execnz .LBB125_25
.LBB125_19:
	s_or_b32 exec_lo, exec_lo, s4
	s_mov_b32 s4, exec_lo
	v_cmpx_gt_i32_e64 s19, v42
	s_cbranch_execnz .LBB125_26
.LBB125_20:
	s_or_b32 exec_lo, exec_lo, s4
	s_mov_b32 s4, exec_lo
	v_cmpx_gt_i32_e64 s19, v42
	s_cbranch_execnz .LBB125_27
.LBB125_21:
	s_or_b32 exec_lo, exec_lo, s4
	s_mov_b32 s4, exec_lo
	v_cmpx_gt_i32_e64 s19, v42
	s_cbranch_execz .LBB125_23
.LBB125_22:
	v_add_nc_u32_e32 v0, s24, v42
	v_mov_b32_e32 v1, 0
	v_lshlrev_b64 v[0:1], 3, v[0:1]
	v_add_co_u32 v0, vcc_lo, s20, v0
	v_add_co_ci_u32_e64 v1, null, s21, v1, vcc_lo
	global_store_dwordx2 v[0:1], v[49:50], off
.LBB125_23:
	s_endpgm
.LBB125_24:
	v_mov_b32_e32 v0, v36
	v_mov_b32_e32 v1, v37
	s_getpc_b64 s[4:5]
	s_add_u32 s4, s4, _ZN3c104guts5applyIRZZZN2at6native18lgamma_kernel_cudaERNS2_18TensorIteratorBaseEENKUlvE_clEvENKUlvE_clEvEUldE_RSt5tupleIJdEEEEDaOT_OT0_@rel32@lo+4
	s_addc_u32 s5, s5, _ZN3c104guts5applyIRZZZN2at6native18lgamma_kernel_cudaERNS2_18TensorIteratorBaseEENKUlvE_clEvENKUlvE_clEvEUldE_RSt5tupleIJdEEEEDaOT_OT0_@rel32@hi+12
	s_swappc_b64 s[30:31], s[4:5]
	v_mov_b32_e32 v49, v0
	v_mov_b32_e32 v50, v1
	s_or_b32 exec_lo, exec_lo, s22
	s_and_saveexec_b32 s4, s18
	s_xor_b32 s4, exec_lo, s4
	s_cbranch_execz .LBB125_19
.LBB125_25:
	v_mov_b32_e32 v52, 0
	v_mov_b32_e32 v42, v53
	v_lshlrev_b64 v[0:1], 3, v[51:52]
	v_add_co_u32 v0, vcc_lo, s20, v0
	v_add_co_ci_u32_e64 v1, null, s21, v1, vcc_lo
	global_store_dwordx2 v[0:1], v[43:44], off
	s_or_b32 exec_lo, exec_lo, s4
	s_mov_b32 s4, exec_lo
	v_cmpx_gt_i32_e64 s19, v42
	s_cbranch_execz .LBB125_20
.LBB125_26:
	v_add_nc_u32_e32 v0, s24, v42
	v_mov_b32_e32 v1, 0
	v_add_nc_u32_e32 v42, 0x100, v42
	v_lshlrev_b64 v[0:1], 3, v[0:1]
	v_add_co_u32 v0, vcc_lo, s20, v0
	v_add_co_ci_u32_e64 v1, null, s21, v1, vcc_lo
	global_store_dwordx2 v[0:1], v[45:46], off
	s_or_b32 exec_lo, exec_lo, s4
	s_mov_b32 s4, exec_lo
	v_cmpx_gt_i32_e64 s19, v42
	s_cbranch_execz .LBB125_21
.LBB125_27:
	v_add_nc_u32_e32 v0, s24, v42
	v_mov_b32_e32 v1, 0
	v_add_nc_u32_e32 v42, 0x100, v42
	v_lshlrev_b64 v[0:1], 3, v[0:1]
	v_add_co_u32 v0, vcc_lo, s20, v0
	v_add_co_ci_u32_e64 v1, null, s21, v1, vcc_lo
	global_store_dwordx2 v[0:1], v[47:48], off
	s_or_b32 exec_lo, exec_lo, s4
	s_mov_b32 s4, exec_lo
	v_cmpx_gt_i32_e64 s19, v42
	s_cbranch_execnz .LBB125_22
	s_branch .LBB125_23
	.section	.rodata,"a",@progbits
	.p2align	6, 0x0
	.amdhsa_kernel _ZN2at6native29vectorized_elementwise_kernelILi8EZZZNS0_18lgamma_kernel_cudaERNS_18TensorIteratorBaseEENKUlvE_clEvENKUlvE_clEvEUldE_St5arrayIPcLm2EEEEviT0_T1_
		.amdhsa_group_segment_fixed_size 0
		.amdhsa_private_segment_fixed_size 0
		.amdhsa_kernarg_size 24
		.amdhsa_user_sgpr_count 6
		.amdhsa_user_sgpr_private_segment_buffer 1
		.amdhsa_user_sgpr_dispatch_ptr 0
		.amdhsa_user_sgpr_queue_ptr 0
		.amdhsa_user_sgpr_kernarg_segment_ptr 1
		.amdhsa_user_sgpr_dispatch_id 0
		.amdhsa_user_sgpr_flat_scratch_init 0
		.amdhsa_user_sgpr_private_segment_size 0
		.amdhsa_wavefront_size32 1
		.amdhsa_uses_dynamic_stack 0
		.amdhsa_system_sgpr_private_segment_wavefront_offset 0
		.amdhsa_system_sgpr_workgroup_id_x 1
		.amdhsa_system_sgpr_workgroup_id_y 0
		.amdhsa_system_sgpr_workgroup_id_z 0
		.amdhsa_system_sgpr_workgroup_info 0
		.amdhsa_system_vgpr_workitem_id 0
		.amdhsa_next_free_vgpr 54
		.amdhsa_next_free_sgpr 33
		.amdhsa_reserve_vcc 1
		.amdhsa_reserve_flat_scratch 0
		.amdhsa_float_round_mode_32 0
		.amdhsa_float_round_mode_16_64 0
		.amdhsa_float_denorm_mode_32 3
		.amdhsa_float_denorm_mode_16_64 3
		.amdhsa_dx10_clamp 1
		.amdhsa_ieee_mode 1
		.amdhsa_fp16_overflow 0
		.amdhsa_workgroup_processor_mode 1
		.amdhsa_memory_ordered 1
		.amdhsa_forward_progress 1
		.amdhsa_shared_vgpr_count 0
		.amdhsa_exception_fp_ieee_invalid_op 0
		.amdhsa_exception_fp_denorm_src 0
		.amdhsa_exception_fp_ieee_div_zero 0
		.amdhsa_exception_fp_ieee_overflow 0
		.amdhsa_exception_fp_ieee_underflow 0
		.amdhsa_exception_fp_ieee_inexact 0
		.amdhsa_exception_int_div_zero 0
	.end_amdhsa_kernel
	.section	.text._ZN2at6native29vectorized_elementwise_kernelILi8EZZZNS0_18lgamma_kernel_cudaERNS_18TensorIteratorBaseEENKUlvE_clEvENKUlvE_clEvEUldE_St5arrayIPcLm2EEEEviT0_T1_,"axG",@progbits,_ZN2at6native29vectorized_elementwise_kernelILi8EZZZNS0_18lgamma_kernel_cudaERNS_18TensorIteratorBaseEENKUlvE_clEvENKUlvE_clEvEUldE_St5arrayIPcLm2EEEEviT0_T1_,comdat
.Lfunc_end125:
	.size	_ZN2at6native29vectorized_elementwise_kernelILi8EZZZNS0_18lgamma_kernel_cudaERNS_18TensorIteratorBaseEENKUlvE_clEvENKUlvE_clEvEUldE_St5arrayIPcLm2EEEEviT0_T1_, .Lfunc_end125-_ZN2at6native29vectorized_elementwise_kernelILi8EZZZNS0_18lgamma_kernel_cudaERNS_18TensorIteratorBaseEENKUlvE_clEvENKUlvE_clEvEUldE_St5arrayIPcLm2EEEEviT0_T1_
                                        ; -- End function
	.set _ZN2at6native29vectorized_elementwise_kernelILi8EZZZNS0_18lgamma_kernel_cudaERNS_18TensorIteratorBaseEENKUlvE_clEvENKUlvE_clEvEUldE_St5arrayIPcLm2EEEEviT0_T1_.num_vgpr, max(54, .L_ZN3c104guts5applyIRZZZN2at6native18lgamma_kernel_cudaERNS2_18TensorIteratorBaseEENKUlvE_clEvENKUlvE_clEvEUldE_RSt5tupleIJdEEEEDaOT_OT0_.num_vgpr)
	.set _ZN2at6native29vectorized_elementwise_kernelILi8EZZZNS0_18lgamma_kernel_cudaERNS_18TensorIteratorBaseEENKUlvE_clEvENKUlvE_clEvEUldE_St5arrayIPcLm2EEEEviT0_T1_.num_agpr, max(0, .L_ZN3c104guts5applyIRZZZN2at6native18lgamma_kernel_cudaERNS2_18TensorIteratorBaseEENKUlvE_clEvENKUlvE_clEvEUldE_RSt5tupleIJdEEEEDaOT_OT0_.num_agpr)
	.set _ZN2at6native29vectorized_elementwise_kernelILi8EZZZNS0_18lgamma_kernel_cudaERNS_18TensorIteratorBaseEENKUlvE_clEvENKUlvE_clEvEUldE_St5arrayIPcLm2EEEEviT0_T1_.numbered_sgpr, max(33, .L_ZN3c104guts5applyIRZZZN2at6native18lgamma_kernel_cudaERNS2_18TensorIteratorBaseEENKUlvE_clEvENKUlvE_clEvEUldE_RSt5tupleIJdEEEEDaOT_OT0_.numbered_sgpr)
	.set _ZN2at6native29vectorized_elementwise_kernelILi8EZZZNS0_18lgamma_kernel_cudaERNS_18TensorIteratorBaseEENKUlvE_clEvENKUlvE_clEvEUldE_St5arrayIPcLm2EEEEviT0_T1_.num_named_barrier, max(0, .L_ZN3c104guts5applyIRZZZN2at6native18lgamma_kernel_cudaERNS2_18TensorIteratorBaseEENKUlvE_clEvENKUlvE_clEvEUldE_RSt5tupleIJdEEEEDaOT_OT0_.num_named_barrier)
	.set _ZN2at6native29vectorized_elementwise_kernelILi8EZZZNS0_18lgamma_kernel_cudaERNS_18TensorIteratorBaseEENKUlvE_clEvENKUlvE_clEvEUldE_St5arrayIPcLm2EEEEviT0_T1_.private_seg_size, 0+max(.L_ZN3c104guts5applyIRZZZN2at6native18lgamma_kernel_cudaERNS2_18TensorIteratorBaseEENKUlvE_clEvENKUlvE_clEvEUldE_RSt5tupleIJdEEEEDaOT_OT0_.private_seg_size)
	.set _ZN2at6native29vectorized_elementwise_kernelILi8EZZZNS0_18lgamma_kernel_cudaERNS_18TensorIteratorBaseEENKUlvE_clEvENKUlvE_clEvEUldE_St5arrayIPcLm2EEEEviT0_T1_.uses_vcc, or(1, .L_ZN3c104guts5applyIRZZZN2at6native18lgamma_kernel_cudaERNS2_18TensorIteratorBaseEENKUlvE_clEvENKUlvE_clEvEUldE_RSt5tupleIJdEEEEDaOT_OT0_.uses_vcc)
	.set _ZN2at6native29vectorized_elementwise_kernelILi8EZZZNS0_18lgamma_kernel_cudaERNS_18TensorIteratorBaseEENKUlvE_clEvENKUlvE_clEvEUldE_St5arrayIPcLm2EEEEviT0_T1_.uses_flat_scratch, or(0, .L_ZN3c104guts5applyIRZZZN2at6native18lgamma_kernel_cudaERNS2_18TensorIteratorBaseEENKUlvE_clEvENKUlvE_clEvEUldE_RSt5tupleIJdEEEEDaOT_OT0_.uses_flat_scratch)
	.set _ZN2at6native29vectorized_elementwise_kernelILi8EZZZNS0_18lgamma_kernel_cudaERNS_18TensorIteratorBaseEENKUlvE_clEvENKUlvE_clEvEUldE_St5arrayIPcLm2EEEEviT0_T1_.has_dyn_sized_stack, or(0, .L_ZN3c104guts5applyIRZZZN2at6native18lgamma_kernel_cudaERNS2_18TensorIteratorBaseEENKUlvE_clEvENKUlvE_clEvEUldE_RSt5tupleIJdEEEEDaOT_OT0_.has_dyn_sized_stack)
	.set _ZN2at6native29vectorized_elementwise_kernelILi8EZZZNS0_18lgamma_kernel_cudaERNS_18TensorIteratorBaseEENKUlvE_clEvENKUlvE_clEvEUldE_St5arrayIPcLm2EEEEviT0_T1_.has_recursion, or(0, .L_ZN3c104guts5applyIRZZZN2at6native18lgamma_kernel_cudaERNS2_18TensorIteratorBaseEENKUlvE_clEvENKUlvE_clEvEUldE_RSt5tupleIJdEEEEDaOT_OT0_.has_recursion)
	.set _ZN2at6native29vectorized_elementwise_kernelILi8EZZZNS0_18lgamma_kernel_cudaERNS_18TensorIteratorBaseEENKUlvE_clEvENKUlvE_clEvEUldE_St5arrayIPcLm2EEEEviT0_T1_.has_indirect_call, or(0, .L_ZN3c104guts5applyIRZZZN2at6native18lgamma_kernel_cudaERNS2_18TensorIteratorBaseEENKUlvE_clEvENKUlvE_clEvEUldE_RSt5tupleIJdEEEEDaOT_OT0_.has_indirect_call)
	.section	.AMDGPU.csdata,"",@progbits
; Kernel info:
; codeLenInByte = 1208
; TotalNumSgprs: 35
; NumVgprs: 54
; ScratchSize: 0
; MemoryBound: 0
; FloatMode: 240
; IeeeMode: 1
; LDSByteSize: 0 bytes/workgroup (compile time only)
; SGPRBlocks: 0
; VGPRBlocks: 6
; NumSGPRsForWavesPerEU: 35
; NumVGPRsForWavesPerEU: 54
; Occupancy: 16
; WaveLimiterHint : 0
; COMPUTE_PGM_RSRC2:SCRATCH_EN: 0
; COMPUTE_PGM_RSRC2:USER_SGPR: 6
; COMPUTE_PGM_RSRC2:TRAP_HANDLER: 0
; COMPUTE_PGM_RSRC2:TGID_X_EN: 1
; COMPUTE_PGM_RSRC2:TGID_Y_EN: 0
; COMPUTE_PGM_RSRC2:TGID_Z_EN: 0
; COMPUTE_PGM_RSRC2:TIDIG_COMP_CNT: 0
	.section	.text._ZN2at6native29vectorized_elementwise_kernelILi4EZZZNS0_18lgamma_kernel_cudaERNS_18TensorIteratorBaseEENKUlvE_clEvENKUlvE_clEvEUldE_St5arrayIPcLm2EEEEviT0_T1_,"axG",@progbits,_ZN2at6native29vectorized_elementwise_kernelILi4EZZZNS0_18lgamma_kernel_cudaERNS_18TensorIteratorBaseEENKUlvE_clEvENKUlvE_clEvEUldE_St5arrayIPcLm2EEEEviT0_T1_,comdat
	.globl	_ZN2at6native29vectorized_elementwise_kernelILi4EZZZNS0_18lgamma_kernel_cudaERNS_18TensorIteratorBaseEENKUlvE_clEvENKUlvE_clEvEUldE_St5arrayIPcLm2EEEEviT0_T1_ ; -- Begin function _ZN2at6native29vectorized_elementwise_kernelILi4EZZZNS0_18lgamma_kernel_cudaERNS_18TensorIteratorBaseEENKUlvE_clEvENKUlvE_clEvEUldE_St5arrayIPcLm2EEEEviT0_T1_
	.p2align	8
	.type	_ZN2at6native29vectorized_elementwise_kernelILi4EZZZNS0_18lgamma_kernel_cudaERNS_18TensorIteratorBaseEENKUlvE_clEvENKUlvE_clEvEUldE_St5arrayIPcLm2EEEEviT0_T1_,@function
_ZN2at6native29vectorized_elementwise_kernelILi4EZZZNS0_18lgamma_kernel_cudaERNS_18TensorIteratorBaseEENKUlvE_clEvENKUlvE_clEvEUldE_St5arrayIPcLm2EEEEviT0_T1_: ; @_ZN2at6native29vectorized_elementwise_kernelILi4EZZZNS0_18lgamma_kernel_cudaERNS_18TensorIteratorBaseEENKUlvE_clEvENKUlvE_clEvEUldE_St5arrayIPcLm2EEEEviT0_T1_
; %bb.0:
	s_add_u32 s0, s0, s7
	s_clause 0x1
	s_load_dword s7, s[4:5], 0x0
	s_load_dwordx4 s[20:23], s[4:5], 0x8
	s_addc_u32 s1, s1, 0
	s_lshl_b32 s24, s6, 10
	v_mov_b32_e32 v42, v0
	s_mov_b32 s4, -1
	s_mov_b32 s32, 0
	s_waitcnt lgkmcnt(0)
	s_sub_i32 s19, s7, s24
	s_cmpk_gt_i32 s19, 0x3ff
	s_cbranch_scc0 .LBB126_2
; %bb.1:
	s_ashr_i32 s25, s24, 31
	v_lshlrev_b32_e32 v40, 5, v42
	s_lshl_b64 s[26:27], s[24:25], 3
	s_add_u32 s4, s22, s26
	s_addc_u32 s5, s23, s27
	s_getpc_b64 s[28:29]
	s_add_u32 s28, s28, _ZN3c104guts5applyIRZZZN2at6native18lgamma_kernel_cudaERNS2_18TensorIteratorBaseEENKUlvE_clEvENKUlvE_clEvEUldE_RSt5tupleIJdEEEEDaOT_OT0_@rel32@lo+4
	s_addc_u32 s29, s29, _ZN3c104guts5applyIRZZZN2at6native18lgamma_kernel_cudaERNS2_18TensorIteratorBaseEENKUlvE_clEvENKUlvE_clEvEUldE_RSt5tupleIJdEEEEDaOT_OT0_@rel32@hi+12
	s_clause 0x1
	global_load_dwordx4 v[36:39], v40, s[4:5]
	global_load_dwordx4 v[43:46], v40, s[4:5] offset:16
	s_waitcnt vmcnt(1)
	v_mov_b32_e32 v0, v36
	v_mov_b32_e32 v1, v37
	s_swappc_b64 s[30:31], s[28:29]
	v_mov_b32_e32 v36, v0
	v_mov_b32_e32 v37, v1
	v_mov_b32_e32 v0, v38
	v_mov_b32_e32 v1, v39
	s_swappc_b64 s[30:31], s[28:29]
	v_mov_b32_e32 v38, v0
	v_mov_b32_e32 v39, v1
	;; [unrolled: 5-line block ×4, first 2 shown]
	s_add_u32 s6, s20, s26
	s_addc_u32 s7, s21, s27
	s_mov_b32 s4, 0
	global_store_dwordx4 v40, v[36:39], s[6:7]
	global_store_dwordx4 v40, v[43:46], s[6:7] offset:16
.LBB126_2:
	s_andn2_b32 vcc_lo, exec_lo, s4
	s_cbranch_vccnz .LBB126_23
; %bb.3:
	v_mov_b32_e32 v38, 0
	v_mov_b32_e32 v0, 0
	v_cmp_gt_i32_e64 s18, s19, v42
	v_mov_b32_e32 v39, 0
	v_or_b32_e32 v51, s24, v42
	v_or_b32_e32 v53, 0x100, v42
	v_mov_b32_e32 v1, 0
	v_mov_b32_e32 v2, v42
	s_and_saveexec_b32 s4, s18
	s_cbranch_execz .LBB126_5
; %bb.4:
	v_mov_b32_e32 v52, 0
	v_or_b32_e32 v2, 0x100, v42
	v_lshlrev_b64 v[0:1], 3, v[51:52]
	v_add_co_u32 v0, vcc_lo, s22, v0
	v_add_co_ci_u32_e64 v1, null, s23, v1, vcc_lo
	global_load_dwordx2 v[0:1], v[0:1], off
.LBB126_5:
	s_or_b32 exec_lo, exec_lo, s4
	s_mov_b32 s4, exec_lo
	v_cmpx_gt_i32_e64 s19, v2
	s_cbranch_execz .LBB126_7
; %bb.6:
	v_add_nc_u32_e32 v3, s24, v2
	v_mov_b32_e32 v4, 0
	v_add_nc_u32_e32 v2, 0x100, v2
	v_lshlrev_b64 v[3:4], 3, v[3:4]
	v_add_co_u32 v3, vcc_lo, s22, v3
	v_add_co_ci_u32_e64 v4, null, s23, v4, vcc_lo
	global_load_dwordx2 v[38:39], v[3:4], off
.LBB126_7:
	s_or_b32 exec_lo, exec_lo, s4
	v_mov_b32_e32 v36, 0
	v_mov_b32_e32 v40, 0
	;; [unrolled: 1-line block ×4, first 2 shown]
	s_mov_b32 s4, exec_lo
	v_cmpx_gt_i32_e64 s19, v2
	s_cbranch_execz .LBB126_9
; %bb.8:
	v_add_nc_u32_e32 v3, s24, v2
	v_mov_b32_e32 v4, 0
	v_add_nc_u32_e32 v2, 0x100, v2
	v_lshlrev_b64 v[3:4], 3, v[3:4]
	v_add_co_u32 v3, vcc_lo, s22, v3
	v_add_co_ci_u32_e64 v4, null, s23, v4, vcc_lo
	global_load_dwordx2 v[40:41], v[3:4], off
.LBB126_9:
	s_or_b32 exec_lo, exec_lo, s4
	s_mov_b32 s4, exec_lo
	v_cmpx_gt_i32_e64 s19, v2
	s_cbranch_execz .LBB126_11
; %bb.10:
	v_add_nc_u32_e32 v2, s24, v2
	v_mov_b32_e32 v3, 0
	v_lshlrev_b64 v[2:3], 3, v[2:3]
	v_add_co_u32 v2, vcc_lo, s22, v2
	v_add_co_ci_u32_e64 v3, null, s23, v3, vcc_lo
	global_load_dwordx2 v[36:37], v[2:3], off
.LBB126_11:
	s_or_b32 exec_lo, exec_lo, s4
	v_mov_b32_e32 v43, 0
	v_mov_b32_e32 v44, v43
	;; [unrolled: 1-line block ×8, first 2 shown]
	s_and_saveexec_b32 s22, s18
	s_cbranch_execz .LBB126_13
; %bb.12:
	s_getpc_b64 s[4:5]
	s_add_u32 s4, s4, _ZN3c104guts5applyIRZZZN2at6native18lgamma_kernel_cudaERNS2_18TensorIteratorBaseEENKUlvE_clEvENKUlvE_clEvEUldE_RSt5tupleIJdEEEEDaOT_OT0_@rel32@lo+4
	s_addc_u32 s5, s5, _ZN3c104guts5applyIRZZZN2at6native18lgamma_kernel_cudaERNS2_18TensorIteratorBaseEENKUlvE_clEvENKUlvE_clEvEUldE_RSt5tupleIJdEEEEDaOT_OT0_@rel32@hi+12
	s_swappc_b64 s[30:31], s[4:5]
	v_mov_b32_e32 v7, v43
	v_mov_b32_e32 v2, v43
	;; [unrolled: 1-line block ×14, first 2 shown]
.LBB126_13:
	s_or_b32 exec_lo, exec_lo, s22
	s_mov_b32 s22, exec_lo
	v_cmpx_gt_i32_e64 s19, v53
	s_cbranch_execz .LBB126_15
; %bb.14:
	s_waitcnt vmcnt(0)
	v_mov_b32_e32 v0, v38
	v_mov_b32_e32 v1, v39
	s_getpc_b64 s[4:5]
	s_add_u32 s4, s4, _ZN3c104guts5applyIRZZZN2at6native18lgamma_kernel_cudaERNS2_18TensorIteratorBaseEENKUlvE_clEvENKUlvE_clEvEUldE_RSt5tupleIJdEEEEDaOT_OT0_@rel32@lo+4
	s_addc_u32 s5, s5, _ZN3c104guts5applyIRZZZN2at6native18lgamma_kernel_cudaERNS2_18TensorIteratorBaseEENKUlvE_clEvENKUlvE_clEvEUldE_RSt5tupleIJdEEEEDaOT_OT0_@rel32@hi+12
	s_swappc_b64 s[30:31], s[4:5]
	v_mov_b32_e32 v45, v0
	v_mov_b32_e32 v46, v1
.LBB126_15:
	s_or_b32 exec_lo, exec_lo, s22
	s_waitcnt vmcnt(0)
	v_or_b32_e32 v0, 0x200, v42
	s_mov_b32 s22, exec_lo
	v_cmpx_gt_i32_e64 s19, v0
	s_cbranch_execz .LBB126_17
; %bb.16:
	v_mov_b32_e32 v0, v40
	v_mov_b32_e32 v1, v41
	s_getpc_b64 s[4:5]
	s_add_u32 s4, s4, _ZN3c104guts5applyIRZZZN2at6native18lgamma_kernel_cudaERNS2_18TensorIteratorBaseEENKUlvE_clEvENKUlvE_clEvEUldE_RSt5tupleIJdEEEEDaOT_OT0_@rel32@lo+4
	s_addc_u32 s5, s5, _ZN3c104guts5applyIRZZZN2at6native18lgamma_kernel_cudaERNS2_18TensorIteratorBaseEENKUlvE_clEvENKUlvE_clEvEUldE_RSt5tupleIJdEEEEDaOT_OT0_@rel32@hi+12
	s_swappc_b64 s[30:31], s[4:5]
	v_mov_b32_e32 v47, v0
	v_mov_b32_e32 v48, v1
.LBB126_17:
	s_or_b32 exec_lo, exec_lo, s22
	v_or_b32_e32 v0, 0x300, v42
	s_mov_b32 s22, exec_lo
	v_cmpx_gt_i32_e64 s19, v0
	s_cbranch_execnz .LBB126_24
; %bb.18:
	s_or_b32 exec_lo, exec_lo, s22
	s_and_saveexec_b32 s4, s18
	s_xor_b32 s4, exec_lo, s4
	s_cbranch_execnz .LBB126_25
.LBB126_19:
	s_or_b32 exec_lo, exec_lo, s4
	s_mov_b32 s4, exec_lo
	v_cmpx_gt_i32_e64 s19, v42
	s_cbranch_execnz .LBB126_26
.LBB126_20:
	s_or_b32 exec_lo, exec_lo, s4
	s_mov_b32 s4, exec_lo
	v_cmpx_gt_i32_e64 s19, v42
	s_cbranch_execnz .LBB126_27
.LBB126_21:
	s_or_b32 exec_lo, exec_lo, s4
	s_mov_b32 s4, exec_lo
	v_cmpx_gt_i32_e64 s19, v42
	s_cbranch_execz .LBB126_23
.LBB126_22:
	v_add_nc_u32_e32 v0, s24, v42
	v_mov_b32_e32 v1, 0
	v_lshlrev_b64 v[0:1], 3, v[0:1]
	v_add_co_u32 v0, vcc_lo, s20, v0
	v_add_co_ci_u32_e64 v1, null, s21, v1, vcc_lo
	global_store_dwordx2 v[0:1], v[49:50], off
.LBB126_23:
	s_endpgm
.LBB126_24:
	v_mov_b32_e32 v0, v36
	v_mov_b32_e32 v1, v37
	s_getpc_b64 s[4:5]
	s_add_u32 s4, s4, _ZN3c104guts5applyIRZZZN2at6native18lgamma_kernel_cudaERNS2_18TensorIteratorBaseEENKUlvE_clEvENKUlvE_clEvEUldE_RSt5tupleIJdEEEEDaOT_OT0_@rel32@lo+4
	s_addc_u32 s5, s5, _ZN3c104guts5applyIRZZZN2at6native18lgamma_kernel_cudaERNS2_18TensorIteratorBaseEENKUlvE_clEvENKUlvE_clEvEUldE_RSt5tupleIJdEEEEDaOT_OT0_@rel32@hi+12
	s_swappc_b64 s[30:31], s[4:5]
	v_mov_b32_e32 v49, v0
	v_mov_b32_e32 v50, v1
	s_or_b32 exec_lo, exec_lo, s22
	s_and_saveexec_b32 s4, s18
	s_xor_b32 s4, exec_lo, s4
	s_cbranch_execz .LBB126_19
.LBB126_25:
	v_mov_b32_e32 v52, 0
	v_mov_b32_e32 v42, v53
	v_lshlrev_b64 v[0:1], 3, v[51:52]
	v_add_co_u32 v0, vcc_lo, s20, v0
	v_add_co_ci_u32_e64 v1, null, s21, v1, vcc_lo
	global_store_dwordx2 v[0:1], v[43:44], off
	s_or_b32 exec_lo, exec_lo, s4
	s_mov_b32 s4, exec_lo
	v_cmpx_gt_i32_e64 s19, v42
	s_cbranch_execz .LBB126_20
.LBB126_26:
	v_add_nc_u32_e32 v0, s24, v42
	v_mov_b32_e32 v1, 0
	v_add_nc_u32_e32 v42, 0x100, v42
	v_lshlrev_b64 v[0:1], 3, v[0:1]
	v_add_co_u32 v0, vcc_lo, s20, v0
	v_add_co_ci_u32_e64 v1, null, s21, v1, vcc_lo
	global_store_dwordx2 v[0:1], v[45:46], off
	s_or_b32 exec_lo, exec_lo, s4
	s_mov_b32 s4, exec_lo
	v_cmpx_gt_i32_e64 s19, v42
	s_cbranch_execz .LBB126_21
.LBB126_27:
	v_add_nc_u32_e32 v0, s24, v42
	v_mov_b32_e32 v1, 0
	v_add_nc_u32_e32 v42, 0x100, v42
	v_lshlrev_b64 v[0:1], 3, v[0:1]
	v_add_co_u32 v0, vcc_lo, s20, v0
	v_add_co_ci_u32_e64 v1, null, s21, v1, vcc_lo
	global_store_dwordx2 v[0:1], v[47:48], off
	s_or_b32 exec_lo, exec_lo, s4
	s_mov_b32 s4, exec_lo
	v_cmpx_gt_i32_e64 s19, v42
	s_cbranch_execnz .LBB126_22
	s_branch .LBB126_23
	.section	.rodata,"a",@progbits
	.p2align	6, 0x0
	.amdhsa_kernel _ZN2at6native29vectorized_elementwise_kernelILi4EZZZNS0_18lgamma_kernel_cudaERNS_18TensorIteratorBaseEENKUlvE_clEvENKUlvE_clEvEUldE_St5arrayIPcLm2EEEEviT0_T1_
		.amdhsa_group_segment_fixed_size 0
		.amdhsa_private_segment_fixed_size 0
		.amdhsa_kernarg_size 24
		.amdhsa_user_sgpr_count 6
		.amdhsa_user_sgpr_private_segment_buffer 1
		.amdhsa_user_sgpr_dispatch_ptr 0
		.amdhsa_user_sgpr_queue_ptr 0
		.amdhsa_user_sgpr_kernarg_segment_ptr 1
		.amdhsa_user_sgpr_dispatch_id 0
		.amdhsa_user_sgpr_flat_scratch_init 0
		.amdhsa_user_sgpr_private_segment_size 0
		.amdhsa_wavefront_size32 1
		.amdhsa_uses_dynamic_stack 0
		.amdhsa_system_sgpr_private_segment_wavefront_offset 0
		.amdhsa_system_sgpr_workgroup_id_x 1
		.amdhsa_system_sgpr_workgroup_id_y 0
		.amdhsa_system_sgpr_workgroup_id_z 0
		.amdhsa_system_sgpr_workgroup_info 0
		.amdhsa_system_vgpr_workitem_id 0
		.amdhsa_next_free_vgpr 54
		.amdhsa_next_free_sgpr 33
		.amdhsa_reserve_vcc 1
		.amdhsa_reserve_flat_scratch 0
		.amdhsa_float_round_mode_32 0
		.amdhsa_float_round_mode_16_64 0
		.amdhsa_float_denorm_mode_32 3
		.amdhsa_float_denorm_mode_16_64 3
		.amdhsa_dx10_clamp 1
		.amdhsa_ieee_mode 1
		.amdhsa_fp16_overflow 0
		.amdhsa_workgroup_processor_mode 1
		.amdhsa_memory_ordered 1
		.amdhsa_forward_progress 1
		.amdhsa_shared_vgpr_count 0
		.amdhsa_exception_fp_ieee_invalid_op 0
		.amdhsa_exception_fp_denorm_src 0
		.amdhsa_exception_fp_ieee_div_zero 0
		.amdhsa_exception_fp_ieee_overflow 0
		.amdhsa_exception_fp_ieee_underflow 0
		.amdhsa_exception_fp_ieee_inexact 0
		.amdhsa_exception_int_div_zero 0
	.end_amdhsa_kernel
	.section	.text._ZN2at6native29vectorized_elementwise_kernelILi4EZZZNS0_18lgamma_kernel_cudaERNS_18TensorIteratorBaseEENKUlvE_clEvENKUlvE_clEvEUldE_St5arrayIPcLm2EEEEviT0_T1_,"axG",@progbits,_ZN2at6native29vectorized_elementwise_kernelILi4EZZZNS0_18lgamma_kernel_cudaERNS_18TensorIteratorBaseEENKUlvE_clEvENKUlvE_clEvEUldE_St5arrayIPcLm2EEEEviT0_T1_,comdat
.Lfunc_end126:
	.size	_ZN2at6native29vectorized_elementwise_kernelILi4EZZZNS0_18lgamma_kernel_cudaERNS_18TensorIteratorBaseEENKUlvE_clEvENKUlvE_clEvEUldE_St5arrayIPcLm2EEEEviT0_T1_, .Lfunc_end126-_ZN2at6native29vectorized_elementwise_kernelILi4EZZZNS0_18lgamma_kernel_cudaERNS_18TensorIteratorBaseEENKUlvE_clEvENKUlvE_clEvEUldE_St5arrayIPcLm2EEEEviT0_T1_
                                        ; -- End function
	.set _ZN2at6native29vectorized_elementwise_kernelILi4EZZZNS0_18lgamma_kernel_cudaERNS_18TensorIteratorBaseEENKUlvE_clEvENKUlvE_clEvEUldE_St5arrayIPcLm2EEEEviT0_T1_.num_vgpr, max(54, .L_ZN3c104guts5applyIRZZZN2at6native18lgamma_kernel_cudaERNS2_18TensorIteratorBaseEENKUlvE_clEvENKUlvE_clEvEUldE_RSt5tupleIJdEEEEDaOT_OT0_.num_vgpr)
	.set _ZN2at6native29vectorized_elementwise_kernelILi4EZZZNS0_18lgamma_kernel_cudaERNS_18TensorIteratorBaseEENKUlvE_clEvENKUlvE_clEvEUldE_St5arrayIPcLm2EEEEviT0_T1_.num_agpr, max(0, .L_ZN3c104guts5applyIRZZZN2at6native18lgamma_kernel_cudaERNS2_18TensorIteratorBaseEENKUlvE_clEvENKUlvE_clEvEUldE_RSt5tupleIJdEEEEDaOT_OT0_.num_agpr)
	.set _ZN2at6native29vectorized_elementwise_kernelILi4EZZZNS0_18lgamma_kernel_cudaERNS_18TensorIteratorBaseEENKUlvE_clEvENKUlvE_clEvEUldE_St5arrayIPcLm2EEEEviT0_T1_.numbered_sgpr, max(33, .L_ZN3c104guts5applyIRZZZN2at6native18lgamma_kernel_cudaERNS2_18TensorIteratorBaseEENKUlvE_clEvENKUlvE_clEvEUldE_RSt5tupleIJdEEEEDaOT_OT0_.numbered_sgpr)
	.set _ZN2at6native29vectorized_elementwise_kernelILi4EZZZNS0_18lgamma_kernel_cudaERNS_18TensorIteratorBaseEENKUlvE_clEvENKUlvE_clEvEUldE_St5arrayIPcLm2EEEEviT0_T1_.num_named_barrier, max(0, .L_ZN3c104guts5applyIRZZZN2at6native18lgamma_kernel_cudaERNS2_18TensorIteratorBaseEENKUlvE_clEvENKUlvE_clEvEUldE_RSt5tupleIJdEEEEDaOT_OT0_.num_named_barrier)
	.set _ZN2at6native29vectorized_elementwise_kernelILi4EZZZNS0_18lgamma_kernel_cudaERNS_18TensorIteratorBaseEENKUlvE_clEvENKUlvE_clEvEUldE_St5arrayIPcLm2EEEEviT0_T1_.private_seg_size, 0+max(.L_ZN3c104guts5applyIRZZZN2at6native18lgamma_kernel_cudaERNS2_18TensorIteratorBaseEENKUlvE_clEvENKUlvE_clEvEUldE_RSt5tupleIJdEEEEDaOT_OT0_.private_seg_size)
	.set _ZN2at6native29vectorized_elementwise_kernelILi4EZZZNS0_18lgamma_kernel_cudaERNS_18TensorIteratorBaseEENKUlvE_clEvENKUlvE_clEvEUldE_St5arrayIPcLm2EEEEviT0_T1_.uses_vcc, or(1, .L_ZN3c104guts5applyIRZZZN2at6native18lgamma_kernel_cudaERNS2_18TensorIteratorBaseEENKUlvE_clEvENKUlvE_clEvEUldE_RSt5tupleIJdEEEEDaOT_OT0_.uses_vcc)
	.set _ZN2at6native29vectorized_elementwise_kernelILi4EZZZNS0_18lgamma_kernel_cudaERNS_18TensorIteratorBaseEENKUlvE_clEvENKUlvE_clEvEUldE_St5arrayIPcLm2EEEEviT0_T1_.uses_flat_scratch, or(0, .L_ZN3c104guts5applyIRZZZN2at6native18lgamma_kernel_cudaERNS2_18TensorIteratorBaseEENKUlvE_clEvENKUlvE_clEvEUldE_RSt5tupleIJdEEEEDaOT_OT0_.uses_flat_scratch)
	.set _ZN2at6native29vectorized_elementwise_kernelILi4EZZZNS0_18lgamma_kernel_cudaERNS_18TensorIteratorBaseEENKUlvE_clEvENKUlvE_clEvEUldE_St5arrayIPcLm2EEEEviT0_T1_.has_dyn_sized_stack, or(0, .L_ZN3c104guts5applyIRZZZN2at6native18lgamma_kernel_cudaERNS2_18TensorIteratorBaseEENKUlvE_clEvENKUlvE_clEvEUldE_RSt5tupleIJdEEEEDaOT_OT0_.has_dyn_sized_stack)
	.set _ZN2at6native29vectorized_elementwise_kernelILi4EZZZNS0_18lgamma_kernel_cudaERNS_18TensorIteratorBaseEENKUlvE_clEvENKUlvE_clEvEUldE_St5arrayIPcLm2EEEEviT0_T1_.has_recursion, or(0, .L_ZN3c104guts5applyIRZZZN2at6native18lgamma_kernel_cudaERNS2_18TensorIteratorBaseEENKUlvE_clEvENKUlvE_clEvEUldE_RSt5tupleIJdEEEEDaOT_OT0_.has_recursion)
	.set _ZN2at6native29vectorized_elementwise_kernelILi4EZZZNS0_18lgamma_kernel_cudaERNS_18TensorIteratorBaseEENKUlvE_clEvENKUlvE_clEvEUldE_St5arrayIPcLm2EEEEviT0_T1_.has_indirect_call, or(0, .L_ZN3c104guts5applyIRZZZN2at6native18lgamma_kernel_cudaERNS2_18TensorIteratorBaseEENKUlvE_clEvENKUlvE_clEvEUldE_RSt5tupleIJdEEEEDaOT_OT0_.has_indirect_call)
	.section	.AMDGPU.csdata,"",@progbits
; Kernel info:
; codeLenInByte = 1208
; TotalNumSgprs: 35
; NumVgprs: 54
; ScratchSize: 0
; MemoryBound: 0
; FloatMode: 240
; IeeeMode: 1
; LDSByteSize: 0 bytes/workgroup (compile time only)
; SGPRBlocks: 0
; VGPRBlocks: 6
; NumSGPRsForWavesPerEU: 35
; NumVGPRsForWavesPerEU: 54
; Occupancy: 16
; WaveLimiterHint : 0
; COMPUTE_PGM_RSRC2:SCRATCH_EN: 0
; COMPUTE_PGM_RSRC2:USER_SGPR: 6
; COMPUTE_PGM_RSRC2:TRAP_HANDLER: 0
; COMPUTE_PGM_RSRC2:TGID_X_EN: 1
; COMPUTE_PGM_RSRC2:TGID_Y_EN: 0
; COMPUTE_PGM_RSRC2:TGID_Z_EN: 0
; COMPUTE_PGM_RSRC2:TIDIG_COMP_CNT: 0
	.section	.text._ZN2at6native29vectorized_elementwise_kernelILi2EZZZNS0_18lgamma_kernel_cudaERNS_18TensorIteratorBaseEENKUlvE_clEvENKUlvE_clEvEUldE_St5arrayIPcLm2EEEEviT0_T1_,"axG",@progbits,_ZN2at6native29vectorized_elementwise_kernelILi2EZZZNS0_18lgamma_kernel_cudaERNS_18TensorIteratorBaseEENKUlvE_clEvENKUlvE_clEvEUldE_St5arrayIPcLm2EEEEviT0_T1_,comdat
	.globl	_ZN2at6native29vectorized_elementwise_kernelILi2EZZZNS0_18lgamma_kernel_cudaERNS_18TensorIteratorBaseEENKUlvE_clEvENKUlvE_clEvEUldE_St5arrayIPcLm2EEEEviT0_T1_ ; -- Begin function _ZN2at6native29vectorized_elementwise_kernelILi2EZZZNS0_18lgamma_kernel_cudaERNS_18TensorIteratorBaseEENKUlvE_clEvENKUlvE_clEvEUldE_St5arrayIPcLm2EEEEviT0_T1_
	.p2align	8
	.type	_ZN2at6native29vectorized_elementwise_kernelILi2EZZZNS0_18lgamma_kernel_cudaERNS_18TensorIteratorBaseEENKUlvE_clEvENKUlvE_clEvEUldE_St5arrayIPcLm2EEEEviT0_T1_,@function
_ZN2at6native29vectorized_elementwise_kernelILi2EZZZNS0_18lgamma_kernel_cudaERNS_18TensorIteratorBaseEENKUlvE_clEvENKUlvE_clEvEUldE_St5arrayIPcLm2EEEEviT0_T1_: ; @_ZN2at6native29vectorized_elementwise_kernelILi2EZZZNS0_18lgamma_kernel_cudaERNS_18TensorIteratorBaseEENKUlvE_clEvENKUlvE_clEvEUldE_St5arrayIPcLm2EEEEviT0_T1_
; %bb.0:
	s_add_u32 s0, s0, s7
	s_clause 0x1
	s_load_dword s7, s[4:5], 0x0
	s_load_dwordx4 s[20:23], s[4:5], 0x8
	s_addc_u32 s1, s1, 0
	s_lshl_b32 s24, s6, 10
	v_mov_b32_e32 v42, v0
	s_mov_b32 s18, -1
	s_mov_b32 s32, 0
	s_waitcnt lgkmcnt(0)
	s_sub_i32 s19, s7, s24
	s_cmpk_gt_i32 s19, 0x3ff
	s_cbranch_scc0 .LBB127_2
; %bb.1:
	s_ashr_i32 s25, s24, 31
	v_lshlrev_b32_e32 v40, 4, v42
	s_lshl_b64 s[26:27], s[24:25], 3
	s_mov_b32 s18, 0
	s_add_u32 s4, s22, s26
	s_addc_u32 s5, s23, s27
	v_add_co_u32 v0, s6, s4, v40
	v_add_co_ci_u32_e64 v1, null, s5, 0, s6
	global_load_dwordx4 v[36:39], v40, s[4:5]
	v_add_co_u32 v0, vcc_lo, 0x1000, v0
	v_add_co_ci_u32_e64 v1, null, 0, v1, vcc_lo
	s_getpc_b64 s[28:29]
	s_add_u32 s28, s28, _ZN3c104guts5applyIRZZZN2at6native18lgamma_kernel_cudaERNS2_18TensorIteratorBaseEENKUlvE_clEvENKUlvE_clEvEUldE_RSt5tupleIJdEEEEDaOT_OT0_@rel32@lo+4
	s_addc_u32 s29, s29, _ZN3c104guts5applyIRZZZN2at6native18lgamma_kernel_cudaERNS2_18TensorIteratorBaseEENKUlvE_clEvENKUlvE_clEvEUldE_RSt5tupleIJdEEEEDaOT_OT0_@rel32@hi+12
	global_load_dwordx4 v[43:46], v[0:1], off
	s_waitcnt vmcnt(1)
	v_mov_b32_e32 v0, v36
	v_mov_b32_e32 v1, v37
	s_swappc_b64 s[30:31], s[28:29]
	v_mov_b32_e32 v36, v0
	v_mov_b32_e32 v37, v1
	v_mov_b32_e32 v0, v38
	v_mov_b32_e32 v1, v39
	s_swappc_b64 s[30:31], s[28:29]
	v_mov_b32_e32 v38, v0
	v_mov_b32_e32 v39, v1
	;; [unrolled: 5-line block ×3, first 2 shown]
	v_mov_b32_e32 v0, v45
	v_mov_b32_e32 v1, v46
	s_swappc_b64 s[30:31], s[28:29]
	s_add_u32 s4, s20, s26
	v_mov_b32_e32 v45, v0
	s_addc_u32 s5, s21, s27
	v_add_co_u32 v0, s6, s4, v40
	v_mov_b32_e32 v46, v1
	v_add_co_ci_u32_e64 v1, null, s5, 0, s6
	v_add_co_u32 v0, vcc_lo, 0x1000, v0
	v_add_co_ci_u32_e64 v1, null, 0, v1, vcc_lo
	global_store_dwordx4 v40, v[36:39], s[4:5]
	global_store_dwordx4 v[0:1], v[43:46], off
.LBB127_2:
	s_andn2_b32 vcc_lo, exec_lo, s18
	s_cbranch_vccnz .LBB127_23
; %bb.3:
	v_mov_b32_e32 v38, 0
	v_mov_b32_e32 v0, 0
	v_cmp_gt_i32_e64 s18, s19, v42
	v_mov_b32_e32 v39, 0
	v_or_b32_e32 v51, s24, v42
	v_or_b32_e32 v53, 0x100, v42
	v_mov_b32_e32 v1, 0
	v_mov_b32_e32 v2, v42
	s_and_saveexec_b32 s4, s18
	s_cbranch_execz .LBB127_5
; %bb.4:
	v_mov_b32_e32 v52, 0
	v_or_b32_e32 v2, 0x100, v42
	v_lshlrev_b64 v[0:1], 3, v[51:52]
	v_add_co_u32 v0, vcc_lo, s22, v0
	v_add_co_ci_u32_e64 v1, null, s23, v1, vcc_lo
	global_load_dwordx2 v[0:1], v[0:1], off
.LBB127_5:
	s_or_b32 exec_lo, exec_lo, s4
	s_mov_b32 s4, exec_lo
	v_cmpx_gt_i32_e64 s19, v2
	s_cbranch_execz .LBB127_7
; %bb.6:
	v_add_nc_u32_e32 v3, s24, v2
	v_mov_b32_e32 v4, 0
	v_add_nc_u32_e32 v2, 0x100, v2
	v_lshlrev_b64 v[3:4], 3, v[3:4]
	v_add_co_u32 v3, vcc_lo, s22, v3
	v_add_co_ci_u32_e64 v4, null, s23, v4, vcc_lo
	global_load_dwordx2 v[38:39], v[3:4], off
.LBB127_7:
	s_or_b32 exec_lo, exec_lo, s4
	v_mov_b32_e32 v36, 0
	v_mov_b32_e32 v40, 0
	;; [unrolled: 1-line block ×4, first 2 shown]
	s_mov_b32 s4, exec_lo
	v_cmpx_gt_i32_e64 s19, v2
	s_cbranch_execz .LBB127_9
; %bb.8:
	v_add_nc_u32_e32 v3, s24, v2
	v_mov_b32_e32 v4, 0
	v_add_nc_u32_e32 v2, 0x100, v2
	v_lshlrev_b64 v[3:4], 3, v[3:4]
	v_add_co_u32 v3, vcc_lo, s22, v3
	v_add_co_ci_u32_e64 v4, null, s23, v4, vcc_lo
	global_load_dwordx2 v[40:41], v[3:4], off
.LBB127_9:
	s_or_b32 exec_lo, exec_lo, s4
	s_mov_b32 s4, exec_lo
	v_cmpx_gt_i32_e64 s19, v2
	s_cbranch_execz .LBB127_11
; %bb.10:
	v_add_nc_u32_e32 v2, s24, v2
	v_mov_b32_e32 v3, 0
	v_lshlrev_b64 v[2:3], 3, v[2:3]
	v_add_co_u32 v2, vcc_lo, s22, v2
	v_add_co_ci_u32_e64 v3, null, s23, v3, vcc_lo
	global_load_dwordx2 v[36:37], v[2:3], off
.LBB127_11:
	s_or_b32 exec_lo, exec_lo, s4
	v_mov_b32_e32 v43, 0
	v_mov_b32_e32 v44, v43
	;; [unrolled: 1-line block ×8, first 2 shown]
	s_and_saveexec_b32 s22, s18
	s_cbranch_execz .LBB127_13
; %bb.12:
	s_getpc_b64 s[4:5]
	s_add_u32 s4, s4, _ZN3c104guts5applyIRZZZN2at6native18lgamma_kernel_cudaERNS2_18TensorIteratorBaseEENKUlvE_clEvENKUlvE_clEvEUldE_RSt5tupleIJdEEEEDaOT_OT0_@rel32@lo+4
	s_addc_u32 s5, s5, _ZN3c104guts5applyIRZZZN2at6native18lgamma_kernel_cudaERNS2_18TensorIteratorBaseEENKUlvE_clEvENKUlvE_clEvEUldE_RSt5tupleIJdEEEEDaOT_OT0_@rel32@hi+12
	s_swappc_b64 s[30:31], s[4:5]
	v_mov_b32_e32 v7, v43
	v_mov_b32_e32 v2, v43
	;; [unrolled: 1-line block ×14, first 2 shown]
.LBB127_13:
	s_or_b32 exec_lo, exec_lo, s22
	s_mov_b32 s22, exec_lo
	v_cmpx_gt_i32_e64 s19, v53
	s_cbranch_execz .LBB127_15
; %bb.14:
	s_waitcnt vmcnt(0)
	v_mov_b32_e32 v0, v38
	v_mov_b32_e32 v1, v39
	s_getpc_b64 s[4:5]
	s_add_u32 s4, s4, _ZN3c104guts5applyIRZZZN2at6native18lgamma_kernel_cudaERNS2_18TensorIteratorBaseEENKUlvE_clEvENKUlvE_clEvEUldE_RSt5tupleIJdEEEEDaOT_OT0_@rel32@lo+4
	s_addc_u32 s5, s5, _ZN3c104guts5applyIRZZZN2at6native18lgamma_kernel_cudaERNS2_18TensorIteratorBaseEENKUlvE_clEvENKUlvE_clEvEUldE_RSt5tupleIJdEEEEDaOT_OT0_@rel32@hi+12
	s_swappc_b64 s[30:31], s[4:5]
	v_mov_b32_e32 v45, v0
	v_mov_b32_e32 v46, v1
.LBB127_15:
	s_or_b32 exec_lo, exec_lo, s22
	s_waitcnt vmcnt(0)
	v_or_b32_e32 v0, 0x200, v42
	s_mov_b32 s22, exec_lo
	v_cmpx_gt_i32_e64 s19, v0
	s_cbranch_execz .LBB127_17
; %bb.16:
	v_mov_b32_e32 v0, v40
	v_mov_b32_e32 v1, v41
	s_getpc_b64 s[4:5]
	s_add_u32 s4, s4, _ZN3c104guts5applyIRZZZN2at6native18lgamma_kernel_cudaERNS2_18TensorIteratorBaseEENKUlvE_clEvENKUlvE_clEvEUldE_RSt5tupleIJdEEEEDaOT_OT0_@rel32@lo+4
	s_addc_u32 s5, s5, _ZN3c104guts5applyIRZZZN2at6native18lgamma_kernel_cudaERNS2_18TensorIteratorBaseEENKUlvE_clEvENKUlvE_clEvEUldE_RSt5tupleIJdEEEEDaOT_OT0_@rel32@hi+12
	s_swappc_b64 s[30:31], s[4:5]
	v_mov_b32_e32 v47, v0
	v_mov_b32_e32 v48, v1
.LBB127_17:
	s_or_b32 exec_lo, exec_lo, s22
	v_or_b32_e32 v0, 0x300, v42
	s_mov_b32 s22, exec_lo
	v_cmpx_gt_i32_e64 s19, v0
	s_cbranch_execnz .LBB127_24
; %bb.18:
	s_or_b32 exec_lo, exec_lo, s22
	s_and_saveexec_b32 s4, s18
	s_xor_b32 s4, exec_lo, s4
	s_cbranch_execnz .LBB127_25
.LBB127_19:
	s_or_b32 exec_lo, exec_lo, s4
	s_mov_b32 s4, exec_lo
	v_cmpx_gt_i32_e64 s19, v42
	s_cbranch_execnz .LBB127_26
.LBB127_20:
	s_or_b32 exec_lo, exec_lo, s4
	s_mov_b32 s4, exec_lo
	v_cmpx_gt_i32_e64 s19, v42
	s_cbranch_execnz .LBB127_27
.LBB127_21:
	s_or_b32 exec_lo, exec_lo, s4
	s_mov_b32 s4, exec_lo
	v_cmpx_gt_i32_e64 s19, v42
	s_cbranch_execz .LBB127_23
.LBB127_22:
	v_add_nc_u32_e32 v0, s24, v42
	v_mov_b32_e32 v1, 0
	v_lshlrev_b64 v[0:1], 3, v[0:1]
	v_add_co_u32 v0, vcc_lo, s20, v0
	v_add_co_ci_u32_e64 v1, null, s21, v1, vcc_lo
	global_store_dwordx2 v[0:1], v[49:50], off
.LBB127_23:
	s_endpgm
.LBB127_24:
	v_mov_b32_e32 v0, v36
	v_mov_b32_e32 v1, v37
	s_getpc_b64 s[4:5]
	s_add_u32 s4, s4, _ZN3c104guts5applyIRZZZN2at6native18lgamma_kernel_cudaERNS2_18TensorIteratorBaseEENKUlvE_clEvENKUlvE_clEvEUldE_RSt5tupleIJdEEEEDaOT_OT0_@rel32@lo+4
	s_addc_u32 s5, s5, _ZN3c104guts5applyIRZZZN2at6native18lgamma_kernel_cudaERNS2_18TensorIteratorBaseEENKUlvE_clEvENKUlvE_clEvEUldE_RSt5tupleIJdEEEEDaOT_OT0_@rel32@hi+12
	s_swappc_b64 s[30:31], s[4:5]
	v_mov_b32_e32 v49, v0
	v_mov_b32_e32 v50, v1
	s_or_b32 exec_lo, exec_lo, s22
	s_and_saveexec_b32 s4, s18
	s_xor_b32 s4, exec_lo, s4
	s_cbranch_execz .LBB127_19
.LBB127_25:
	v_mov_b32_e32 v52, 0
	v_mov_b32_e32 v42, v53
	v_lshlrev_b64 v[0:1], 3, v[51:52]
	v_add_co_u32 v0, vcc_lo, s20, v0
	v_add_co_ci_u32_e64 v1, null, s21, v1, vcc_lo
	global_store_dwordx2 v[0:1], v[43:44], off
	s_or_b32 exec_lo, exec_lo, s4
	s_mov_b32 s4, exec_lo
	v_cmpx_gt_i32_e64 s19, v42
	s_cbranch_execz .LBB127_20
.LBB127_26:
	v_add_nc_u32_e32 v0, s24, v42
	v_mov_b32_e32 v1, 0
	v_add_nc_u32_e32 v42, 0x100, v42
	v_lshlrev_b64 v[0:1], 3, v[0:1]
	v_add_co_u32 v0, vcc_lo, s20, v0
	v_add_co_ci_u32_e64 v1, null, s21, v1, vcc_lo
	global_store_dwordx2 v[0:1], v[45:46], off
	s_or_b32 exec_lo, exec_lo, s4
	s_mov_b32 s4, exec_lo
	v_cmpx_gt_i32_e64 s19, v42
	s_cbranch_execz .LBB127_21
.LBB127_27:
	v_add_nc_u32_e32 v0, s24, v42
	v_mov_b32_e32 v1, 0
	v_add_nc_u32_e32 v42, 0x100, v42
	v_lshlrev_b64 v[0:1], 3, v[0:1]
	v_add_co_u32 v0, vcc_lo, s20, v0
	v_add_co_ci_u32_e64 v1, null, s21, v1, vcc_lo
	global_store_dwordx2 v[0:1], v[47:48], off
	s_or_b32 exec_lo, exec_lo, s4
	s_mov_b32 s4, exec_lo
	v_cmpx_gt_i32_e64 s19, v42
	s_cbranch_execnz .LBB127_22
	s_branch .LBB127_23
	.section	.rodata,"a",@progbits
	.p2align	6, 0x0
	.amdhsa_kernel _ZN2at6native29vectorized_elementwise_kernelILi2EZZZNS0_18lgamma_kernel_cudaERNS_18TensorIteratorBaseEENKUlvE_clEvENKUlvE_clEvEUldE_St5arrayIPcLm2EEEEviT0_T1_
		.amdhsa_group_segment_fixed_size 0
		.amdhsa_private_segment_fixed_size 0
		.amdhsa_kernarg_size 24
		.amdhsa_user_sgpr_count 6
		.amdhsa_user_sgpr_private_segment_buffer 1
		.amdhsa_user_sgpr_dispatch_ptr 0
		.amdhsa_user_sgpr_queue_ptr 0
		.amdhsa_user_sgpr_kernarg_segment_ptr 1
		.amdhsa_user_sgpr_dispatch_id 0
		.amdhsa_user_sgpr_flat_scratch_init 0
		.amdhsa_user_sgpr_private_segment_size 0
		.amdhsa_wavefront_size32 1
		.amdhsa_uses_dynamic_stack 0
		.amdhsa_system_sgpr_private_segment_wavefront_offset 0
		.amdhsa_system_sgpr_workgroup_id_x 1
		.amdhsa_system_sgpr_workgroup_id_y 0
		.amdhsa_system_sgpr_workgroup_id_z 0
		.amdhsa_system_sgpr_workgroup_info 0
		.amdhsa_system_vgpr_workitem_id 0
		.amdhsa_next_free_vgpr 54
		.amdhsa_next_free_sgpr 33
		.amdhsa_reserve_vcc 1
		.amdhsa_reserve_flat_scratch 0
		.amdhsa_float_round_mode_32 0
		.amdhsa_float_round_mode_16_64 0
		.amdhsa_float_denorm_mode_32 3
		.amdhsa_float_denorm_mode_16_64 3
		.amdhsa_dx10_clamp 1
		.amdhsa_ieee_mode 1
		.amdhsa_fp16_overflow 0
		.amdhsa_workgroup_processor_mode 1
		.amdhsa_memory_ordered 1
		.amdhsa_forward_progress 1
		.amdhsa_shared_vgpr_count 0
		.amdhsa_exception_fp_ieee_invalid_op 0
		.amdhsa_exception_fp_denorm_src 0
		.amdhsa_exception_fp_ieee_div_zero 0
		.amdhsa_exception_fp_ieee_overflow 0
		.amdhsa_exception_fp_ieee_underflow 0
		.amdhsa_exception_fp_ieee_inexact 0
		.amdhsa_exception_int_div_zero 0
	.end_amdhsa_kernel
	.section	.text._ZN2at6native29vectorized_elementwise_kernelILi2EZZZNS0_18lgamma_kernel_cudaERNS_18TensorIteratorBaseEENKUlvE_clEvENKUlvE_clEvEUldE_St5arrayIPcLm2EEEEviT0_T1_,"axG",@progbits,_ZN2at6native29vectorized_elementwise_kernelILi2EZZZNS0_18lgamma_kernel_cudaERNS_18TensorIteratorBaseEENKUlvE_clEvENKUlvE_clEvEUldE_St5arrayIPcLm2EEEEviT0_T1_,comdat
.Lfunc_end127:
	.size	_ZN2at6native29vectorized_elementwise_kernelILi2EZZZNS0_18lgamma_kernel_cudaERNS_18TensorIteratorBaseEENKUlvE_clEvENKUlvE_clEvEUldE_St5arrayIPcLm2EEEEviT0_T1_, .Lfunc_end127-_ZN2at6native29vectorized_elementwise_kernelILi2EZZZNS0_18lgamma_kernel_cudaERNS_18TensorIteratorBaseEENKUlvE_clEvENKUlvE_clEvEUldE_St5arrayIPcLm2EEEEviT0_T1_
                                        ; -- End function
	.set _ZN2at6native29vectorized_elementwise_kernelILi2EZZZNS0_18lgamma_kernel_cudaERNS_18TensorIteratorBaseEENKUlvE_clEvENKUlvE_clEvEUldE_St5arrayIPcLm2EEEEviT0_T1_.num_vgpr, max(54, .L_ZN3c104guts5applyIRZZZN2at6native18lgamma_kernel_cudaERNS2_18TensorIteratorBaseEENKUlvE_clEvENKUlvE_clEvEUldE_RSt5tupleIJdEEEEDaOT_OT0_.num_vgpr)
	.set _ZN2at6native29vectorized_elementwise_kernelILi2EZZZNS0_18lgamma_kernel_cudaERNS_18TensorIteratorBaseEENKUlvE_clEvENKUlvE_clEvEUldE_St5arrayIPcLm2EEEEviT0_T1_.num_agpr, max(0, .L_ZN3c104guts5applyIRZZZN2at6native18lgamma_kernel_cudaERNS2_18TensorIteratorBaseEENKUlvE_clEvENKUlvE_clEvEUldE_RSt5tupleIJdEEEEDaOT_OT0_.num_agpr)
	.set _ZN2at6native29vectorized_elementwise_kernelILi2EZZZNS0_18lgamma_kernel_cudaERNS_18TensorIteratorBaseEENKUlvE_clEvENKUlvE_clEvEUldE_St5arrayIPcLm2EEEEviT0_T1_.numbered_sgpr, max(33, .L_ZN3c104guts5applyIRZZZN2at6native18lgamma_kernel_cudaERNS2_18TensorIteratorBaseEENKUlvE_clEvENKUlvE_clEvEUldE_RSt5tupleIJdEEEEDaOT_OT0_.numbered_sgpr)
	.set _ZN2at6native29vectorized_elementwise_kernelILi2EZZZNS0_18lgamma_kernel_cudaERNS_18TensorIteratorBaseEENKUlvE_clEvENKUlvE_clEvEUldE_St5arrayIPcLm2EEEEviT0_T1_.num_named_barrier, max(0, .L_ZN3c104guts5applyIRZZZN2at6native18lgamma_kernel_cudaERNS2_18TensorIteratorBaseEENKUlvE_clEvENKUlvE_clEvEUldE_RSt5tupleIJdEEEEDaOT_OT0_.num_named_barrier)
	.set _ZN2at6native29vectorized_elementwise_kernelILi2EZZZNS0_18lgamma_kernel_cudaERNS_18TensorIteratorBaseEENKUlvE_clEvENKUlvE_clEvEUldE_St5arrayIPcLm2EEEEviT0_T1_.private_seg_size, 0+max(.L_ZN3c104guts5applyIRZZZN2at6native18lgamma_kernel_cudaERNS2_18TensorIteratorBaseEENKUlvE_clEvENKUlvE_clEvEUldE_RSt5tupleIJdEEEEDaOT_OT0_.private_seg_size)
	.set _ZN2at6native29vectorized_elementwise_kernelILi2EZZZNS0_18lgamma_kernel_cudaERNS_18TensorIteratorBaseEENKUlvE_clEvENKUlvE_clEvEUldE_St5arrayIPcLm2EEEEviT0_T1_.uses_vcc, or(1, .L_ZN3c104guts5applyIRZZZN2at6native18lgamma_kernel_cudaERNS2_18TensorIteratorBaseEENKUlvE_clEvENKUlvE_clEvEUldE_RSt5tupleIJdEEEEDaOT_OT0_.uses_vcc)
	.set _ZN2at6native29vectorized_elementwise_kernelILi2EZZZNS0_18lgamma_kernel_cudaERNS_18TensorIteratorBaseEENKUlvE_clEvENKUlvE_clEvEUldE_St5arrayIPcLm2EEEEviT0_T1_.uses_flat_scratch, or(0, .L_ZN3c104guts5applyIRZZZN2at6native18lgamma_kernel_cudaERNS2_18TensorIteratorBaseEENKUlvE_clEvENKUlvE_clEvEUldE_RSt5tupleIJdEEEEDaOT_OT0_.uses_flat_scratch)
	.set _ZN2at6native29vectorized_elementwise_kernelILi2EZZZNS0_18lgamma_kernel_cudaERNS_18TensorIteratorBaseEENKUlvE_clEvENKUlvE_clEvEUldE_St5arrayIPcLm2EEEEviT0_T1_.has_dyn_sized_stack, or(0, .L_ZN3c104guts5applyIRZZZN2at6native18lgamma_kernel_cudaERNS2_18TensorIteratorBaseEENKUlvE_clEvENKUlvE_clEvEUldE_RSt5tupleIJdEEEEDaOT_OT0_.has_dyn_sized_stack)
	.set _ZN2at6native29vectorized_elementwise_kernelILi2EZZZNS0_18lgamma_kernel_cudaERNS_18TensorIteratorBaseEENKUlvE_clEvENKUlvE_clEvEUldE_St5arrayIPcLm2EEEEviT0_T1_.has_recursion, or(0, .L_ZN3c104guts5applyIRZZZN2at6native18lgamma_kernel_cudaERNS2_18TensorIteratorBaseEENKUlvE_clEvENKUlvE_clEvEUldE_RSt5tupleIJdEEEEDaOT_OT0_.has_recursion)
	.set _ZN2at6native29vectorized_elementwise_kernelILi2EZZZNS0_18lgamma_kernel_cudaERNS_18TensorIteratorBaseEENKUlvE_clEvENKUlvE_clEvEUldE_St5arrayIPcLm2EEEEviT0_T1_.has_indirect_call, or(0, .L_ZN3c104guts5applyIRZZZN2at6native18lgamma_kernel_cudaERNS2_18TensorIteratorBaseEENKUlvE_clEvENKUlvE_clEvEUldE_RSt5tupleIJdEEEEDaOT_OT0_.has_indirect_call)
	.section	.AMDGPU.csdata,"",@progbits
; Kernel info:
; codeLenInByte = 1276
; TotalNumSgprs: 35
; NumVgprs: 54
; ScratchSize: 0
; MemoryBound: 0
; FloatMode: 240
; IeeeMode: 1
; LDSByteSize: 0 bytes/workgroup (compile time only)
; SGPRBlocks: 0
; VGPRBlocks: 6
; NumSGPRsForWavesPerEU: 35
; NumVGPRsForWavesPerEU: 54
; Occupancy: 16
; WaveLimiterHint : 1
; COMPUTE_PGM_RSRC2:SCRATCH_EN: 0
; COMPUTE_PGM_RSRC2:USER_SGPR: 6
; COMPUTE_PGM_RSRC2:TRAP_HANDLER: 0
; COMPUTE_PGM_RSRC2:TGID_X_EN: 1
; COMPUTE_PGM_RSRC2:TGID_Y_EN: 0
; COMPUTE_PGM_RSRC2:TGID_Z_EN: 0
; COMPUTE_PGM_RSRC2:TIDIG_COMP_CNT: 0
	.section	.text._ZN2at6native27unrolled_elementwise_kernelIZZZNS0_18lgamma_kernel_cudaERNS_18TensorIteratorBaseEENKUlvE_clEvENKUlvE_clEvEUldE_St5arrayIPcLm2EELi4E23TrivialOffsetCalculatorILi1EjESB_NS0_6memory15LoadWithoutCastENSC_16StoreWithoutCastEEEviT_T0_T2_T3_T4_T5_,"axG",@progbits,_ZN2at6native27unrolled_elementwise_kernelIZZZNS0_18lgamma_kernel_cudaERNS_18TensorIteratorBaseEENKUlvE_clEvENKUlvE_clEvEUldE_St5arrayIPcLm2EELi4E23TrivialOffsetCalculatorILi1EjESB_NS0_6memory15LoadWithoutCastENSC_16StoreWithoutCastEEEviT_T0_T2_T3_T4_T5_,comdat
	.globl	_ZN2at6native27unrolled_elementwise_kernelIZZZNS0_18lgamma_kernel_cudaERNS_18TensorIteratorBaseEENKUlvE_clEvENKUlvE_clEvEUldE_St5arrayIPcLm2EELi4E23TrivialOffsetCalculatorILi1EjESB_NS0_6memory15LoadWithoutCastENSC_16StoreWithoutCastEEEviT_T0_T2_T3_T4_T5_ ; -- Begin function _ZN2at6native27unrolled_elementwise_kernelIZZZNS0_18lgamma_kernel_cudaERNS_18TensorIteratorBaseEENKUlvE_clEvENKUlvE_clEvEUldE_St5arrayIPcLm2EELi4E23TrivialOffsetCalculatorILi1EjESB_NS0_6memory15LoadWithoutCastENSC_16StoreWithoutCastEEEviT_T0_T2_T3_T4_T5_
	.p2align	8
	.type	_ZN2at6native27unrolled_elementwise_kernelIZZZNS0_18lgamma_kernel_cudaERNS_18TensorIteratorBaseEENKUlvE_clEvENKUlvE_clEvEUldE_St5arrayIPcLm2EELi4E23TrivialOffsetCalculatorILi1EjESB_NS0_6memory15LoadWithoutCastENSC_16StoreWithoutCastEEEviT_T0_T2_T3_T4_T5_,@function
_ZN2at6native27unrolled_elementwise_kernelIZZZNS0_18lgamma_kernel_cudaERNS_18TensorIteratorBaseEENKUlvE_clEvENKUlvE_clEvEUldE_St5arrayIPcLm2EELi4E23TrivialOffsetCalculatorILi1EjESB_NS0_6memory15LoadWithoutCastENSC_16StoreWithoutCastEEEviT_T0_T2_T3_T4_T5_: ; @_ZN2at6native27unrolled_elementwise_kernelIZZZNS0_18lgamma_kernel_cudaERNS_18TensorIteratorBaseEENKUlvE_clEvENKUlvE_clEvEUldE_St5arrayIPcLm2EELi4E23TrivialOffsetCalculatorILi1EjESB_NS0_6memory15LoadWithoutCastENSC_16StoreWithoutCastEEEviT_T0_T2_T3_T4_T5_
; %bb.0:
	s_add_u32 s0, s0, s7
	s_clause 0x1
	s_load_dword s7, s[4:5], 0x0
	s_load_dwordx4 s[20:23], s[4:5], 0x8
	v_mov_b32_e32 v42, v0
	s_addc_u32 s1, s1, 0
	s_lshl_b32 s19, s6, 10
	v_mov_b32_e32 v36, 0
	v_mov_b32_e32 v0, 0
	;; [unrolled: 1-line block ×4, first 2 shown]
	v_or_b32_e32 v51, s19, v42
	v_or_b32_e32 v53, 0x100, v42
	v_mov_b32_e32 v2, v42
	s_mov_b32 s32, 0
	s_waitcnt lgkmcnt(0)
	s_sub_i32 s24, s7, s19
	v_cmp_gt_i32_e64 s18, s24, v42
	s_and_saveexec_b32 s4, s18
	s_cbranch_execz .LBB128_2
; %bb.1:
	v_mov_b32_e32 v52, 0
	v_or_b32_e32 v2, 0x100, v42
	v_lshlrev_b64 v[0:1], 3, v[51:52]
	v_add_co_u32 v0, vcc_lo, s22, v0
	v_add_co_ci_u32_e64 v1, null, s23, v1, vcc_lo
	global_load_dwordx2 v[0:1], v[0:1], off
.LBB128_2:
	s_or_b32 exec_lo, exec_lo, s4
	s_mov_b32 s4, exec_lo
	v_cmpx_gt_i32_e64 s24, v2
	s_cbranch_execz .LBB128_4
; %bb.3:
	v_add_nc_u32_e32 v3, s19, v2
	v_mov_b32_e32 v4, 0
	v_add_nc_u32_e32 v2, 0x100, v2
	v_lshlrev_b64 v[3:4], 3, v[3:4]
	v_add_co_u32 v3, vcc_lo, s22, v3
	v_add_co_ci_u32_e64 v4, null, s23, v4, vcc_lo
	global_load_dwordx2 v[36:37], v[3:4], off
.LBB128_4:
	s_or_b32 exec_lo, exec_lo, s4
	v_mov_b32_e32 v38, 0
	v_mov_b32_e32 v40, 0
	;; [unrolled: 1-line block ×4, first 2 shown]
	s_mov_b32 s4, exec_lo
	v_cmpx_gt_i32_e64 s24, v2
	s_cbranch_execz .LBB128_6
; %bb.5:
	v_add_nc_u32_e32 v3, s19, v2
	v_mov_b32_e32 v4, 0
	v_add_nc_u32_e32 v2, 0x100, v2
	v_lshlrev_b64 v[3:4], 3, v[3:4]
	v_add_co_u32 v3, vcc_lo, s22, v3
	v_add_co_ci_u32_e64 v4, null, s23, v4, vcc_lo
	global_load_dwordx2 v[40:41], v[3:4], off
.LBB128_6:
	s_or_b32 exec_lo, exec_lo, s4
	s_mov_b32 s4, exec_lo
	v_cmpx_gt_i32_e64 s24, v2
	s_cbranch_execz .LBB128_8
; %bb.7:
	v_add_nc_u32_e32 v2, s19, v2
	v_mov_b32_e32 v3, 0
	v_lshlrev_b64 v[2:3], 3, v[2:3]
	v_add_co_u32 v2, vcc_lo, s22, v2
	v_add_co_ci_u32_e64 v3, null, s23, v3, vcc_lo
	global_load_dwordx2 v[38:39], v[2:3], off
.LBB128_8:
	s_or_b32 exec_lo, exec_lo, s4
	v_mov_b32_e32 v43, 0
	v_mov_b32_e32 v44, v43
	;; [unrolled: 1-line block ×8, first 2 shown]
	s_and_saveexec_b32 s22, s18
	s_cbranch_execz .LBB128_10
; %bb.9:
	s_getpc_b64 s[4:5]
	s_add_u32 s4, s4, _ZN3c104guts5applyIRZZZN2at6native18lgamma_kernel_cudaERNS2_18TensorIteratorBaseEENKUlvE_clEvENKUlvE_clEvEUldE_RSt5tupleIJdEEEEDaOT_OT0_@rel32@lo+4
	s_addc_u32 s5, s5, _ZN3c104guts5applyIRZZZN2at6native18lgamma_kernel_cudaERNS2_18TensorIteratorBaseEENKUlvE_clEvENKUlvE_clEvEUldE_RSt5tupleIJdEEEEDaOT_OT0_@rel32@hi+12
	s_swappc_b64 s[30:31], s[4:5]
	v_mov_b32_e32 v7, v43
	v_mov_b32_e32 v2, v43
	;; [unrolled: 1-line block ×14, first 2 shown]
.LBB128_10:
	s_or_b32 exec_lo, exec_lo, s22
	s_mov_b32 s22, exec_lo
	v_cmpx_gt_i32_e64 s24, v53
	s_cbranch_execz .LBB128_12
; %bb.11:
	s_waitcnt vmcnt(0)
	v_mov_b32_e32 v0, v36
	v_mov_b32_e32 v1, v37
	s_getpc_b64 s[4:5]
	s_add_u32 s4, s4, _ZN3c104guts5applyIRZZZN2at6native18lgamma_kernel_cudaERNS2_18TensorIteratorBaseEENKUlvE_clEvENKUlvE_clEvEUldE_RSt5tupleIJdEEEEDaOT_OT0_@rel32@lo+4
	s_addc_u32 s5, s5, _ZN3c104guts5applyIRZZZN2at6native18lgamma_kernel_cudaERNS2_18TensorIteratorBaseEENKUlvE_clEvENKUlvE_clEvEUldE_RSt5tupleIJdEEEEDaOT_OT0_@rel32@hi+12
	s_swappc_b64 s[30:31], s[4:5]
	v_mov_b32_e32 v45, v0
	v_mov_b32_e32 v46, v1
.LBB128_12:
	s_or_b32 exec_lo, exec_lo, s22
	s_waitcnt vmcnt(0)
	v_or_b32_e32 v0, 0x200, v42
	s_mov_b32 s22, exec_lo
	v_cmpx_gt_i32_e64 s24, v0
	s_cbranch_execz .LBB128_14
; %bb.13:
	v_mov_b32_e32 v0, v40
	v_mov_b32_e32 v1, v41
	s_getpc_b64 s[4:5]
	s_add_u32 s4, s4, _ZN3c104guts5applyIRZZZN2at6native18lgamma_kernel_cudaERNS2_18TensorIteratorBaseEENKUlvE_clEvENKUlvE_clEvEUldE_RSt5tupleIJdEEEEDaOT_OT0_@rel32@lo+4
	s_addc_u32 s5, s5, _ZN3c104guts5applyIRZZZN2at6native18lgamma_kernel_cudaERNS2_18TensorIteratorBaseEENKUlvE_clEvENKUlvE_clEvEUldE_RSt5tupleIJdEEEEDaOT_OT0_@rel32@hi+12
	s_swappc_b64 s[30:31], s[4:5]
	v_mov_b32_e32 v47, v0
	v_mov_b32_e32 v48, v1
.LBB128_14:
	s_or_b32 exec_lo, exec_lo, s22
	v_or_b32_e32 v0, 0x300, v42
	s_mov_b32 s22, exec_lo
	v_cmpx_gt_i32_e64 s24, v0
	s_cbranch_execnz .LBB128_20
; %bb.15:
	s_or_b32 exec_lo, exec_lo, s22
	s_and_saveexec_b32 s4, s18
	s_xor_b32 s4, exec_lo, s4
	s_cbranch_execnz .LBB128_21
.LBB128_16:
	s_or_b32 exec_lo, exec_lo, s4
	s_mov_b32 s4, exec_lo
	v_cmpx_gt_i32_e64 s24, v42
	s_cbranch_execnz .LBB128_22
.LBB128_17:
	s_or_b32 exec_lo, exec_lo, s4
	s_mov_b32 s4, exec_lo
	v_cmpx_gt_i32_e64 s24, v42
	s_cbranch_execnz .LBB128_23
.LBB128_18:
	s_or_b32 exec_lo, exec_lo, s4
	s_mov_b32 s4, exec_lo
	v_cmpx_gt_i32_e64 s24, v42
	s_cbranch_execnz .LBB128_24
.LBB128_19:
	s_endpgm
.LBB128_20:
	v_mov_b32_e32 v0, v38
	v_mov_b32_e32 v1, v39
	s_getpc_b64 s[4:5]
	s_add_u32 s4, s4, _ZN3c104guts5applyIRZZZN2at6native18lgamma_kernel_cudaERNS2_18TensorIteratorBaseEENKUlvE_clEvENKUlvE_clEvEUldE_RSt5tupleIJdEEEEDaOT_OT0_@rel32@lo+4
	s_addc_u32 s5, s5, _ZN3c104guts5applyIRZZZN2at6native18lgamma_kernel_cudaERNS2_18TensorIteratorBaseEENKUlvE_clEvENKUlvE_clEvEUldE_RSt5tupleIJdEEEEDaOT_OT0_@rel32@hi+12
	s_swappc_b64 s[30:31], s[4:5]
	v_mov_b32_e32 v49, v0
	v_mov_b32_e32 v50, v1
	s_or_b32 exec_lo, exec_lo, s22
	s_and_saveexec_b32 s4, s18
	s_xor_b32 s4, exec_lo, s4
	s_cbranch_execz .LBB128_16
.LBB128_21:
	v_mov_b32_e32 v52, 0
	v_mov_b32_e32 v42, v53
	v_lshlrev_b64 v[0:1], 3, v[51:52]
	v_add_co_u32 v0, vcc_lo, s20, v0
	v_add_co_ci_u32_e64 v1, null, s21, v1, vcc_lo
	global_store_dwordx2 v[0:1], v[43:44], off
	s_or_b32 exec_lo, exec_lo, s4
	s_mov_b32 s4, exec_lo
	v_cmpx_gt_i32_e64 s24, v42
	s_cbranch_execz .LBB128_17
.LBB128_22:
	v_add_nc_u32_e32 v0, s19, v42
	v_mov_b32_e32 v1, 0
	v_add_nc_u32_e32 v42, 0x100, v42
	v_lshlrev_b64 v[0:1], 3, v[0:1]
	v_add_co_u32 v0, vcc_lo, s20, v0
	v_add_co_ci_u32_e64 v1, null, s21, v1, vcc_lo
	global_store_dwordx2 v[0:1], v[45:46], off
	s_or_b32 exec_lo, exec_lo, s4
	s_mov_b32 s4, exec_lo
	v_cmpx_gt_i32_e64 s24, v42
	s_cbranch_execz .LBB128_18
.LBB128_23:
	v_add_nc_u32_e32 v0, s19, v42
	v_mov_b32_e32 v1, 0
	v_add_nc_u32_e32 v42, 0x100, v42
	v_lshlrev_b64 v[0:1], 3, v[0:1]
	v_add_co_u32 v0, vcc_lo, s20, v0
	v_add_co_ci_u32_e64 v1, null, s21, v1, vcc_lo
	global_store_dwordx2 v[0:1], v[47:48], off
	s_or_b32 exec_lo, exec_lo, s4
	s_mov_b32 s4, exec_lo
	v_cmpx_gt_i32_e64 s24, v42
	s_cbranch_execz .LBB128_19
.LBB128_24:
	v_add_nc_u32_e32 v0, s19, v42
	v_mov_b32_e32 v1, 0
	v_lshlrev_b64 v[0:1], 3, v[0:1]
	v_add_co_u32 v0, vcc_lo, s20, v0
	v_add_co_ci_u32_e64 v1, null, s21, v1, vcc_lo
	global_store_dwordx2 v[0:1], v[49:50], off
	s_endpgm
	.section	.rodata,"a",@progbits
	.p2align	6, 0x0
	.amdhsa_kernel _ZN2at6native27unrolled_elementwise_kernelIZZZNS0_18lgamma_kernel_cudaERNS_18TensorIteratorBaseEENKUlvE_clEvENKUlvE_clEvEUldE_St5arrayIPcLm2EELi4E23TrivialOffsetCalculatorILi1EjESB_NS0_6memory15LoadWithoutCastENSC_16StoreWithoutCastEEEviT_T0_T2_T3_T4_T5_
		.amdhsa_group_segment_fixed_size 0
		.amdhsa_private_segment_fixed_size 0
		.amdhsa_kernarg_size 28
		.amdhsa_user_sgpr_count 6
		.amdhsa_user_sgpr_private_segment_buffer 1
		.amdhsa_user_sgpr_dispatch_ptr 0
		.amdhsa_user_sgpr_queue_ptr 0
		.amdhsa_user_sgpr_kernarg_segment_ptr 1
		.amdhsa_user_sgpr_dispatch_id 0
		.amdhsa_user_sgpr_flat_scratch_init 0
		.amdhsa_user_sgpr_private_segment_size 0
		.amdhsa_wavefront_size32 1
		.amdhsa_uses_dynamic_stack 0
		.amdhsa_system_sgpr_private_segment_wavefront_offset 0
		.amdhsa_system_sgpr_workgroup_id_x 1
		.amdhsa_system_sgpr_workgroup_id_y 0
		.amdhsa_system_sgpr_workgroup_id_z 0
		.amdhsa_system_sgpr_workgroup_info 0
		.amdhsa_system_vgpr_workitem_id 0
		.amdhsa_next_free_vgpr 54
		.amdhsa_next_free_sgpr 33
		.amdhsa_reserve_vcc 1
		.amdhsa_reserve_flat_scratch 0
		.amdhsa_float_round_mode_32 0
		.amdhsa_float_round_mode_16_64 0
		.amdhsa_float_denorm_mode_32 3
		.amdhsa_float_denorm_mode_16_64 3
		.amdhsa_dx10_clamp 1
		.amdhsa_ieee_mode 1
		.amdhsa_fp16_overflow 0
		.amdhsa_workgroup_processor_mode 1
		.amdhsa_memory_ordered 1
		.amdhsa_forward_progress 1
		.amdhsa_shared_vgpr_count 0
		.amdhsa_exception_fp_ieee_invalid_op 0
		.amdhsa_exception_fp_denorm_src 0
		.amdhsa_exception_fp_ieee_div_zero 0
		.amdhsa_exception_fp_ieee_overflow 0
		.amdhsa_exception_fp_ieee_underflow 0
		.amdhsa_exception_fp_ieee_inexact 0
		.amdhsa_exception_int_div_zero 0
	.end_amdhsa_kernel
	.section	.text._ZN2at6native27unrolled_elementwise_kernelIZZZNS0_18lgamma_kernel_cudaERNS_18TensorIteratorBaseEENKUlvE_clEvENKUlvE_clEvEUldE_St5arrayIPcLm2EELi4E23TrivialOffsetCalculatorILi1EjESB_NS0_6memory15LoadWithoutCastENSC_16StoreWithoutCastEEEviT_T0_T2_T3_T4_T5_,"axG",@progbits,_ZN2at6native27unrolled_elementwise_kernelIZZZNS0_18lgamma_kernel_cudaERNS_18TensorIteratorBaseEENKUlvE_clEvENKUlvE_clEvEUldE_St5arrayIPcLm2EELi4E23TrivialOffsetCalculatorILi1EjESB_NS0_6memory15LoadWithoutCastENSC_16StoreWithoutCastEEEviT_T0_T2_T3_T4_T5_,comdat
.Lfunc_end128:
	.size	_ZN2at6native27unrolled_elementwise_kernelIZZZNS0_18lgamma_kernel_cudaERNS_18TensorIteratorBaseEENKUlvE_clEvENKUlvE_clEvEUldE_St5arrayIPcLm2EELi4E23TrivialOffsetCalculatorILi1EjESB_NS0_6memory15LoadWithoutCastENSC_16StoreWithoutCastEEEviT_T0_T2_T3_T4_T5_, .Lfunc_end128-_ZN2at6native27unrolled_elementwise_kernelIZZZNS0_18lgamma_kernel_cudaERNS_18TensorIteratorBaseEENKUlvE_clEvENKUlvE_clEvEUldE_St5arrayIPcLm2EELi4E23TrivialOffsetCalculatorILi1EjESB_NS0_6memory15LoadWithoutCastENSC_16StoreWithoutCastEEEviT_T0_T2_T3_T4_T5_
                                        ; -- End function
	.set _ZN2at6native27unrolled_elementwise_kernelIZZZNS0_18lgamma_kernel_cudaERNS_18TensorIteratorBaseEENKUlvE_clEvENKUlvE_clEvEUldE_St5arrayIPcLm2EELi4E23TrivialOffsetCalculatorILi1EjESB_NS0_6memory15LoadWithoutCastENSC_16StoreWithoutCastEEEviT_T0_T2_T3_T4_T5_.num_vgpr, max(54, .L_ZN3c104guts5applyIRZZZN2at6native18lgamma_kernel_cudaERNS2_18TensorIteratorBaseEENKUlvE_clEvENKUlvE_clEvEUldE_RSt5tupleIJdEEEEDaOT_OT0_.num_vgpr)
	.set _ZN2at6native27unrolled_elementwise_kernelIZZZNS0_18lgamma_kernel_cudaERNS_18TensorIteratorBaseEENKUlvE_clEvENKUlvE_clEvEUldE_St5arrayIPcLm2EELi4E23TrivialOffsetCalculatorILi1EjESB_NS0_6memory15LoadWithoutCastENSC_16StoreWithoutCastEEEviT_T0_T2_T3_T4_T5_.num_agpr, max(0, .L_ZN3c104guts5applyIRZZZN2at6native18lgamma_kernel_cudaERNS2_18TensorIteratorBaseEENKUlvE_clEvENKUlvE_clEvEUldE_RSt5tupleIJdEEEEDaOT_OT0_.num_agpr)
	.set _ZN2at6native27unrolled_elementwise_kernelIZZZNS0_18lgamma_kernel_cudaERNS_18TensorIteratorBaseEENKUlvE_clEvENKUlvE_clEvEUldE_St5arrayIPcLm2EELi4E23TrivialOffsetCalculatorILi1EjESB_NS0_6memory15LoadWithoutCastENSC_16StoreWithoutCastEEEviT_T0_T2_T3_T4_T5_.numbered_sgpr, max(33, .L_ZN3c104guts5applyIRZZZN2at6native18lgamma_kernel_cudaERNS2_18TensorIteratorBaseEENKUlvE_clEvENKUlvE_clEvEUldE_RSt5tupleIJdEEEEDaOT_OT0_.numbered_sgpr)
	.set _ZN2at6native27unrolled_elementwise_kernelIZZZNS0_18lgamma_kernel_cudaERNS_18TensorIteratorBaseEENKUlvE_clEvENKUlvE_clEvEUldE_St5arrayIPcLm2EELi4E23TrivialOffsetCalculatorILi1EjESB_NS0_6memory15LoadWithoutCastENSC_16StoreWithoutCastEEEviT_T0_T2_T3_T4_T5_.num_named_barrier, max(0, .L_ZN3c104guts5applyIRZZZN2at6native18lgamma_kernel_cudaERNS2_18TensorIteratorBaseEENKUlvE_clEvENKUlvE_clEvEUldE_RSt5tupleIJdEEEEDaOT_OT0_.num_named_barrier)
	.set _ZN2at6native27unrolled_elementwise_kernelIZZZNS0_18lgamma_kernel_cudaERNS_18TensorIteratorBaseEENKUlvE_clEvENKUlvE_clEvEUldE_St5arrayIPcLm2EELi4E23TrivialOffsetCalculatorILi1EjESB_NS0_6memory15LoadWithoutCastENSC_16StoreWithoutCastEEEviT_T0_T2_T3_T4_T5_.private_seg_size, 0+max(.L_ZN3c104guts5applyIRZZZN2at6native18lgamma_kernel_cudaERNS2_18TensorIteratorBaseEENKUlvE_clEvENKUlvE_clEvEUldE_RSt5tupleIJdEEEEDaOT_OT0_.private_seg_size)
	.set _ZN2at6native27unrolled_elementwise_kernelIZZZNS0_18lgamma_kernel_cudaERNS_18TensorIteratorBaseEENKUlvE_clEvENKUlvE_clEvEUldE_St5arrayIPcLm2EELi4E23TrivialOffsetCalculatorILi1EjESB_NS0_6memory15LoadWithoutCastENSC_16StoreWithoutCastEEEviT_T0_T2_T3_T4_T5_.uses_vcc, or(1, .L_ZN3c104guts5applyIRZZZN2at6native18lgamma_kernel_cudaERNS2_18TensorIteratorBaseEENKUlvE_clEvENKUlvE_clEvEUldE_RSt5tupleIJdEEEEDaOT_OT0_.uses_vcc)
	.set _ZN2at6native27unrolled_elementwise_kernelIZZZNS0_18lgamma_kernel_cudaERNS_18TensorIteratorBaseEENKUlvE_clEvENKUlvE_clEvEUldE_St5arrayIPcLm2EELi4E23TrivialOffsetCalculatorILi1EjESB_NS0_6memory15LoadWithoutCastENSC_16StoreWithoutCastEEEviT_T0_T2_T3_T4_T5_.uses_flat_scratch, or(0, .L_ZN3c104guts5applyIRZZZN2at6native18lgamma_kernel_cudaERNS2_18TensorIteratorBaseEENKUlvE_clEvENKUlvE_clEvEUldE_RSt5tupleIJdEEEEDaOT_OT0_.uses_flat_scratch)
	.set _ZN2at6native27unrolled_elementwise_kernelIZZZNS0_18lgamma_kernel_cudaERNS_18TensorIteratorBaseEENKUlvE_clEvENKUlvE_clEvEUldE_St5arrayIPcLm2EELi4E23TrivialOffsetCalculatorILi1EjESB_NS0_6memory15LoadWithoutCastENSC_16StoreWithoutCastEEEviT_T0_T2_T3_T4_T5_.has_dyn_sized_stack, or(0, .L_ZN3c104guts5applyIRZZZN2at6native18lgamma_kernel_cudaERNS2_18TensorIteratorBaseEENKUlvE_clEvENKUlvE_clEvEUldE_RSt5tupleIJdEEEEDaOT_OT0_.has_dyn_sized_stack)
	.set _ZN2at6native27unrolled_elementwise_kernelIZZZNS0_18lgamma_kernel_cudaERNS_18TensorIteratorBaseEENKUlvE_clEvENKUlvE_clEvEUldE_St5arrayIPcLm2EELi4E23TrivialOffsetCalculatorILi1EjESB_NS0_6memory15LoadWithoutCastENSC_16StoreWithoutCastEEEviT_T0_T2_T3_T4_T5_.has_recursion, or(0, .L_ZN3c104guts5applyIRZZZN2at6native18lgamma_kernel_cudaERNS2_18TensorIteratorBaseEENKUlvE_clEvENKUlvE_clEvEUldE_RSt5tupleIJdEEEEDaOT_OT0_.has_recursion)
	.set _ZN2at6native27unrolled_elementwise_kernelIZZZNS0_18lgamma_kernel_cudaERNS_18TensorIteratorBaseEENKUlvE_clEvENKUlvE_clEvEUldE_St5arrayIPcLm2EELi4E23TrivialOffsetCalculatorILi1EjESB_NS0_6memory15LoadWithoutCastENSC_16StoreWithoutCastEEEviT_T0_T2_T3_T4_T5_.has_indirect_call, or(0, .L_ZN3c104guts5applyIRZZZN2at6native18lgamma_kernel_cudaERNS2_18TensorIteratorBaseEENKUlvE_clEvENKUlvE_clEvEUldE_RSt5tupleIJdEEEEDaOT_OT0_.has_indirect_call)
	.section	.AMDGPU.csdata,"",@progbits
; Kernel info:
; codeLenInByte = 1016
; TotalNumSgprs: 35
; NumVgprs: 54
; ScratchSize: 0
; MemoryBound: 0
; FloatMode: 240
; IeeeMode: 1
; LDSByteSize: 0 bytes/workgroup (compile time only)
; SGPRBlocks: 0
; VGPRBlocks: 6
; NumSGPRsForWavesPerEU: 35
; NumVGPRsForWavesPerEU: 54
; Occupancy: 16
; WaveLimiterHint : 0
; COMPUTE_PGM_RSRC2:SCRATCH_EN: 0
; COMPUTE_PGM_RSRC2:USER_SGPR: 6
; COMPUTE_PGM_RSRC2:TRAP_HANDLER: 0
; COMPUTE_PGM_RSRC2:TGID_X_EN: 1
; COMPUTE_PGM_RSRC2:TGID_Y_EN: 0
; COMPUTE_PGM_RSRC2:TGID_Z_EN: 0
; COMPUTE_PGM_RSRC2:TIDIG_COMP_CNT: 0
	.text
	.p2align	2                               ; -- Begin function _ZN2at6native6invokeIZZZNS0_18lgamma_kernel_cudaERNS_18TensorIteratorBaseEENKUlvE_clEvENKUlvE_clEvEUldE_j15function_traitsIS6_EEENT1_11result_typeERKT_PrKPcPKT0_i
	.type	_ZN2at6native6invokeIZZZNS0_18lgamma_kernel_cudaERNS_18TensorIteratorBaseEENKUlvE_clEvENKUlvE_clEvEUldE_j15function_traitsIS6_EEENT1_11result_typeERKT_PrKPcPKT0_i,@function
_ZN2at6native6invokeIZZZNS0_18lgamma_kernel_cudaERNS_18TensorIteratorBaseEENKUlvE_clEvENKUlvE_clEvEUldE_j15function_traitsIS6_EEENT1_11result_typeERKT_PrKPcPKT0_i: ; @_ZN2at6native6invokeIZZZNS0_18lgamma_kernel_cudaERNS_18TensorIteratorBaseEENKUlvE_clEvENKUlvE_clEvEUldE_j15function_traitsIS6_EEENT1_11result_typeERKT_PrKPcPKT0_i
; %bb.0:
	s_waitcnt vmcnt(0) expcnt(0) lgkmcnt(0)
	v_add_co_u32 v0, vcc_lo, v0, v2
	v_add_co_ci_u32_e64 v1, null, 0, v1, vcc_lo
                                        ; implicit-def: $vgpr4_vgpr5
	s_mov_b32 s4, exec_lo
	flat_load_dwordx2 v[0:1], v[0:1]
	s_waitcnt vmcnt(0) lgkmcnt(0)
	v_and_b32_e32 v3, 0x7fffffff, v1
	v_mov_b32_e32 v2, v0
	v_cmpx_lt_u32_e32 0x3f6fffff, v3
	s_xor_b32 s7, exec_lo, s4
	s_cbranch_execz .LBB129_26
; %bb.1:
                                        ; implicit-def: $vgpr4_vgpr5
	s_mov_b32 s4, exec_lo
	v_cmpx_lt_u32_e32 0x3fffffff, v3
	s_xor_b32 s5, exec_lo, s4
	s_cbranch_execz .LBB129_11
; %bb.2:
                                        ; implicit-def: $vgpr4_vgpr5
	s_mov_b32 s4, exec_lo
	;; [unrolled: 6-line block ×3, first 2 shown]
	v_cmpx_lt_u32_e32 0x438fffff, v3
	s_xor_b32 s8, exec_lo, s4
	s_cbranch_execz .LBB129_5
; %bb.4:
	v_frexp_mant_f64_e64 v[4:5], |v[0:1]|
	s_mov_b32 s11, 0x3fe55555
	s_mov_b32 s10, 0x55555555
	;; [unrolled: 1-line block ×6, first 2 shown]
	v_cmp_neq_f64_e64 s4, 0, v[0:1]
	v_cmp_gt_f64_e32 vcc_lo, s[10:11], v[4:5]
	s_mov_b32 s10, 0x55555780
	v_cndmask_b32_e64 v2, 0, 1, vcc_lo
	v_ldexp_f64 v[4:5], v[4:5], v2
	v_frexp_exp_i32_f64_e32 v2, v[0:1]
	v_add_f64 v[6:7], v[4:5], 1.0
	v_add_f64 v[12:13], v[4:5], -1.0
	v_subrev_co_ci_u32_e64 v2, null, 0, v2, vcc_lo
	v_cmp_neq_f64_e64 vcc_lo, 0x7ff00000, |v[0:1]|
	v_rcp_f64_e32 v[8:9], v[6:7]
	v_add_f64 v[14:15], v[6:7], -1.0
	v_add_f64 v[4:5], v[4:5], -v[14:15]
	v_fma_f64 v[10:11], -v[6:7], v[8:9], 1.0
	v_fma_f64 v[8:9], v[10:11], v[8:9], v[8:9]
	v_fma_f64 v[10:11], -v[6:7], v[8:9], 1.0
	v_fma_f64 v[8:9], v[10:11], v[8:9], v[8:9]
	v_mul_f64 v[10:11], v[12:13], v[8:9]
	v_mul_f64 v[16:17], v[6:7], v[10:11]
	v_fma_f64 v[6:7], v[10:11], v[6:7], -v[16:17]
	v_fma_f64 v[4:5], v[10:11], v[4:5], v[6:7]
	v_add_f64 v[6:7], v[16:17], v[4:5]
	v_add_f64 v[14:15], v[12:13], -v[6:7]
	v_add_f64 v[16:17], v[6:7], -v[16:17]
	v_add_f64 v[12:13], v[12:13], -v[14:15]
	v_add_f64 v[4:5], v[16:17], -v[4:5]
	v_add_f64 v[6:7], v[12:13], -v[6:7]
	v_add_f64 v[4:5], v[4:5], v[6:7]
	v_add_f64 v[4:5], v[14:15], v[4:5]
	v_mul_f64 v[4:5], v[8:9], v[4:5]
	v_add_f64 v[6:7], v[10:11], v[4:5]
	v_mul_f64 v[8:9], v[6:7], v[6:7]
	v_fma_f64 v[12:13], v[8:9], s[14:15], s[12:13]
	s_mov_b32 s12, 0xd7f4df2e
	s_mov_b32 s13, 0x3fc7474d
	v_mul_f64 v[14:15], v[6:7], v[8:9]
	v_fma_f64 v[12:13], v[8:9], v[12:13], s[12:13]
	s_mov_b32 s12, 0x16291751
	s_mov_b32 s13, 0x3fcc71c0
	v_fma_f64 v[12:13], v[8:9], v[12:13], s[12:13]
	s_mov_b32 s12, 0x9b27acf1
	s_mov_b32 s13, 0x3fd24924
	;; [unrolled: 3-line block ×3, first 2 shown]
	v_fma_f64 v[12:13], v[8:9], v[12:13], s[12:13]
	v_fma_f64 v[8:9], v[8:9], v[12:13], s[10:11]
	v_ldexp_f64 v[12:13], v[6:7], 1
	v_add_f64 v[6:7], v[6:7], -v[10:11]
	s_mov_b32 s10, 0xfefa39ef
	s_mov_b32 s11, 0x3fe62e42
	v_mul_f64 v[8:9], v[14:15], v[8:9]
	v_cvt_f64_i32_e32 v[14:15], v2
	v_add_f64 v[4:5], v[4:5], -v[6:7]
	v_add_f64 v[10:11], v[12:13], v[8:9]
	v_mul_f64 v[16:17], v[14:15], s[10:11]
	v_ldexp_f64 v[4:5], v[4:5], 1
	v_add_f64 v[6:7], v[10:11], -v[12:13]
	v_fma_f64 v[12:13], v[14:15], s[10:11], -v[16:17]
	s_mov_b32 s10, 0x3b39803f
	s_mov_b32 s11, 0x3c7abc9e
	v_add_f64 v[6:7], v[8:9], -v[6:7]
	v_fma_f64 v[8:9], v[14:15], s[10:11], v[12:13]
	v_add_f64 v[4:5], v[4:5], v[6:7]
	v_add_f64 v[6:7], v[16:17], v[8:9]
	;; [unrolled: 1-line block ×3, first 2 shown]
	v_add_f64 v[16:17], v[6:7], -v[16:17]
	v_add_f64 v[14:15], v[6:7], v[12:13]
	v_add_f64 v[10:11], v[12:13], -v[10:11]
	v_add_f64 v[8:9], v[8:9], -v[16:17]
	;; [unrolled: 1-line block ×6, first 2 shown]
	v_add_f64 v[12:13], v[8:9], v[4:5]
	v_add_f64 v[6:7], v[6:7], -v[20:21]
	v_add_f64 v[6:7], v[10:11], v[6:7]
	v_add_f64 v[10:11], v[12:13], -v[8:9]
	;; [unrolled: 2-line block ×3, first 2 shown]
	v_add_f64 v[4:5], v[4:5], -v[10:11]
	v_add_f64 v[16:17], v[14:15], v[6:7]
	v_add_f64 v[8:9], v[8:9], -v[12:13]
	v_add_f64 v[10:11], v[16:17], -v[14:15]
	v_add_f64 v[4:5], v[4:5], v[8:9]
	v_add_f64 v[6:7], v[6:7], -v[10:11]
	v_add_f64 v[4:5], v[4:5], v[6:7]
	v_add_f64 v[4:5], v[16:17], v[4:5]
	v_cndmask_b32_e32 v2, 0x7ff00000, v5, vcc_lo
	s_and_b32 vcc_lo, s4, vcc_lo
	v_cndmask_b32_e32 v4, 0, v4, vcc_lo
	v_cndmask_b32_e64 v5, 0xfff00000, v2, s4
	v_fma_f64 v[4:5], |v[0:1]|, v[4:5], -|v[0:1]|
.LBB129_5:
	s_andn2_saveexec_b32 s8, s8
	s_cbranch_execz .LBB129_7
; %bb.6:
	v_frexp_mant_f64_e64 v[4:5], |v[0:1]|
	s_mov_b32 s11, 0x3fe55555
	s_mov_b32 s10, 0x55555555
	;; [unrolled: 1-line block ×6, first 2 shown]
	v_cmp_neq_f64_e64 s4, 0, v[0:1]
	v_cmp_gt_f64_e32 vcc_lo, s[10:11], v[4:5]
	s_mov_b32 s10, 0x55555780
	v_cndmask_b32_e64 v2, 0, 1, vcc_lo
	v_ldexp_f64 v[4:5], v[4:5], v2
	v_frexp_exp_i32_f64_e32 v2, v[0:1]
	v_add_f64 v[6:7], v[4:5], 1.0
	v_add_f64 v[12:13], v[4:5], -1.0
	v_subrev_co_ci_u32_e64 v2, null, 0, v2, vcc_lo
	v_rcp_f64_e32 v[8:9], v[6:7]
	v_add_f64 v[14:15], v[6:7], -1.0
	v_add_f64 v[4:5], v[4:5], -v[14:15]
	v_fma_f64 v[10:11], -v[6:7], v[8:9], 1.0
	v_fma_f64 v[8:9], v[10:11], v[8:9], v[8:9]
	v_fma_f64 v[10:11], -v[6:7], v[8:9], 1.0
	v_fma_f64 v[8:9], v[10:11], v[8:9], v[8:9]
	v_mul_f64 v[10:11], v[12:13], v[8:9]
	v_mul_f64 v[16:17], v[6:7], v[10:11]
	v_fma_f64 v[6:7], v[10:11], v[6:7], -v[16:17]
	v_fma_f64 v[4:5], v[10:11], v[4:5], v[6:7]
	v_add_f64 v[6:7], v[16:17], v[4:5]
	v_add_f64 v[14:15], v[12:13], -v[6:7]
	v_add_f64 v[16:17], v[6:7], -v[16:17]
	v_add_f64 v[12:13], v[12:13], -v[14:15]
	v_add_f64 v[4:5], v[16:17], -v[4:5]
	v_add_f64 v[6:7], v[12:13], -v[6:7]
	v_add_f64 v[4:5], v[4:5], v[6:7]
	v_add_f64 v[4:5], v[14:15], v[4:5]
	v_mul_f64 v[4:5], v[8:9], v[4:5]
	v_add_f64 v[6:7], v[10:11], v[4:5]
	v_mul_f64 v[8:9], v[6:7], v[6:7]
	v_fma_f64 v[12:13], v[8:9], s[14:15], s[12:13]
	s_mov_b32 s12, 0xd7f4df2e
	s_mov_b32 s13, 0x3fc7474d
	v_mul_f64 v[14:15], v[6:7], v[8:9]
	v_fma_f64 v[12:13], v[8:9], v[12:13], s[12:13]
	s_mov_b32 s12, 0x16291751
	s_mov_b32 s13, 0x3fcc71c0
	v_fma_f64 v[12:13], v[8:9], v[12:13], s[12:13]
	s_mov_b32 s12, 0x9b27acf1
	s_mov_b32 s13, 0x3fd24924
	;; [unrolled: 3-line block ×4, first 2 shown]
	v_fma_f64 v[8:9], v[8:9], v[12:13], s[10:11]
	v_ldexp_f64 v[12:13], v[6:7], 1
	v_add_f64 v[6:7], v[6:7], -v[10:11]
	s_mov_b32 s10, 0xfefa39ef
	s_mov_b32 s11, 0x3fe62e42
	v_mul_f64 v[8:9], v[14:15], v[8:9]
	v_cvt_f64_i32_e32 v[14:15], v2
	v_mov_b32_e32 v2, v0
	v_add_f64 v[4:5], v[4:5], -v[6:7]
	v_div_scale_f64 v[26:27], vcc_lo, 1.0, v[2:3], 1.0
	v_add_f64 v[10:11], v[12:13], v[8:9]
	v_mul_f64 v[16:17], v[14:15], s[10:11]
	v_ldexp_f64 v[4:5], v[4:5], 1
	v_add_f64 v[6:7], v[10:11], -v[12:13]
	v_div_scale_f64 v[12:13], null, v[2:3], v[2:3], 1.0
	v_fma_f64 v[18:19], v[14:15], s[10:11], -v[16:17]
	s_mov_b32 s10, 0x3b39803f
	s_mov_b32 s11, 0x3c7abc9e
	v_add_f64 v[6:7], v[8:9], -v[6:7]
	v_rcp_f64_e32 v[8:9], v[12:13]
	v_fma_f64 v[14:15], v[14:15], s[10:11], v[18:19]
	s_mov_b32 s10, 0x4cdad5d1
	s_mov_b32 s11, 0x3f4b67ba
	v_add_f64 v[4:5], v[4:5], v[6:7]
	v_add_f64 v[18:19], v[16:17], v[14:15]
	v_fma_f64 v[6:7], -v[12:13], v[8:9], 1.0
	v_add_f64 v[20:21], v[10:11], v[4:5]
	v_add_f64 v[16:17], v[18:19], -v[16:17]
	v_fma_f64 v[6:7], v[8:9], v[6:7], v[8:9]
	v_add_f64 v[8:9], v[18:19], v[20:21]
	v_add_f64 v[10:11], v[20:21], -v[10:11]
	v_add_f64 v[14:15], v[14:15], -v[16:17]
	v_fma_f64 v[22:23], -v[12:13], v[6:7], 1.0
	v_add_f64 v[24:25], v[8:9], -v[18:19]
	v_add_f64 v[4:5], v[4:5], -v[10:11]
	v_fma_f64 v[6:7], v[6:7], v[22:23], v[6:7]
	v_add_f64 v[22:23], v[8:9], -v[24:25]
	v_add_f64 v[10:11], v[20:21], -v[24:25]
	v_mul_f64 v[28:29], v[26:27], v[6:7]
	v_add_f64 v[16:17], v[18:19], -v[22:23]
	v_add_f64 v[18:19], v[14:15], v[4:5]
	v_fma_f64 v[12:13], -v[12:13], v[28:29], v[26:27]
	v_add_f64 v[10:11], v[10:11], v[16:17]
	v_div_fmas_f64 v[6:7], v[12:13], v[6:7], v[28:29]
	v_add_f64 v[12:13], v[18:19], -v[14:15]
	v_cmp_neq_f64_e64 vcc_lo, 0x7ff00000, |v[0:1]|
	v_add_f64 v[10:11], v[18:19], v[10:11]
	v_div_fixup_f64 v[6:7], v[6:7], |v[0:1]|, 1.0
	v_add_f64 v[16:17], v[18:19], -v[12:13]
	v_add_f64 v[4:5], v[4:5], -v[12:13]
	v_add_f64 v[18:19], v[8:9], v[10:11]
	v_mul_f64 v[20:21], v[6:7], v[6:7]
	v_add_f64 v[12:13], v[14:15], -v[16:17]
	v_add_f64 v[8:9], v[18:19], -v[8:9]
	v_fma_f64 v[14:15], v[20:21], s[12:13], s[10:11]
	s_mov_b32 s10, 0x8c0fe741
	s_mov_b32 s11, 0xbf4380cb
	v_add_f64 v[4:5], v[4:5], v[12:13]
	v_add_f64 v[8:9], v[10:11], -v[8:9]
	v_fma_f64 v[10:11], v[20:21], v[14:15], s[10:11]
	s_mov_b32 s10, 0x98cf38b6
	s_mov_b32 s11, 0x3f4a019f
	v_add_f64 v[4:5], v[4:5], v[8:9]
	v_fma_f64 v[8:9], v[20:21], v[10:11], s[10:11]
	s_mov_b32 s10, 0x16b02e5c
	s_mov_b32 s11, 0xbf66c16c
	v_add_f64 v[10:11], |v[0:1]|, -0.5
	v_add_f64 v[4:5], v[18:19], v[4:5]
	v_fma_f64 v[8:9], v[20:21], v[8:9], s[10:11]
	s_mov_b32 s10, 0x5555553b
	s_mov_b32 s11, 0x3fb55555
	v_add_f64 v[4:5], v[4:5], -1.0
	v_fma_f64 v[8:9], v[20:21], v[8:9], s[10:11]
	s_mov_b32 s10, 0x90c97d69
	s_mov_b32 s11, 0x3fdacfe3
	v_cndmask_b32_e32 v2, 0x7ff00000, v5, vcc_lo
	s_and_b32 vcc_lo, s4, vcc_lo
	v_fma_f64 v[5:6], v[6:7], v[8:9], s[10:11]
	v_cndmask_b32_e64 v8, 0xfff00000, v2, s4
	v_cndmask_b32_e32 v7, 0, v4, vcc_lo
	v_fma_f64 v[4:5], v[10:11], v[7:8], v[5:6]
.LBB129_7:
	s_or_b32 exec_lo, exec_lo, s8
.LBB129_8:
	s_andn2_saveexec_b32 s6, s6
	s_cbranch_execz .LBB129_10
; %bb.9:
	v_cvt_i32_f64_e32 v2, v[2:3]
	s_mov_b32 s9, 0x3fe55555
	s_mov_b32 s8, 0x55555555
	;; [unrolled: 1-line block ×6, first 2 shown]
	v_cvt_f64_i32_e32 v[4:5], v2
	v_cmp_lt_i32_e32 vcc_lo, 2, v2
	v_cmp_lt_i32_e64 s4, 3, v2
	v_add_f64 v[4:5], |v[0:1]|, -v[4:5]
	v_add_f64 v[6:7], v[4:5], 2.0
	v_add_f64 v[8:9], 0x40080000, v[4:5]
	v_add_f64 v[10:11], v[4:5], 4.0
	v_cndmask_b32_e32 v7, 0x3ff00000, v7, vcc_lo
	v_cndmask_b32_e32 v6, 0, v6, vcc_lo
	v_cndmask_b32_e64 v9, 0x3ff00000, v9, s4
	v_cndmask_b32_e64 v8, 0, v8, s4
	v_cmp_lt_i32_e32 vcc_lo, 4, v2
	v_mul_f64 v[6:7], v[6:7], v[8:9]
	v_add_f64 v[8:9], 0x40140000, v[4:5]
	v_cndmask_b32_e32 v11, 0x3ff00000, v11, vcc_lo
	v_cndmask_b32_e32 v10, 0, v10, vcc_lo
	v_cmp_lt_i32_e32 vcc_lo, 5, v2
	v_mul_f64 v[6:7], v[10:11], v[6:7]
	v_add_f64 v[10:11], 0x40180000, v[4:5]
	v_cndmask_b32_e32 v9, 0x3ff00000, v9, vcc_lo
	v_cndmask_b32_e32 v8, 0, v8, vcc_lo
	v_cmp_lt_i32_e32 vcc_lo, 6, v2
	v_mul_f64 v[6:7], v[8:9], v[6:7]
	v_cndmask_b32_e32 v9, 0x3ff00000, v11, vcc_lo
	v_cndmask_b32_e32 v8, 0, v10, vcc_lo
	v_mul_f64 v[6:7], v[8:9], v[6:7]
	v_frexp_mant_f64_e32 v[8:9], v[6:7]
	v_cmp_gt_f64_e32 vcc_lo, s[8:9], v[8:9]
	s_mov_b32 s8, 0x55555780
	v_cndmask_b32_e64 v2, 0, 1, vcc_lo
	v_ldexp_f64 v[8:9], v[8:9], v2
	v_frexp_exp_i32_f64_e32 v2, v[6:7]
	v_add_f64 v[10:11], v[8:9], 1.0
	v_add_f64 v[16:17], v[8:9], -1.0
	v_subrev_co_ci_u32_e64 v2, null, 0, v2, vcc_lo
	v_cvt_f64_i32_e32 v[22:23], v2
	v_rcp_f64_e32 v[12:13], v[10:11]
	v_add_f64 v[18:19], v[10:11], -1.0
	v_add_f64 v[8:9], v[8:9], -v[18:19]
	v_fma_f64 v[14:15], -v[10:11], v[12:13], 1.0
	v_fma_f64 v[12:13], v[14:15], v[12:13], v[12:13]
	v_fma_f64 v[14:15], -v[10:11], v[12:13], 1.0
	v_fma_f64 v[12:13], v[14:15], v[12:13], v[12:13]
	v_mul_f64 v[14:15], v[16:17], v[12:13]
	v_mul_f64 v[20:21], v[10:11], v[14:15]
	v_fma_f64 v[10:11], v[14:15], v[10:11], -v[20:21]
	v_fma_f64 v[8:9], v[14:15], v[8:9], v[10:11]
	v_add_f64 v[10:11], v[20:21], v[8:9]
	v_add_f64 v[18:19], v[16:17], -v[10:11]
	v_add_f64 v[20:21], v[10:11], -v[20:21]
	;; [unrolled: 1-line block ×5, first 2 shown]
	v_add_f64 v[8:9], v[8:9], v[10:11]
	v_add_f64 v[8:9], v[18:19], v[8:9]
	v_mul_f64 v[8:9], v[12:13], v[8:9]
	v_add_f64 v[10:11], v[14:15], v[8:9]
	v_mul_f64 v[12:13], v[10:11], v[10:11]
	v_ldexp_f64 v[20:21], v[10:11], 1
	v_fma_f64 v[16:17], v[12:13], s[12:13], s[10:11]
	s_mov_b32 s10, 0xd7f4df2e
	s_mov_b32 s11, 0x3fc7474d
	v_mul_f64 v[18:19], v[10:11], v[12:13]
	s_mov_b32 s12, 0xa5b38140
	s_mov_b32 s13, 0x3edebaf7
	v_add_f64 v[10:11], v[10:11], -v[14:15]
	v_fma_f64 v[16:17], v[12:13], v[16:17], s[10:11]
	s_mov_b32 s10, 0x16291751
	s_mov_b32 s11, 0x3fcc71c0
	v_add_f64 v[8:9], v[8:9], -v[10:11]
	v_fma_f64 v[16:17], v[12:13], v[16:17], s[10:11]
	s_mov_b32 s10, 0x9b27acf1
	s_mov_b32 s11, 0x3fd24924
	v_ldexp_f64 v[8:9], v[8:9], 1
	v_fma_f64 v[16:17], v[12:13], v[16:17], s[10:11]
	s_mov_b32 s10, 0x998ef7b6
	s_mov_b32 s11, 0x3fd99999
	v_fma_f64 v[16:17], v[12:13], v[16:17], s[10:11]
	s_mov_b32 s10, 0xdd17e945
	s_mov_b32 s11, 0x3f00bfec
	;; [unrolled: 3-line block ×4, first 2 shown]
	s_mov_b32 s10, 0xca41a95b
	s_mov_b32 s11, 0x3f497dda
	v_mul_f64 v[12:13], v[18:19], v[12:13]
	v_fma_f64 v[18:19], v[4:5], s[12:13], s[10:11]
	s_mov_b32 s10, 0x742ed475
	s_mov_b32 s11, 0x3f9317ea
	v_fma_f64 v[16:17], v[4:5], v[16:17], s[8:9]
	s_mov_b32 s8, 0xbee5f2f7
	s_mov_b32 s9, 0x3fc2bb9c
	s_mov_b32 s12, 0xccfbdf27
	s_mov_b32 s13, 0x3fc601ed
	v_add_f64 v[14:15], v[20:21], v[12:13]
	v_fma_f64 v[18:19], v[4:5], v[18:19], s[10:11]
	s_mov_b32 s10, 0x4f139f59
	s_mov_b32 s11, 0x3fd4d98f
	v_fma_f64 v[16:17], v[4:5], v[16:17], s[8:9]
	s_mov_b32 s8, 0xfefa39ef
	s_mov_b32 s9, 0x3fe62e42
	v_mul_f64 v[24:25], v[22:23], s[8:9]
	v_add_f64 v[10:11], v[14:15], -v[20:21]
	v_fma_f64 v[18:19], v[4:5], v[18:19], s[12:13]
	v_fma_f64 v[16:17], v[4:5], v[16:17], s[10:11]
	s_mov_b32 s10, 0x93d3dcdc
	s_mov_b32 s11, 0x3fe71a18
	v_fma_f64 v[20:21], v[22:23], s[8:9], -v[24:25]
	s_mov_b32 s8, 0x36e20878
	s_mov_b32 s9, 0x3fcb848b
	v_add_f64 v[10:11], v[12:13], -v[10:11]
	v_fma_f64 v[12:13], v[4:5], v[18:19], s[10:11]
	s_mov_b32 s10, 0x62c4ab74
	s_mov_b32 s11, 0x3ff645a7
	v_fma_f64 v[16:17], v[4:5], v[16:17], s[8:9]
	s_mov_b32 s8, 0x3b39803f
	s_mov_b32 s9, 0x3c7abc9e
	;; [unrolled: 3-line block ×3, first 2 shown]
	v_add_f64 v[8:9], v[8:9], v[10:11]
	v_fma_f64 v[10:11], v[4:5], v[12:13], s[10:11]
	v_fma_f64 v[12:13], v[4:5], v[16:17], s[8:9]
	v_add_f64 v[16:17], v[24:25], v[18:19]
	v_add_f64 v[20:21], v[14:15], v[8:9]
	v_fma_f64 v[10:11], v[4:5], v[10:11], 1.0
	v_mul_f64 v[12:13], v[4:5], v[12:13]
	v_add_f64 v[24:25], v[16:17], -v[24:25]
	v_add_f64 v[22:23], v[16:17], v[20:21]
	v_add_f64 v[14:15], v[20:21], -v[14:15]
	v_div_scale_f64 v[26:27], null, v[10:11], v[10:11], v[12:13]
	v_add_f64 v[18:19], v[18:19], -v[24:25]
	v_add_f64 v[28:29], v[22:23], -v[16:17]
	;; [unrolled: 1-line block ×3, first 2 shown]
	v_rcp_f64_e32 v[30:31], v[26:27]
	v_add_f64 v[32:33], v[22:23], -v[28:29]
	v_add_f64 v[14:15], v[20:21], -v[28:29]
	v_add_f64 v[24:25], v[18:19], v[8:9]
	v_fma_f64 v[34:35], -v[26:27], v[30:31], 1.0
	v_add_f64 v[16:17], v[16:17], -v[32:33]
	v_add_f64 v[28:29], v[24:25], -v[18:19]
	v_fma_f64 v[20:21], v[30:31], v[34:35], v[30:31]
	v_div_scale_f64 v[30:31], vcc_lo, v[12:13], v[10:11], v[12:13]
	v_add_f64 v[14:15], v[14:15], v[16:17]
	v_add_f64 v[8:9], v[8:9], -v[28:29]
	v_fma_f64 v[16:17], -v[26:27], v[20:21], 1.0
	v_add_f64 v[14:15], v[24:25], v[14:15]
	v_fma_f64 v[16:17], v[20:21], v[16:17], v[20:21]
	v_add_f64 v[20:21], v[24:25], -v[28:29]
	v_add_f64 v[24:25], v[22:23], v[14:15]
	v_mul_f64 v[32:33], v[30:31], v[16:17]
	v_add_f64 v[18:19], v[18:19], -v[20:21]
	v_add_f64 v[20:21], v[24:25], -v[22:23]
	v_fma_f64 v[22:23], -v[26:27], v[32:33], v[30:31]
	v_add_f64 v[8:9], v[8:9], v[18:19]
	v_add_f64 v[14:15], v[14:15], -v[20:21]
	v_div_fmas_f64 v[16:17], v[22:23], v[16:17], v[32:33]
	v_cmp_class_f64_e64 vcc_lo, v[6:7], 0x204
	v_add_f64 v[8:9], v[8:9], v[14:15]
	v_div_fixup_f64 v[10:11], v[16:17], v[10:11], v[12:13]
	v_add_f64 v[8:9], v[24:25], v[8:9]
	v_fma_f64 v[4:5], v[4:5], 0.5, v[10:11]
	v_cndmask_b32_e32 v2, v8, v6, vcc_lo
	v_cndmask_b32_e32 v8, v9, v7, vcc_lo
	v_cmp_ngt_f64_e32 vcc_lo, 0, v[6:7]
	v_cndmask_b32_e32 v9, 0x7ff80000, v8, vcc_lo
	v_cmp_nge_f64_e32 vcc_lo, 0, v[6:7]
	v_cndmask_b32_e32 v8, 0, v2, vcc_lo
	v_cmp_neq_f64_e32 vcc_lo, 0, v[6:7]
	v_cndmask_b32_e32 v9, 0xfff00000, v9, vcc_lo
	v_add_f64 v[4:5], v[4:5], v[8:9]
.LBB129_10:
	s_or_b32 exec_lo, exec_lo, s6
.LBB129_11:
	s_andn2_saveexec_b32 s8, s5
	s_cbranch_execz .LBB129_25
; %bb.12:
                                        ; implicit-def: $vgpr2
                                        ; implicit-def: $vgpr6_vgpr7
	s_mov_b32 s4, exec_lo
	v_cmpx_lt_u32_e32 0x3feccccc, v3
	s_xor_b32 s5, exec_lo, s4
	s_cbranch_execz .LBB129_14
; %bb.13:
	s_mov_b32 s10, 0x6356be3f
	s_mov_b32 s11, 0xbff762d8
	v_add_f64 v[4:5], -|v[0:1]|, 2.0
	v_add_f64 v[6:7], |v[0:1]|, s[10:11]
	v_add_f64 v[8:9], |v[0:1]|, -1.0
	v_cmp_gt_u32_e32 vcc_lo, 0x3ffbb4c3, v3
	v_cmp_gt_u32_e64 s4, 0x3ff3b4c4, v3
	v_cndmask_b32_e32 v2, v4, v6, vcc_lo
	v_cndmask_b32_e32 v4, v5, v7, vcc_lo
	v_cndmask_b32_e64 v5, 0, 1, vcc_lo
	v_cndmask_b32_e64 v6, v2, v8, s4
	v_cndmask_b32_e64 v7, v4, v9, s4
	;; [unrolled: 1-line block ×3, first 2 shown]
.LBB129_14:
	s_or_saveexec_b32 s9, s5
	v_mov_b32_e32 v4, 0
	v_mov_b32_e32 v5, 0
	s_xor_b32 exec_lo, exec_lo, s9
	s_cbranch_execz .LBB129_16
; %bb.15:
	v_frexp_mant_f64_e64 v[4:5], |v[0:1]|
	s_mov_b32 s5, 0x3fe55555
	s_mov_b32 s4, 0x55555555
	;; [unrolled: 1-line block ×6, first 2 shown]
	v_cmp_gt_u32_e64 s6, 0x3fcda661, v3
	v_cmp_gt_f64_e32 vcc_lo, s[4:5], v[4:5]
	s_mov_b32 s4, 0x55555780
	v_cndmask_b32_e64 v2, 0, 1, vcc_lo
	v_ldexp_f64 v[4:5], v[4:5], v2
	v_frexp_exp_i32_f64_e32 v2, v[0:1]
	v_add_f64 v[6:7], v[4:5], 1.0
	v_add_f64 v[12:13], v[4:5], -1.0
	v_subrev_co_ci_u32_e64 v2, null, 0, v2, vcc_lo
	v_cmp_neq_f64_e64 vcc_lo, 0x7ff00000, |v[0:1]|
	v_rcp_f64_e32 v[8:9], v[6:7]
	v_add_f64 v[14:15], v[6:7], -1.0
	v_add_f64 v[4:5], v[4:5], -v[14:15]
	v_fma_f64 v[10:11], -v[6:7], v[8:9], 1.0
	v_fma_f64 v[8:9], v[10:11], v[8:9], v[8:9]
	v_fma_f64 v[10:11], -v[6:7], v[8:9], 1.0
	v_fma_f64 v[8:9], v[10:11], v[8:9], v[8:9]
	v_mul_f64 v[10:11], v[12:13], v[8:9]
	v_mul_f64 v[16:17], v[6:7], v[10:11]
	v_fma_f64 v[6:7], v[10:11], v[6:7], -v[16:17]
	v_fma_f64 v[4:5], v[10:11], v[4:5], v[6:7]
	v_add_f64 v[6:7], v[16:17], v[4:5]
	v_add_f64 v[14:15], v[12:13], -v[6:7]
	v_add_f64 v[16:17], v[6:7], -v[16:17]
	;; [unrolled: 1-line block ×5, first 2 shown]
	v_add_f64 v[4:5], v[4:5], v[6:7]
	v_add_f64 v[4:5], v[14:15], v[4:5]
	v_mul_f64 v[4:5], v[8:9], v[4:5]
	v_add_f64 v[6:7], v[10:11], v[4:5]
	v_mul_f64 v[8:9], v[6:7], v[6:7]
	v_fma_f64 v[12:13], v[8:9], s[12:13], s[10:11]
	s_mov_b32 s10, 0xd7f4df2e
	s_mov_b32 s11, 0x3fc7474d
	v_mul_f64 v[14:15], v[6:7], v[8:9]
	v_fma_f64 v[12:13], v[8:9], v[12:13], s[10:11]
	s_mov_b32 s10, 0x16291751
	s_mov_b32 s11, 0x3fcc71c0
	v_fma_f64 v[12:13], v[8:9], v[12:13], s[10:11]
	s_mov_b32 s10, 0x9b27acf1
	s_mov_b32 s11, 0x3fd24924
	;; [unrolled: 3-line block ×3, first 2 shown]
	v_fma_f64 v[12:13], v[8:9], v[12:13], s[10:11]
	v_fma_f64 v[8:9], v[8:9], v[12:13], s[4:5]
	v_ldexp_f64 v[12:13], v[6:7], 1
	v_add_f64 v[6:7], v[6:7], -v[10:11]
	s_mov_b32 s4, 0xfefa39ef
	s_mov_b32 s5, 0x3fe62e42
	v_mul_f64 v[8:9], v[14:15], v[8:9]
	v_cvt_f64_i32_e32 v[14:15], v2
	v_add_f64 v[4:5], v[4:5], -v[6:7]
	v_add_f64 v[10:11], v[12:13], v[8:9]
	v_mul_f64 v[16:17], v[14:15], s[4:5]
	v_ldexp_f64 v[4:5], v[4:5], 1
	v_add_f64 v[6:7], v[10:11], -v[12:13]
	v_fma_f64 v[12:13], v[14:15], s[4:5], -v[16:17]
	s_mov_b32 s4, 0x3b39803f
	s_mov_b32 s5, 0x3c7abc9e
	v_add_f64 v[6:7], v[8:9], -v[6:7]
	v_fma_f64 v[8:9], v[14:15], s[4:5], v[12:13]
	s_mov_b32 s4, 0x8d5af8fc
	s_mov_b32 s5, 0xbfdd8b61
	v_add_f64 v[4:5], v[4:5], v[6:7]
	v_add_f64 v[6:7], v[16:17], v[8:9]
	;; [unrolled: 1-line block ×3, first 2 shown]
	v_add_f64 v[16:17], v[6:7], -v[16:17]
	v_add_f64 v[14:15], v[6:7], v[12:13]
	v_add_f64 v[10:11], v[12:13], -v[10:11]
	v_add_f64 v[8:9], v[8:9], -v[16:17]
	;; [unrolled: 1-line block ×6, first 2 shown]
	v_add_f64 v[12:13], v[8:9], v[4:5]
	v_add_f64 v[6:7], v[6:7], -v[20:21]
	v_add_f64 v[6:7], v[10:11], v[6:7]
	v_add_f64 v[10:11], v[12:13], -v[8:9]
	;; [unrolled: 2-line block ×3, first 2 shown]
	v_add_f64 v[4:5], v[4:5], -v[10:11]
	v_add_f64 v[16:17], v[14:15], v[6:7]
	v_add_f64 v[8:9], v[8:9], -v[12:13]
	v_add_f64 v[10:11], v[16:17], -v[14:15]
	v_add_f64 v[4:5], v[4:5], v[8:9]
	v_add_f64 v[8:9], |v[0:1]|, s[4:5]
	v_cmp_neq_f64_e64 s4, 0, v[0:1]
	v_cmp_gt_u32_e64 s5, 0x3fe76944, v3
	v_add_f64 v[6:7], v[6:7], -v[10:11]
	v_add_f64 v[4:5], v[4:5], v[6:7]
	v_add_f64 v[6:7], -|v[0:1]|, 1.0
	v_add_f64 v[4:5], v[16:17], v[4:5]
	v_xor_b32_e32 v2, 0x80000000, v5
	v_cndmask_b32_e64 v5, v6, v8, s5
	v_cndmask_b32_e64 v6, v7, v9, s5
	;; [unrolled: 1-line block ×3, first 2 shown]
	v_cndmask_b32_e32 v2, 0xfff00000, v2, vcc_lo
	s_and_b32 vcc_lo, s4, vcc_lo
	v_cndmask_b32_e64 v7, v6, v3, s6
	v_cndmask_b32_e64 v6, v5, v0, s6
	v_cndmask_b32_e32 v4, 0, v4, vcc_lo
	v_cndmask_b32_e64 v5, 0x7ff00000, v2, s4
	v_cndmask_b32_e64 v2, v8, 2, s6
.LBB129_16:
	s_or_b32 exec_lo, exec_lo, s9
	s_mov_b32 s4, exec_lo
                                        ; implicit-def: $vgpr10_vgpr11
	v_cmpx_lt_i32_e32 1, v2
	s_xor_b32 s4, exec_lo, s4
	s_cbranch_execz .LBB129_18
; %bb.17:
	s_mov_b32 s10, 0xf6010924
	s_mov_b32 s12, 0xbf2bab09
	s_mov_b32 s11, 0x3fcd4eae
	s_mov_b32 s13, 0x3f8b678b
	s_mov_b32 s14, 0x57d0cf61
	v_fma_f64 v[8:9], v[6:7], s[12:13], s[10:11]
	s_mov_b32 s10, 0x44ea8450
	s_mov_b32 s12, 0xd6537c88
	;; [unrolled: 1-line block ×5, first 2 shown]
                                        ; implicit-def: $vgpr2
	v_fma_f64 v[10:11], v[6:7], s[14:15], s[12:13]
	s_mov_b32 s12, 0xe45050af
	s_mov_b32 s13, 0x3fe89dfb
	v_fma_f64 v[8:9], v[6:7], v[8:9], s[10:11]
	s_mov_b32 s10, 0xd119bd6f
	s_mov_b32 s11, 0x3ff7475c
	;; [unrolled: 3-line block ×6, first 2 shown]
	v_fma_f64 v[10:11], v[6:7], v[10:11], s[12:13]
	v_fma_f64 v[8:9], v[6:7], v[8:9], s[10:11]
	v_fma_f64 v[10:11], v[6:7], v[10:11], 1.0
	v_mul_f64 v[8:9], v[6:7], v[8:9]
	v_div_scale_f64 v[12:13], null, v[10:11], v[10:11], v[8:9]
	v_rcp_f64_e32 v[14:15], v[12:13]
	v_fma_f64 v[16:17], -v[12:13], v[14:15], 1.0
	v_fma_f64 v[14:15], v[14:15], v[16:17], v[14:15]
	v_fma_f64 v[16:17], -v[12:13], v[14:15], 1.0
	v_fma_f64 v[14:15], v[14:15], v[16:17], v[14:15]
	v_div_scale_f64 v[16:17], vcc_lo, v[8:9], v[10:11], v[8:9]
	v_mul_f64 v[18:19], v[16:17], v[14:15]
	v_fma_f64 v[12:13], -v[12:13], v[18:19], v[16:17]
	v_div_fmas_f64 v[12:13], v[12:13], v[14:15], v[18:19]
	v_div_fixup_f64 v[8:9], v[12:13], v[10:11], v[8:9]
	v_fma_f64 v[10:11], v[6:7], -0.5, v[8:9]
                                        ; implicit-def: $vgpr6_vgpr7
.LBB129_18:
	s_andn2_saveexec_b32 s4, s4
	s_cbranch_execz .LBB129_24
; %bb.19:
	v_mul_f64 v[8:9], v[6:7], v[6:7]
	s_mov_b32 s5, exec_lo
                                        ; implicit-def: $vgpr10_vgpr11
	v_cmpx_ne_u32_e32 1, v2
	s_xor_b32 s5, exec_lo, s5
	s_cbranch_execz .LBB129_21
; %bb.20:
	s_mov_b32 s10, 0x987dfb07
	s_mov_b32 s12, 0x90a45837
	;; [unrolled: 1-line block ×5, first 2 shown]
	v_fma_f64 v[10:11], v[8:9], s[12:13], s[10:11]
	s_mov_b32 s10, 0xed10e54d
	s_mov_b32 s12, 0x428cfa52
	;; [unrolled: 1-line block ×5, first 2 shown]
	v_fma_f64 v[12:13], v[8:9], s[12:13], s[10:11]
	s_mov_b32 s10, 0x116f3f5d
	s_mov_b32 s12, 0xccb7926b
	;; [unrolled: 1-line block ×4, first 2 shown]
	v_fma_f64 v[10:11], v[8:9], v[10:11], s[14:15]
	v_fma_f64 v[12:13], v[8:9], v[12:13], s[10:11]
	s_mov_b32 s10, 0xb68fefe8
	s_mov_b32 s11, 0x3f7e404f
	v_fma_f64 v[10:11], v[8:9], v[10:11], s[12:13]
	s_mov_b32 s12, 0xac92547b
	s_mov_b32 s13, 0x3f951322
	;; [unrolled: 3-line block ×5, first 2 shown]
	v_fma_f64 v[10:11], v[8:9], v[10:11], s[12:13]
	v_fma_f64 v[12:13], v[8:9], v[12:13], s[10:11]
	v_mul_f64 v[8:9], v[8:9], v[10:11]
	v_fma_f64 v[8:9], v[6:7], v[12:13], v[8:9]
	v_fma_f64 v[10:11], v[6:7], -0.5, v[8:9]
                                        ; implicit-def: $vgpr6_vgpr7
                                        ; implicit-def: $vgpr8_vgpr9
.LBB129_21:
	s_andn2_saveexec_b32 s5, s5
	s_cbranch_execz .LBB129_23
; %bb.22:
	v_mul_f64 v[10:11], v[6:7], v[8:9]
	s_mov_b32 s10, 0xef61a8e9
	s_mov_b32 s12, 0xecc38c38
	;; [unrolled: 1-line block ×8, first 2 shown]
	v_fma_f64 v[12:13], v[10:11], s[12:13], s[10:11]
	v_fma_f64 v[14:15], v[10:11], s[16:17], s[14:15]
	s_mov_b32 s10, 0xb3e914d7
	s_mov_b32 s12, 0x2e15c915
	;; [unrolled: 1-line block ×8, first 2 shown]
	v_fma_f64 v[12:13], v[10:11], v[12:13], s[10:11]
	v_fma_f64 v[14:15], v[10:11], v[14:15], s[12:13]
	s_mov_b32 s10, 0xbf2d1af1
	s_mov_b32 s12, 0x6c0ebbf7
	;; [unrolled: 1-line block ×4, first 2 shown]
	v_fma_f64 v[16:17], v[10:11], s[12:13], s[10:11]
	s_mov_b32 s10, 0xe370e344
	s_mov_b32 s12, 0x8dc6c509
	;; [unrolled: 1-line block ×4, first 2 shown]
	v_fma_f64 v[12:13], v[10:11], v[12:13], s[14:15]
	v_fma_f64 v[14:15], v[10:11], v[14:15], s[16:17]
	s_mov_b32 s14, 0x94d5419b
	s_mov_b32 s15, 0x3fb08b42
	v_fma_f64 v[16:17], v[10:11], v[16:17], s[10:11]
	s_mov_b32 s10, 0xdf35b713
	s_mov_b32 s11, 0xbfa0c9a8
	v_fma_f64 v[12:13], v[10:11], v[12:13], s[12:13]
	v_fma_f64 v[14:15], v[10:11], v[14:15], s[14:15]
	s_mov_b32 s12, 0xa48a971f
	s_mov_b32 s13, 0xbc50c7ca
	v_fma_f64 v[16:17], v[10:11], v[16:17], s[10:11]
	s_mov_b32 s10, 0xc8ee38a2
	s_mov_b32 s11, 0x3fdef72b
	v_fma_f64 v[6:7], v[6:7], v[14:15], v[12:13]
	v_fma_f64 v[12:13], v[10:11], v[16:17], s[10:11]
	s_mov_b32 s10, 0xbcc38a42
	s_mov_b32 s11, 0xbfbf19b9
	v_fma_f64 v[6:7], v[10:11], -v[6:7], s[12:13]
	v_fma_f64 v[6:7], v[8:9], v[12:13], -v[6:7]
	v_add_f64 v[10:11], v[6:7], s[10:11]
.LBB129_23:
	s_or_b32 exec_lo, exec_lo, s5
.LBB129_24:
	s_or_b32 exec_lo, exec_lo, s4
	v_add_f64 v[4:5], v[4:5], v[10:11]
.LBB129_25:
	s_or_b32 exec_lo, exec_lo, s8
.LBB129_26:
	s_andn2_saveexec_b32 s5, s7
	s_cbranch_execz .LBB129_28
; %bb.27:
	v_frexp_mant_f64_e64 v[4:5], |v[0:1]|
	s_mov_b32 s7, 0x3fe55555
	s_mov_b32 s6, 0x55555555
	;; [unrolled: 1-line block ×6, first 2 shown]
	v_cmp_neq_f64_e64 s4, 0, v[0:1]
	v_cmp_gt_f64_e32 vcc_lo, s[6:7], v[4:5]
	s_mov_b32 s6, 0x55555780
	v_cndmask_b32_e64 v2, 0, 1, vcc_lo
	v_ldexp_f64 v[4:5], v[4:5], v2
	v_frexp_exp_i32_f64_e32 v2, v[0:1]
	v_add_f64 v[6:7], v[4:5], 1.0
	v_add_f64 v[12:13], v[4:5], -1.0
	v_subrev_co_ci_u32_e64 v2, null, 0, v2, vcc_lo
	v_cmp_neq_f64_e64 vcc_lo, 0x7ff00000, |v[0:1]|
	v_rcp_f64_e32 v[8:9], v[6:7]
	v_add_f64 v[14:15], v[6:7], -1.0
	v_add_f64 v[4:5], v[4:5], -v[14:15]
	v_fma_f64 v[10:11], -v[6:7], v[8:9], 1.0
	v_fma_f64 v[8:9], v[10:11], v[8:9], v[8:9]
	v_fma_f64 v[10:11], -v[6:7], v[8:9], 1.0
	v_fma_f64 v[8:9], v[10:11], v[8:9], v[8:9]
	v_mul_f64 v[10:11], v[12:13], v[8:9]
	v_mul_f64 v[16:17], v[6:7], v[10:11]
	v_fma_f64 v[6:7], v[10:11], v[6:7], -v[16:17]
	v_fma_f64 v[4:5], v[10:11], v[4:5], v[6:7]
	v_add_f64 v[6:7], v[16:17], v[4:5]
	v_add_f64 v[14:15], v[12:13], -v[6:7]
	v_add_f64 v[16:17], v[6:7], -v[16:17]
	;; [unrolled: 1-line block ×5, first 2 shown]
	v_add_f64 v[4:5], v[4:5], v[6:7]
	v_add_f64 v[4:5], v[14:15], v[4:5]
	v_mul_f64 v[4:5], v[8:9], v[4:5]
	v_add_f64 v[6:7], v[10:11], v[4:5]
	v_mul_f64 v[8:9], v[6:7], v[6:7]
	v_fma_f64 v[12:13], v[8:9], s[10:11], s[8:9]
	s_mov_b32 s8, 0xd7f4df2e
	s_mov_b32 s9, 0x3fc7474d
	v_mul_f64 v[14:15], v[6:7], v[8:9]
	v_fma_f64 v[12:13], v[8:9], v[12:13], s[8:9]
	s_mov_b32 s8, 0x16291751
	s_mov_b32 s9, 0x3fcc71c0
	v_fma_f64 v[12:13], v[8:9], v[12:13], s[8:9]
	s_mov_b32 s8, 0x9b27acf1
	s_mov_b32 s9, 0x3fd24924
	;; [unrolled: 3-line block ×4, first 2 shown]
	v_fma_f64 v[8:9], v[8:9], v[12:13], s[6:7]
	v_ldexp_f64 v[12:13], v[6:7], 1
	v_add_f64 v[6:7], v[6:7], -v[10:11]
	s_mov_b32 s6, 0xfefa39ef
	s_mov_b32 s7, 0x3fe62e42
	v_mul_f64 v[8:9], v[14:15], v[8:9]
	v_cvt_f64_i32_e32 v[14:15], v2
	v_add_f64 v[4:5], v[4:5], -v[6:7]
	v_add_f64 v[10:11], v[12:13], v[8:9]
	v_mul_f64 v[16:17], v[14:15], s[6:7]
	v_ldexp_f64 v[4:5], v[4:5], 1
	v_add_f64 v[6:7], v[10:11], -v[12:13]
	v_fma_f64 v[12:13], v[14:15], s[6:7], -v[16:17]
	s_mov_b32 s6, 0x3b39803f
	s_mov_b32 s7, 0x3c7abc9e
	v_add_f64 v[6:7], v[8:9], -v[6:7]
	v_fma_f64 v[8:9], v[14:15], s[6:7], v[12:13]
	s_mov_b32 s6, 0x2ac7d848
	s_mov_b32 s7, 0x3fd15132
	v_add_f64 v[4:5], v[4:5], v[6:7]
	v_add_f64 v[6:7], v[16:17], v[8:9]
	;; [unrolled: 1-line block ×3, first 2 shown]
	v_add_f64 v[16:17], v[6:7], -v[16:17]
	v_add_f64 v[14:15], v[6:7], v[12:13]
	v_add_f64 v[10:11], v[12:13], -v[10:11]
	v_add_f64 v[8:9], v[8:9], -v[16:17]
	;; [unrolled: 1-line block ×6, first 2 shown]
	v_add_f64 v[12:13], v[8:9], v[4:5]
	v_add_f64 v[6:7], v[6:7], -v[20:21]
	v_add_f64 v[6:7], v[10:11], v[6:7]
	v_add_f64 v[10:11], v[12:13], -v[8:9]
	;; [unrolled: 2-line block ×3, first 2 shown]
	v_add_f64 v[4:5], v[4:5], -v[10:11]
	v_add_f64 v[16:17], v[14:15], v[6:7]
	v_add_f64 v[8:9], v[8:9], -v[12:13]
	v_add_f64 v[10:11], v[16:17], -v[14:15]
	v_add_f64 v[4:5], v[4:5], v[8:9]
	v_fma_f64 v[8:9], |v[0:1]|, s[8:9], s[6:7]
	s_mov_b32 s6, 0x5beab2d7
	s_mov_b32 s7, 0xbfd9a4d5
	v_add_f64 v[6:7], v[6:7], -v[10:11]
	v_add_f64 v[4:5], v[4:5], v[6:7]
	v_fma_f64 v[6:7], |v[0:1]|, v[8:9], s[6:7]
	s_mov_b32 s6, 0x625307d3
	s_mov_b32 s7, 0x3fea51a6
	v_add_f64 v[4:5], v[16:17], v[4:5]
	v_fma_f64 v[6:7], |v[0:1]|, v[6:7], s[6:7]
	s_mov_b32 s6, 0xfc6fb619
	s_mov_b32 s7, 0xbfe2788c
	v_xor_b32_e32 v2, 0x80000000, v5
	v_fma_f64 v[5:6], |v[0:1]|, v[6:7], s[6:7]
	v_cndmask_b32_e32 v2, 0xfff00000, v2, vcc_lo
	s_and_b32 vcc_lo, s4, vcc_lo
	v_cndmask_b32_e32 v7, 0, v4, vcc_lo
	v_cndmask_b32_e64 v8, 0x7ff00000, v2, s4
	v_fma_f64 v[4:5], |v[0:1]|, v[5:6], v[7:8]
.LBB129_28:
	s_or_b32 exec_lo, exec_lo, s5
	s_mov_b32 s4, exec_lo
	v_cmpx_le_f64_e32 0, v[0:1]
	s_xor_b32 s5, exec_lo, s4
	s_cbranch_execz .LBB129_30
; %bb.29:
	v_cmp_eq_f64_e32 vcc_lo, 1.0, v[0:1]
	v_cmp_eq_f64_e64 s4, 2.0, v[0:1]
	s_or_b32 s4, vcc_lo, s4
	v_cndmask_b32_e64 v5, v5, 0, s4
	v_cndmask_b32_e64 v4, v4, 0, s4
.LBB129_30:
	s_andn2_saveexec_b32 s5, s5
	s_cbranch_execz .LBB129_34
; %bb.31:
	v_add_nc_u32_e32 v2, 0xc32fffff, v3
	s_mov_b32 s6, exec_lo
	v_cmpx_gt_u32_e32 0x65fffff, v2
	s_cbranch_execz .LBB129_33
; %bb.32:
	v_mul_f64 v[6:7], |v[0:1]|, 0.5
	s_mov_b32 s8, 0x6fdffd2b
	s_mov_b32 s10, 0xf99eb0bb
	;; [unrolled: 1-line block ×8, first 2 shown]
	v_cmp_class_f64_e64 s4, v[0:1], 0x1f8
	v_fract_f64_e32 v[8:9], v[6:7]
	v_cmp_neq_f64_e64 vcc_lo, 0x7ff00000, |v[6:7]|
	v_add_f64 v[8:9], v[8:9], v[8:9]
	v_cndmask_b32_e32 v2, 0, v8, vcc_lo
	v_cndmask_b32_e32 v6, 0, v9, vcc_lo
	v_cmp_gt_f64_e64 vcc_lo, |v[0:1]|, 1.0
	v_cndmask_b32_e32 v7, v3, v6, vcc_lo
	v_cndmask_b32_e32 v6, v0, v2, vcc_lo
	v_add_f64 v[8:9], v[6:7], v[6:7]
	v_rndne_f64_e32 v[8:9], v[8:9]
	v_fma_f64 v[6:7], v[8:9], -0.5, v[6:7]
	v_cvt_i32_f64_e32 v2, v[8:9]
	v_mul_f64 v[10:11], v[6:7], v[6:7]
	v_fma_f64 v[12:13], v[10:11], s[10:11], s[8:9]
	v_fma_f64 v[14:15], v[10:11], s[14:15], s[12:13]
	s_mov_b32 s8, 0xd5f14825
	s_mov_b32 s10, 0x7294bff9
	;; [unrolled: 1-line block ×4, first 2 shown]
	v_mul_f64 v[16:17], v[6:7], v[10:11]
	s_mov_b32 s12, 0xbf559e2b
	s_mov_b32 s13, 0x3fc3ab76
	v_fma_f64 v[12:13], v[10:11], v[12:13], s[8:9]
	v_fma_f64 v[14:15], v[10:11], v[14:15], s[10:11]
	s_mov_b32 s8, 0xcdfe9424
	s_mov_b32 s10, 0x67b90b37
	s_mov_b32 s9, 0xbfe32d2c
	s_mov_b32 s11, 0x3fce1f50
	v_fma_f64 v[12:13], v[10:11], v[12:13], s[8:9]
	v_fma_f64 v[14:15], v[10:11], v[14:15], s[10:11]
	s_mov_b32 s8, 0x67754fff
	s_mov_b32 s10, 0x7e3c325b
	;; [unrolled: 6-line block ×4, first 2 shown]
	s_mov_b32 s10, 0x6b47b09a
	s_mov_b32 s11, 0x3fc38538
	v_mul_f64 v[12:13], v[16:17], v[12:13]
	v_fma_f64 v[14:15], v[10:11], v[14:15], s[8:9]
	s_mov_b32 s8, 0x54442d18
	s_mov_b32 s9, 0x400921fb
	v_fma_f64 v[6:7], v[6:7], s[8:9], v[12:13]
	v_fma_f64 v[8:9], v[10:11], v[14:15], 1.0
	v_and_b32_e32 v10, 1, v2
	v_lshlrev_b32_e32 v2, 30, v2
	v_cmp_eq_u32_e32 vcc_lo, 0, v10
	v_xor_b32_e32 v2, v2, v1
	v_and_b32_e32 v2, 0x80000000, v2
	v_cndmask_b32_e32 v7, v9, v7, vcc_lo
	v_cndmask_b32_e32 v6, v8, v6, vcc_lo
	v_xor_b32_e32 v2, v7, v2
	v_cndmask_b32_e64 v6, 0, v6, s4
	v_cndmask_b32_e64 v7, 0x7ff80000, v2, s4
	v_cmp_class_f64_e64 s4, v[0:1], 0x204
	v_mul_f64 v[6:7], v[0:1], v[6:7]
	v_and_b32_e32 v9, 0x7fffffff, v7
	v_mov_b32_e32 v8, v6
	v_div_scale_f64 v[10:11], null, v[8:9], v[8:9], s[8:9]
	v_div_scale_f64 v[8:9], vcc_lo, s[8:9], v[8:9], s[8:9]
	v_rcp_f64_e32 v[12:13], v[10:11]
	v_fma_f64 v[14:15], -v[10:11], v[12:13], 1.0
	v_fma_f64 v[12:13], v[12:13], v[14:15], v[12:13]
	v_fma_f64 v[14:15], -v[10:11], v[12:13], 1.0
	v_fma_f64 v[12:13], v[12:13], v[14:15], v[12:13]
	v_mul_f64 v[14:15], v[8:9], v[12:13]
	v_fma_f64 v[8:9], -v[10:11], v[14:15], v[8:9]
	v_div_fmas_f64 v[8:9], v[8:9], v[12:13], v[14:15]
	v_div_fixup_f64 v[6:7], v[8:9], |v[6:7]|, s[8:9]
	s_mov_b32 s9, 0x3fe55555
	s_mov_b32 s8, 0x55555555
	v_frexp_mant_f64_e32 v[8:9], v[6:7]
	v_cmp_gt_f64_e32 vcc_lo, s[8:9], v[8:9]
	s_mov_b32 s8, 0x55555780
	v_cndmask_b32_e64 v2, 0, 1, vcc_lo
	v_ldexp_f64 v[8:9], v[8:9], v2
	v_frexp_exp_i32_f64_e32 v2, v[6:7]
	v_add_f64 v[10:11], v[8:9], 1.0
	v_add_f64 v[16:17], v[8:9], -1.0
	v_subrev_co_ci_u32_e64 v2, null, 0, v2, vcc_lo
	v_cmp_class_f64_e64 vcc_lo, v[6:7], 0x204
	v_rcp_f64_e32 v[12:13], v[10:11]
	v_add_f64 v[18:19], v[10:11], -1.0
	v_add_f64 v[8:9], v[8:9], -v[18:19]
	v_fma_f64 v[14:15], -v[10:11], v[12:13], 1.0
	v_fma_f64 v[12:13], v[14:15], v[12:13], v[12:13]
	v_fma_f64 v[14:15], -v[10:11], v[12:13], 1.0
	v_fma_f64 v[12:13], v[14:15], v[12:13], v[12:13]
	v_mul_f64 v[14:15], v[16:17], v[12:13]
	v_mul_f64 v[20:21], v[10:11], v[14:15]
	v_fma_f64 v[10:11], v[14:15], v[10:11], -v[20:21]
	v_fma_f64 v[8:9], v[14:15], v[8:9], v[10:11]
	v_add_f64 v[10:11], v[20:21], v[8:9]
	v_add_f64 v[18:19], v[16:17], -v[10:11]
	v_add_f64 v[20:21], v[10:11], -v[20:21]
	;; [unrolled: 1-line block ×5, first 2 shown]
	v_add_f64 v[8:9], v[8:9], v[10:11]
	v_add_f64 v[8:9], v[18:19], v[8:9]
	v_mul_f64 v[8:9], v[12:13], v[8:9]
	v_add_f64 v[10:11], v[14:15], v[8:9]
	v_mul_f64 v[12:13], v[10:11], v[10:11]
	v_fma_f64 v[16:17], v[12:13], s[12:13], s[10:11]
	s_mov_b32 s10, 0xd7f4df2e
	s_mov_b32 s11, 0x3fc7474d
	v_mul_f64 v[18:19], v[10:11], v[12:13]
	v_fma_f64 v[16:17], v[12:13], v[16:17], s[10:11]
	s_mov_b32 s10, 0x16291751
	s_mov_b32 s11, 0x3fcc71c0
	v_fma_f64 v[16:17], v[12:13], v[16:17], s[10:11]
	s_mov_b32 s10, 0x9b27acf1
	s_mov_b32 s11, 0x3fd24924
	;; [unrolled: 3-line block ×3, first 2 shown]
	v_fma_f64 v[16:17], v[12:13], v[16:17], s[10:11]
	v_fma_f64 v[12:13], v[12:13], v[16:17], s[8:9]
	v_ldexp_f64 v[16:17], v[10:11], 1
	v_add_f64 v[10:11], v[10:11], -v[14:15]
	s_mov_b32 s8, 0xfefa39ef
	s_mov_b32 s9, 0x3fe62e42
	v_mul_f64 v[12:13], v[18:19], v[12:13]
	v_cvt_f64_i32_e32 v[18:19], v2
	v_add_f64 v[8:9], v[8:9], -v[10:11]
	v_add_f64 v[14:15], v[16:17], v[12:13]
	v_mul_f64 v[20:21], v[18:19], s[8:9]
	v_ldexp_f64 v[8:9], v[8:9], 1
	v_add_f64 v[10:11], v[14:15], -v[16:17]
	v_fma_f64 v[16:17], v[18:19], s[8:9], -v[20:21]
	s_mov_b32 s8, 0x3b39803f
	s_mov_b32 s9, 0x3c7abc9e
	v_add_f64 v[10:11], v[12:13], -v[10:11]
	v_fma_f64 v[12:13], v[18:19], s[8:9], v[16:17]
	v_add_f64 v[8:9], v[8:9], v[10:11]
	v_add_f64 v[10:11], v[20:21], v[12:13]
	;; [unrolled: 1-line block ×3, first 2 shown]
	v_add_f64 v[20:21], v[10:11], -v[20:21]
	v_add_f64 v[18:19], v[10:11], v[16:17]
	v_add_f64 v[14:15], v[16:17], -v[14:15]
	v_add_f64 v[12:13], v[12:13], -v[20:21]
	;; [unrolled: 1-line block ×6, first 2 shown]
	v_add_f64 v[16:17], v[12:13], v[8:9]
	v_add_f64 v[10:11], v[10:11], -v[24:25]
	v_add_f64 v[10:11], v[14:15], v[10:11]
	v_add_f64 v[14:15], v[16:17], -v[12:13]
	;; [unrolled: 2-line block ×3, first 2 shown]
	v_add_f64 v[8:9], v[8:9], -v[14:15]
	v_add_f64 v[20:21], v[18:19], v[10:11]
	v_add_f64 v[12:13], v[12:13], -v[16:17]
	v_add_f64 v[14:15], v[20:21], -v[18:19]
	v_add_f64 v[8:9], v[8:9], v[12:13]
	v_add_f64 v[10:11], v[10:11], -v[14:15]
	v_add_f64 v[8:9], v[8:9], v[10:11]
	v_add_f64 v[8:9], v[20:21], v[8:9]
	v_cndmask_b32_e32 v2, v8, v6, vcc_lo
	v_cndmask_b32_e32 v8, v9, v7, vcc_lo
	v_cmp_neq_f64_e32 vcc_lo, 0, v[6:7]
	v_fract_f64_e32 v[6:7], v[0:1]
	v_cndmask_b32_e32 v9, 0xfff00000, v8, vcc_lo
	v_cndmask_b32_e32 v8, 0, v2, vcc_lo
	v_cmp_eq_f64_e32 vcc_lo, 0, v[6:7]
	v_add_f64 v[4:5], v[8:9], -v[4:5]
	s_or_b32 s4, s4, vcc_lo
	v_cndmask_b32_e64 v5, v5, 0x7ff00000, s4
	v_cndmask_b32_e64 v4, v4, 0, s4
.LBB129_33:
	s_or_b32 exec_lo, exec_lo, s6
.LBB129_34:
	s_or_b32 exec_lo, exec_lo, s5
	v_cmp_gt_f64_e32 vcc_lo, 0, v[0:1]
	v_cmp_class_f64_e64 s5, v[0:1], 0x264
	v_cmp_lt_u32_e64 s4, 0x432fffff, v3
	s_and_b32 s4, vcc_lo, s4
	v_cmp_u_f64_e32 vcc_lo, v[0:1], v[0:1]
	s_or_b32 s4, s5, s4
	v_cndmask_b32_e64 v2, v5, 0x7ff00000, s4
	v_cndmask_b32_e64 v3, v4, 0, s4
	v_cndmask_b32_e32 v0, v3, v0, vcc_lo
	v_cndmask_b32_e32 v1, v2, v1, vcc_lo
	s_setpc_b64 s[30:31]
.Lfunc_end129:
	.size	_ZN2at6native6invokeIZZZNS0_18lgamma_kernel_cudaERNS_18TensorIteratorBaseEENKUlvE_clEvENKUlvE_clEvEUldE_j15function_traitsIS6_EEENT1_11result_typeERKT_PrKPcPKT0_i, .Lfunc_end129-_ZN2at6native6invokeIZZZNS0_18lgamma_kernel_cudaERNS_18TensorIteratorBaseEENKUlvE_clEvENKUlvE_clEvEUldE_j15function_traitsIS6_EEENT1_11result_typeERKT_PrKPcPKT0_i
                                        ; -- End function
	.set .L_ZN2at6native6invokeIZZZNS0_18lgamma_kernel_cudaERNS_18TensorIteratorBaseEENKUlvE_clEvENKUlvE_clEvEUldE_j15function_traitsIS6_EEENT1_11result_typeERKT_PrKPcPKT0_i.num_vgpr, 36
	.set .L_ZN2at6native6invokeIZZZNS0_18lgamma_kernel_cudaERNS_18TensorIteratorBaseEENKUlvE_clEvENKUlvE_clEvEUldE_j15function_traitsIS6_EEENT1_11result_typeERKT_PrKPcPKT0_i.num_agpr, 0
	.set .L_ZN2at6native6invokeIZZZNS0_18lgamma_kernel_cudaERNS_18TensorIteratorBaseEENKUlvE_clEvENKUlvE_clEvEUldE_j15function_traitsIS6_EEENT1_11result_typeERKT_PrKPcPKT0_i.numbered_sgpr, 32
	.set .L_ZN2at6native6invokeIZZZNS0_18lgamma_kernel_cudaERNS_18TensorIteratorBaseEENKUlvE_clEvENKUlvE_clEvEUldE_j15function_traitsIS6_EEENT1_11result_typeERKT_PrKPcPKT0_i.num_named_barrier, 0
	.set .L_ZN2at6native6invokeIZZZNS0_18lgamma_kernel_cudaERNS_18TensorIteratorBaseEENKUlvE_clEvENKUlvE_clEvEUldE_j15function_traitsIS6_EEENT1_11result_typeERKT_PrKPcPKT0_i.private_seg_size, 0
	.set .L_ZN2at6native6invokeIZZZNS0_18lgamma_kernel_cudaERNS_18TensorIteratorBaseEENKUlvE_clEvENKUlvE_clEvEUldE_j15function_traitsIS6_EEENT1_11result_typeERKT_PrKPcPKT0_i.uses_vcc, 1
	.set .L_ZN2at6native6invokeIZZZNS0_18lgamma_kernel_cudaERNS_18TensorIteratorBaseEENKUlvE_clEvENKUlvE_clEvEUldE_j15function_traitsIS6_EEENT1_11result_typeERKT_PrKPcPKT0_i.uses_flat_scratch, 0
	.set .L_ZN2at6native6invokeIZZZNS0_18lgamma_kernel_cudaERNS_18TensorIteratorBaseEENKUlvE_clEvENKUlvE_clEvEUldE_j15function_traitsIS6_EEENT1_11result_typeERKT_PrKPcPKT0_i.has_dyn_sized_stack, 0
	.set .L_ZN2at6native6invokeIZZZNS0_18lgamma_kernel_cudaERNS_18TensorIteratorBaseEENKUlvE_clEvENKUlvE_clEvEUldE_j15function_traitsIS6_EEENT1_11result_typeERKT_PrKPcPKT0_i.has_recursion, 0
	.set .L_ZN2at6native6invokeIZZZNS0_18lgamma_kernel_cudaERNS_18TensorIteratorBaseEENKUlvE_clEvENKUlvE_clEvEUldE_j15function_traitsIS6_EEENT1_11result_typeERKT_PrKPcPKT0_i.has_indirect_call, 0
	.section	.AMDGPU.csdata,"",@progbits
; Function info:
; codeLenInByte = 8036
; TotalNumSgprs: 34
; NumVgprs: 36
; ScratchSize: 0
; MemoryBound: 0
	.section	.text._ZN2at6native32elementwise_kernel_manual_unrollILi128ELi4EZNS0_22gpu_kernel_impl_nocastIZZZNS0_18lgamma_kernel_cudaERNS_18TensorIteratorBaseEENKUlvE_clEvENKUlvE_clEvEUldE_EEvS4_RKT_EUlibE_EEviT1_,"axG",@progbits,_ZN2at6native32elementwise_kernel_manual_unrollILi128ELi4EZNS0_22gpu_kernel_impl_nocastIZZZNS0_18lgamma_kernel_cudaERNS_18TensorIteratorBaseEENKUlvE_clEvENKUlvE_clEvEUldE_EEvS4_RKT_EUlibE_EEviT1_,comdat
	.globl	_ZN2at6native32elementwise_kernel_manual_unrollILi128ELi4EZNS0_22gpu_kernel_impl_nocastIZZZNS0_18lgamma_kernel_cudaERNS_18TensorIteratorBaseEENKUlvE_clEvENKUlvE_clEvEUldE_EEvS4_RKT_EUlibE_EEviT1_ ; -- Begin function _ZN2at6native32elementwise_kernel_manual_unrollILi128ELi4EZNS0_22gpu_kernel_impl_nocastIZZZNS0_18lgamma_kernel_cudaERNS_18TensorIteratorBaseEENKUlvE_clEvENKUlvE_clEvEUldE_EEvS4_RKT_EUlibE_EEviT1_
	.p2align	8
	.type	_ZN2at6native32elementwise_kernel_manual_unrollILi128ELi4EZNS0_22gpu_kernel_impl_nocastIZZZNS0_18lgamma_kernel_cudaERNS_18TensorIteratorBaseEENKUlvE_clEvENKUlvE_clEvEUldE_EEvS4_RKT_EUlibE_EEviT1_,@function
_ZN2at6native32elementwise_kernel_manual_unrollILi128ELi4EZNS0_22gpu_kernel_impl_nocastIZZZNS0_18lgamma_kernel_cudaERNS_18TensorIteratorBaseEENKUlvE_clEvENKUlvE_clEvEUldE_EEvS4_RKT_EUlibE_EEviT1_: ; @_ZN2at6native32elementwise_kernel_manual_unrollILi128ELi4EZNS0_22gpu_kernel_impl_nocastIZZZNS0_18lgamma_kernel_cudaERNS_18TensorIteratorBaseEENKUlvE_clEvENKUlvE_clEvEUldE_EEvS4_RKT_EUlibE_EEviT1_
; %bb.0:
	s_clause 0x1
	s_load_dword s33, s[4:5], 0x8
	s_load_dword s44, s[4:5], 0x0
	v_lshl_or_b32 v38, s6, 9, v0
	s_add_u32 s0, s0, s7
	s_addc_u32 s1, s1, 0
	s_add_u32 s18, s4, 8
	s_addc_u32 s19, s5, 0
	v_or_b32_e32 v0, 0x180, v38
	s_mov_b32 s32, 0
	s_mov_b32 s4, exec_lo
	s_waitcnt lgkmcnt(0)
	s_add_i32 s40, s33, -1
	s_cmp_gt_u32 s40, 1
	s_cselect_b32 s41, -1, 0
	v_cmpx_le_i32_e64 s44, v0
	s_xor_b32 s42, exec_lo, s4
	s_cbranch_execz .LBB130_7
; %bb.1:
	s_clause 0x3
	s_load_dwordx4 s[36:39], s[18:19], 0x4
	s_load_dwordx2 s[28:29], s[18:19], 0x14
	s_load_dwordx4 s[24:27], s[18:19], 0xc4
	s_load_dwordx4 s[20:23], s[18:19], 0x148
	s_cmp_lg_u32 s33, 0
	s_mov_b32 s47, exec_lo
	s_cselect_b32 s46, -1, 0
	s_add_u32 s34, s18, 0xc4
	s_addc_u32 s35, s19, 0
	s_min_u32 s45, s40, 15
	s_cmp_gt_u32 s33, 1
	s_cselect_b32 s43, -1, 0
	v_cmpx_gt_i32_e64 s44, v38
	s_cbranch_execz .LBB130_14
; %bb.2:
	s_andn2_b32 vcc_lo, exec_lo, s41
	s_cbranch_vccnz .LBB130_21
; %bb.3:
	s_andn2_b32 vcc_lo, exec_lo, s46
	s_cbranch_vccnz .LBB130_73
; %bb.4:
	s_add_i32 s9, s45, 1
	s_cmp_eq_u32 s40, 2
	s_cbranch_scc1 .LBB130_75
; %bb.5:
	v_mov_b32_e32 v2, 0
	v_mov_b32_e32 v36, 0
	;; [unrolled: 1-line block ×3, first 2 shown]
	s_and_b32 s8, s9, 28
	s_mov_b32 s10, 0
	s_mov_b64 s[4:5], s[18:19]
	s_mov_b64 s[6:7], s[34:35]
.LBB130_6:                              ; =>This Inner Loop Header: Depth=1
	s_clause 0x1
	s_load_dwordx8 s[48:55], s[4:5], 0x4
	s_load_dwordx4 s[12:15], s[4:5], 0x24
	s_load_dwordx8 s[56:63], s[6:7], 0x0
	s_add_u32 s4, s4, 48
	s_addc_u32 s5, s5, 0
	s_add_i32 s10, s10, 4
	s_add_u32 s6, s6, 32
	s_addc_u32 s7, s7, 0
	s_cmp_lg_u32 s8, s10
	s_waitcnt lgkmcnt(0)
	v_mul_hi_u32 v1, s49, v0
	v_add_nc_u32_e32 v1, v0, v1
	v_lshrrev_b32_e32 v1, s50, v1
	v_mul_hi_u32 v3, s52, v1
	v_mul_lo_u32 v5, v1, s48
	v_add_nc_u32_e32 v3, v1, v3
	v_sub_nc_u32_e32 v0, v0, v5
	v_lshrrev_b32_e32 v3, s53, v3
	v_mul_lo_u32 v5, v0, s56
	v_mul_lo_u32 v7, v0, s57
	v_mul_hi_u32 v4, s55, v3
	v_add_nc_u32_e32 v4, v3, v4
	v_lshrrev_b32_e32 v4, s12, v4
	v_mul_hi_u32 v6, s14, v4
	v_mul_lo_u32 v8, v4, s54
	v_add_nc_u32_e32 v0, v4, v6
	v_mul_lo_u32 v6, v3, s51
	v_sub_nc_u32_e32 v3, v3, v8
	v_lshrrev_b32_e32 v0, s15, v0
	v_mul_lo_u32 v8, v3, s60
	v_mul_lo_u32 v3, v3, s61
	v_sub_nc_u32_e32 v1, v1, v6
	v_mul_lo_u32 v9, v0, s13
	v_mul_lo_u32 v6, v1, s58
	;; [unrolled: 1-line block ×3, first 2 shown]
	v_sub_nc_u32_e32 v4, v4, v9
	v_add3_u32 v5, v5, v36, v6
	v_mul_lo_u32 v9, v4, s62
	v_mul_lo_u32 v4, v4, s63
	v_add3_u32 v1, v7, v2, v1
	v_add3_u32 v36, v8, v5, v9
	;; [unrolled: 1-line block ×3, first 2 shown]
	s_cbranch_scc1 .LBB130_6
	s_branch .LBB130_76
.LBB130_7:
	s_andn2_saveexec_b32 s4, s42
	s_cbranch_execz .LBB130_101
.LBB130_8:
	v_cndmask_b32_e64 v1, 0, 1, s41
	s_andn2_b32 vcc_lo, exec_lo, s41
	s_cbranch_vccnz .LBB130_20
; %bb.9:
	s_cmp_lg_u32 s33, 0
	s_mov_b32 s8, 0
	s_cbranch_scc0 .LBB130_23
; %bb.10:
	s_min_u32 s10, s40, 15
	s_add_i32 s10, s10, 1
	s_cmp_eq_u32 s40, 2
	s_cbranch_scc1 .LBB130_24
; %bb.11:
	v_mov_b32_e32 v2, 0
	v_mov_b32_e32 v43, 0
	;; [unrolled: 1-line block ×3, first 2 shown]
	s_and_b32 s9, s10, 28
	s_add_u32 s4, s18, 0xc4
	s_addc_u32 s5, s19, 0
	s_mov_b32 s11, 0
	s_mov_b64 s[6:7], s[18:19]
.LBB130_12:                             ; =>This Inner Loop Header: Depth=1
	s_waitcnt lgkmcnt(0)
	s_clause 0x1
	s_load_dwordx8 s[20:27], s[6:7], 0x4
	s_load_dwordx4 s[12:15], s[6:7], 0x24
	s_load_dwordx8 s[44:51], s[4:5], 0x0
	s_add_u32 s6, s6, 48
	s_addc_u32 s7, s7, 0
	s_add_i32 s11, s11, 4
	s_add_u32 s4, s4, 32
	s_addc_u32 s5, s5, 0
	s_cmp_lg_u32 s9, s11
	s_waitcnt lgkmcnt(0)
	v_mul_hi_u32 v4, s21, v3
	v_add_nc_u32_e32 v4, v3, v4
	v_lshrrev_b32_e32 v4, s22, v4
	v_mul_hi_u32 v5, s24, v4
	v_mul_lo_u32 v7, v4, s20
	v_add_nc_u32_e32 v5, v4, v5
	v_sub_nc_u32_e32 v3, v3, v7
	v_lshrrev_b32_e32 v5, s25, v5
	v_mul_lo_u32 v7, v3, s44
	v_mul_lo_u32 v9, v3, s45
	v_mul_hi_u32 v6, s27, v5
	v_add_nc_u32_e32 v6, v5, v6
	v_lshrrev_b32_e32 v6, s12, v6
	v_mul_hi_u32 v8, s14, v6
	v_mul_lo_u32 v10, v6, s26
	v_add_nc_u32_e32 v3, v6, v8
	v_mul_lo_u32 v8, v5, s23
	v_sub_nc_u32_e32 v5, v5, v10
	v_lshrrev_b32_e32 v3, s15, v3
	v_mul_lo_u32 v10, v5, s48
	v_mul_lo_u32 v5, v5, s49
	v_sub_nc_u32_e32 v4, v4, v8
	v_mul_lo_u32 v11, v3, s13
	v_mul_lo_u32 v8, v4, s46
	;; [unrolled: 1-line block ×3, first 2 shown]
	v_sub_nc_u32_e32 v6, v6, v11
	v_add3_u32 v7, v7, v43, v8
	v_mul_lo_u32 v11, v6, s50
	v_mul_lo_u32 v6, v6, s51
	v_add3_u32 v2, v9, v2, v4
	v_add3_u32 v43, v10, v7, v11
	;; [unrolled: 1-line block ×3, first 2 shown]
	s_cbranch_scc1 .LBB130_12
; %bb.13:
	s_and_b32 s10, s10, 3
	s_cmp_eq_u32 s10, 0
	s_cbranch_scc0 .LBB130_25
	s_branch .LBB130_27
.LBB130_14:
	s_or_b32 exec_lo, exec_lo, s47
	s_mov_b32 s47, exec_lo
	v_cmpx_gt_i32_e64 s44, v38
	s_cbranch_execz .LBB130_83
.LBB130_15:
	s_andn2_b32 vcc_lo, exec_lo, s41
	s_cbranch_vccnz .LBB130_22
; %bb.16:
	s_andn2_b32 vcc_lo, exec_lo, s46
	s_cbranch_vccnz .LBB130_74
; %bb.17:
	s_add_i32 s9, s45, 1
	s_cmp_eq_u32 s40, 2
	s_cbranch_scc1 .LBB130_91
; %bb.18:
	v_mov_b32_e32 v2, 0
	v_mov_b32_e32 v36, 0
	;; [unrolled: 1-line block ×3, first 2 shown]
	s_and_b32 s8, s9, 28
	s_mov_b32 s10, 0
	s_mov_b64 s[4:5], s[18:19]
	s_mov_b64 s[6:7], s[34:35]
.LBB130_19:                             ; =>This Inner Loop Header: Depth=1
	s_clause 0x1
	s_load_dwordx8 s[48:55], s[4:5], 0x4
	s_load_dwordx4 s[12:15], s[4:5], 0x24
	s_load_dwordx8 s[56:63], s[6:7], 0x0
	s_add_u32 s4, s4, 48
	s_addc_u32 s5, s5, 0
	s_add_i32 s10, s10, 4
	s_add_u32 s6, s6, 32
	s_addc_u32 s7, s7, 0
	s_cmp_eq_u32 s8, s10
	s_waitcnt lgkmcnt(0)
	v_mul_hi_u32 v1, s49, v0
	v_add_nc_u32_e32 v1, v0, v1
	v_lshrrev_b32_e32 v1, s50, v1
	v_mul_hi_u32 v3, s52, v1
	v_mul_lo_u32 v5, v1, s48
	v_add_nc_u32_e32 v3, v1, v3
	v_sub_nc_u32_e32 v0, v0, v5
	v_lshrrev_b32_e32 v3, s53, v3
	v_mul_lo_u32 v5, v0, s56
	v_mul_lo_u32 v7, v0, s57
	v_mul_hi_u32 v4, s55, v3
	v_add_nc_u32_e32 v4, v3, v4
	v_lshrrev_b32_e32 v4, s12, v4
	v_mul_hi_u32 v6, s14, v4
	v_mul_lo_u32 v8, v4, s54
	v_add_nc_u32_e32 v0, v4, v6
	v_mul_lo_u32 v6, v3, s51
	v_sub_nc_u32_e32 v3, v3, v8
	v_lshrrev_b32_e32 v0, s15, v0
	v_mul_lo_u32 v8, v3, s60
	v_mul_lo_u32 v3, v3, s61
	v_sub_nc_u32_e32 v1, v1, v6
	v_mul_lo_u32 v9, v0, s13
	v_mul_lo_u32 v6, v1, s58
	;; [unrolled: 1-line block ×3, first 2 shown]
	v_sub_nc_u32_e32 v4, v4, v9
	v_add3_u32 v5, v5, v36, v6
	v_mul_lo_u32 v9, v4, s62
	v_mul_lo_u32 v4, v4, s63
	v_add3_u32 v1, v7, v2, v1
	v_add3_u32 v36, v8, v5, v9
	;; [unrolled: 1-line block ×3, first 2 shown]
	s_cbranch_scc0 .LBB130_19
	s_branch .LBB130_92
.LBB130_20:
	s_mov_b32 s8, -1
                                        ; implicit-def: $vgpr43
                                        ; implicit-def: $vgpr2
	s_branch .LBB130_27
.LBB130_21:
                                        ; implicit-def: $vgpr36
                                        ; implicit-def: $vgpr2
	s_branch .LBB130_80
.LBB130_22:
                                        ; implicit-def: $vgpr36
                                        ; implicit-def: $vgpr2
	s_branch .LBB130_96
.LBB130_23:
	v_mov_b32_e32 v43, 0
	v_mov_b32_e32 v2, 0
	s_branch .LBB130_27
.LBB130_24:
	v_mov_b32_e32 v43, 0
	v_mov_b32_e32 v2, 0
	;; [unrolled: 1-line block ×3, first 2 shown]
	s_mov_b32 s9, 0
	s_and_b32 s10, s10, 3
	s_cmp_eq_u32 s10, 0
	s_cbranch_scc1 .LBB130_27
.LBB130_25:
	s_lshl_b32 s4, s9, 3
	s_mul_i32 s6, s9, 12
	s_add_u32 s4, s18, s4
	s_addc_u32 s5, s19, 0
	s_add_u32 s4, s4, 0xc4
	s_addc_u32 s5, s5, 0
	;; [unrolled: 2-line block ×3, first 2 shown]
	.p2align	6
.LBB130_26:                             ; =>This Inner Loop Header: Depth=1
	s_clause 0x1
	s_load_dwordx2 s[12:13], s[6:7], 0x4
	s_load_dword s9, s[6:7], 0xc
	s_load_dwordx2 s[14:15], s[4:5], 0x0
	s_add_u32 s6, s6, 12
	s_addc_u32 s7, s7, 0
	s_add_u32 s4, s4, 8
	s_addc_u32 s5, s5, 0
	s_add_i32 s10, s10, -1
	s_cmp_lg_u32 s10, 0
	s_waitcnt lgkmcnt(0)
	v_mul_hi_u32 v4, s13, v3
	v_add_nc_u32_e32 v4, v3, v4
	v_lshrrev_b32_e32 v4, s9, v4
	v_mul_lo_u32 v5, v4, s12
	v_sub_nc_u32_e32 v3, v3, v5
	v_mad_u64_u32 v[43:44], null, v3, s14, v[43:44]
	v_mad_u64_u32 v[2:3], null, v3, s15, v[2:3]
	v_mov_b32_e32 v3, v4
	s_cbranch_scc1 .LBB130_26
.LBB130_27:
	s_andn2_b32 vcc_lo, exec_lo, s8
	s_cbranch_vccnz .LBB130_30
; %bb.28:
	s_clause 0x1
	s_load_dwordx4 s[4:7], s[18:19], 0x4
	s_load_dwordx2 s[8:9], s[18:19], 0xc4
	s_cmp_lt_u32 s33, 2
	s_waitcnt lgkmcnt(0)
	v_mul_hi_u32 v2, s5, v38
	v_add_nc_u32_e32 v2, v38, v2
	v_lshrrev_b32_e32 v3, s6, v2
	v_mul_lo_u32 v2, v3, s4
	v_sub_nc_u32_e32 v2, v38, v2
	v_mul_lo_u32 v43, v2, s8
	v_mul_lo_u32 v2, v2, s9
	s_cbranch_scc1 .LBB130_30
; %bb.29:
	s_clause 0x1
	s_load_dwordx4 s[4:7], s[18:19], 0x10
	s_load_dwordx2 s[8:9], s[18:19], 0xcc
	s_waitcnt lgkmcnt(0)
	v_mul_hi_u32 v4, s5, v3
	v_add_nc_u32_e32 v4, v3, v4
	v_lshrrev_b32_e32 v4, s6, v4
	v_mul_lo_u32 v4, v4, s4
	v_sub_nc_u32_e32 v3, v3, v4
	v_mad_u64_u32 v[43:44], null, v3, s8, v[43:44]
	v_mad_u64_u32 v[2:3], null, v3, s9, v[2:3]
.LBB130_30:
	v_cmp_ne_u32_e32 vcc_lo, 1, v1
	v_add_nc_u32_e32 v3, 0x80, v38
	s_cbranch_vccnz .LBB130_36
; %bb.31:
	s_cmp_lg_u32 s33, 0
	s_mov_b32 s8, 0
	s_cbranch_scc0 .LBB130_37
; %bb.32:
	s_min_u32 s10, s40, 15
	s_add_i32 s10, s10, 1
	s_cmp_eq_u32 s40, 2
	s_cbranch_scc1 .LBB130_38
; %bb.33:
	v_mov_b32_e32 v36, 0
	v_mov_b32_e32 v44, 0
	;; [unrolled: 1-line block ×3, first 2 shown]
	s_and_b32 s9, s10, 28
	s_add_u32 s4, s18, 0xc4
	s_addc_u32 s5, s19, 0
	s_mov_b32 s11, 0
	s_mov_b64 s[6:7], s[18:19]
.LBB130_34:                             ; =>This Inner Loop Header: Depth=1
	s_waitcnt lgkmcnt(0)
	s_clause 0x1
	s_load_dwordx8 s[20:27], s[6:7], 0x4
	s_load_dwordx4 s[12:15], s[6:7], 0x24
	s_load_dwordx8 s[44:51], s[4:5], 0x0
	s_add_u32 s6, s6, 48
	s_addc_u32 s7, s7, 0
	s_add_i32 s11, s11, 4
	s_add_u32 s4, s4, 32
	s_addc_u32 s5, s5, 0
	s_cmp_lg_u32 s9, s11
	s_waitcnt lgkmcnt(0)
	v_mul_hi_u32 v5, s21, v4
	v_add_nc_u32_e32 v5, v4, v5
	v_lshrrev_b32_e32 v5, s22, v5
	v_mul_hi_u32 v6, s24, v5
	v_mul_lo_u32 v8, v5, s20
	v_add_nc_u32_e32 v6, v5, v6
	v_sub_nc_u32_e32 v4, v4, v8
	v_lshrrev_b32_e32 v6, s25, v6
	v_mul_lo_u32 v8, v4, s44
	v_mul_lo_u32 v10, v4, s45
	v_mul_hi_u32 v7, s27, v6
	v_add_nc_u32_e32 v7, v6, v7
	v_lshrrev_b32_e32 v7, s12, v7
	v_mul_hi_u32 v9, s14, v7
	v_mul_lo_u32 v11, v7, s26
	v_add_nc_u32_e32 v4, v7, v9
	v_mul_lo_u32 v9, v6, s23
	v_sub_nc_u32_e32 v6, v6, v11
	v_lshrrev_b32_e32 v4, s15, v4
	v_mul_lo_u32 v11, v6, s48
	v_mul_lo_u32 v6, v6, s49
	v_sub_nc_u32_e32 v5, v5, v9
	v_mul_lo_u32 v12, v4, s13
	v_mul_lo_u32 v9, v5, s46
	;; [unrolled: 1-line block ×3, first 2 shown]
	v_sub_nc_u32_e32 v7, v7, v12
	v_add3_u32 v8, v8, v44, v9
	v_mul_lo_u32 v12, v7, s50
	v_mul_lo_u32 v7, v7, s51
	v_add3_u32 v5, v10, v36, v5
	v_add3_u32 v44, v11, v8, v12
	;; [unrolled: 1-line block ×3, first 2 shown]
	s_cbranch_scc1 .LBB130_34
; %bb.35:
	s_and_b32 s10, s10, 3
	s_cmp_eq_u32 s10, 0
	s_cbranch_scc0 .LBB130_39
	s_branch .LBB130_41
.LBB130_36:
	s_mov_b32 s8, -1
                                        ; implicit-def: $vgpr44
                                        ; implicit-def: $vgpr36
	s_branch .LBB130_41
.LBB130_37:
	v_mov_b32_e32 v44, 0
	v_mov_b32_e32 v36, 0
	s_branch .LBB130_41
.LBB130_38:
	v_mov_b32_e32 v44, 0
	v_mov_b32_e32 v36, 0
	;; [unrolled: 1-line block ×3, first 2 shown]
	s_mov_b32 s9, 0
	s_and_b32 s10, s10, 3
	s_cmp_eq_u32 s10, 0
	s_cbranch_scc1 .LBB130_41
.LBB130_39:
	s_lshl_b32 s4, s9, 3
	s_mul_i32 s6, s9, 12
	s_add_u32 s4, s18, s4
	s_addc_u32 s5, s19, 0
	s_add_u32 s4, s4, 0xc4
	s_addc_u32 s5, s5, 0
	;; [unrolled: 2-line block ×3, first 2 shown]
	.p2align	6
.LBB130_40:                             ; =>This Inner Loop Header: Depth=1
	s_clause 0x1
	s_load_dwordx2 s[12:13], s[6:7], 0x4
	s_load_dword s9, s[6:7], 0xc
	s_load_dwordx2 s[14:15], s[4:5], 0x0
	s_add_u32 s6, s6, 12
	s_addc_u32 s7, s7, 0
	s_add_u32 s4, s4, 8
	s_addc_u32 s5, s5, 0
	s_add_i32 s10, s10, -1
	s_cmp_lg_u32 s10, 0
	s_waitcnt lgkmcnt(0)
	v_mul_hi_u32 v5, s13, v4
	v_add_nc_u32_e32 v5, v4, v5
	v_lshrrev_b32_e32 v5, s9, v5
	v_mul_lo_u32 v6, v5, s12
	v_sub_nc_u32_e32 v4, v4, v6
	v_mad_u64_u32 v[44:45], null, v4, s14, v[44:45]
	v_mad_u64_u32 v[36:37], null, v4, s15, v[36:37]
	v_mov_b32_e32 v4, v5
	s_cbranch_scc1 .LBB130_40
.LBB130_41:
	s_andn2_b32 vcc_lo, exec_lo, s8
	s_cbranch_vccnz .LBB130_44
; %bb.42:
	s_clause 0x1
	s_load_dwordx4 s[4:7], s[18:19], 0x4
	s_load_dwordx2 s[8:9], s[18:19], 0xc4
	s_cmp_lt_u32 s33, 2
	s_waitcnt lgkmcnt(0)
	v_mul_hi_u32 v4, s5, v3
	v_add_nc_u32_e32 v4, v3, v4
	v_lshrrev_b32_e32 v4, s6, v4
	v_mul_lo_u32 v5, v4, s4
	v_sub_nc_u32_e32 v3, v3, v5
	v_mul_lo_u32 v44, v3, s8
	v_mul_lo_u32 v36, v3, s9
	s_cbranch_scc1 .LBB130_44
; %bb.43:
	s_clause 0x1
	s_load_dwordx4 s[4:7], s[18:19], 0x10
	s_load_dwordx2 s[8:9], s[18:19], 0xcc
	s_waitcnt lgkmcnt(0)
	v_mul_hi_u32 v3, s5, v4
	v_add_nc_u32_e32 v3, v4, v3
	v_lshrrev_b32_e32 v3, s6, v3
	v_mul_lo_u32 v3, v3, s4
	v_sub_nc_u32_e32 v3, v4, v3
	v_mad_u64_u32 v[44:45], null, v3, s8, v[44:45]
	v_mad_u64_u32 v[36:37], null, v3, s9, v[36:37]
.LBB130_44:
	v_cmp_ne_u32_e32 vcc_lo, 1, v1
	v_add_nc_u32_e32 v3, 0x100, v38
	s_cbranch_vccnz .LBB130_50
; %bb.45:
	s_cmp_lg_u32 s33, 0
	s_mov_b32 s8, 0
	s_cbranch_scc0 .LBB130_51
; %bb.46:
	s_min_u32 s10, s40, 15
	s_add_i32 s10, s10, 1
	s_cmp_eq_u32 s40, 2
	s_cbranch_scc1 .LBB130_52
; %bb.47:
	v_mov_b32_e32 v37, 0
	v_mov_b32_e32 v45, 0
	;; [unrolled: 1-line block ×3, first 2 shown]
	s_and_b32 s9, s10, 28
	s_add_u32 s4, s18, 0xc4
	s_addc_u32 s5, s19, 0
	s_mov_b32 s11, 0
	s_mov_b64 s[6:7], s[18:19]
.LBB130_48:                             ; =>This Inner Loop Header: Depth=1
	s_waitcnt lgkmcnt(0)
	s_clause 0x1
	s_load_dwordx8 s[20:27], s[6:7], 0x4
	s_load_dwordx4 s[12:15], s[6:7], 0x24
	s_load_dwordx8 s[44:51], s[4:5], 0x0
	s_add_u32 s6, s6, 48
	s_addc_u32 s7, s7, 0
	s_add_i32 s11, s11, 4
	s_add_u32 s4, s4, 32
	s_addc_u32 s5, s5, 0
	s_cmp_lg_u32 s9, s11
	s_waitcnt lgkmcnt(0)
	v_mul_hi_u32 v5, s21, v4
	v_add_nc_u32_e32 v5, v4, v5
	v_lshrrev_b32_e32 v5, s22, v5
	v_mul_hi_u32 v6, s24, v5
	v_mul_lo_u32 v8, v5, s20
	v_add_nc_u32_e32 v6, v5, v6
	v_sub_nc_u32_e32 v4, v4, v8
	v_lshrrev_b32_e32 v6, s25, v6
	v_mul_lo_u32 v8, v4, s44
	v_mul_lo_u32 v10, v4, s45
	v_mul_hi_u32 v7, s27, v6
	v_add_nc_u32_e32 v7, v6, v7
	v_lshrrev_b32_e32 v7, s12, v7
	v_mul_hi_u32 v9, s14, v7
	v_mul_lo_u32 v11, v7, s26
	v_add_nc_u32_e32 v4, v7, v9
	v_mul_lo_u32 v9, v6, s23
	v_sub_nc_u32_e32 v6, v6, v11
	v_lshrrev_b32_e32 v4, s15, v4
	v_mul_lo_u32 v11, v6, s48
	v_mul_lo_u32 v6, v6, s49
	v_sub_nc_u32_e32 v5, v5, v9
	v_mul_lo_u32 v12, v4, s13
	v_mul_lo_u32 v9, v5, s46
	;; [unrolled: 1-line block ×3, first 2 shown]
	v_sub_nc_u32_e32 v7, v7, v12
	v_add3_u32 v8, v8, v45, v9
	v_mul_lo_u32 v12, v7, s50
	v_mul_lo_u32 v7, v7, s51
	v_add3_u32 v5, v10, v37, v5
	v_add3_u32 v45, v11, v8, v12
	v_add3_u32 v37, v6, v5, v7
	s_cbranch_scc1 .LBB130_48
; %bb.49:
	s_and_b32 s10, s10, 3
	s_cmp_eq_u32 s10, 0
	s_cbranch_scc0 .LBB130_53
	s_branch .LBB130_55
.LBB130_50:
	s_mov_b32 s8, -1
                                        ; implicit-def: $vgpr45
                                        ; implicit-def: $vgpr37
	s_branch .LBB130_55
.LBB130_51:
	v_mov_b32_e32 v45, 0
	v_mov_b32_e32 v37, 0
	s_branch .LBB130_55
.LBB130_52:
	v_mov_b32_e32 v45, 0
	v_mov_b32_e32 v37, 0
	;; [unrolled: 1-line block ×3, first 2 shown]
	s_mov_b32 s9, 0
	s_and_b32 s10, s10, 3
	s_cmp_eq_u32 s10, 0
	s_cbranch_scc1 .LBB130_55
.LBB130_53:
	s_lshl_b32 s4, s9, 3
	s_mul_i32 s6, s9, 12
	s_add_u32 s4, s18, s4
	s_addc_u32 s5, s19, 0
	s_add_u32 s4, s4, 0xc4
	s_addc_u32 s5, s5, 0
	;; [unrolled: 2-line block ×3, first 2 shown]
	.p2align	6
.LBB130_54:                             ; =>This Inner Loop Header: Depth=1
	s_clause 0x1
	s_load_dwordx2 s[12:13], s[6:7], 0x4
	s_load_dword s9, s[6:7], 0xc
	s_load_dwordx2 s[14:15], s[4:5], 0x0
	s_add_u32 s6, s6, 12
	s_addc_u32 s7, s7, 0
	s_add_u32 s4, s4, 8
	s_addc_u32 s5, s5, 0
	s_add_i32 s10, s10, -1
	s_cmp_lg_u32 s10, 0
	s_waitcnt lgkmcnt(0)
	v_mul_hi_u32 v5, s13, v4
	v_add_nc_u32_e32 v5, v4, v5
	v_lshrrev_b32_e32 v5, s9, v5
	v_mul_lo_u32 v6, v5, s12
	v_sub_nc_u32_e32 v4, v4, v6
	v_mad_u64_u32 v[45:46], null, v4, s14, v[45:46]
	v_mad_u64_u32 v[37:38], null, v4, s15, v[37:38]
	v_mov_b32_e32 v4, v5
	s_cbranch_scc1 .LBB130_54
.LBB130_55:
	s_andn2_b32 vcc_lo, exec_lo, s8
	s_cbranch_vccnz .LBB130_58
; %bb.56:
	s_clause 0x1
	s_load_dwordx4 s[4:7], s[18:19], 0x4
	s_load_dwordx2 s[8:9], s[18:19], 0xc4
	s_cmp_lt_u32 s33, 2
	s_waitcnt lgkmcnt(0)
	v_mul_hi_u32 v4, s5, v3
	v_add_nc_u32_e32 v4, v3, v4
	v_lshrrev_b32_e32 v4, s6, v4
	v_mul_lo_u32 v5, v4, s4
	v_sub_nc_u32_e32 v3, v3, v5
	v_mul_lo_u32 v45, v3, s8
	v_mul_lo_u32 v37, v3, s9
	s_cbranch_scc1 .LBB130_58
; %bb.57:
	s_clause 0x1
	s_load_dwordx4 s[4:7], s[18:19], 0x10
	s_load_dwordx2 s[8:9], s[18:19], 0xcc
	s_waitcnt lgkmcnt(0)
	v_mul_hi_u32 v3, s5, v4
	v_add_nc_u32_e32 v3, v4, v3
	v_lshrrev_b32_e32 v3, s6, v3
	v_mul_lo_u32 v3, v3, s4
	v_sub_nc_u32_e32 v3, v4, v3
	v_mad_u64_u32 v[45:46], null, v3, s8, v[45:46]
	v_mad_u64_u32 v[37:38], null, v3, s9, v[37:38]
.LBB130_58:
	v_cmp_ne_u32_e32 vcc_lo, 1, v1
	s_cbranch_vccnz .LBB130_64
; %bb.59:
	s_cmp_lg_u32 s33, 0
	s_mov_b32 s8, 0
	s_cbranch_scc0 .LBB130_65
; %bb.60:
	s_min_u32 s10, s40, 15
	s_add_i32 s10, s10, 1
	s_cmp_eq_u32 s40, 2
	s_cbranch_scc1 .LBB130_66
; %bb.61:
	v_mov_b32_e32 v38, 0
	v_mov_b32_e32 v46, 0
	;; [unrolled: 1-line block ×3, first 2 shown]
	s_and_b32 s9, s10, 28
	s_add_u32 s4, s18, 0xc4
	s_addc_u32 s5, s19, 0
	s_mov_b32 s11, 0
	s_mov_b64 s[6:7], s[18:19]
.LBB130_62:                             ; =>This Inner Loop Header: Depth=1
	s_waitcnt lgkmcnt(0)
	s_clause 0x1
	s_load_dwordx8 s[20:27], s[6:7], 0x4
	s_load_dwordx4 s[12:15], s[6:7], 0x24
	s_load_dwordx8 s[36:43], s[4:5], 0x0
	s_add_u32 s6, s6, 48
	s_addc_u32 s7, s7, 0
	s_add_i32 s11, s11, 4
	s_add_u32 s4, s4, 32
	s_addc_u32 s5, s5, 0
	s_cmp_lg_u32 s9, s11
	s_waitcnt lgkmcnt(0)
	v_mul_hi_u32 v3, s21, v1
	v_add_nc_u32_e32 v3, v1, v3
	v_lshrrev_b32_e32 v3, s22, v3
	v_mul_hi_u32 v4, s24, v3
	v_mul_lo_u32 v6, v3, s20
	v_add_nc_u32_e32 v4, v3, v4
	v_sub_nc_u32_e32 v1, v1, v6
	v_lshrrev_b32_e32 v4, s25, v4
	v_mul_lo_u32 v6, v1, s36
	v_mul_lo_u32 v8, v1, s37
	v_mul_hi_u32 v5, s27, v4
	v_add_nc_u32_e32 v5, v4, v5
	v_lshrrev_b32_e32 v5, s12, v5
	v_mul_hi_u32 v7, s14, v5
	v_mul_lo_u32 v9, v5, s26
	v_add_nc_u32_e32 v1, v5, v7
	v_mul_lo_u32 v7, v4, s23
	v_sub_nc_u32_e32 v4, v4, v9
	v_lshrrev_b32_e32 v1, s15, v1
	v_mul_lo_u32 v9, v4, s40
	v_mul_lo_u32 v4, v4, s41
	v_sub_nc_u32_e32 v3, v3, v7
	v_mul_lo_u32 v10, v1, s13
	v_mul_lo_u32 v7, v3, s38
	;; [unrolled: 1-line block ×3, first 2 shown]
	v_sub_nc_u32_e32 v5, v5, v10
	v_add3_u32 v6, v6, v46, v7
	v_mul_lo_u32 v10, v5, s42
	v_mul_lo_u32 v5, v5, s43
	v_add3_u32 v3, v8, v38, v3
	v_add3_u32 v46, v9, v6, v10
	;; [unrolled: 1-line block ×3, first 2 shown]
	s_cbranch_scc1 .LBB130_62
; %bb.63:
	s_and_b32 s10, s10, 3
	s_cmp_eq_u32 s10, 0
	s_cbranch_scc0 .LBB130_67
	s_branch .LBB130_69
.LBB130_64:
	s_mov_b32 s8, -1
                                        ; implicit-def: $vgpr46
                                        ; implicit-def: $vgpr38
	s_branch .LBB130_69
.LBB130_65:
	v_mov_b32_e32 v46, 0
	v_mov_b32_e32 v38, 0
	s_branch .LBB130_69
.LBB130_66:
	v_mov_b32_e32 v46, 0
	v_mov_b32_e32 v38, 0
	;; [unrolled: 1-line block ×3, first 2 shown]
	s_mov_b32 s9, 0
	s_and_b32 s10, s10, 3
	s_cmp_eq_u32 s10, 0
	s_cbranch_scc1 .LBB130_69
.LBB130_67:
	s_lshl_b32 s4, s9, 3
	s_mul_i32 s6, s9, 12
	s_add_u32 s4, s18, s4
	s_addc_u32 s5, s19, 0
	s_add_u32 s4, s4, 0xc4
	s_addc_u32 s5, s5, 0
	;; [unrolled: 2-line block ×3, first 2 shown]
	.p2align	6
.LBB130_68:                             ; =>This Inner Loop Header: Depth=1
	s_clause 0x1
	s_load_dwordx2 s[12:13], s[6:7], 0x4
	s_load_dword s9, s[6:7], 0xc
	s_load_dwordx2 s[14:15], s[4:5], 0x0
	s_add_u32 s6, s6, 12
	s_addc_u32 s7, s7, 0
	s_add_u32 s4, s4, 8
	s_addc_u32 s5, s5, 0
	s_add_i32 s10, s10, -1
	s_cmp_lg_u32 s10, 0
	s_waitcnt lgkmcnt(0)
	v_mul_hi_u32 v3, s13, v1
	v_add_nc_u32_e32 v3, v1, v3
	v_lshrrev_b32_e32 v3, s9, v3
	v_mul_lo_u32 v4, v3, s12
	v_sub_nc_u32_e32 v1, v1, v4
	v_mad_u64_u32 v[46:47], null, v1, s14, v[46:47]
	v_mad_u64_u32 v[38:39], null, v1, s15, v[38:39]
	v_mov_b32_e32 v1, v3
	s_cbranch_scc1 .LBB130_68
.LBB130_69:
	s_andn2_b32 vcc_lo, exec_lo, s8
	s_cbranch_vccnz .LBB130_72
; %bb.70:
	s_clause 0x1
	s_load_dwordx4 s[4:7], s[18:19], 0x4
	s_load_dwordx2 s[8:9], s[18:19], 0xc4
	s_cmp_lt_u32 s33, 2
	s_waitcnt lgkmcnt(0)
	v_mul_hi_u32 v1, s5, v0
	v_add_nc_u32_e32 v1, v0, v1
	v_lshrrev_b32_e32 v1, s6, v1
	v_mul_lo_u32 v3, v1, s4
	v_sub_nc_u32_e32 v0, v0, v3
	v_mul_lo_u32 v46, v0, s8
	v_mul_lo_u32 v38, v0, s9
	s_cbranch_scc1 .LBB130_72
; %bb.71:
	s_clause 0x1
	s_load_dwordx4 s[4:7], s[18:19], 0x10
	s_load_dwordx2 s[8:9], s[18:19], 0xcc
	s_waitcnt lgkmcnt(0)
	v_mul_hi_u32 v0, s5, v1
	v_add_nc_u32_e32 v0, v1, v0
	v_lshrrev_b32_e32 v0, s6, v0
	v_mul_lo_u32 v0, v0, s4
	v_sub_nc_u32_e32 v0, v1, v0
	v_mad_u64_u32 v[46:47], null, v0, s8, v[46:47]
	v_mad_u64_u32 v[38:39], null, v0, s9, v[38:39]
.LBB130_72:
	s_waitcnt lgkmcnt(0)
	s_load_dwordx4 s[20:23], s[18:19], 0x148
	s_getpc_b64 s[18:19]
	s_add_u32 s18, s18, _ZN2at6native6invokeIZZZNS0_18lgamma_kernel_cudaERNS_18TensorIteratorBaseEENKUlvE_clEvENKUlvE_clEvEUldE_j15function_traitsIS6_EEENT1_11result_typeERKT_PrKPcPKT0_i@rel32@lo+4
	s_addc_u32 s19, s19, _ZN2at6native6invokeIZZZNS0_18lgamma_kernel_cudaERNS_18TensorIteratorBaseEENKUlvE_clEvENKUlvE_clEvEUldE_j15function_traitsIS6_EEENT1_11result_typeERKT_PrKPcPKT0_i@rel32@hi+12
	s_waitcnt lgkmcnt(0)
	v_mov_b32_e32 v0, s22
	v_mov_b32_e32 v1, s23
	s_swappc_b64 s[30:31], s[18:19]
	v_mov_b32_e32 v39, v0
	v_mov_b32_e32 v40, v1
	v_mov_b32_e32 v0, s22
	v_mov_b32_e32 v1, s23
	v_mov_b32_e32 v2, v36
	s_swappc_b64 s[30:31], s[18:19]
	v_mov_b32_e32 v41, v0
	v_mov_b32_e32 v42, v1
	v_mov_b32_e32 v0, s22
	;; [unrolled: 6-line block ×3, first 2 shown]
	v_mov_b32_e32 v1, s23
	v_mov_b32_e32 v2, v38
	s_swappc_b64 s[30:31], s[18:19]
	global_store_dwordx2 v43, v[39:40], s[20:21]
	global_store_dwordx2 v44, v[41:42], s[20:21]
	;; [unrolled: 1-line block ×4, first 2 shown]
	s_endpgm
.LBB130_73:
	v_mov_b32_e32 v36, 0
	v_mov_b32_e32 v2, 0
	s_branch .LBB130_79
.LBB130_74:
	v_mov_b32_e32 v36, 0
	v_mov_b32_e32 v2, 0
	s_branch .LBB130_95
.LBB130_75:
	v_mov_b32_e32 v36, 0
	v_mov_b32_e32 v2, 0
	;; [unrolled: 1-line block ×3, first 2 shown]
	s_mov_b32 s8, 0
.LBB130_76:
	s_and_b32 s9, s9, 3
	s_cmp_eq_u32 s9, 0
	s_cbranch_scc1 .LBB130_79
; %bb.77:
	s_lshl_b32 s4, s8, 3
	s_mul_i32 s6, s8, 12
	s_add_u32 s4, s18, s4
	s_addc_u32 s5, s19, 0
	s_add_u32 s4, s4, 0xc4
	s_addc_u32 s5, s5, 0
	;; [unrolled: 2-line block ×3, first 2 shown]
	.p2align	6
.LBB130_78:                             ; =>This Inner Loop Header: Depth=1
	s_clause 0x1
	s_load_dwordx2 s[10:11], s[6:7], 0x4
	s_load_dword s8, s[6:7], 0xc
	s_load_dwordx2 s[12:13], s[4:5], 0x0
	s_add_u32 s6, s6, 12
	s_addc_u32 s7, s7, 0
	s_add_u32 s4, s4, 8
	s_addc_u32 s5, s5, 0
	s_add_i32 s9, s9, -1
	s_cmp_lg_u32 s9, 0
	s_waitcnt lgkmcnt(0)
	v_mul_hi_u32 v1, s11, v0
	v_add_nc_u32_e32 v1, v0, v1
	v_lshrrev_b32_e32 v1, s8, v1
	v_mul_lo_u32 v3, v1, s10
	v_sub_nc_u32_e32 v0, v0, v3
	v_mad_u64_u32 v[36:37], null, v0, s12, v[36:37]
	v_mad_u64_u32 v[2:3], null, v0, s13, v[2:3]
	v_mov_b32_e32 v0, v1
	s_cbranch_scc1 .LBB130_78
.LBB130_79:
	s_cbranch_execnz .LBB130_82
.LBB130_80:
	s_waitcnt lgkmcnt(0)
	v_mul_hi_u32 v0, s37, v38
	s_andn2_b32 vcc_lo, exec_lo, s43
	v_add_nc_u32_e32 v0, v38, v0
	v_lshrrev_b32_e32 v0, s38, v0
	v_mul_lo_u32 v1, v0, s36
	v_sub_nc_u32_e32 v1, v38, v1
	v_mul_lo_u32 v36, v1, s24
	v_mul_lo_u32 v2, v1, s25
	s_cbranch_vccnz .LBB130_82
; %bb.81:
	v_mul_hi_u32 v1, s28, v0
	v_add_nc_u32_e32 v1, v0, v1
	v_lshrrev_b32_e32 v1, s29, v1
	v_mul_lo_u32 v1, v1, s39
	v_sub_nc_u32_e32 v0, v0, v1
	v_mad_u64_u32 v[36:37], null, v0, s26, v[36:37]
	v_mad_u64_u32 v[2:3], null, v0, s27, v[2:3]
.LBB130_82:
	s_waitcnt lgkmcnt(0)
	v_mov_b32_e32 v0, s22
	v_mov_b32_e32 v1, s23
	s_getpc_b64 s[4:5]
	s_add_u32 s4, s4, _ZN2at6native6invokeIZZZNS0_18lgamma_kernel_cudaERNS_18TensorIteratorBaseEENKUlvE_clEvENKUlvE_clEvEUldE_j15function_traitsIS6_EEENT1_11result_typeERKT_PrKPcPKT0_i@rel32@lo+4
	s_addc_u32 s5, s5, _ZN2at6native6invokeIZZZNS0_18lgamma_kernel_cudaERNS_18TensorIteratorBaseEENKUlvE_clEvENKUlvE_clEvEUldE_j15function_traitsIS6_EEENT1_11result_typeERKT_PrKPcPKT0_i@rel32@hi+12
	s_swappc_b64 s[30:31], s[4:5]
	v_add_nc_u32_e32 v38, 0x80, v38
	global_store_dwordx2 v36, v[0:1], s[20:21]
	s_or_b32 exec_lo, exec_lo, s47
	s_mov_b32 s47, exec_lo
	v_cmpx_gt_i32_e64 s44, v38
	s_cbranch_execnz .LBB130_15
.LBB130_83:
	s_or_b32 exec_lo, exec_lo, s47
	s_mov_b32 s47, exec_lo
	v_cmpx_gt_i32_e64 s44, v38
	s_cbranch_execz .LBB130_99
.LBB130_84:
	s_andn2_b32 vcc_lo, exec_lo, s41
	s_cbranch_vccnz .LBB130_89
; %bb.85:
	s_andn2_b32 vcc_lo, exec_lo, s46
	s_cbranch_vccnz .LBB130_90
; %bb.86:
	s_add_i32 s9, s45, 1
	s_cmp_eq_u32 s40, 2
	s_cbranch_scc1 .LBB130_102
; %bb.87:
	v_mov_b32_e32 v2, 0
	v_mov_b32_e32 v36, 0
	;; [unrolled: 1-line block ×3, first 2 shown]
	s_and_b32 s8, s9, 28
	s_mov_b32 s10, 0
	s_mov_b64 s[4:5], s[18:19]
	s_mov_b64 s[6:7], s[34:35]
.LBB130_88:                             ; =>This Inner Loop Header: Depth=1
	s_clause 0x1
	s_load_dwordx8 s[48:55], s[4:5], 0x4
	s_load_dwordx4 s[12:15], s[4:5], 0x24
	s_load_dwordx8 s[56:63], s[6:7], 0x0
	s_add_u32 s4, s4, 48
	s_addc_u32 s5, s5, 0
	s_add_i32 s10, s10, 4
	s_add_u32 s6, s6, 32
	s_addc_u32 s7, s7, 0
	s_cmp_eq_u32 s8, s10
	s_waitcnt lgkmcnt(0)
	v_mul_hi_u32 v1, s49, v0
	v_add_nc_u32_e32 v1, v0, v1
	v_lshrrev_b32_e32 v1, s50, v1
	v_mul_hi_u32 v3, s52, v1
	v_mul_lo_u32 v5, v1, s48
	v_add_nc_u32_e32 v3, v1, v3
	v_sub_nc_u32_e32 v0, v0, v5
	v_lshrrev_b32_e32 v3, s53, v3
	v_mul_lo_u32 v5, v0, s56
	v_mul_lo_u32 v7, v0, s57
	v_mul_hi_u32 v4, s55, v3
	v_add_nc_u32_e32 v4, v3, v4
	v_lshrrev_b32_e32 v4, s12, v4
	v_mul_hi_u32 v6, s14, v4
	v_mul_lo_u32 v8, v4, s54
	v_add_nc_u32_e32 v0, v4, v6
	v_mul_lo_u32 v6, v3, s51
	v_sub_nc_u32_e32 v3, v3, v8
	v_lshrrev_b32_e32 v0, s15, v0
	v_mul_lo_u32 v8, v3, s60
	v_mul_lo_u32 v3, v3, s61
	v_sub_nc_u32_e32 v1, v1, v6
	v_mul_lo_u32 v9, v0, s13
	v_mul_lo_u32 v6, v1, s58
	;; [unrolled: 1-line block ×3, first 2 shown]
	v_sub_nc_u32_e32 v4, v4, v9
	v_add3_u32 v5, v5, v36, v6
	v_mul_lo_u32 v9, v4, s62
	v_mul_lo_u32 v4, v4, s63
	v_add3_u32 v1, v7, v2, v1
	v_add3_u32 v36, v8, v5, v9
	;; [unrolled: 1-line block ×3, first 2 shown]
	s_cbranch_scc0 .LBB130_88
	s_branch .LBB130_103
.LBB130_89:
                                        ; implicit-def: $vgpr36
                                        ; implicit-def: $vgpr2
	s_branch .LBB130_107
.LBB130_90:
	v_mov_b32_e32 v36, 0
	v_mov_b32_e32 v2, 0
	s_branch .LBB130_106
.LBB130_91:
	v_mov_b32_e32 v36, 0
	v_mov_b32_e32 v2, 0
	;; [unrolled: 1-line block ×3, first 2 shown]
	s_mov_b32 s8, 0
.LBB130_92:
	s_and_b32 s9, s9, 3
	s_cmp_eq_u32 s9, 0
	s_cbranch_scc1 .LBB130_95
; %bb.93:
	s_lshl_b32 s4, s8, 3
	s_mul_i32 s6, s8, 12
	s_add_u32 s4, s18, s4
	s_addc_u32 s5, s19, 0
	s_add_u32 s4, s4, 0xc4
	s_addc_u32 s5, s5, 0
	;; [unrolled: 2-line block ×3, first 2 shown]
	.p2align	6
.LBB130_94:                             ; =>This Inner Loop Header: Depth=1
	s_clause 0x1
	s_load_dwordx2 s[10:11], s[6:7], 0x4
	s_load_dword s8, s[6:7], 0xc
	s_load_dwordx2 s[12:13], s[4:5], 0x0
	s_add_u32 s6, s6, 12
	s_addc_u32 s7, s7, 0
	s_add_u32 s4, s4, 8
	s_addc_u32 s5, s5, 0
	s_add_i32 s9, s9, -1
	s_cmp_lg_u32 s9, 0
	s_waitcnt lgkmcnt(0)
	v_mul_hi_u32 v1, s11, v0
	v_add_nc_u32_e32 v1, v0, v1
	v_lshrrev_b32_e32 v1, s8, v1
	v_mul_lo_u32 v3, v1, s10
	v_sub_nc_u32_e32 v0, v0, v3
	v_mad_u64_u32 v[36:37], null, v0, s12, v[36:37]
	v_mad_u64_u32 v[2:3], null, v0, s13, v[2:3]
	v_mov_b32_e32 v0, v1
	s_cbranch_scc1 .LBB130_94
.LBB130_95:
	s_cbranch_execnz .LBB130_98
.LBB130_96:
	s_waitcnt lgkmcnt(0)
	v_mul_hi_u32 v0, s37, v38
	s_andn2_b32 vcc_lo, exec_lo, s43
	v_add_nc_u32_e32 v0, v38, v0
	v_lshrrev_b32_e32 v0, s38, v0
	v_mul_lo_u32 v1, v0, s36
	v_sub_nc_u32_e32 v1, v38, v1
	v_mul_lo_u32 v36, v1, s24
	v_mul_lo_u32 v2, v1, s25
	s_cbranch_vccnz .LBB130_98
; %bb.97:
	v_mul_hi_u32 v1, s28, v0
	v_add_nc_u32_e32 v1, v0, v1
	v_lshrrev_b32_e32 v1, s29, v1
	v_mul_lo_u32 v1, v1, s39
	v_sub_nc_u32_e32 v0, v0, v1
	v_mad_u64_u32 v[36:37], null, v0, s26, v[36:37]
	v_mad_u64_u32 v[2:3], null, v0, s27, v[2:3]
.LBB130_98:
	s_waitcnt lgkmcnt(0)
	v_mov_b32_e32 v0, s22
	v_mov_b32_e32 v1, s23
	s_getpc_b64 s[4:5]
	s_add_u32 s4, s4, _ZN2at6native6invokeIZZZNS0_18lgamma_kernel_cudaERNS_18TensorIteratorBaseEENKUlvE_clEvENKUlvE_clEvEUldE_j15function_traitsIS6_EEENT1_11result_typeERKT_PrKPcPKT0_i@rel32@lo+4
	s_addc_u32 s5, s5, _ZN2at6native6invokeIZZZNS0_18lgamma_kernel_cudaERNS_18TensorIteratorBaseEENKUlvE_clEvENKUlvE_clEvEUldE_j15function_traitsIS6_EEENT1_11result_typeERKT_PrKPcPKT0_i@rel32@hi+12
	s_swappc_b64 s[30:31], s[4:5]
	v_add_nc_u32_e32 v38, 0x80, v38
	global_store_dwordx2 v36, v[0:1], s[20:21]
	s_or_b32 exec_lo, exec_lo, s47
	s_mov_b32 s47, exec_lo
	v_cmpx_gt_i32_e64 s44, v38
	s_cbranch_execnz .LBB130_84
.LBB130_99:
	s_or_b32 exec_lo, exec_lo, s47
	v_cmp_gt_i32_e32 vcc_lo, s44, v38
	s_and_saveexec_b32 s44, vcc_lo
	s_cbranch_execnz .LBB130_110
.LBB130_100:
	s_or_b32 exec_lo, exec_lo, s44
                                        ; implicit-def: $vgpr0
                                        ; implicit-def: $vgpr38
	s_andn2_saveexec_b32 s4, s42
	s_cbranch_execnz .LBB130_8
.LBB130_101:
	s_endpgm
.LBB130_102:
	v_mov_b32_e32 v36, 0
	v_mov_b32_e32 v2, 0
	;; [unrolled: 1-line block ×3, first 2 shown]
	s_mov_b32 s8, 0
.LBB130_103:
	s_and_b32 s9, s9, 3
	s_cmp_eq_u32 s9, 0
	s_cbranch_scc1 .LBB130_106
; %bb.104:
	s_lshl_b32 s4, s8, 3
	s_mul_i32 s6, s8, 12
	s_add_u32 s4, s18, s4
	s_addc_u32 s5, s19, 0
	s_add_u32 s4, s4, 0xc4
	s_addc_u32 s5, s5, 0
	;; [unrolled: 2-line block ×3, first 2 shown]
	.p2align	6
.LBB130_105:                            ; =>This Inner Loop Header: Depth=1
	s_clause 0x1
	s_load_dwordx2 s[10:11], s[6:7], 0x4
	s_load_dword s8, s[6:7], 0xc
	s_load_dwordx2 s[12:13], s[4:5], 0x0
	s_add_u32 s6, s6, 12
	s_addc_u32 s7, s7, 0
	s_add_u32 s4, s4, 8
	s_addc_u32 s5, s5, 0
	s_add_i32 s9, s9, -1
	s_cmp_lg_u32 s9, 0
	s_waitcnt lgkmcnt(0)
	v_mul_hi_u32 v1, s11, v0
	v_add_nc_u32_e32 v1, v0, v1
	v_lshrrev_b32_e32 v1, s8, v1
	v_mul_lo_u32 v3, v1, s10
	v_sub_nc_u32_e32 v0, v0, v3
	v_mad_u64_u32 v[36:37], null, v0, s12, v[36:37]
	v_mad_u64_u32 v[2:3], null, v0, s13, v[2:3]
	v_mov_b32_e32 v0, v1
	s_cbranch_scc1 .LBB130_105
.LBB130_106:
	s_cbranch_execnz .LBB130_109
.LBB130_107:
	s_waitcnt lgkmcnt(0)
	v_mul_hi_u32 v0, s37, v38
	s_andn2_b32 vcc_lo, exec_lo, s43
	v_add_nc_u32_e32 v0, v38, v0
	v_lshrrev_b32_e32 v0, s38, v0
	v_mul_lo_u32 v1, v0, s36
	v_sub_nc_u32_e32 v1, v38, v1
	v_mul_lo_u32 v36, v1, s24
	v_mul_lo_u32 v2, v1, s25
	s_cbranch_vccnz .LBB130_109
; %bb.108:
	v_mul_hi_u32 v1, s28, v0
	v_add_nc_u32_e32 v1, v0, v1
	v_lshrrev_b32_e32 v1, s29, v1
	v_mul_lo_u32 v1, v1, s39
	v_sub_nc_u32_e32 v0, v0, v1
	v_mad_u64_u32 v[36:37], null, v0, s26, v[36:37]
	v_mad_u64_u32 v[2:3], null, v0, s27, v[2:3]
.LBB130_109:
	s_waitcnt lgkmcnt(0)
	v_mov_b32_e32 v0, s22
	v_mov_b32_e32 v1, s23
	s_getpc_b64 s[4:5]
	s_add_u32 s4, s4, _ZN2at6native6invokeIZZZNS0_18lgamma_kernel_cudaERNS_18TensorIteratorBaseEENKUlvE_clEvENKUlvE_clEvEUldE_j15function_traitsIS6_EEENT1_11result_typeERKT_PrKPcPKT0_i@rel32@lo+4
	s_addc_u32 s5, s5, _ZN2at6native6invokeIZZZNS0_18lgamma_kernel_cudaERNS_18TensorIteratorBaseEENKUlvE_clEvENKUlvE_clEvEUldE_j15function_traitsIS6_EEENT1_11result_typeERKT_PrKPcPKT0_i@rel32@hi+12
	s_swappc_b64 s[30:31], s[4:5]
	v_add_nc_u32_e32 v38, 0x80, v38
	global_store_dwordx2 v36, v[0:1], s[20:21]
	s_or_b32 exec_lo, exec_lo, s47
	v_cmp_gt_i32_e32 vcc_lo, s44, v38
	s_and_saveexec_b32 s44, vcc_lo
	s_cbranch_execz .LBB130_100
.LBB130_110:
	s_andn2_b32 vcc_lo, exec_lo, s41
	s_cbranch_vccnz .LBB130_115
; %bb.111:
	s_andn2_b32 vcc_lo, exec_lo, s46
	s_cbranch_vccnz .LBB130_116
; %bb.112:
	s_add_i32 s45, s45, 1
	s_cmp_eq_u32 s40, 2
	s_cbranch_scc1 .LBB130_117
; %bb.113:
	v_mov_b32_e32 v2, 0
	v_mov_b32_e32 v36, 0
	;; [unrolled: 1-line block ×3, first 2 shown]
	s_and_b32 s6, s45, 28
	s_mov_b32 s7, 0
	s_mov_b64 s[4:5], s[18:19]
.LBB130_114:                            ; =>This Inner Loop Header: Depth=1
	s_clause 0x1
	s_load_dwordx8 s[8:15], s[4:5], 0x4
	s_load_dwordx4 s[56:59], s[4:5], 0x24
	s_load_dwordx8 s[48:55], s[34:35], 0x0
	s_add_u32 s4, s4, 48
	s_addc_u32 s5, s5, 0
	s_add_i32 s7, s7, 4
	s_add_u32 s34, s34, 32
	s_addc_u32 s35, s35, 0
	s_cmp_eq_u32 s6, s7
	s_waitcnt lgkmcnt(0)
	v_mul_hi_u32 v1, s9, v0
	v_add_nc_u32_e32 v1, v0, v1
	v_lshrrev_b32_e32 v1, s10, v1
	v_mul_hi_u32 v3, s12, v1
	v_mul_lo_u32 v5, v1, s8
	v_add_nc_u32_e32 v3, v1, v3
	v_sub_nc_u32_e32 v0, v0, v5
	v_lshrrev_b32_e32 v3, s13, v3
	v_mul_lo_u32 v5, v0, s48
	v_mul_lo_u32 v7, v0, s49
	v_mul_hi_u32 v4, s15, v3
	v_add_nc_u32_e32 v4, v3, v4
	v_lshrrev_b32_e32 v4, s56, v4
	v_mul_hi_u32 v6, s58, v4
	v_mul_lo_u32 v8, v4, s14
	v_add_nc_u32_e32 v0, v4, v6
	v_mul_lo_u32 v6, v3, s11
	v_sub_nc_u32_e32 v3, v3, v8
	v_lshrrev_b32_e32 v0, s59, v0
	v_mul_lo_u32 v8, v3, s52
	v_mul_lo_u32 v3, v3, s53
	v_sub_nc_u32_e32 v1, v1, v6
	v_mul_lo_u32 v9, v0, s57
	v_mul_lo_u32 v6, v1, s50
	;; [unrolled: 1-line block ×3, first 2 shown]
	v_sub_nc_u32_e32 v4, v4, v9
	v_add3_u32 v5, v5, v36, v6
	v_mul_lo_u32 v9, v4, s54
	v_mul_lo_u32 v4, v4, s55
	v_add3_u32 v1, v7, v2, v1
	v_add3_u32 v36, v8, v5, v9
	;; [unrolled: 1-line block ×3, first 2 shown]
	s_cbranch_scc0 .LBB130_114
	s_branch .LBB130_118
.LBB130_115:
                                        ; implicit-def: $vgpr36
                                        ; implicit-def: $vgpr2
	s_branch .LBB130_122
.LBB130_116:
	v_mov_b32_e32 v36, 0
	v_mov_b32_e32 v2, 0
	s_branch .LBB130_121
.LBB130_117:
	v_mov_b32_e32 v36, 0
	v_mov_b32_e32 v2, 0
	;; [unrolled: 1-line block ×3, first 2 shown]
	s_mov_b32 s6, 0
.LBB130_118:
	s_and_b32 s8, s45, 3
	s_cmp_eq_u32 s8, 0
	s_cbranch_scc1 .LBB130_121
; %bb.119:
	s_lshl_b32 s4, s6, 3
	s_mul_i32 s6, s6, 12
	s_add_u32 s4, s18, s4
	s_addc_u32 s5, s19, 0
	s_add_u32 s4, s4, 0xc4
	s_addc_u32 s5, s5, 0
	;; [unrolled: 2-line block ×3, first 2 shown]
	.p2align	6
.LBB130_120:                            ; =>This Inner Loop Header: Depth=1
	s_clause 0x1
	s_load_dwordx2 s[10:11], s[6:7], 0x4
	s_load_dword s9, s[6:7], 0xc
	s_load_dwordx2 s[12:13], s[4:5], 0x0
	s_add_u32 s6, s6, 12
	s_addc_u32 s7, s7, 0
	s_add_u32 s4, s4, 8
	s_addc_u32 s5, s5, 0
	s_add_i32 s8, s8, -1
	s_cmp_lg_u32 s8, 0
	s_waitcnt lgkmcnt(0)
	v_mul_hi_u32 v1, s11, v0
	v_add_nc_u32_e32 v1, v0, v1
	v_lshrrev_b32_e32 v1, s9, v1
	v_mul_lo_u32 v3, v1, s10
	v_sub_nc_u32_e32 v0, v0, v3
	v_mad_u64_u32 v[36:37], null, v0, s12, v[36:37]
	v_mad_u64_u32 v[2:3], null, v0, s13, v[2:3]
	v_mov_b32_e32 v0, v1
	s_cbranch_scc1 .LBB130_120
.LBB130_121:
	s_cbranch_execnz .LBB130_124
.LBB130_122:
	s_waitcnt lgkmcnt(0)
	v_mul_hi_u32 v0, s37, v38
	s_andn2_b32 vcc_lo, exec_lo, s43
	v_add_nc_u32_e32 v0, v38, v0
	v_lshrrev_b32_e32 v0, s38, v0
	v_mul_lo_u32 v1, v0, s36
	v_sub_nc_u32_e32 v1, v38, v1
	v_mul_lo_u32 v36, v1, s24
	v_mul_lo_u32 v2, v1, s25
	s_cbranch_vccnz .LBB130_124
; %bb.123:
	v_mul_hi_u32 v1, s28, v0
	v_add_nc_u32_e32 v1, v0, v1
	v_lshrrev_b32_e32 v1, s29, v1
	v_mul_lo_u32 v1, v1, s39
	v_sub_nc_u32_e32 v0, v0, v1
	v_mad_u64_u32 v[36:37], null, v0, s26, v[36:37]
	v_mad_u64_u32 v[2:3], null, v0, s27, v[2:3]
.LBB130_124:
	s_waitcnt lgkmcnt(0)
	v_mov_b32_e32 v0, s22
	v_mov_b32_e32 v1, s23
	s_getpc_b64 s[4:5]
	s_add_u32 s4, s4, _ZN2at6native6invokeIZZZNS0_18lgamma_kernel_cudaERNS_18TensorIteratorBaseEENKUlvE_clEvENKUlvE_clEvEUldE_j15function_traitsIS6_EEENT1_11result_typeERKT_PrKPcPKT0_i@rel32@lo+4
	s_addc_u32 s5, s5, _ZN2at6native6invokeIZZZNS0_18lgamma_kernel_cudaERNS_18TensorIteratorBaseEENKUlvE_clEvENKUlvE_clEvEUldE_j15function_traitsIS6_EEENT1_11result_typeERKT_PrKPcPKT0_i@rel32@hi+12
	s_swappc_b64 s[30:31], s[4:5]
	global_store_dwordx2 v36, v[0:1], s[20:21]
	s_or_b32 exec_lo, exec_lo, s44
                                        ; implicit-def: $vgpr0
                                        ; implicit-def: $vgpr38
	s_andn2_saveexec_b32 s4, s42
	s_cbranch_execz .LBB130_101
	s_branch .LBB130_8
	.section	.rodata,"a",@progbits
	.p2align	6, 0x0
	.amdhsa_kernel _ZN2at6native32elementwise_kernel_manual_unrollILi128ELi4EZNS0_22gpu_kernel_impl_nocastIZZZNS0_18lgamma_kernel_cudaERNS_18TensorIteratorBaseEENKUlvE_clEvENKUlvE_clEvEUldE_EEvS4_RKT_EUlibE_EEviT1_
		.amdhsa_group_segment_fixed_size 0
		.amdhsa_private_segment_fixed_size 0
		.amdhsa_kernarg_size 360
		.amdhsa_user_sgpr_count 6
		.amdhsa_user_sgpr_private_segment_buffer 1
		.amdhsa_user_sgpr_dispatch_ptr 0
		.amdhsa_user_sgpr_queue_ptr 0
		.amdhsa_user_sgpr_kernarg_segment_ptr 1
		.amdhsa_user_sgpr_dispatch_id 0
		.amdhsa_user_sgpr_flat_scratch_init 0
		.amdhsa_user_sgpr_private_segment_size 0
		.amdhsa_wavefront_size32 1
		.amdhsa_uses_dynamic_stack 0
		.amdhsa_system_sgpr_private_segment_wavefront_offset 0
		.amdhsa_system_sgpr_workgroup_id_x 1
		.amdhsa_system_sgpr_workgroup_id_y 0
		.amdhsa_system_sgpr_workgroup_id_z 0
		.amdhsa_system_sgpr_workgroup_info 0
		.amdhsa_system_vgpr_workitem_id 0
		.amdhsa_next_free_vgpr 48
		.amdhsa_next_free_sgpr 64
		.amdhsa_reserve_vcc 1
		.amdhsa_reserve_flat_scratch 0
		.amdhsa_float_round_mode_32 0
		.amdhsa_float_round_mode_16_64 0
		.amdhsa_float_denorm_mode_32 3
		.amdhsa_float_denorm_mode_16_64 3
		.amdhsa_dx10_clamp 1
		.amdhsa_ieee_mode 1
		.amdhsa_fp16_overflow 0
		.amdhsa_workgroup_processor_mode 1
		.amdhsa_memory_ordered 1
		.amdhsa_forward_progress 1
		.amdhsa_shared_vgpr_count 0
		.amdhsa_exception_fp_ieee_invalid_op 0
		.amdhsa_exception_fp_denorm_src 0
		.amdhsa_exception_fp_ieee_div_zero 0
		.amdhsa_exception_fp_ieee_overflow 0
		.amdhsa_exception_fp_ieee_underflow 0
		.amdhsa_exception_fp_ieee_inexact 0
		.amdhsa_exception_int_div_zero 0
	.end_amdhsa_kernel
	.section	.text._ZN2at6native32elementwise_kernel_manual_unrollILi128ELi4EZNS0_22gpu_kernel_impl_nocastIZZZNS0_18lgamma_kernel_cudaERNS_18TensorIteratorBaseEENKUlvE_clEvENKUlvE_clEvEUldE_EEvS4_RKT_EUlibE_EEviT1_,"axG",@progbits,_ZN2at6native32elementwise_kernel_manual_unrollILi128ELi4EZNS0_22gpu_kernel_impl_nocastIZZZNS0_18lgamma_kernel_cudaERNS_18TensorIteratorBaseEENKUlvE_clEvENKUlvE_clEvEUldE_EEvS4_RKT_EUlibE_EEviT1_,comdat
.Lfunc_end130:
	.size	_ZN2at6native32elementwise_kernel_manual_unrollILi128ELi4EZNS0_22gpu_kernel_impl_nocastIZZZNS0_18lgamma_kernel_cudaERNS_18TensorIteratorBaseEENKUlvE_clEvENKUlvE_clEvEUldE_EEvS4_RKT_EUlibE_EEviT1_, .Lfunc_end130-_ZN2at6native32elementwise_kernel_manual_unrollILi128ELi4EZNS0_22gpu_kernel_impl_nocastIZZZNS0_18lgamma_kernel_cudaERNS_18TensorIteratorBaseEENKUlvE_clEvENKUlvE_clEvEUldE_EEvS4_RKT_EUlibE_EEviT1_
                                        ; -- End function
	.set _ZN2at6native32elementwise_kernel_manual_unrollILi128ELi4EZNS0_22gpu_kernel_impl_nocastIZZZNS0_18lgamma_kernel_cudaERNS_18TensorIteratorBaseEENKUlvE_clEvENKUlvE_clEvEUldE_EEvS4_RKT_EUlibE_EEviT1_.num_vgpr, max(48, .L_ZN2at6native6invokeIZZZNS0_18lgamma_kernel_cudaERNS_18TensorIteratorBaseEENKUlvE_clEvENKUlvE_clEvEUldE_j15function_traitsIS6_EEENT1_11result_typeERKT_PrKPcPKT0_i.num_vgpr)
	.set _ZN2at6native32elementwise_kernel_manual_unrollILi128ELi4EZNS0_22gpu_kernel_impl_nocastIZZZNS0_18lgamma_kernel_cudaERNS_18TensorIteratorBaseEENKUlvE_clEvENKUlvE_clEvEUldE_EEvS4_RKT_EUlibE_EEviT1_.num_agpr, max(0, .L_ZN2at6native6invokeIZZZNS0_18lgamma_kernel_cudaERNS_18TensorIteratorBaseEENKUlvE_clEvENKUlvE_clEvEUldE_j15function_traitsIS6_EEENT1_11result_typeERKT_PrKPcPKT0_i.num_agpr)
	.set _ZN2at6native32elementwise_kernel_manual_unrollILi128ELi4EZNS0_22gpu_kernel_impl_nocastIZZZNS0_18lgamma_kernel_cudaERNS_18TensorIteratorBaseEENKUlvE_clEvENKUlvE_clEvEUldE_EEvS4_RKT_EUlibE_EEviT1_.numbered_sgpr, max(64, .L_ZN2at6native6invokeIZZZNS0_18lgamma_kernel_cudaERNS_18TensorIteratorBaseEENKUlvE_clEvENKUlvE_clEvEUldE_j15function_traitsIS6_EEENT1_11result_typeERKT_PrKPcPKT0_i.numbered_sgpr)
	.set _ZN2at6native32elementwise_kernel_manual_unrollILi128ELi4EZNS0_22gpu_kernel_impl_nocastIZZZNS0_18lgamma_kernel_cudaERNS_18TensorIteratorBaseEENKUlvE_clEvENKUlvE_clEvEUldE_EEvS4_RKT_EUlibE_EEviT1_.num_named_barrier, max(0, .L_ZN2at6native6invokeIZZZNS0_18lgamma_kernel_cudaERNS_18TensorIteratorBaseEENKUlvE_clEvENKUlvE_clEvEUldE_j15function_traitsIS6_EEENT1_11result_typeERKT_PrKPcPKT0_i.num_named_barrier)
	.set _ZN2at6native32elementwise_kernel_manual_unrollILi128ELi4EZNS0_22gpu_kernel_impl_nocastIZZZNS0_18lgamma_kernel_cudaERNS_18TensorIteratorBaseEENKUlvE_clEvENKUlvE_clEvEUldE_EEvS4_RKT_EUlibE_EEviT1_.private_seg_size, 0+max(.L_ZN2at6native6invokeIZZZNS0_18lgamma_kernel_cudaERNS_18TensorIteratorBaseEENKUlvE_clEvENKUlvE_clEvEUldE_j15function_traitsIS6_EEENT1_11result_typeERKT_PrKPcPKT0_i.private_seg_size)
	.set _ZN2at6native32elementwise_kernel_manual_unrollILi128ELi4EZNS0_22gpu_kernel_impl_nocastIZZZNS0_18lgamma_kernel_cudaERNS_18TensorIteratorBaseEENKUlvE_clEvENKUlvE_clEvEUldE_EEvS4_RKT_EUlibE_EEviT1_.uses_vcc, or(1, .L_ZN2at6native6invokeIZZZNS0_18lgamma_kernel_cudaERNS_18TensorIteratorBaseEENKUlvE_clEvENKUlvE_clEvEUldE_j15function_traitsIS6_EEENT1_11result_typeERKT_PrKPcPKT0_i.uses_vcc)
	.set _ZN2at6native32elementwise_kernel_manual_unrollILi128ELi4EZNS0_22gpu_kernel_impl_nocastIZZZNS0_18lgamma_kernel_cudaERNS_18TensorIteratorBaseEENKUlvE_clEvENKUlvE_clEvEUldE_EEvS4_RKT_EUlibE_EEviT1_.uses_flat_scratch, or(0, .L_ZN2at6native6invokeIZZZNS0_18lgamma_kernel_cudaERNS_18TensorIteratorBaseEENKUlvE_clEvENKUlvE_clEvEUldE_j15function_traitsIS6_EEENT1_11result_typeERKT_PrKPcPKT0_i.uses_flat_scratch)
	.set _ZN2at6native32elementwise_kernel_manual_unrollILi128ELi4EZNS0_22gpu_kernel_impl_nocastIZZZNS0_18lgamma_kernel_cudaERNS_18TensorIteratorBaseEENKUlvE_clEvENKUlvE_clEvEUldE_EEvS4_RKT_EUlibE_EEviT1_.has_dyn_sized_stack, or(0, .L_ZN2at6native6invokeIZZZNS0_18lgamma_kernel_cudaERNS_18TensorIteratorBaseEENKUlvE_clEvENKUlvE_clEvEUldE_j15function_traitsIS6_EEENT1_11result_typeERKT_PrKPcPKT0_i.has_dyn_sized_stack)
	.set _ZN2at6native32elementwise_kernel_manual_unrollILi128ELi4EZNS0_22gpu_kernel_impl_nocastIZZZNS0_18lgamma_kernel_cudaERNS_18TensorIteratorBaseEENKUlvE_clEvENKUlvE_clEvEUldE_EEvS4_RKT_EUlibE_EEviT1_.has_recursion, or(0, .L_ZN2at6native6invokeIZZZNS0_18lgamma_kernel_cudaERNS_18TensorIteratorBaseEENKUlvE_clEvENKUlvE_clEvEUldE_j15function_traitsIS6_EEENT1_11result_typeERKT_PrKPcPKT0_i.has_recursion)
	.set _ZN2at6native32elementwise_kernel_manual_unrollILi128ELi4EZNS0_22gpu_kernel_impl_nocastIZZZNS0_18lgamma_kernel_cudaERNS_18TensorIteratorBaseEENKUlvE_clEvENKUlvE_clEvEUldE_EEvS4_RKT_EUlibE_EEviT1_.has_indirect_call, or(0, .L_ZN2at6native6invokeIZZZNS0_18lgamma_kernel_cudaERNS_18TensorIteratorBaseEENKUlvE_clEvENKUlvE_clEvEUldE_j15function_traitsIS6_EEENT1_11result_typeERKT_PrKPcPKT0_i.has_indirect_call)
	.section	.AMDGPU.csdata,"",@progbits
; Kernel info:
; codeLenInByte = 6224
; TotalNumSgprs: 66
; NumVgprs: 48
; ScratchSize: 0
; MemoryBound: 0
; FloatMode: 240
; IeeeMode: 1
; LDSByteSize: 0 bytes/workgroup (compile time only)
; SGPRBlocks: 0
; VGPRBlocks: 5
; NumSGPRsForWavesPerEU: 66
; NumVGPRsForWavesPerEU: 48
; Occupancy: 16
; WaveLimiterHint : 1
; COMPUTE_PGM_RSRC2:SCRATCH_EN: 0
; COMPUTE_PGM_RSRC2:USER_SGPR: 6
; COMPUTE_PGM_RSRC2:TRAP_HANDLER: 0
; COMPUTE_PGM_RSRC2:TGID_X_EN: 1
; COMPUTE_PGM_RSRC2:TGID_Y_EN: 0
; COMPUTE_PGM_RSRC2:TGID_Z_EN: 0
; COMPUTE_PGM_RSRC2:TIDIG_COMP_CNT: 0
	.text
	.p2align	2                               ; -- Begin function _ZN2at6native6invokeIZZZNS0_18lgamma_kernel_cudaERNS_18TensorIteratorBaseEENKUlvE_clEvENKUlvE_clEvEUldE_i15function_traitsIS6_EEENT1_11result_typeERKT_PrKPcPKT0_PKN3c1010ScalarTypeEi
	.type	_ZN2at6native6invokeIZZZNS0_18lgamma_kernel_cudaERNS_18TensorIteratorBaseEENKUlvE_clEvENKUlvE_clEvEUldE_i15function_traitsIS6_EEENT1_11result_typeERKT_PrKPcPKT0_PKN3c1010ScalarTypeEi,@function
_ZN2at6native6invokeIZZZNS0_18lgamma_kernel_cudaERNS_18TensorIteratorBaseEENKUlvE_clEvENKUlvE_clEvEUldE_i15function_traitsIS6_EEENT1_11result_typeERKT_PrKPcPKT0_PKN3c1010ScalarTypeEi: ; @_ZN2at6native6invokeIZZZNS0_18lgamma_kernel_cudaERNS_18TensorIteratorBaseEENKUlvE_clEvENKUlvE_clEvEUldE_i15function_traitsIS6_EEENT1_11result_typeERKT_PrKPcPKT0_PKN3c1010ScalarTypeEi
; %bb.0:
	s_waitcnt vmcnt(0) expcnt(0) lgkmcnt(0)
	v_mul_lo_u32 v2, v4, v2
	v_mov_b32_e32 v5, 10
	s_mov_b32 s5, 0
	v_cmp_gt_i16_sdwa s4, v3, v5 src0_sel:BYTE_0 src1_sel:DWORD
	v_ashrrev_i32_e32 v4, 31, v2
	v_add_co_u32 v0, vcc_lo, v0, v2
	v_add_co_ci_u32_e64 v1, null, v1, v4, vcc_lo
                                        ; implicit-def: $vgpr4_vgpr5
	s_and_saveexec_b32 s6, s4
	s_xor_b32 s4, exec_lo, s6
	s_cbranch_execnz .LBB131_4
; %bb.1:
	s_andn2_saveexec_b32 s4, s4
	s_cbranch_execnz .LBB131_10
.LBB131_2:
	s_or_b32 exec_lo, exec_lo, s4
                                        ; implicit-def: $vgpr0_vgpr1
	s_and_saveexec_b32 s7, s5
	s_cbranch_execnz .LBB131_51
.LBB131_3:
	s_or_b32 exec_lo, exec_lo, s7
	s_waitcnt vmcnt(0) lgkmcnt(0)
	s_setpc_b64 s[30:31]
.LBB131_4:
	v_mov_b32_e32 v2, 25
	s_mov_b32 s8, 0
	s_mov_b32 s7, 0
                                        ; implicit-def: $vgpr4_vgpr5
	v_cmp_gt_i16_sdwa s6, v3, v2 src0_sel:BYTE_0 src1_sel:DWORD
	s_and_saveexec_b32 s9, s6
	s_xor_b32 s6, exec_lo, s9
	s_cbranch_execnz .LBB131_86
; %bb.5:
	s_andn2_saveexec_b32 s6, s6
	s_cbranch_execnz .LBB131_121
.LBB131_6:
	s_or_b32 exec_lo, exec_lo, s6
	s_and_saveexec_b32 s6, s8
	s_cbranch_execnz .LBB131_148
.LBB131_7:
	s_or_b32 exec_lo, exec_lo, s6
	s_and_saveexec_b32 s6, s5
	s_xor_b32 s5, exec_lo, s6
	s_cbranch_execz .LBB131_9
.LBB131_8:
	flat_load_ubyte v0, v[0:1]
	v_mov_b32_e32 v4, 0
	s_or_b32 s7, s7, exec_lo
	s_waitcnt vmcnt(0) lgkmcnt(0)
	v_cmp_ne_u16_e32 vcc_lo, 0, v0
	v_cndmask_b32_e64 v5, 0, 0x3ff00000, vcc_lo
.LBB131_9:
	s_or_b32 exec_lo, exec_lo, s5
	s_and_b32 s5, s7, exec_lo
                                        ; implicit-def: $vgpr3
                                        ; implicit-def: $vgpr0_vgpr1
	s_andn2_saveexec_b32 s4, s4
	s_cbranch_execz .LBB131_2
.LBB131_10:
	v_mov_b32_e32 v2, 4
                                        ; implicit-def: $vgpr4_vgpr5
	v_cmp_gt_i16_sdwa s6, v3, v2 src0_sel:BYTE_0 src1_sel:DWORD
	s_and_saveexec_b32 s7, s6
	s_xor_b32 s6, exec_lo, s7
	s_cbranch_execz .LBB131_32
; %bb.11:
	v_mov_b32_e32 v2, 7
                                        ; implicit-def: $vgpr4_vgpr5
	v_cmp_gt_i16_sdwa s7, v3, v2 src0_sel:BYTE_0 src1_sel:DWORD
	s_and_saveexec_b32 s8, s7
	s_xor_b32 s7, exec_lo, s8
	s_cbranch_execz .LBB131_21
; %bb.12:
	;; [unrolled: 7-line block ×4, first 2 shown]
	flat_load_dwordx2 v[4:5], v[0:1]
                                        ; implicit-def: $vgpr0_vgpr1
.LBB131_15:
	s_andn2_saveexec_b32 s9, s9
	s_cbranch_execz .LBB131_17
; %bb.16:
	flat_load_dword v0, v[0:1]
	s_waitcnt vmcnt(0) lgkmcnt(0)
	v_cvt_f64_f32_e32 v[4:5], v0
.LBB131_17:
	s_or_b32 exec_lo, exec_lo, s9
                                        ; implicit-def: $vgpr0_vgpr1
.LBB131_18:
	s_andn2_saveexec_b32 s8, s8
	s_cbranch_execz .LBB131_20
; %bb.19:
	flat_load_dword v0, v[0:1]
	s_waitcnt vmcnt(0) lgkmcnt(0)
	v_cvt_f32_f16_e32 v0, v0
	v_cvt_f64_f32_e32 v[4:5], v0
.LBB131_20:
	s_or_b32 exec_lo, exec_lo, s8
                                        ; implicit-def: $vgpr0_vgpr1
                                        ; implicit-def: $vgpr3
.LBB131_21:
	s_andn2_saveexec_b32 s7, s7
	s_cbranch_execz .LBB131_31
; %bb.22:
	v_mov_b32_e32 v2, 5
                                        ; implicit-def: $vgpr4_vgpr5
	v_cmp_gt_i16_sdwa s8, v3, v2 src0_sel:BYTE_0 src1_sel:DWORD
	s_and_saveexec_b32 s9, s8
	s_xor_b32 s8, exec_lo, s9
	s_cbranch_execz .LBB131_28
; %bb.23:
	v_mov_b32_e32 v2, 6
                                        ; implicit-def: $vgpr4_vgpr5
	v_cmp_gt_i16_sdwa s9, v3, v2 src0_sel:BYTE_0 src1_sel:DWORD
	s_and_saveexec_b32 s10, s9
	s_xor_b32 s9, exec_lo, s10
	s_cbranch_execz .LBB131_25
; %bb.24:
	s_waitcnt vmcnt(0) lgkmcnt(0)
	flat_load_dwordx2 v[4:5], v[0:1]
                                        ; implicit-def: $vgpr0_vgpr1
.LBB131_25:
	s_andn2_saveexec_b32 s9, s9
	s_cbranch_execz .LBB131_27
; %bb.26:
	flat_load_dword v0, v[0:1]
	s_waitcnt vmcnt(0) lgkmcnt(0)
	v_cvt_f64_f32_e32 v[4:5], v0
.LBB131_27:
	s_or_b32 exec_lo, exec_lo, s9
                                        ; implicit-def: $vgpr0_vgpr1
.LBB131_28:
	s_andn2_saveexec_b32 s8, s8
	s_cbranch_execz .LBB131_30
; %bb.29:
	flat_load_ushort v0, v[0:1]
	s_waitcnt vmcnt(0) lgkmcnt(0)
	v_cvt_f32_f16_e32 v0, v0
	v_cvt_f64_f32_e32 v[4:5], v0
.LBB131_30:
	s_or_b32 exec_lo, exec_lo, s8
.LBB131_31:
	s_or_b32 exec_lo, exec_lo, s7
                                        ; implicit-def: $vgpr3
                                        ; implicit-def: $vgpr0_vgpr1
.LBB131_32:
	s_andn2_saveexec_b32 s6, s6
	s_cbranch_execz .LBB131_50
; %bb.33:
	v_mov_b32_e32 v2, 1
                                        ; implicit-def: $vgpr4_vgpr5
	v_cmp_gt_i16_sdwa s7, v3, v2 src0_sel:BYTE_0 src1_sel:DWORD
	s_and_saveexec_b32 s8, s7
	s_xor_b32 s7, exec_lo, s8
	s_cbranch_execz .LBB131_43
; %bb.34:
	v_mov_b32_e32 v2, 2
                                        ; implicit-def: $vgpr4_vgpr5
	v_cmp_gt_i16_sdwa s8, v3, v2 src0_sel:BYTE_0 src1_sel:DWORD
	s_and_saveexec_b32 s9, s8
	s_xor_b32 s8, exec_lo, s9
	;; [unrolled: 7-line block ×3, first 2 shown]
	s_cbranch_execz .LBB131_37
; %bb.36:
	flat_load_dwordx2 v[0:1], v[0:1]
	s_waitcnt vmcnt(0) lgkmcnt(0)
	v_cvt_f64_i32_e32 v[1:2], v1
	v_cvt_f64_u32_e32 v[3:4], v0
	v_ldexp_f64 v[1:2], v[1:2], 32
	v_add_f64 v[4:5], v[1:2], v[3:4]
                                        ; implicit-def: $vgpr0_vgpr1
.LBB131_37:
	s_andn2_saveexec_b32 s9, s9
	s_cbranch_execz .LBB131_39
; %bb.38:
	flat_load_dword v0, v[0:1]
	s_waitcnt vmcnt(0) lgkmcnt(0)
	v_cvt_f64_i32_e32 v[4:5], v0
.LBB131_39:
	s_or_b32 exec_lo, exec_lo, s9
                                        ; implicit-def: $vgpr0_vgpr1
.LBB131_40:
	s_andn2_saveexec_b32 s8, s8
	s_cbranch_execz .LBB131_42
; %bb.41:
	flat_load_sshort v0, v[0:1]
	s_waitcnt vmcnt(0) lgkmcnt(0)
	v_cvt_f64_i32_e32 v[4:5], v0
.LBB131_42:
	s_or_b32 exec_lo, exec_lo, s8
                                        ; implicit-def: $vgpr0_vgpr1
                                        ; implicit-def: $vgpr3
.LBB131_43:
	s_andn2_saveexec_b32 s7, s7
	s_cbranch_execz .LBB131_49
; %bb.44:
	v_mov_b32_e32 v2, 0
                                        ; implicit-def: $vgpr4_vgpr5
	v_cmp_gt_i16_sdwa s8, v3, v2 src0_sel:BYTE_0 src1_sel:DWORD
	s_and_saveexec_b32 s9, s8
	s_xor_b32 s8, exec_lo, s9
	s_cbranch_execz .LBB131_46
; %bb.45:
	flat_load_sbyte v0, v[0:1]
	s_waitcnt vmcnt(0) lgkmcnt(0)
	v_cvt_f64_i32_e32 v[4:5], v0
                                        ; implicit-def: $vgpr0_vgpr1
.LBB131_46:
	s_andn2_saveexec_b32 s8, s8
	s_cbranch_execz .LBB131_48
; %bb.47:
	flat_load_ubyte v0, v[0:1]
	s_waitcnt vmcnt(0) lgkmcnt(0)
	v_cvt_f64_u32_e32 v[4:5], v0
.LBB131_48:
	s_or_b32 exec_lo, exec_lo, s8
.LBB131_49:
	s_or_b32 exec_lo, exec_lo, s7
.LBB131_50:
	s_or_b32 exec_lo, exec_lo, s6
	s_or_b32 s5, s5, exec_lo
	s_or_b32 exec_lo, exec_lo, s4
                                        ; implicit-def: $vgpr0_vgpr1
	s_and_saveexec_b32 s7, s5
	s_cbranch_execz .LBB131_3
.LBB131_51:
	s_waitcnt vmcnt(0) lgkmcnt(0)
	v_and_b32_e32 v1, 0x7fffffff, v5
	v_mov_b32_e32 v0, v4
                                        ; implicit-def: $vgpr2_vgpr3
	s_mov_b32 s4, exec_lo
	v_cmpx_lt_u32_e32 0x3f6fffff, v1
	s_xor_b32 s8, exec_lo, s4
	s_cbranch_execz .LBB131_77
; %bb.52:
                                        ; implicit-def: $vgpr2_vgpr3
	s_mov_b32 s4, exec_lo
	v_cmpx_lt_u32_e32 0x3fffffff, v1
	s_xor_b32 s5, exec_lo, s4
	s_cbranch_execz .LBB131_62
; %bb.53:
	;; [unrolled: 6-line block ×4, first 2 shown]
	v_frexp_mant_f64_e64 v[2:3], |v[4:5]|
	s_mov_b32 s11, 0x3fe55555
	s_mov_b32 s10, 0x55555555
	s_mov_b32 s12, 0x6b47b09a
	s_mov_b32 s14, 0xbf559e2b
	s_mov_b32 s13, 0x3fc38538
	s_mov_b32 s15, 0x3fc3ab76
	v_cmp_neq_f64_e64 s4, 0, v[4:5]
	v_cmp_gt_f64_e32 vcc_lo, s[10:11], v[2:3]
	s_mov_b32 s10, 0x55555780
	v_cndmask_b32_e64 v0, 0, 1, vcc_lo
	v_ldexp_f64 v[2:3], v[2:3], v0
	v_frexp_exp_i32_f64_e32 v0, v[4:5]
	v_add_f64 v[6:7], v[2:3], 1.0
	v_add_f64 v[12:13], v[2:3], -1.0
	v_subrev_co_ci_u32_e64 v0, null, 0, v0, vcc_lo
	v_cmp_neq_f64_e64 vcc_lo, 0x7ff00000, |v[4:5]|
	v_rcp_f64_e32 v[8:9], v[6:7]
	v_add_f64 v[14:15], v[6:7], -1.0
	v_add_f64 v[2:3], v[2:3], -v[14:15]
	v_fma_f64 v[10:11], -v[6:7], v[8:9], 1.0
	v_fma_f64 v[8:9], v[10:11], v[8:9], v[8:9]
	v_fma_f64 v[10:11], -v[6:7], v[8:9], 1.0
	v_fma_f64 v[8:9], v[10:11], v[8:9], v[8:9]
	v_mul_f64 v[10:11], v[12:13], v[8:9]
	v_mul_f64 v[16:17], v[6:7], v[10:11]
	v_fma_f64 v[6:7], v[10:11], v[6:7], -v[16:17]
	v_fma_f64 v[2:3], v[10:11], v[2:3], v[6:7]
	v_add_f64 v[6:7], v[16:17], v[2:3]
	v_add_f64 v[14:15], v[12:13], -v[6:7]
	v_add_f64 v[16:17], v[6:7], -v[16:17]
	;; [unrolled: 1-line block ×5, first 2 shown]
	v_add_f64 v[2:3], v[2:3], v[6:7]
	v_add_f64 v[2:3], v[14:15], v[2:3]
	v_mul_f64 v[2:3], v[8:9], v[2:3]
	v_add_f64 v[6:7], v[10:11], v[2:3]
	v_mul_f64 v[8:9], v[6:7], v[6:7]
	v_fma_f64 v[12:13], v[8:9], s[14:15], s[12:13]
	s_mov_b32 s12, 0xd7f4df2e
	s_mov_b32 s13, 0x3fc7474d
	v_mul_f64 v[14:15], v[6:7], v[8:9]
	v_fma_f64 v[12:13], v[8:9], v[12:13], s[12:13]
	s_mov_b32 s12, 0x16291751
	s_mov_b32 s13, 0x3fcc71c0
	v_fma_f64 v[12:13], v[8:9], v[12:13], s[12:13]
	s_mov_b32 s12, 0x9b27acf1
	s_mov_b32 s13, 0x3fd24924
	;; [unrolled: 3-line block ×3, first 2 shown]
	v_fma_f64 v[12:13], v[8:9], v[12:13], s[12:13]
	v_fma_f64 v[8:9], v[8:9], v[12:13], s[10:11]
	v_ldexp_f64 v[12:13], v[6:7], 1
	v_add_f64 v[6:7], v[6:7], -v[10:11]
	s_mov_b32 s10, 0xfefa39ef
	s_mov_b32 s11, 0x3fe62e42
	v_mul_f64 v[8:9], v[14:15], v[8:9]
	v_cvt_f64_i32_e32 v[14:15], v0
	v_add_f64 v[2:3], v[2:3], -v[6:7]
	v_add_f64 v[10:11], v[12:13], v[8:9]
	v_mul_f64 v[16:17], v[14:15], s[10:11]
	v_ldexp_f64 v[2:3], v[2:3], 1
	v_add_f64 v[6:7], v[10:11], -v[12:13]
	v_fma_f64 v[12:13], v[14:15], s[10:11], -v[16:17]
	s_mov_b32 s10, 0x3b39803f
	s_mov_b32 s11, 0x3c7abc9e
	v_add_f64 v[6:7], v[8:9], -v[6:7]
	v_fma_f64 v[8:9], v[14:15], s[10:11], v[12:13]
	v_add_f64 v[2:3], v[2:3], v[6:7]
	v_add_f64 v[6:7], v[16:17], v[8:9]
	;; [unrolled: 1-line block ×3, first 2 shown]
	v_add_f64 v[16:17], v[6:7], -v[16:17]
	v_add_f64 v[14:15], v[6:7], v[12:13]
	v_add_f64 v[10:11], v[12:13], -v[10:11]
	v_add_f64 v[8:9], v[8:9], -v[16:17]
	;; [unrolled: 1-line block ×6, first 2 shown]
	v_add_f64 v[12:13], v[8:9], v[2:3]
	v_add_f64 v[6:7], v[6:7], -v[20:21]
	v_add_f64 v[6:7], v[10:11], v[6:7]
	v_add_f64 v[10:11], v[12:13], -v[8:9]
	;; [unrolled: 2-line block ×3, first 2 shown]
	v_add_f64 v[2:3], v[2:3], -v[10:11]
	v_add_f64 v[16:17], v[14:15], v[6:7]
	v_add_f64 v[8:9], v[8:9], -v[12:13]
	v_add_f64 v[10:11], v[16:17], -v[14:15]
	v_add_f64 v[2:3], v[2:3], v[8:9]
	v_add_f64 v[6:7], v[6:7], -v[10:11]
	v_add_f64 v[2:3], v[2:3], v[6:7]
	v_add_f64 v[2:3], v[16:17], v[2:3]
	v_cndmask_b32_e32 v0, 0x7ff00000, v3, vcc_lo
	s_and_b32 vcc_lo, s4, vcc_lo
	v_cndmask_b32_e32 v2, 0, v2, vcc_lo
	v_cndmask_b32_e64 v3, 0xfff00000, v0, s4
	v_fma_f64 v[2:3], |v[4:5]|, v[2:3], -|v[4:5]|
.LBB131_56:
	s_andn2_saveexec_b32 s9, s9
	s_cbranch_execz .LBB131_58
; %bb.57:
	v_frexp_mant_f64_e64 v[2:3], |v[4:5]|
	s_mov_b32 s11, 0x3fe55555
	s_mov_b32 s10, 0x55555555
	;; [unrolled: 1-line block ×6, first 2 shown]
	v_cmp_neq_f64_e64 s4, 0, v[4:5]
	v_cmp_gt_f64_e32 vcc_lo, s[10:11], v[2:3]
	s_mov_b32 s10, 0x55555780
	v_cndmask_b32_e64 v0, 0, 1, vcc_lo
	v_ldexp_f64 v[2:3], v[2:3], v0
	v_frexp_exp_i32_f64_e32 v0, v[4:5]
	v_add_f64 v[6:7], v[2:3], 1.0
	v_add_f64 v[12:13], v[2:3], -1.0
	v_subrev_co_ci_u32_e64 v0, null, 0, v0, vcc_lo
	v_rcp_f64_e32 v[8:9], v[6:7]
	v_add_f64 v[14:15], v[6:7], -1.0
	v_add_f64 v[2:3], v[2:3], -v[14:15]
	v_fma_f64 v[10:11], -v[6:7], v[8:9], 1.0
	v_fma_f64 v[8:9], v[10:11], v[8:9], v[8:9]
	v_fma_f64 v[10:11], -v[6:7], v[8:9], 1.0
	v_fma_f64 v[8:9], v[10:11], v[8:9], v[8:9]
	v_mul_f64 v[10:11], v[12:13], v[8:9]
	v_mul_f64 v[16:17], v[6:7], v[10:11]
	v_fma_f64 v[6:7], v[10:11], v[6:7], -v[16:17]
	v_fma_f64 v[2:3], v[10:11], v[2:3], v[6:7]
	v_add_f64 v[6:7], v[16:17], v[2:3]
	v_add_f64 v[14:15], v[12:13], -v[6:7]
	v_add_f64 v[16:17], v[6:7], -v[16:17]
	;; [unrolled: 1-line block ×5, first 2 shown]
	v_add_f64 v[2:3], v[2:3], v[6:7]
	v_add_f64 v[2:3], v[14:15], v[2:3]
	v_mul_f64 v[2:3], v[8:9], v[2:3]
	v_add_f64 v[6:7], v[10:11], v[2:3]
	v_mul_f64 v[8:9], v[6:7], v[6:7]
	v_fma_f64 v[12:13], v[8:9], s[14:15], s[12:13]
	s_mov_b32 s12, 0xd7f4df2e
	s_mov_b32 s13, 0x3fc7474d
	v_mul_f64 v[14:15], v[6:7], v[8:9]
	v_fma_f64 v[12:13], v[8:9], v[12:13], s[12:13]
	s_mov_b32 s12, 0x16291751
	s_mov_b32 s13, 0x3fcc71c0
	v_fma_f64 v[12:13], v[8:9], v[12:13], s[12:13]
	s_mov_b32 s12, 0x9b27acf1
	s_mov_b32 s13, 0x3fd24924
	v_fma_f64 v[12:13], v[8:9], v[12:13], s[12:13]
	s_mov_b32 s12, 0x998ef7b6
	s_mov_b32 s13, 0x3fd99999
	v_fma_f64 v[12:13], v[8:9], v[12:13], s[12:13]
	s_mov_b32 s12, 0xb9e43e4
	s_mov_b32 s13, 0xbf5ab89d
	v_fma_f64 v[8:9], v[8:9], v[12:13], s[10:11]
	v_ldexp_f64 v[12:13], v[6:7], 1
	v_add_f64 v[6:7], v[6:7], -v[10:11]
	s_mov_b32 s10, 0xfefa39ef
	s_mov_b32 s11, 0x3fe62e42
	v_mul_f64 v[8:9], v[14:15], v[8:9]
	v_cvt_f64_i32_e32 v[14:15], v0
	v_mov_b32_e32 v0, v4
	v_add_f64 v[2:3], v[2:3], -v[6:7]
	v_div_scale_f64 v[26:27], vcc_lo, 1.0, v[0:1], 1.0
	v_add_f64 v[10:11], v[12:13], v[8:9]
	v_mul_f64 v[16:17], v[14:15], s[10:11]
	v_ldexp_f64 v[2:3], v[2:3], 1
	v_add_f64 v[6:7], v[10:11], -v[12:13]
	v_div_scale_f64 v[12:13], null, v[0:1], v[0:1], 1.0
	v_fma_f64 v[18:19], v[14:15], s[10:11], -v[16:17]
	s_mov_b32 s10, 0x3b39803f
	s_mov_b32 s11, 0x3c7abc9e
	v_add_f64 v[6:7], v[8:9], -v[6:7]
	v_rcp_f64_e32 v[8:9], v[12:13]
	v_fma_f64 v[14:15], v[14:15], s[10:11], v[18:19]
	s_mov_b32 s10, 0x4cdad5d1
	s_mov_b32 s11, 0x3f4b67ba
	v_add_f64 v[2:3], v[2:3], v[6:7]
	v_add_f64 v[18:19], v[16:17], v[14:15]
	v_fma_f64 v[6:7], -v[12:13], v[8:9], 1.0
	v_add_f64 v[20:21], v[10:11], v[2:3]
	v_add_f64 v[16:17], v[18:19], -v[16:17]
	v_fma_f64 v[6:7], v[8:9], v[6:7], v[8:9]
	v_add_f64 v[8:9], v[18:19], v[20:21]
	v_add_f64 v[10:11], v[20:21], -v[10:11]
	v_add_f64 v[14:15], v[14:15], -v[16:17]
	v_fma_f64 v[22:23], -v[12:13], v[6:7], 1.0
	v_add_f64 v[24:25], v[8:9], -v[18:19]
	v_add_f64 v[2:3], v[2:3], -v[10:11]
	v_fma_f64 v[6:7], v[6:7], v[22:23], v[6:7]
	v_add_f64 v[22:23], v[8:9], -v[24:25]
	v_add_f64 v[10:11], v[20:21], -v[24:25]
	v_mul_f64 v[28:29], v[26:27], v[6:7]
	v_add_f64 v[16:17], v[18:19], -v[22:23]
	v_add_f64 v[18:19], v[14:15], v[2:3]
	v_fma_f64 v[12:13], -v[12:13], v[28:29], v[26:27]
	v_add_f64 v[10:11], v[10:11], v[16:17]
	v_div_fmas_f64 v[6:7], v[12:13], v[6:7], v[28:29]
	v_add_f64 v[12:13], v[18:19], -v[14:15]
	v_cmp_neq_f64_e64 vcc_lo, 0x7ff00000, |v[4:5]|
	v_add_f64 v[10:11], v[18:19], v[10:11]
	v_div_fixup_f64 v[6:7], v[6:7], |v[4:5]|, 1.0
	v_add_f64 v[16:17], v[18:19], -v[12:13]
	v_add_f64 v[2:3], v[2:3], -v[12:13]
	v_add_f64 v[18:19], v[8:9], v[10:11]
	v_mul_f64 v[20:21], v[6:7], v[6:7]
	v_add_f64 v[12:13], v[14:15], -v[16:17]
	v_add_f64 v[8:9], v[18:19], -v[8:9]
	v_fma_f64 v[14:15], v[20:21], s[12:13], s[10:11]
	s_mov_b32 s10, 0x8c0fe741
	s_mov_b32 s11, 0xbf4380cb
	v_add_f64 v[2:3], v[2:3], v[12:13]
	v_add_f64 v[8:9], v[10:11], -v[8:9]
	v_fma_f64 v[10:11], v[20:21], v[14:15], s[10:11]
	s_mov_b32 s10, 0x98cf38b6
	s_mov_b32 s11, 0x3f4a019f
	v_add_f64 v[2:3], v[2:3], v[8:9]
	v_fma_f64 v[8:9], v[20:21], v[10:11], s[10:11]
	s_mov_b32 s10, 0x16b02e5c
	s_mov_b32 s11, 0xbf66c16c
	v_add_f64 v[10:11], |v[4:5]|, -0.5
	v_add_f64 v[2:3], v[18:19], v[2:3]
	v_fma_f64 v[8:9], v[20:21], v[8:9], s[10:11]
	s_mov_b32 s10, 0x5555553b
	s_mov_b32 s11, 0x3fb55555
	v_add_f64 v[2:3], v[2:3], -1.0
	v_fma_f64 v[8:9], v[20:21], v[8:9], s[10:11]
	s_mov_b32 s10, 0x90c97d69
	s_mov_b32 s11, 0x3fdacfe3
	v_cndmask_b32_e32 v0, 0x7ff00000, v3, vcc_lo
	s_and_b32 vcc_lo, s4, vcc_lo
	v_cndmask_b32_e32 v2, 0, v2, vcc_lo
	v_fma_f64 v[6:7], v[6:7], v[8:9], s[10:11]
	v_cndmask_b32_e64 v3, 0xfff00000, v0, s4
	v_fma_f64 v[2:3], v[10:11], v[2:3], v[6:7]
.LBB131_58:
	s_or_b32 exec_lo, exec_lo, s9
.LBB131_59:
	s_andn2_saveexec_b32 s6, s6
	s_cbranch_execz .LBB131_61
; %bb.60:
	v_cvt_i32_f64_e32 v0, v[0:1]
	s_mov_b32 s11, 0x3fe55555
	s_mov_b32 s10, 0x55555555
	;; [unrolled: 1-line block ×6, first 2 shown]
	v_cvt_f64_i32_e32 v[2:3], v0
	v_cmp_lt_i32_e32 vcc_lo, 2, v0
	v_cmp_lt_i32_e64 s4, 3, v0
	v_add_f64 v[2:3], |v[4:5]|, -v[2:3]
	v_add_f64 v[6:7], v[2:3], 2.0
	v_add_f64 v[8:9], 0x40080000, v[2:3]
	v_add_f64 v[10:11], v[2:3], 4.0
	v_cndmask_b32_e32 v7, 0x3ff00000, v7, vcc_lo
	v_cndmask_b32_e32 v6, 0, v6, vcc_lo
	v_cndmask_b32_e64 v9, 0x3ff00000, v9, s4
	v_cndmask_b32_e64 v8, 0, v8, s4
	v_cmp_lt_i32_e32 vcc_lo, 4, v0
	v_mul_f64 v[6:7], v[6:7], v[8:9]
	v_add_f64 v[8:9], 0x40140000, v[2:3]
	v_cndmask_b32_e32 v11, 0x3ff00000, v11, vcc_lo
	v_cndmask_b32_e32 v10, 0, v10, vcc_lo
	v_cmp_lt_i32_e32 vcc_lo, 5, v0
	v_mul_f64 v[6:7], v[10:11], v[6:7]
	v_add_f64 v[10:11], 0x40180000, v[2:3]
	v_cndmask_b32_e32 v9, 0x3ff00000, v9, vcc_lo
	v_cndmask_b32_e32 v8, 0, v8, vcc_lo
	v_cmp_lt_i32_e32 vcc_lo, 6, v0
	v_mul_f64 v[6:7], v[8:9], v[6:7]
	v_cndmask_b32_e32 v9, 0x3ff00000, v11, vcc_lo
	v_cndmask_b32_e32 v8, 0, v10, vcc_lo
	v_mul_f64 v[6:7], v[8:9], v[6:7]
	v_frexp_mant_f64_e32 v[8:9], v[6:7]
	v_cmp_gt_f64_e32 vcc_lo, s[10:11], v[8:9]
	s_mov_b32 s10, 0x55555780
	v_cndmask_b32_e64 v0, 0, 1, vcc_lo
	v_ldexp_f64 v[8:9], v[8:9], v0
	v_frexp_exp_i32_f64_e32 v0, v[6:7]
	v_add_f64 v[10:11], v[8:9], 1.0
	v_add_f64 v[16:17], v[8:9], -1.0
	v_subrev_co_ci_u32_e64 v0, null, 0, v0, vcc_lo
	v_cvt_f64_i32_e32 v[22:23], v0
	v_rcp_f64_e32 v[12:13], v[10:11]
	v_add_f64 v[18:19], v[10:11], -1.0
	v_add_f64 v[8:9], v[8:9], -v[18:19]
	v_fma_f64 v[14:15], -v[10:11], v[12:13], 1.0
	v_fma_f64 v[12:13], v[14:15], v[12:13], v[12:13]
	v_fma_f64 v[14:15], -v[10:11], v[12:13], 1.0
	v_fma_f64 v[12:13], v[14:15], v[12:13], v[12:13]
	v_mul_f64 v[14:15], v[16:17], v[12:13]
	v_mul_f64 v[20:21], v[10:11], v[14:15]
	v_fma_f64 v[10:11], v[14:15], v[10:11], -v[20:21]
	v_fma_f64 v[8:9], v[14:15], v[8:9], v[10:11]
	v_add_f64 v[10:11], v[20:21], v[8:9]
	v_add_f64 v[18:19], v[16:17], -v[10:11]
	v_add_f64 v[20:21], v[10:11], -v[20:21]
	;; [unrolled: 1-line block ×5, first 2 shown]
	v_add_f64 v[8:9], v[8:9], v[10:11]
	v_add_f64 v[8:9], v[18:19], v[8:9]
	v_mul_f64 v[8:9], v[12:13], v[8:9]
	v_add_f64 v[10:11], v[14:15], v[8:9]
	v_mul_f64 v[12:13], v[10:11], v[10:11]
	v_ldexp_f64 v[20:21], v[10:11], 1
	v_fma_f64 v[16:17], v[12:13], s[14:15], s[12:13]
	s_mov_b32 s12, 0xd7f4df2e
	s_mov_b32 s13, 0x3fc7474d
	v_mul_f64 v[18:19], v[10:11], v[12:13]
	s_mov_b32 s14, 0xa5b38140
	s_mov_b32 s15, 0x3edebaf7
	v_add_f64 v[10:11], v[10:11], -v[14:15]
	v_fma_f64 v[16:17], v[12:13], v[16:17], s[12:13]
	s_mov_b32 s12, 0x16291751
	s_mov_b32 s13, 0x3fcc71c0
	v_add_f64 v[8:9], v[8:9], -v[10:11]
	v_fma_f64 v[16:17], v[12:13], v[16:17], s[12:13]
	s_mov_b32 s12, 0x9b27acf1
	s_mov_b32 s13, 0x3fd24924
	v_ldexp_f64 v[8:9], v[8:9], 1
	v_fma_f64 v[16:17], v[12:13], v[16:17], s[12:13]
	s_mov_b32 s12, 0x998ef7b6
	s_mov_b32 s13, 0x3fd99999
	v_fma_f64 v[16:17], v[12:13], v[16:17], s[12:13]
	s_mov_b32 s12, 0xdd17e945
	s_mov_b32 s13, 0x3f00bfec
	;; [unrolled: 3-line block ×4, first 2 shown]
	s_mov_b32 s12, 0xca41a95b
	s_mov_b32 s13, 0x3f497dda
	v_mul_f64 v[12:13], v[18:19], v[12:13]
	v_fma_f64 v[18:19], v[2:3], s[14:15], s[12:13]
	s_mov_b32 s12, 0x742ed475
	s_mov_b32 s13, 0x3f9317ea
	v_fma_f64 v[16:17], v[2:3], v[16:17], s[10:11]
	s_mov_b32 s10, 0xbee5f2f7
	s_mov_b32 s11, 0x3fc2bb9c
	s_mov_b32 s14, 0xccfbdf27
	s_mov_b32 s15, 0x3fc601ed
	v_add_f64 v[14:15], v[20:21], v[12:13]
	v_fma_f64 v[18:19], v[2:3], v[18:19], s[12:13]
	s_mov_b32 s12, 0x4f139f59
	s_mov_b32 s13, 0x3fd4d98f
	v_fma_f64 v[16:17], v[2:3], v[16:17], s[10:11]
	s_mov_b32 s10, 0xfefa39ef
	s_mov_b32 s11, 0x3fe62e42
	v_mul_f64 v[24:25], v[22:23], s[10:11]
	v_add_f64 v[10:11], v[14:15], -v[20:21]
	v_fma_f64 v[18:19], v[2:3], v[18:19], s[14:15]
	v_fma_f64 v[16:17], v[2:3], v[16:17], s[12:13]
	s_mov_b32 s12, 0x93d3dcdc
	s_mov_b32 s13, 0x3fe71a18
	v_fma_f64 v[20:21], v[22:23], s[10:11], -v[24:25]
	s_mov_b32 s10, 0x36e20878
	s_mov_b32 s11, 0x3fcb848b
	v_add_f64 v[10:11], v[12:13], -v[10:11]
	v_fma_f64 v[12:13], v[2:3], v[18:19], s[12:13]
	s_mov_b32 s12, 0x62c4ab74
	s_mov_b32 s13, 0x3ff645a7
	v_fma_f64 v[16:17], v[2:3], v[16:17], s[10:11]
	s_mov_b32 s10, 0x3b39803f
	s_mov_b32 s11, 0x3c7abc9e
	;; [unrolled: 3-line block ×3, first 2 shown]
	v_add_f64 v[8:9], v[8:9], v[10:11]
	v_fma_f64 v[10:11], v[2:3], v[12:13], s[12:13]
	v_fma_f64 v[12:13], v[2:3], v[16:17], s[10:11]
	v_add_f64 v[16:17], v[24:25], v[18:19]
	v_add_f64 v[20:21], v[14:15], v[8:9]
	v_fma_f64 v[10:11], v[2:3], v[10:11], 1.0
	v_mul_f64 v[12:13], v[2:3], v[12:13]
	v_add_f64 v[24:25], v[16:17], -v[24:25]
	v_add_f64 v[22:23], v[16:17], v[20:21]
	v_add_f64 v[14:15], v[20:21], -v[14:15]
	v_div_scale_f64 v[26:27], null, v[10:11], v[10:11], v[12:13]
	v_add_f64 v[18:19], v[18:19], -v[24:25]
	v_add_f64 v[28:29], v[22:23], -v[16:17]
	v_add_f64 v[8:9], v[8:9], -v[14:15]
	v_rcp_f64_e32 v[30:31], v[26:27]
	v_add_f64 v[32:33], v[22:23], -v[28:29]
	v_add_f64 v[14:15], v[20:21], -v[28:29]
	v_add_f64 v[24:25], v[18:19], v[8:9]
	v_fma_f64 v[34:35], -v[26:27], v[30:31], 1.0
	v_add_f64 v[16:17], v[16:17], -v[32:33]
	v_add_f64 v[28:29], v[24:25], -v[18:19]
	v_fma_f64 v[20:21], v[30:31], v[34:35], v[30:31]
	v_div_scale_f64 v[30:31], vcc_lo, v[12:13], v[10:11], v[12:13]
	v_add_f64 v[14:15], v[14:15], v[16:17]
	v_add_f64 v[8:9], v[8:9], -v[28:29]
	v_fma_f64 v[16:17], -v[26:27], v[20:21], 1.0
	v_add_f64 v[14:15], v[24:25], v[14:15]
	v_fma_f64 v[16:17], v[20:21], v[16:17], v[20:21]
	v_add_f64 v[20:21], v[24:25], -v[28:29]
	v_add_f64 v[24:25], v[22:23], v[14:15]
	v_mul_f64 v[32:33], v[30:31], v[16:17]
	v_add_f64 v[18:19], v[18:19], -v[20:21]
	v_add_f64 v[20:21], v[24:25], -v[22:23]
	v_fma_f64 v[22:23], -v[26:27], v[32:33], v[30:31]
	v_add_f64 v[8:9], v[8:9], v[18:19]
	v_add_f64 v[14:15], v[14:15], -v[20:21]
	v_div_fmas_f64 v[16:17], v[22:23], v[16:17], v[32:33]
	v_cmp_class_f64_e64 vcc_lo, v[6:7], 0x204
	v_add_f64 v[8:9], v[8:9], v[14:15]
	v_div_fixup_f64 v[10:11], v[16:17], v[10:11], v[12:13]
	v_add_f64 v[8:9], v[24:25], v[8:9]
	v_fma_f64 v[2:3], v[2:3], 0.5, v[10:11]
	v_cndmask_b32_e32 v0, v8, v6, vcc_lo
	v_cndmask_b32_e32 v8, v9, v7, vcc_lo
	v_cmp_ngt_f64_e32 vcc_lo, 0, v[6:7]
	v_cndmask_b32_e32 v9, 0x7ff80000, v8, vcc_lo
	v_cmp_nge_f64_e32 vcc_lo, 0, v[6:7]
	v_cndmask_b32_e32 v8, 0, v0, vcc_lo
	v_cmp_neq_f64_e32 vcc_lo, 0, v[6:7]
	v_cndmask_b32_e32 v9, 0xfff00000, v9, vcc_lo
	v_add_f64 v[2:3], v[2:3], v[8:9]
.LBB131_61:
	s_or_b32 exec_lo, exec_lo, s6
.LBB131_62:
	s_andn2_saveexec_b32 s9, s5
	s_cbranch_execz .LBB131_76
; %bb.63:
                                        ; implicit-def: $vgpr0
                                        ; implicit-def: $vgpr6_vgpr7
	s_mov_b32 s4, exec_lo
	v_cmpx_lt_u32_e32 0x3feccccc, v1
	s_xor_b32 s5, exec_lo, s4
	s_cbranch_execz .LBB131_65
; %bb.64:
	s_mov_b32 s10, 0x6356be3f
	s_mov_b32 s11, 0xbff762d8
	v_add_f64 v[2:3], -|v[4:5]|, 2.0
	v_add_f64 v[6:7], |v[4:5]|, s[10:11]
	v_add_f64 v[8:9], |v[4:5]|, -1.0
	v_cmp_gt_u32_e32 vcc_lo, 0x3ffbb4c3, v1
	v_cmp_gt_u32_e64 s4, 0x3ff3b4c4, v1
	v_cndmask_b32_e32 v0, v2, v6, vcc_lo
	v_cndmask_b32_e32 v2, v3, v7, vcc_lo
	v_cndmask_b32_e64 v3, 0, 1, vcc_lo
	v_cndmask_b32_e64 v6, v0, v8, s4
	v_cndmask_b32_e64 v7, v2, v9, s4
	;; [unrolled: 1-line block ×3, first 2 shown]
.LBB131_65:
	s_or_saveexec_b32 s10, s5
	v_mov_b32_e32 v2, 0
	v_mov_b32_e32 v3, 0
	s_xor_b32 exec_lo, exec_lo, s10
	s_cbranch_execz .LBB131_67
; %bb.66:
	v_frexp_mant_f64_e64 v[2:3], |v[4:5]|
	s_mov_b32 s5, 0x3fe55555
	s_mov_b32 s4, 0x55555555
	;; [unrolled: 1-line block ×6, first 2 shown]
	v_cmp_gt_u32_e64 s6, 0x3fcda661, v1
	v_cmp_gt_f64_e32 vcc_lo, s[4:5], v[2:3]
	s_mov_b32 s4, 0x55555780
	v_cndmask_b32_e64 v0, 0, 1, vcc_lo
	v_ldexp_f64 v[2:3], v[2:3], v0
	v_frexp_exp_i32_f64_e32 v0, v[4:5]
	v_add_f64 v[6:7], v[2:3], 1.0
	v_add_f64 v[12:13], v[2:3], -1.0
	v_subrev_co_ci_u32_e64 v0, null, 0, v0, vcc_lo
	v_cmp_neq_f64_e64 vcc_lo, 0x7ff00000, |v[4:5]|
	v_rcp_f64_e32 v[8:9], v[6:7]
	v_add_f64 v[14:15], v[6:7], -1.0
	v_add_f64 v[2:3], v[2:3], -v[14:15]
	v_fma_f64 v[10:11], -v[6:7], v[8:9], 1.0
	v_fma_f64 v[8:9], v[10:11], v[8:9], v[8:9]
	v_fma_f64 v[10:11], -v[6:7], v[8:9], 1.0
	v_fma_f64 v[8:9], v[10:11], v[8:9], v[8:9]
	v_mul_f64 v[10:11], v[12:13], v[8:9]
	v_mul_f64 v[16:17], v[6:7], v[10:11]
	v_fma_f64 v[6:7], v[10:11], v[6:7], -v[16:17]
	v_fma_f64 v[2:3], v[10:11], v[2:3], v[6:7]
	v_add_f64 v[6:7], v[16:17], v[2:3]
	v_add_f64 v[14:15], v[12:13], -v[6:7]
	v_add_f64 v[16:17], v[6:7], -v[16:17]
	;; [unrolled: 1-line block ×5, first 2 shown]
	v_add_f64 v[2:3], v[2:3], v[6:7]
	v_add_f64 v[2:3], v[14:15], v[2:3]
	v_mul_f64 v[2:3], v[8:9], v[2:3]
	v_add_f64 v[6:7], v[10:11], v[2:3]
	v_mul_f64 v[8:9], v[6:7], v[6:7]
	v_fma_f64 v[12:13], v[8:9], s[14:15], s[12:13]
	s_mov_b32 s12, 0xd7f4df2e
	s_mov_b32 s13, 0x3fc7474d
	v_mul_f64 v[14:15], v[6:7], v[8:9]
	v_fma_f64 v[12:13], v[8:9], v[12:13], s[12:13]
	s_mov_b32 s12, 0x16291751
	s_mov_b32 s13, 0x3fcc71c0
	v_fma_f64 v[12:13], v[8:9], v[12:13], s[12:13]
	s_mov_b32 s12, 0x9b27acf1
	s_mov_b32 s13, 0x3fd24924
	;; [unrolled: 3-line block ×3, first 2 shown]
	v_fma_f64 v[12:13], v[8:9], v[12:13], s[12:13]
	v_fma_f64 v[8:9], v[8:9], v[12:13], s[4:5]
	v_ldexp_f64 v[12:13], v[6:7], 1
	v_add_f64 v[6:7], v[6:7], -v[10:11]
	s_mov_b32 s4, 0xfefa39ef
	s_mov_b32 s5, 0x3fe62e42
	v_mul_f64 v[8:9], v[14:15], v[8:9]
	v_cvt_f64_i32_e32 v[14:15], v0
	v_add_f64 v[2:3], v[2:3], -v[6:7]
	v_add_f64 v[10:11], v[12:13], v[8:9]
	v_mul_f64 v[16:17], v[14:15], s[4:5]
	v_ldexp_f64 v[2:3], v[2:3], 1
	v_add_f64 v[6:7], v[10:11], -v[12:13]
	v_fma_f64 v[12:13], v[14:15], s[4:5], -v[16:17]
	s_mov_b32 s4, 0x3b39803f
	s_mov_b32 s5, 0x3c7abc9e
	v_add_f64 v[6:7], v[8:9], -v[6:7]
	v_fma_f64 v[8:9], v[14:15], s[4:5], v[12:13]
	s_mov_b32 s4, 0x8d5af8fc
	s_mov_b32 s5, 0xbfdd8b61
	v_add_f64 v[2:3], v[2:3], v[6:7]
	v_add_f64 v[6:7], v[16:17], v[8:9]
	;; [unrolled: 1-line block ×3, first 2 shown]
	v_add_f64 v[16:17], v[6:7], -v[16:17]
	v_add_f64 v[14:15], v[6:7], v[12:13]
	v_add_f64 v[10:11], v[12:13], -v[10:11]
	v_add_f64 v[8:9], v[8:9], -v[16:17]
	v_add_f64 v[18:19], v[14:15], -v[6:7]
	v_add_f64 v[2:3], v[2:3], -v[10:11]
	v_add_f64 v[20:21], v[14:15], -v[18:19]
	v_add_f64 v[10:11], v[12:13], -v[18:19]
	v_add_f64 v[12:13], v[8:9], v[2:3]
	v_add_f64 v[6:7], v[6:7], -v[20:21]
	v_add_f64 v[6:7], v[10:11], v[6:7]
	v_add_f64 v[10:11], v[12:13], -v[8:9]
	;; [unrolled: 2-line block ×3, first 2 shown]
	v_add_f64 v[2:3], v[2:3], -v[10:11]
	v_add_f64 v[16:17], v[14:15], v[6:7]
	v_add_f64 v[8:9], v[8:9], -v[12:13]
	v_add_f64 v[10:11], v[16:17], -v[14:15]
	v_add_f64 v[2:3], v[2:3], v[8:9]
	v_add_f64 v[8:9], |v[4:5]|, s[4:5]
	v_cmp_neq_f64_e64 s4, 0, v[4:5]
	v_cmp_gt_u32_e64 s5, 0x3fe76944, v1
	v_add_f64 v[6:7], v[6:7], -v[10:11]
	v_add_f64 v[2:3], v[2:3], v[6:7]
	v_add_f64 v[6:7], -|v[4:5]|, 1.0
	v_add_f64 v[2:3], v[16:17], v[2:3]
	v_xor_b32_e32 v0, 0x80000000, v3
	v_cndmask_b32_e64 v3, v6, v8, s5
	v_cndmask_b32_e64 v6, v7, v9, s5
	;; [unrolled: 1-line block ×3, first 2 shown]
	v_cndmask_b32_e32 v0, 0xfff00000, v0, vcc_lo
	s_and_b32 vcc_lo, s4, vcc_lo
	v_cndmask_b32_e64 v7, v6, v1, s6
	v_cndmask_b32_e64 v6, v3, v4, s6
	v_cndmask_b32_e32 v2, 0, v2, vcc_lo
	v_cndmask_b32_e64 v3, 0x7ff00000, v0, s4
	v_cndmask_b32_e64 v0, v8, 2, s6
.LBB131_67:
	s_or_b32 exec_lo, exec_lo, s10
	s_mov_b32 s4, exec_lo
                                        ; implicit-def: $vgpr10_vgpr11
	v_cmpx_lt_i32_e32 1, v0
	s_xor_b32 s4, exec_lo, s4
	s_cbranch_execz .LBB131_69
; %bb.68:
	s_mov_b32 s10, 0xf6010924
	s_mov_b32 s12, 0xbf2bab09
	;; [unrolled: 1-line block ×5, first 2 shown]
	v_fma_f64 v[8:9], v[6:7], s[12:13], s[10:11]
	s_mov_b32 s10, 0x44ea8450
	s_mov_b32 s12, 0xd6537c88
	;; [unrolled: 1-line block ×5, first 2 shown]
                                        ; implicit-def: $vgpr0
	v_fma_f64 v[10:11], v[6:7], s[14:15], s[12:13]
	s_mov_b32 s12, 0xe45050af
	s_mov_b32 s13, 0x3fe89dfb
	v_fma_f64 v[8:9], v[6:7], v[8:9], s[10:11]
	s_mov_b32 s10, 0xd119bd6f
	s_mov_b32 s11, 0x3ff7475c
	;; [unrolled: 3-line block ×6, first 2 shown]
	v_fma_f64 v[10:11], v[6:7], v[10:11], s[12:13]
	v_fma_f64 v[8:9], v[6:7], v[8:9], s[10:11]
	v_fma_f64 v[10:11], v[6:7], v[10:11], 1.0
	v_mul_f64 v[8:9], v[6:7], v[8:9]
	v_div_scale_f64 v[12:13], null, v[10:11], v[10:11], v[8:9]
	v_rcp_f64_e32 v[14:15], v[12:13]
	v_fma_f64 v[16:17], -v[12:13], v[14:15], 1.0
	v_fma_f64 v[14:15], v[14:15], v[16:17], v[14:15]
	v_fma_f64 v[16:17], -v[12:13], v[14:15], 1.0
	v_fma_f64 v[14:15], v[14:15], v[16:17], v[14:15]
	v_div_scale_f64 v[16:17], vcc_lo, v[8:9], v[10:11], v[8:9]
	v_mul_f64 v[18:19], v[16:17], v[14:15]
	v_fma_f64 v[12:13], -v[12:13], v[18:19], v[16:17]
	v_div_fmas_f64 v[12:13], v[12:13], v[14:15], v[18:19]
	v_div_fixup_f64 v[8:9], v[12:13], v[10:11], v[8:9]
	v_fma_f64 v[10:11], v[6:7], -0.5, v[8:9]
                                        ; implicit-def: $vgpr6_vgpr7
.LBB131_69:
	s_andn2_saveexec_b32 s4, s4
	s_cbranch_execz .LBB131_75
; %bb.70:
	v_mul_f64 v[8:9], v[6:7], v[6:7]
	s_mov_b32 s5, exec_lo
                                        ; implicit-def: $vgpr10_vgpr11
	v_cmpx_ne_u32_e32 1, v0
	s_xor_b32 s5, exec_lo, s5
	s_cbranch_execz .LBB131_72
; %bb.71:
	s_mov_b32 s10, 0x987dfb07
	s_mov_b32 s12, 0x90a45837
	;; [unrolled: 1-line block ×5, first 2 shown]
	v_fma_f64 v[10:11], v[8:9], s[12:13], s[10:11]
	s_mov_b32 s10, 0xed10e54d
	s_mov_b32 s12, 0x428cfa52
	;; [unrolled: 1-line block ×5, first 2 shown]
	v_fma_f64 v[12:13], v[8:9], s[12:13], s[10:11]
	s_mov_b32 s10, 0x116f3f5d
	s_mov_b32 s12, 0xccb7926b
	;; [unrolled: 1-line block ×4, first 2 shown]
	v_fma_f64 v[10:11], v[8:9], v[10:11], s[14:15]
	v_fma_f64 v[12:13], v[8:9], v[12:13], s[10:11]
	s_mov_b32 s10, 0xb68fefe8
	s_mov_b32 s11, 0x3f7e404f
	v_fma_f64 v[10:11], v[8:9], v[10:11], s[12:13]
	s_mov_b32 s12, 0xac92547b
	s_mov_b32 s13, 0x3f951322
	;; [unrolled: 3-line block ×5, first 2 shown]
	v_fma_f64 v[10:11], v[8:9], v[10:11], s[12:13]
	v_fma_f64 v[12:13], v[8:9], v[12:13], s[10:11]
	v_mul_f64 v[8:9], v[8:9], v[10:11]
	v_fma_f64 v[8:9], v[6:7], v[12:13], v[8:9]
	v_fma_f64 v[10:11], v[6:7], -0.5, v[8:9]
                                        ; implicit-def: $vgpr6_vgpr7
                                        ; implicit-def: $vgpr8_vgpr9
.LBB131_72:
	s_andn2_saveexec_b32 s5, s5
	s_cbranch_execz .LBB131_74
; %bb.73:
	v_mul_f64 v[10:11], v[6:7], v[8:9]
	s_mov_b32 s10, 0xef61a8e9
	s_mov_b32 s12, 0xecc38c38
	;; [unrolled: 1-line block ×8, first 2 shown]
	v_fma_f64 v[12:13], v[10:11], s[12:13], s[10:11]
	v_fma_f64 v[14:15], v[10:11], s[16:17], s[14:15]
	s_mov_b32 s10, 0xb3e914d7
	s_mov_b32 s12, 0x2e15c915
	s_mov_b32 s11, 0xbf6e2eff
	s_mov_b32 s13, 0x3f6282d3
	s_mov_b32 s14, 0x970af9ec
	s_mov_b32 s16, 0xba91ec6a
	s_mov_b32 s15, 0x3f9266e7
	s_mov_b32 s17, 0xbf851f9f
	v_fma_f64 v[12:13], v[10:11], v[12:13], s[10:11]
	v_fma_f64 v[14:15], v[10:11], v[14:15], s[12:13]
	s_mov_b32 s10, 0xbf2d1af1
	s_mov_b32 s12, 0x6c0ebbf7
	;; [unrolled: 1-line block ×4, first 2 shown]
	v_fma_f64 v[16:17], v[10:11], s[12:13], s[10:11]
	s_mov_b32 s10, 0xe370e344
	s_mov_b32 s12, 0x8dc6c509
	;; [unrolled: 1-line block ×4, first 2 shown]
	v_fma_f64 v[12:13], v[10:11], v[12:13], s[14:15]
	v_fma_f64 v[14:15], v[10:11], v[14:15], s[16:17]
	s_mov_b32 s14, 0x94d5419b
	s_mov_b32 s15, 0x3fb08b42
	v_fma_f64 v[16:17], v[10:11], v[16:17], s[10:11]
	s_mov_b32 s10, 0xdf35b713
	s_mov_b32 s11, 0xbfa0c9a8
	v_fma_f64 v[12:13], v[10:11], v[12:13], s[12:13]
	v_fma_f64 v[14:15], v[10:11], v[14:15], s[14:15]
	s_mov_b32 s12, 0xa48a971f
	s_mov_b32 s13, 0xbc50c7ca
	v_fma_f64 v[16:17], v[10:11], v[16:17], s[10:11]
	s_mov_b32 s10, 0xc8ee38a2
	s_mov_b32 s11, 0x3fdef72b
	v_fma_f64 v[6:7], v[6:7], v[14:15], v[12:13]
	v_fma_f64 v[12:13], v[10:11], v[16:17], s[10:11]
	s_mov_b32 s10, 0xbcc38a42
	s_mov_b32 s11, 0xbfbf19b9
	v_fma_f64 v[6:7], v[10:11], -v[6:7], s[12:13]
	v_fma_f64 v[6:7], v[8:9], v[12:13], -v[6:7]
	v_add_f64 v[10:11], v[6:7], s[10:11]
.LBB131_74:
	s_or_b32 exec_lo, exec_lo, s5
.LBB131_75:
	s_or_b32 exec_lo, exec_lo, s4
	v_add_f64 v[2:3], v[2:3], v[10:11]
.LBB131_76:
	s_or_b32 exec_lo, exec_lo, s9
.LBB131_77:
	s_andn2_saveexec_b32 s5, s8
	s_cbranch_execz .LBB131_79
; %bb.78:
	v_frexp_mant_f64_e64 v[2:3], |v[4:5]|
	s_mov_b32 s9, 0x3fe55555
	s_mov_b32 s8, 0x55555555
	;; [unrolled: 1-line block ×6, first 2 shown]
	v_cmp_neq_f64_e64 s4, 0, v[4:5]
	v_cmp_gt_f64_e32 vcc_lo, s[8:9], v[2:3]
	s_mov_b32 s8, 0x55555780
	v_cndmask_b32_e64 v0, 0, 1, vcc_lo
	v_ldexp_f64 v[2:3], v[2:3], v0
	v_frexp_exp_i32_f64_e32 v0, v[4:5]
	v_add_f64 v[6:7], v[2:3], 1.0
	v_add_f64 v[12:13], v[2:3], -1.0
	v_subrev_co_ci_u32_e64 v0, null, 0, v0, vcc_lo
	v_cmp_neq_f64_e64 vcc_lo, 0x7ff00000, |v[4:5]|
	v_rcp_f64_e32 v[8:9], v[6:7]
	v_add_f64 v[14:15], v[6:7], -1.0
	v_add_f64 v[2:3], v[2:3], -v[14:15]
	v_fma_f64 v[10:11], -v[6:7], v[8:9], 1.0
	v_fma_f64 v[8:9], v[10:11], v[8:9], v[8:9]
	v_fma_f64 v[10:11], -v[6:7], v[8:9], 1.0
	v_fma_f64 v[8:9], v[10:11], v[8:9], v[8:9]
	v_mul_f64 v[10:11], v[12:13], v[8:9]
	v_mul_f64 v[16:17], v[6:7], v[10:11]
	v_fma_f64 v[6:7], v[10:11], v[6:7], -v[16:17]
	v_fma_f64 v[2:3], v[10:11], v[2:3], v[6:7]
	v_add_f64 v[6:7], v[16:17], v[2:3]
	v_add_f64 v[14:15], v[12:13], -v[6:7]
	v_add_f64 v[16:17], v[6:7], -v[16:17]
	v_add_f64 v[12:13], v[12:13], -v[14:15]
	v_add_f64 v[2:3], v[16:17], -v[2:3]
	v_add_f64 v[6:7], v[12:13], -v[6:7]
	v_add_f64 v[2:3], v[2:3], v[6:7]
	v_add_f64 v[2:3], v[14:15], v[2:3]
	v_mul_f64 v[2:3], v[8:9], v[2:3]
	v_add_f64 v[6:7], v[10:11], v[2:3]
	v_mul_f64 v[8:9], v[6:7], v[6:7]
	v_fma_f64 v[12:13], v[8:9], s[12:13], s[10:11]
	s_mov_b32 s10, 0xd7f4df2e
	s_mov_b32 s11, 0x3fc7474d
	v_mul_f64 v[14:15], v[6:7], v[8:9]
	v_fma_f64 v[12:13], v[8:9], v[12:13], s[10:11]
	s_mov_b32 s10, 0x16291751
	s_mov_b32 s11, 0x3fcc71c0
	v_fma_f64 v[12:13], v[8:9], v[12:13], s[10:11]
	s_mov_b32 s10, 0x9b27acf1
	s_mov_b32 s11, 0x3fd24924
	;; [unrolled: 3-line block ×4, first 2 shown]
	v_fma_f64 v[8:9], v[8:9], v[12:13], s[8:9]
	v_ldexp_f64 v[12:13], v[6:7], 1
	v_add_f64 v[6:7], v[6:7], -v[10:11]
	s_mov_b32 s8, 0xfefa39ef
	s_mov_b32 s9, 0x3fe62e42
	v_mul_f64 v[8:9], v[14:15], v[8:9]
	v_cvt_f64_i32_e32 v[14:15], v0
	v_add_f64 v[2:3], v[2:3], -v[6:7]
	v_add_f64 v[10:11], v[12:13], v[8:9]
	v_mul_f64 v[16:17], v[14:15], s[8:9]
	v_ldexp_f64 v[2:3], v[2:3], 1
	v_add_f64 v[6:7], v[10:11], -v[12:13]
	v_fma_f64 v[12:13], v[14:15], s[8:9], -v[16:17]
	s_mov_b32 s8, 0x3b39803f
	s_mov_b32 s9, 0x3c7abc9e
	v_add_f64 v[6:7], v[8:9], -v[6:7]
	v_fma_f64 v[8:9], v[14:15], s[8:9], v[12:13]
	s_mov_b32 s8, 0x2ac7d848
	s_mov_b32 s9, 0x3fd15132
	v_add_f64 v[2:3], v[2:3], v[6:7]
	v_add_f64 v[6:7], v[16:17], v[8:9]
	;; [unrolled: 1-line block ×3, first 2 shown]
	v_add_f64 v[16:17], v[6:7], -v[16:17]
	v_add_f64 v[14:15], v[6:7], v[12:13]
	v_add_f64 v[10:11], v[12:13], -v[10:11]
	v_add_f64 v[8:9], v[8:9], -v[16:17]
	;; [unrolled: 1-line block ×6, first 2 shown]
	v_add_f64 v[12:13], v[8:9], v[2:3]
	v_add_f64 v[6:7], v[6:7], -v[20:21]
	v_add_f64 v[6:7], v[10:11], v[6:7]
	v_add_f64 v[10:11], v[12:13], -v[8:9]
	;; [unrolled: 2-line block ×3, first 2 shown]
	v_add_f64 v[2:3], v[2:3], -v[10:11]
	v_add_f64 v[16:17], v[14:15], v[6:7]
	v_add_f64 v[8:9], v[8:9], -v[12:13]
	v_add_f64 v[10:11], v[16:17], -v[14:15]
	v_add_f64 v[2:3], v[2:3], v[8:9]
	v_fma_f64 v[8:9], |v[4:5]|, s[10:11], s[8:9]
	s_mov_b32 s8, 0x5beab2d7
	s_mov_b32 s9, 0xbfd9a4d5
	v_add_f64 v[6:7], v[6:7], -v[10:11]
	v_add_f64 v[2:3], v[2:3], v[6:7]
	v_fma_f64 v[6:7], |v[4:5]|, v[8:9], s[8:9]
	s_mov_b32 s8, 0x625307d3
	s_mov_b32 s9, 0x3fea51a6
	v_add_f64 v[2:3], v[16:17], v[2:3]
	v_fma_f64 v[6:7], |v[4:5]|, v[6:7], s[8:9]
	s_mov_b32 s8, 0xfc6fb619
	s_mov_b32 s9, 0xbfe2788c
	v_xor_b32_e32 v0, 0x80000000, v3
	v_fma_f64 v[6:7], |v[4:5]|, v[6:7], s[8:9]
	v_cndmask_b32_e32 v0, 0xfff00000, v0, vcc_lo
	s_and_b32 vcc_lo, s4, vcc_lo
	v_cndmask_b32_e32 v2, 0, v2, vcc_lo
	v_cndmask_b32_e64 v3, 0x7ff00000, v0, s4
	v_fma_f64 v[2:3], |v[4:5]|, v[6:7], v[2:3]
.LBB131_79:
	s_or_b32 exec_lo, exec_lo, s5
	s_mov_b32 s4, exec_lo
	v_cmpx_le_f64_e32 0, v[4:5]
	s_xor_b32 s5, exec_lo, s4
	s_cbranch_execz .LBB131_81
; %bb.80:
	v_cmp_eq_f64_e32 vcc_lo, 1.0, v[4:5]
	v_cmp_eq_f64_e64 s4, 2.0, v[4:5]
	s_or_b32 s4, vcc_lo, s4
	v_cndmask_b32_e64 v3, v3, 0, s4
	v_cndmask_b32_e64 v2, v2, 0, s4
.LBB131_81:
	s_andn2_saveexec_b32 s5, s5
	s_cbranch_execz .LBB131_85
; %bb.82:
	v_add_nc_u32_e32 v0, 0xc32fffff, v1
	s_mov_b32 s6, exec_lo
	v_cmpx_gt_u32_e32 0x65fffff, v0
	s_cbranch_execz .LBB131_84
; %bb.83:
	v_mul_f64 v[6:7], |v[4:5]|, 0.5
	s_mov_b32 s8, 0x6fdffd2b
	s_mov_b32 s10, 0xf99eb0bb
	;; [unrolled: 1-line block ×8, first 2 shown]
	v_cmp_class_f64_e64 s4, v[4:5], 0x1f8
	v_fract_f64_e32 v[8:9], v[6:7]
	v_cmp_neq_f64_e64 vcc_lo, 0x7ff00000, |v[6:7]|
	v_add_f64 v[8:9], v[8:9], v[8:9]
	v_cndmask_b32_e32 v0, 0, v8, vcc_lo
	v_cndmask_b32_e32 v6, 0, v9, vcc_lo
	v_cmp_gt_f64_e64 vcc_lo, |v[4:5]|, 1.0
	v_cndmask_b32_e32 v7, v1, v6, vcc_lo
	v_cndmask_b32_e32 v6, v4, v0, vcc_lo
	v_add_f64 v[8:9], v[6:7], v[6:7]
	v_rndne_f64_e32 v[8:9], v[8:9]
	v_fma_f64 v[6:7], v[8:9], -0.5, v[6:7]
	v_cvt_i32_f64_e32 v0, v[8:9]
	v_mul_f64 v[10:11], v[6:7], v[6:7]
	v_fma_f64 v[12:13], v[10:11], s[10:11], s[8:9]
	v_fma_f64 v[14:15], v[10:11], s[14:15], s[12:13]
	s_mov_b32 s8, 0xd5f14825
	s_mov_b32 s10, 0x7294bff9
	;; [unrolled: 1-line block ×4, first 2 shown]
	v_mul_f64 v[16:17], v[6:7], v[10:11]
	s_mov_b32 s12, 0xbf559e2b
	s_mov_b32 s13, 0x3fc3ab76
	v_fma_f64 v[12:13], v[10:11], v[12:13], s[8:9]
	v_fma_f64 v[14:15], v[10:11], v[14:15], s[10:11]
	s_mov_b32 s8, 0xcdfe9424
	s_mov_b32 s10, 0x67b90b37
	s_mov_b32 s9, 0xbfe32d2c
	s_mov_b32 s11, 0x3fce1f50
	v_fma_f64 v[12:13], v[10:11], v[12:13], s[8:9]
	v_fma_f64 v[14:15], v[10:11], v[14:15], s[10:11]
	s_mov_b32 s8, 0x67754fff
	s_mov_b32 s10, 0x7e3c325b
	;; [unrolled: 6-line block ×4, first 2 shown]
	s_mov_b32 s10, 0x6b47b09a
	s_mov_b32 s11, 0x3fc38538
	v_mul_f64 v[12:13], v[16:17], v[12:13]
	v_fma_f64 v[14:15], v[10:11], v[14:15], s[8:9]
	s_mov_b32 s8, 0x54442d18
	s_mov_b32 s9, 0x400921fb
	v_fma_f64 v[6:7], v[6:7], s[8:9], v[12:13]
	v_fma_f64 v[8:9], v[10:11], v[14:15], 1.0
	v_and_b32_e32 v10, 1, v0
	v_lshlrev_b32_e32 v0, 30, v0
	v_cmp_eq_u32_e32 vcc_lo, 0, v10
	v_xor_b32_e32 v0, v0, v5
	v_and_b32_e32 v0, 0x80000000, v0
	v_cndmask_b32_e32 v7, v9, v7, vcc_lo
	v_cndmask_b32_e32 v6, v8, v6, vcc_lo
	v_xor_b32_e32 v0, v7, v0
	v_cndmask_b32_e64 v6, 0, v6, s4
	v_cndmask_b32_e64 v7, 0x7ff80000, v0, s4
	v_cmp_class_f64_e64 s4, v[4:5], 0x204
	v_mul_f64 v[6:7], v[4:5], v[6:7]
	v_and_b32_e32 v9, 0x7fffffff, v7
	v_mov_b32_e32 v8, v6
	v_div_scale_f64 v[10:11], null, v[8:9], v[8:9], s[8:9]
	v_div_scale_f64 v[8:9], vcc_lo, s[8:9], v[8:9], s[8:9]
	v_rcp_f64_e32 v[12:13], v[10:11]
	v_fma_f64 v[14:15], -v[10:11], v[12:13], 1.0
	v_fma_f64 v[12:13], v[12:13], v[14:15], v[12:13]
	v_fma_f64 v[14:15], -v[10:11], v[12:13], 1.0
	v_fma_f64 v[12:13], v[12:13], v[14:15], v[12:13]
	v_mul_f64 v[14:15], v[8:9], v[12:13]
	v_fma_f64 v[8:9], -v[10:11], v[14:15], v[8:9]
	v_div_fmas_f64 v[8:9], v[8:9], v[12:13], v[14:15]
	v_div_fixup_f64 v[6:7], v[8:9], |v[6:7]|, s[8:9]
	s_mov_b32 s9, 0x3fe55555
	s_mov_b32 s8, 0x55555555
	v_frexp_mant_f64_e32 v[8:9], v[6:7]
	v_cmp_gt_f64_e32 vcc_lo, s[8:9], v[8:9]
	s_mov_b32 s8, 0x55555780
	v_cndmask_b32_e64 v0, 0, 1, vcc_lo
	v_ldexp_f64 v[8:9], v[8:9], v0
	v_frexp_exp_i32_f64_e32 v0, v[6:7]
	v_add_f64 v[10:11], v[8:9], 1.0
	v_add_f64 v[16:17], v[8:9], -1.0
	v_subrev_co_ci_u32_e64 v0, null, 0, v0, vcc_lo
	v_cmp_class_f64_e64 vcc_lo, v[6:7], 0x204
	v_rcp_f64_e32 v[12:13], v[10:11]
	v_add_f64 v[18:19], v[10:11], -1.0
	v_add_f64 v[8:9], v[8:9], -v[18:19]
	v_fma_f64 v[14:15], -v[10:11], v[12:13], 1.0
	v_fma_f64 v[12:13], v[14:15], v[12:13], v[12:13]
	v_fma_f64 v[14:15], -v[10:11], v[12:13], 1.0
	v_fma_f64 v[12:13], v[14:15], v[12:13], v[12:13]
	v_mul_f64 v[14:15], v[16:17], v[12:13]
	v_mul_f64 v[20:21], v[10:11], v[14:15]
	v_fma_f64 v[10:11], v[14:15], v[10:11], -v[20:21]
	v_fma_f64 v[8:9], v[14:15], v[8:9], v[10:11]
	v_add_f64 v[10:11], v[20:21], v[8:9]
	v_add_f64 v[18:19], v[16:17], -v[10:11]
	v_add_f64 v[20:21], v[10:11], -v[20:21]
	;; [unrolled: 1-line block ×5, first 2 shown]
	v_add_f64 v[8:9], v[8:9], v[10:11]
	v_add_f64 v[8:9], v[18:19], v[8:9]
	v_mul_f64 v[8:9], v[12:13], v[8:9]
	v_add_f64 v[10:11], v[14:15], v[8:9]
	v_mul_f64 v[12:13], v[10:11], v[10:11]
	v_fma_f64 v[16:17], v[12:13], s[12:13], s[10:11]
	s_mov_b32 s10, 0xd7f4df2e
	s_mov_b32 s11, 0x3fc7474d
	v_mul_f64 v[18:19], v[10:11], v[12:13]
	v_fma_f64 v[16:17], v[12:13], v[16:17], s[10:11]
	s_mov_b32 s10, 0x16291751
	s_mov_b32 s11, 0x3fcc71c0
	v_fma_f64 v[16:17], v[12:13], v[16:17], s[10:11]
	s_mov_b32 s10, 0x9b27acf1
	s_mov_b32 s11, 0x3fd24924
	;; [unrolled: 3-line block ×3, first 2 shown]
	v_fma_f64 v[16:17], v[12:13], v[16:17], s[10:11]
	v_fma_f64 v[12:13], v[12:13], v[16:17], s[8:9]
	v_ldexp_f64 v[16:17], v[10:11], 1
	v_add_f64 v[10:11], v[10:11], -v[14:15]
	s_mov_b32 s8, 0xfefa39ef
	s_mov_b32 s9, 0x3fe62e42
	v_mul_f64 v[12:13], v[18:19], v[12:13]
	v_cvt_f64_i32_e32 v[18:19], v0
	v_add_f64 v[8:9], v[8:9], -v[10:11]
	v_add_f64 v[14:15], v[16:17], v[12:13]
	v_mul_f64 v[20:21], v[18:19], s[8:9]
	v_ldexp_f64 v[8:9], v[8:9], 1
	v_add_f64 v[10:11], v[14:15], -v[16:17]
	v_fma_f64 v[16:17], v[18:19], s[8:9], -v[20:21]
	s_mov_b32 s8, 0x3b39803f
	s_mov_b32 s9, 0x3c7abc9e
	v_add_f64 v[10:11], v[12:13], -v[10:11]
	v_fma_f64 v[12:13], v[18:19], s[8:9], v[16:17]
	v_add_f64 v[8:9], v[8:9], v[10:11]
	v_add_f64 v[10:11], v[20:21], v[12:13]
	;; [unrolled: 1-line block ×3, first 2 shown]
	v_add_f64 v[20:21], v[10:11], -v[20:21]
	v_add_f64 v[18:19], v[10:11], v[16:17]
	v_add_f64 v[14:15], v[16:17], -v[14:15]
	v_add_f64 v[12:13], v[12:13], -v[20:21]
	;; [unrolled: 1-line block ×6, first 2 shown]
	v_add_f64 v[16:17], v[12:13], v[8:9]
	v_add_f64 v[10:11], v[10:11], -v[24:25]
	v_add_f64 v[10:11], v[14:15], v[10:11]
	v_add_f64 v[14:15], v[16:17], -v[12:13]
	;; [unrolled: 2-line block ×3, first 2 shown]
	v_add_f64 v[8:9], v[8:9], -v[14:15]
	v_add_f64 v[20:21], v[18:19], v[10:11]
	v_add_f64 v[12:13], v[12:13], -v[16:17]
	v_add_f64 v[14:15], v[20:21], -v[18:19]
	v_add_f64 v[8:9], v[8:9], v[12:13]
	v_add_f64 v[10:11], v[10:11], -v[14:15]
	v_add_f64 v[8:9], v[8:9], v[10:11]
	v_add_f64 v[8:9], v[20:21], v[8:9]
	v_cndmask_b32_e32 v0, v8, v6, vcc_lo
	v_cndmask_b32_e32 v8, v9, v7, vcc_lo
	v_cmp_neq_f64_e32 vcc_lo, 0, v[6:7]
	v_fract_f64_e32 v[6:7], v[4:5]
	v_cndmask_b32_e32 v9, 0xfff00000, v8, vcc_lo
	v_cndmask_b32_e32 v8, 0, v0, vcc_lo
	v_cmp_eq_f64_e32 vcc_lo, 0, v[6:7]
	v_add_f64 v[2:3], v[8:9], -v[2:3]
	s_or_b32 s4, s4, vcc_lo
	v_cndmask_b32_e64 v3, v3, 0x7ff00000, s4
	v_cndmask_b32_e64 v2, v2, 0, s4
.LBB131_84:
	s_or_b32 exec_lo, exec_lo, s6
.LBB131_85:
	s_or_b32 exec_lo, exec_lo, s5
	v_cmp_gt_f64_e32 vcc_lo, 0, v[4:5]
	v_cmp_class_f64_e64 s5, v[4:5], 0x264
	v_cmp_lt_u32_e64 s4, 0x432fffff, v1
	s_and_b32 s4, vcc_lo, s4
	v_cmp_u_f64_e32 vcc_lo, v[4:5], v[4:5]
	s_or_b32 s4, s5, s4
	v_cndmask_b32_e64 v0, v2, 0, s4
	v_cndmask_b32_e64 v1, v3, 0x7ff00000, s4
	v_cndmask_b32_e32 v1, v1, v5, vcc_lo
	v_cndmask_b32_e32 v0, v0, v4, vcc_lo
	s_or_b32 exec_lo, exec_lo, s7
	s_setpc_b64 s[30:31]
.LBB131_86:
	v_mov_b32_e32 v2, 28
	s_mov_b32 s9, 0
                                        ; implicit-def: $vgpr4_vgpr5
	v_cmp_gt_i16_sdwa s7, v3, v2 src0_sel:BYTE_0 src1_sel:DWORD
	s_and_saveexec_b32 s10, s7
	s_xor_b32 s7, exec_lo, s10
	s_cbranch_execz .LBB131_102
; %bb.87:
	v_mov_b32_e32 v2, 43
	s_mov_b32 s10, 0
	s_mov_b32 s11, 0
                                        ; implicit-def: $vgpr4_vgpr5
	v_cmp_gt_i16_sdwa s8, v3, v2 src0_sel:BYTE_0 src1_sel:DWORD
	s_and_saveexec_b32 s9, s8
	s_xor_b32 s8, exec_lo, s9
	s_cbranch_execz .LBB131_97
; %bb.88:
	v_mov_b32_e32 v2, 45
	s_mov_b32 s9, 0
                                        ; implicit-def: $vgpr4_vgpr5
	v_cmp_gt_i16_sdwa s11, v3, v2 src0_sel:BYTE_0 src1_sel:DWORD
	s_and_saveexec_b32 s12, s11
	s_xor_b32 s11, exec_lo, s12
	s_cbranch_execz .LBB131_92
; %bb.89:
	v_mov_b32_e32 v2, 46
	s_mov_b32 s12, -1
                                        ; implicit-def: $vgpr4_vgpr5
	v_cmp_eq_u16_sdwa s13, v3, v2 src0_sel:BYTE_0 src1_sel:DWORD
	s_and_saveexec_b32 s10, s13
	s_cbranch_execz .LBB131_91
; %bb.90:
	flat_load_dword v2, v[0:1]
	s_mov_b32 s9, exec_lo
	s_xor_b32 s12, exec_lo, -1
	s_waitcnt vmcnt(0) lgkmcnt(0)
	v_lshlrev_b32_e32 v2, 16, v2
	v_cvt_f64_f32_e32 v[4:5], v2
.LBB131_91:
	s_or_b32 exec_lo, exec_lo, s10
	s_and_b32 s10, s9, exec_lo
	s_and_b32 s9, s12, exec_lo
                                        ; implicit-def: $vgpr3
.LBB131_92:
	s_andn2_saveexec_b32 s11, s11
	s_cbranch_execz .LBB131_96
; %bb.93:
	v_mov_b32_e32 v2, 44
	s_mov_b32 s13, -1
	s_mov_b32 s14, s10
                                        ; implicit-def: $vgpr4_vgpr5
	v_cmp_eq_u16_sdwa s15, v3, v2 src0_sel:BYTE_0 src1_sel:DWORD
	s_and_saveexec_b32 s12, s15
	s_cbranch_execz .LBB131_95
; %bb.94:
	flat_load_ubyte v4, v[0:1]
	s_or_b32 s14, s10, exec_lo
	s_xor_b32 s13, exec_lo, -1
	s_waitcnt vmcnt(0) lgkmcnt(0)
	v_lshlrev_b32_e32 v2, 23, v4
	v_cmp_ne_u32_e32 vcc_lo, 0xff, v4
	v_cvt_f64_f32_e32 v[2:3], v2
	v_cndmask_b32_e32 v2, 0x20000000, v2, vcc_lo
	v_cndmask_b32_e32 v3, 0x7ff80000, v3, vcc_lo
	v_cmp_ne_u32_e32 vcc_lo, 0, v4
	v_cndmask_b32_e32 v5, 0x38000000, v3, vcc_lo
	v_cndmask_b32_e32 v4, 0, v2, vcc_lo
.LBB131_95:
	s_or_b32 exec_lo, exec_lo, s12
	s_andn2_b32 s10, s10, exec_lo
	s_and_b32 s12, s14, exec_lo
	s_andn2_b32 s9, s9, exec_lo
	s_and_b32 s13, s13, exec_lo
	s_or_b32 s10, s10, s12
	s_or_b32 s9, s9, s13
.LBB131_96:
	s_or_b32 exec_lo, exec_lo, s11
	s_and_b32 s11, s10, exec_lo
	s_and_b32 s10, s9, exec_lo
                                        ; implicit-def: $vgpr3
.LBB131_97:
	s_andn2_saveexec_b32 s8, s8
	s_cbranch_execz .LBB131_101
; %bb.98:
	v_mov_b32_e32 v2, 29
	s_mov_b32 s9, -1
	s_mov_b32 s12, s11
                                        ; implicit-def: $vgpr4_vgpr5
	v_cmp_eq_u16_sdwa s14, v3, v2 src0_sel:BYTE_0 src1_sel:DWORD
	s_and_saveexec_b32 s13, s14
	s_cbranch_execz .LBB131_100
; %bb.99:
	flat_load_dwordx2 v[2:3], v[0:1]
	s_or_b32 s12, s11, exec_lo
	s_xor_b32 s9, exec_lo, -1
	s_waitcnt vmcnt(0) lgkmcnt(0)
	v_cvt_f64_u32_e32 v[3:4], v3
	v_cvt_f64_u32_e32 v[5:6], v2
	v_ldexp_f64 v[3:4], v[3:4], 32
	v_add_f64 v[4:5], v[3:4], v[5:6]
.LBB131_100:
	s_or_b32 exec_lo, exec_lo, s13
	s_andn2_b32 s11, s11, exec_lo
	s_and_b32 s12, s12, exec_lo
	s_andn2_b32 s10, s10, exec_lo
	s_and_b32 s9, s9, exec_lo
	s_or_b32 s11, s11, s12
	s_or_b32 s10, s10, s9
.LBB131_101:
	s_or_b32 exec_lo, exec_lo, s8
	s_and_b32 s9, s11, exec_lo
	s_and_b32 s8, s10, exec_lo
                                        ; implicit-def: $vgpr3
.LBB131_102:
	s_andn2_saveexec_b32 s7, s7
	s_cbranch_execz .LBB131_120
; %bb.103:
	v_mov_b32_e32 v2, 26
                                        ; implicit-def: $vgpr4_vgpr5
	v_cmp_gt_i16_sdwa s10, v3, v2 src0_sel:BYTE_0 src1_sel:DWORD
	s_and_saveexec_b32 s11, s10
	s_xor_b32 s10, exec_lo, s11
	s_cbranch_execz .LBB131_109
; %bb.104:
	v_mov_b32_e32 v2, 27
                                        ; implicit-def: $vgpr4_vgpr5
	v_cmp_gt_i16_sdwa s11, v3, v2 src0_sel:BYTE_0 src1_sel:DWORD
	s_and_saveexec_b32 s12, s11
	s_xor_b32 s11, exec_lo, s12
	s_cbranch_execz .LBB131_106
; %bb.105:
	flat_load_dword v2, v[0:1]
	s_waitcnt vmcnt(0) lgkmcnt(0)
	v_cvt_f64_u32_e32 v[4:5], v2
.LBB131_106:
	s_andn2_saveexec_b32 s11, s11
	s_cbranch_execz .LBB131_108
; %bb.107:
	flat_load_ushort v2, v[0:1]
	s_waitcnt vmcnt(0) lgkmcnt(0)
	v_cvt_f64_u32_e32 v[4:5], v2
.LBB131_108:
	s_or_b32 exec_lo, exec_lo, s11
.LBB131_109:
	s_andn2_saveexec_b32 s10, s10
	s_cbranch_execz .LBB131_119
; %bb.110:
	flat_load_ubyte v2, v[0:1]
	s_mov_b32 s11, 0
	s_mov_b32 s12, exec_lo
	s_waitcnt vmcnt(0) lgkmcnt(0)
	v_cmpx_lt_i16_e32 0x7f, v2
	s_xor_b32 s12, exec_lo, s12
	s_cbranch_execz .LBB131_114
; %bb.111:
	s_mov_b32 s11, -1
	s_mov_b32 s13, exec_lo
	v_cmpx_eq_u16_e32 0x80, v2
; %bb.112:
	s_xor_b32 s11, exec_lo, -1
; %bb.113:
	s_or_b32 exec_lo, exec_lo, s13
	s_and_b32 s11, s11, exec_lo
.LBB131_114:
	s_or_saveexec_b32 s12, s12
	v_bfrev_b32_e32 v4, 4
	v_mov_b32_e32 v5, 0x7ff80000
	s_xor_b32 exec_lo, exec_lo, s12
; %bb.115:
	v_cmp_ne_u16_e32 vcc_lo, 0, v2
	v_mov_b32_e32 v4, 0
	v_mov_b32_e32 v5, 0
	s_andn2_b32 s11, s11, exec_lo
	s_and_b32 s13, vcc_lo, exec_lo
	s_or_b32 s11, s11, s13
; %bb.116:
	s_or_b32 exec_lo, exec_lo, s12
	s_and_saveexec_b32 s12, s11
	s_cbranch_execz .LBB131_118
; %bb.117:
	v_and_b32_e32 v3, 0xffff, v2
	v_lshlrev_b32_e32 v2, 24, v2
	v_and_b32_e32 v4, 7, v3
	v_bfe_u32 v7, v3, 3, 4
	v_and_b32_e32 v2, 0x80000000, v2
	v_ffbh_u32_e32 v5, v4
	v_cmp_eq_u32_e32 vcc_lo, 0, v7
	v_min_u32_e32 v5, 32, v5
	v_subrev_nc_u32_e32 v6, 28, v5
	v_sub_nc_u32_e32 v5, 29, v5
	v_lshlrev_b32_e32 v3, v6, v3
	v_cndmask_b32_e32 v5, v7, v5, vcc_lo
	v_and_b32_e32 v3, 7, v3
	v_cndmask_b32_e32 v3, v4, v3, vcc_lo
	v_lshl_add_u32 v4, v5, 23, 0x3b800000
	v_lshlrev_b32_e32 v3, 20, v3
	v_or3_b32 v2, v2, v4, v3
	v_cvt_f64_f32_e32 v[4:5], v2
.LBB131_118:
	s_or_b32 exec_lo, exec_lo, s12
.LBB131_119:
	s_or_b32 exec_lo, exec_lo, s10
	s_or_b32 s9, s9, exec_lo
.LBB131_120:
	s_or_b32 exec_lo, exec_lo, s7
	s_and_b32 s7, s9, exec_lo
	s_and_b32 s8, s8, exec_lo
                                        ; implicit-def: $vgpr3
	s_andn2_saveexec_b32 s6, s6
	s_cbranch_execz .LBB131_6
.LBB131_121:
	v_mov_b32_e32 v2, 22
	s_mov_b32 s9, s7
                                        ; implicit-def: $vgpr4_vgpr5
	v_cmp_gt_i16_sdwa s5, v3, v2 src0_sel:BYTE_0 src1_sel:DWORD
	s_and_saveexec_b32 s10, s5
	s_xor_b32 s5, exec_lo, s10
	s_cbranch_execz .LBB131_139
; %bb.122:
	v_mov_b32_e32 v2, 23
                                        ; implicit-def: $vgpr4_vgpr5
	v_cmp_gt_i16_sdwa s9, v3, v2 src0_sel:BYTE_0 src1_sel:DWORD
	s_and_saveexec_b32 s10, s9
	s_xor_b32 s9, exec_lo, s10
	s_cbranch_execz .LBB131_136
; %bb.123:
	v_mov_b32_e32 v2, 24
                                        ; implicit-def: $vgpr4_vgpr5
	v_cmp_gt_i16_sdwa s10, v3, v2 src0_sel:BYTE_0 src1_sel:DWORD
	s_and_saveexec_b32 s11, s10
	s_xor_b32 s10, exec_lo, s11
	s_cbranch_execz .LBB131_133
; %bb.124:
	flat_load_ubyte v2, v[0:1]
	s_mov_b32 s11, 0
	s_mov_b32 s12, exec_lo
	s_waitcnt vmcnt(0) lgkmcnt(0)
	v_cmpx_lt_i16_e32 0x7f, v2
	s_xor_b32 s12, exec_lo, s12
	s_cbranch_execz .LBB131_128
; %bb.125:
	s_mov_b32 s11, -1
	s_mov_b32 s13, exec_lo
	v_cmpx_eq_u16_e32 0x80, v2
; %bb.126:
	s_xor_b32 s11, exec_lo, -1
; %bb.127:
	s_or_b32 exec_lo, exec_lo, s13
	s_and_b32 s11, s11, exec_lo
.LBB131_128:
	s_or_saveexec_b32 s12, s12
	v_bfrev_b32_e32 v4, 4
	v_mov_b32_e32 v5, 0x7ff80000
	s_xor_b32 exec_lo, exec_lo, s12
; %bb.129:
	v_cmp_ne_u16_e32 vcc_lo, 0, v2
	v_mov_b32_e32 v4, 0
	v_mov_b32_e32 v5, 0
	s_andn2_b32 s11, s11, exec_lo
	s_and_b32 s13, vcc_lo, exec_lo
	s_or_b32 s11, s11, s13
; %bb.130:
	s_or_b32 exec_lo, exec_lo, s12
	s_and_saveexec_b32 s12, s11
	s_cbranch_execz .LBB131_132
; %bb.131:
	v_and_b32_e32 v3, 0xffff, v2
	v_lshlrev_b32_e32 v2, 24, v2
	v_and_b32_e32 v4, 3, v3
	v_bfe_u32 v7, v3, 2, 5
	v_and_b32_e32 v2, 0x80000000, v2
	v_ffbh_u32_e32 v5, v4
	v_cmp_eq_u32_e32 vcc_lo, 0, v7
	v_min_u32_e32 v5, 32, v5
	v_subrev_nc_u32_e32 v6, 29, v5
	v_sub_nc_u32_e32 v5, 30, v5
	v_lshlrev_b32_e32 v3, v6, v3
	v_cndmask_b32_e32 v5, v7, v5, vcc_lo
	v_and_b32_e32 v3, 3, v3
	v_cndmask_b32_e32 v3, v4, v3, vcc_lo
	v_lshl_add_u32 v4, v5, 23, 0x37800000
	v_lshlrev_b32_e32 v3, 21, v3
	v_or3_b32 v2, v2, v4, v3
	v_cvt_f64_f32_e32 v[4:5], v2
.LBB131_132:
	s_or_b32 exec_lo, exec_lo, s12
.LBB131_133:
	s_andn2_saveexec_b32 s10, s10
	s_cbranch_execz .LBB131_135
; %bb.134:
	flat_load_ubyte v2, v[0:1]
	s_waitcnt vmcnt(0) lgkmcnt(0)
	v_lshlrev_b32_e32 v2, 24, v2
	v_and_b32_e32 v3, 0x7f000000, v2
	v_ffbh_u32_e32 v4, v3
	v_add_nc_u32_e32 v6, 0x1000000, v3
	v_cmp_ne_u32_e32 vcc_lo, 0, v3
	v_min_u32_e32 v4, 32, v4
	v_sub_nc_u32_e64 v4, v4, 4 clamp
	v_lshlrev_b32_e32 v5, v4, v3
	v_lshlrev_b32_e32 v4, 23, v4
	v_lshrrev_b32_e32 v5, 4, v5
	v_sub_nc_u32_e32 v4, v5, v4
	v_ashrrev_i32_e32 v5, 8, v6
	v_add_nc_u32_e32 v4, 0x3c000000, v4
	v_and_or_b32 v4, 0x7f800000, v5, v4
	v_cndmask_b32_e32 v3, 0, v4, vcc_lo
	v_and_or_b32 v2, 0x80000000, v2, v3
	v_cvt_f64_f32_e32 v[4:5], v2
.LBB131_135:
	s_or_b32 exec_lo, exec_lo, s10
.LBB131_136:
	s_andn2_saveexec_b32 s9, s9
	s_cbranch_execz .LBB131_138
; %bb.137:
	flat_load_ubyte v2, v[0:1]
	s_waitcnt vmcnt(0) lgkmcnt(0)
	v_lshlrev_b32_e32 v3, 25, v2
	v_lshlrev_b16 v2, 8, v2
	v_lshrrev_b32_e32 v4, 4, v3
	v_and_or_b32 v5, 0x7f00, v2, 0.5
	v_cmp_gt_u32_e32 vcc_lo, 0x8000000, v3
	v_bfe_i32 v2, v2, 0, 16
	v_or_b32_e32 v4, 0x70000000, v4
	v_add_f32_e32 v5, -0.5, v5
	v_mul_f32_e32 v4, 0x7800000, v4
	v_cndmask_b32_e32 v3, v4, v5, vcc_lo
	v_and_or_b32 v2, 0x80000000, v2, v3
	v_cvt_f64_f32_e32 v[4:5], v2
.LBB131_138:
	s_or_b32 exec_lo, exec_lo, s9
	s_or_b32 s9, s7, exec_lo
                                        ; implicit-def: $vgpr3
.LBB131_139:
	s_or_saveexec_b32 s5, s5
	s_mov_b32 s10, 0
	s_mov_b32 s11, s8
	s_xor_b32 exec_lo, exec_lo, s5
	s_cbranch_execz .LBB131_147
; %bb.140:
	v_mov_b32_e32 v2, 14
	s_mov_b32 s10, s8
	s_mov_b32 s11, s9
                                        ; implicit-def: $vgpr4_vgpr5
	v_cmp_gt_i16_sdwa s12, v3, v2 src0_sel:BYTE_0 src1_sel:DWORD
	s_and_saveexec_b32 s13, s12
	s_xor_b32 s12, exec_lo, s13
	s_cbranch_execz .LBB131_144
; %bb.141:
	v_mov_b32_e32 v2, 15
	s_mov_b32 s10, -1
	s_mov_b32 s11, s9
                                        ; implicit-def: $vgpr4_vgpr5
	v_cmp_eq_u16_sdwa s14, v3, v2 src0_sel:BYTE_0 src1_sel:DWORD
	s_and_saveexec_b32 s13, s14
	s_cbranch_execz .LBB131_143
; %bb.142:
	flat_load_ushort v2, v[0:1]
	s_or_b32 s11, s9, exec_lo
	s_xor_b32 s10, exec_lo, -1
	s_waitcnt vmcnt(0) lgkmcnt(0)
	v_lshlrev_b32_e32 v2, 16, v2
	v_cvt_f64_f32_e32 v[4:5], v2
.LBB131_143:
	s_or_b32 exec_lo, exec_lo, s13
	s_andn2_b32 s13, s9, exec_lo
	s_and_b32 s11, s11, exec_lo
	s_andn2_b32 s14, s8, exec_lo
	s_and_b32 s10, s10, exec_lo
	s_or_b32 s11, s13, s11
	s_or_b32 s10, s14, s10
                                        ; implicit-def: $vgpr3
.LBB131_144:
	s_or_saveexec_b32 s12, s12
	s_mov_b32 s13, 0
	s_xor_b32 exec_lo, exec_lo, s12
; %bb.145:
	v_mov_b32_e32 v2, 11
	s_andn2_b32 s10, s10, exec_lo
	s_mov_b32 s13, exec_lo
	v_cmp_ne_u16_sdwa s14, v3, v2 src0_sel:BYTE_0 src1_sel:DWORD
	s_and_b32 s14, s14, exec_lo
	s_or_b32 s10, s10, s14
; %bb.146:
	s_or_b32 exec_lo, exec_lo, s12
	s_andn2_b32 s9, s9, exec_lo
	s_and_b32 s11, s11, exec_lo
	s_and_b32 s12, s10, exec_lo
	s_or_b32 s9, s9, s11
	s_andn2_b32 s11, s8, exec_lo
	s_and_b32 s10, s13, exec_lo
	s_or_b32 s11, s11, s12
.LBB131_147:
	s_or_b32 exec_lo, exec_lo, s5
	s_andn2_b32 s5, s7, exec_lo
	s_and_b32 s7, s9, exec_lo
	s_andn2_b32 s8, s8, exec_lo
	s_and_b32 s9, s11, exec_lo
	s_or_b32 s7, s5, s7
	s_and_b32 s5, s10, exec_lo
	s_or_b32 s8, s8, s9
	s_or_b32 exec_lo, exec_lo, s6
	s_and_saveexec_b32 s6, s8
	s_cbranch_execz .LBB131_7
.LBB131_148:
	s_trap 2
	; divergent unreachable
	s_andn2_b32 s5, s5, exec_lo
	s_or_b32 exec_lo, exec_lo, s6
	s_and_saveexec_b32 s6, s5
	s_xor_b32 s5, exec_lo, s6
	s_cbranch_execnz .LBB131_8
	s_branch .LBB131_9
.Lfunc_end131:
	.size	_ZN2at6native6invokeIZZZNS0_18lgamma_kernel_cudaERNS_18TensorIteratorBaseEENKUlvE_clEvENKUlvE_clEvEUldE_i15function_traitsIS6_EEENT1_11result_typeERKT_PrKPcPKT0_PKN3c1010ScalarTypeEi, .Lfunc_end131-_ZN2at6native6invokeIZZZNS0_18lgamma_kernel_cudaERNS_18TensorIteratorBaseEENKUlvE_clEvENKUlvE_clEvEUldE_i15function_traitsIS6_EEENT1_11result_typeERKT_PrKPcPKT0_PKN3c1010ScalarTypeEi
                                        ; -- End function
	.set .L_ZN2at6native6invokeIZZZNS0_18lgamma_kernel_cudaERNS_18TensorIteratorBaseEENKUlvE_clEvENKUlvE_clEvEUldE_i15function_traitsIS6_EEENT1_11result_typeERKT_PrKPcPKT0_PKN3c1010ScalarTypeEi.num_vgpr, 36
	.set .L_ZN2at6native6invokeIZZZNS0_18lgamma_kernel_cudaERNS_18TensorIteratorBaseEENKUlvE_clEvENKUlvE_clEvEUldE_i15function_traitsIS6_EEENT1_11result_typeERKT_PrKPcPKT0_PKN3c1010ScalarTypeEi.num_agpr, 0
	.set .L_ZN2at6native6invokeIZZZNS0_18lgamma_kernel_cudaERNS_18TensorIteratorBaseEENKUlvE_clEvENKUlvE_clEvEUldE_i15function_traitsIS6_EEENT1_11result_typeERKT_PrKPcPKT0_PKN3c1010ScalarTypeEi.numbered_sgpr, 32
	.set .L_ZN2at6native6invokeIZZZNS0_18lgamma_kernel_cudaERNS_18TensorIteratorBaseEENKUlvE_clEvENKUlvE_clEvEUldE_i15function_traitsIS6_EEENT1_11result_typeERKT_PrKPcPKT0_PKN3c1010ScalarTypeEi.num_named_barrier, 0
	.set .L_ZN2at6native6invokeIZZZNS0_18lgamma_kernel_cudaERNS_18TensorIteratorBaseEENKUlvE_clEvENKUlvE_clEvEUldE_i15function_traitsIS6_EEENT1_11result_typeERKT_PrKPcPKT0_PKN3c1010ScalarTypeEi.private_seg_size, 0
	.set .L_ZN2at6native6invokeIZZZNS0_18lgamma_kernel_cudaERNS_18TensorIteratorBaseEENKUlvE_clEvENKUlvE_clEvEUldE_i15function_traitsIS6_EEENT1_11result_typeERKT_PrKPcPKT0_PKN3c1010ScalarTypeEi.uses_vcc, 1
	.set .L_ZN2at6native6invokeIZZZNS0_18lgamma_kernel_cudaERNS_18TensorIteratorBaseEENKUlvE_clEvENKUlvE_clEvEUldE_i15function_traitsIS6_EEENT1_11result_typeERKT_PrKPcPKT0_PKN3c1010ScalarTypeEi.uses_flat_scratch, 0
	.set .L_ZN2at6native6invokeIZZZNS0_18lgamma_kernel_cudaERNS_18TensorIteratorBaseEENKUlvE_clEvENKUlvE_clEvEUldE_i15function_traitsIS6_EEENT1_11result_typeERKT_PrKPcPKT0_PKN3c1010ScalarTypeEi.has_dyn_sized_stack, 0
	.set .L_ZN2at6native6invokeIZZZNS0_18lgamma_kernel_cudaERNS_18TensorIteratorBaseEENKUlvE_clEvENKUlvE_clEvEUldE_i15function_traitsIS6_EEENT1_11result_typeERKT_PrKPcPKT0_PKN3c1010ScalarTypeEi.has_recursion, 0
	.set .L_ZN2at6native6invokeIZZZNS0_18lgamma_kernel_cudaERNS_18TensorIteratorBaseEENKUlvE_clEvENKUlvE_clEvEUldE_i15function_traitsIS6_EEENT1_11result_typeERKT_PrKPcPKT0_PKN3c1010ScalarTypeEi.has_indirect_call, 0
	.section	.AMDGPU.csdata,"",@progbits
; Function info:
; codeLenInByte = 10376
; TotalNumSgprs: 34
; NumVgprs: 36
; ScratchSize: 0
; MemoryBound: 1
	.section	.text._ZN2at6native32elementwise_kernel_manual_unrollILi128ELi4EZNS0_15gpu_kernel_implIZZZNS0_18lgamma_kernel_cudaERNS_18TensorIteratorBaseEENKUlvE_clEvENKUlvE_clEvEUldE_EEvS4_RKT_EUlibE_EEviT1_,"axG",@progbits,_ZN2at6native32elementwise_kernel_manual_unrollILi128ELi4EZNS0_15gpu_kernel_implIZZZNS0_18lgamma_kernel_cudaERNS_18TensorIteratorBaseEENKUlvE_clEvENKUlvE_clEvEUldE_EEvS4_RKT_EUlibE_EEviT1_,comdat
	.globl	_ZN2at6native32elementwise_kernel_manual_unrollILi128ELi4EZNS0_15gpu_kernel_implIZZZNS0_18lgamma_kernel_cudaERNS_18TensorIteratorBaseEENKUlvE_clEvENKUlvE_clEvEUldE_EEvS4_RKT_EUlibE_EEviT1_ ; -- Begin function _ZN2at6native32elementwise_kernel_manual_unrollILi128ELi4EZNS0_15gpu_kernel_implIZZZNS0_18lgamma_kernel_cudaERNS_18TensorIteratorBaseEENKUlvE_clEvENKUlvE_clEvEUldE_EEvS4_RKT_EUlibE_EEviT1_
	.p2align	8
	.type	_ZN2at6native32elementwise_kernel_manual_unrollILi128ELi4EZNS0_15gpu_kernel_implIZZZNS0_18lgamma_kernel_cudaERNS_18TensorIteratorBaseEENKUlvE_clEvENKUlvE_clEvEUldE_EEvS4_RKT_EUlibE_EEviT1_,@function
_ZN2at6native32elementwise_kernel_manual_unrollILi128ELi4EZNS0_15gpu_kernel_implIZZZNS0_18lgamma_kernel_cudaERNS_18TensorIteratorBaseEENKUlvE_clEvENKUlvE_clEvEUldE_EEvS4_RKT_EUlibE_EEviT1_: ; @_ZN2at6native32elementwise_kernel_manual_unrollILi128ELi4EZNS0_15gpu_kernel_implIZZZNS0_18lgamma_kernel_cudaERNS_18TensorIteratorBaseEENKUlvE_clEvENKUlvE_clEvEUldE_EEvS4_RKT_EUlibE_EEviT1_
; %bb.0:
	v_mov_b32_e32 v1, 0
	s_clause 0x2
	s_load_dword s28, s[4:5], 0x0
	s_load_dwordx2 s[18:19], s[4:5], 0x18
	s_load_dwordx4 s[20:23], s[4:5], 0x8
	v_lshl_or_b32 v42, s6, 9, v0
	v_mov_b32_e32 v0, 8
	s_add_u32 s0, s0, s7
	global_load_ushort v1, v1, s[4:5] offset:33
	s_addc_u32 s1, s1, 0
	v_or_b32_e32 v44, 0x180, v42
	s_mov_b32 s25, 0
	s_mov_b32 s27, 0
	;; [unrolled: 1-line block ×3, first 2 shown]
	s_mov_b32 s4, exec_lo
	s_waitcnt vmcnt(0)
	v_readfirstlane_b32 s24, v1
	v_lshrrev_b32_sdwa v43, v0, v1 dst_sel:DWORD dst_unused:UNUSED_PAD src0_sel:DWORD src1_sel:WORD_0
	s_waitcnt lgkmcnt(0)
	v_cmpx_le_i32_e64 s28, v44
	s_xor_b32 s26, exec_lo, s4
	s_cbranch_execz .LBB132_512
; %bb.1:
	s_mov_b32 s4, -1
	s_mov_b32 s33, 0
	s_mov_b32 s29, exec_lo
	v_cmpx_gt_i32_e64 s28, v42
                                        ; implicit-def: $vgpr2_vgpr3
	s_cbranch_execz .LBB132_124
; %bb.2:
	v_mov_b32_e32 v0, s22
	v_mov_b32_e32 v1, s23
	;; [unrolled: 1-line block ×5, first 2 shown]
	s_getpc_b64 s[4:5]
	s_add_u32 s4, s4, _ZN2at6native6invokeIZZZNS0_18lgamma_kernel_cudaERNS_18TensorIteratorBaseEENKUlvE_clEvENKUlvE_clEvEUldE_i15function_traitsIS6_EEENT1_11result_typeERKT_PrKPcPKT0_PKN3c1010ScalarTypeEi@rel32@lo+4
	s_addc_u32 s5, s5, _ZN2at6native6invokeIZZZNS0_18lgamma_kernel_cudaERNS_18TensorIteratorBaseEENKUlvE_clEvENKUlvE_clEvEUldE_i15function_traitsIS6_EEENT1_11result_typeERKT_PrKPcPKT0_PKN3c1010ScalarTypeEi@rel32@hi+12
	s_swappc_b64 s[30:31], s[4:5]
	v_mul_lo_u32 v2, v42, s18
	s_and_b32 s5, s24, 0xff
	s_cmp_lt_i32 s5, 11
	v_ashrrev_i32_e32 v3, 31, v2
	v_add_co_u32 v4, vcc_lo, s20, v2
	v_add_co_ci_u32_e64 v5, null, s21, v3, vcc_lo
	s_cbranch_scc1 .LBB132_9
; %bb.3:
	s_and_b32 s6, 0xffff, s5
	s_cmp_gt_i32 s6, 25
	s_cbranch_scc0 .LBB132_12
; %bb.4:
	s_cmp_gt_i32 s6, 28
	s_cbranch_scc0 .LBB132_13
; %bb.5:
	;; [unrolled: 3-line block ×4, first 2 shown]
	s_mov_b32 s8, 0
	s_mov_b32 s4, -1
	s_cmp_eq_u32 s6, 46
	s_mov_b32 s7, 0
	s_cbranch_scc0 .LBB132_16
; %bb.8:
	v_cvt_f32_f64_e32 v2, v[0:1]
	s_mov_b32 s7, -1
	s_mov_b32 s4, 0
	v_bfe_u32 v3, v2, 16, 1
	v_cmp_o_f32_e32 vcc_lo, v2, v2
	v_add3_u32 v2, v2, v3, 0x7fff
	v_mov_b32_e32 v3, 0x7fc0
	v_cndmask_b32_sdwa v2, v3, v2, vcc_lo dst_sel:DWORD dst_unused:UNUSED_PAD src0_sel:DWORD src1_sel:WORD_1
	global_store_dword v[4:5], v2, off
	s_branch .LBB132_16
.LBB132_9:
	s_mov_b32 s4, 0
	s_mov_b32 s7, 0
	s_cbranch_execnz .LBB132_84
.LBB132_10:
	s_andn2_b32 vcc_lo, exec_lo, s7
	s_cbranch_vccnz .LBB132_122
.LBB132_11:
	v_add_nc_u32_e32 v42, 0x80, v42
	s_mov_b32 s5, -1
	s_branch .LBB132_123
.LBB132_12:
	s_mov_b32 s4, 0
	s_mov_b32 s7, 0
	s_cbranch_execnz .LBB132_43
	s_branch .LBB132_83
.LBB132_13:
	s_mov_b32 s8, -1
	s_mov_b32 s4, 0
	s_mov_b32 s7, 0
	s_branch .LBB132_26
.LBB132_14:
	s_mov_b32 s8, -1
	s_mov_b32 s4, 0
	s_mov_b32 s7, 0
	s_branch .LBB132_22
.LBB132_15:
	s_mov_b32 s8, -1
	s_mov_b32 s4, 0
	s_mov_b32 s7, 0
.LBB132_16:
	s_and_b32 vcc_lo, exec_lo, s8
	s_cbranch_vccz .LBB132_21
; %bb.17:
	s_cmp_eq_u32 s6, 44
	s_mov_b32 s4, -1
	s_cbranch_scc0 .LBB132_21
; %bb.18:
	v_cvt_f32_f64_e32 v2, v[0:1]
	v_mov_b32_e32 v3, 0xff
	s_mov_b32 s7, exec_lo
	v_bfe_u32 v6, v2, 23, 8
	v_cmpx_ne_u32_e32 0xff, v6
	s_cbranch_execz .LBB132_20
; %bb.19:
	v_and_b32_e32 v3, 0x400000, v2
	v_and_or_b32 v6, 0x3fffff, v2, v6
	v_lshrrev_b32_e32 v2, 23, v2
	v_cmp_ne_u32_e32 vcc_lo, 0, v3
	v_cmp_ne_u32_e64 s4, 0, v6
	s_and_b32 s4, vcc_lo, s4
	v_cndmask_b32_e64 v3, 0, 1, s4
	v_add_nc_u32_e32 v3, v2, v3
.LBB132_20:
	s_or_b32 exec_lo, exec_lo, s7
	s_mov_b32 s7, -1
	s_mov_b32 s4, 0
	global_store_byte v[4:5], v3, off
.LBB132_21:
	s_mov_b32 s8, 0
.LBB132_22:
	s_and_b32 vcc_lo, exec_lo, s8
	s_cbranch_vccz .LBB132_25
; %bb.23:
	s_cmp_eq_u32 s6, 29
	s_mov_b32 s4, -1
	s_cbranch_scc0 .LBB132_25
; %bb.24:
	v_trunc_f64_e32 v[2:3], v[0:1]
	s_mov_b32 s7, -1
	s_mov_b32 s4, 0
	s_mov_b32 s8, 0
	v_ldexp_f64 v[6:7], v[2:3], 0xffffffe0
	v_floor_f64_e32 v[6:7], v[6:7]
	v_fma_f64 v[2:3], 0xc1f00000, v[6:7], v[2:3]
	v_cvt_u32_f64_e32 v7, v[6:7]
	v_cvt_u32_f64_e32 v6, v[2:3]
	global_store_dwordx2 v[4:5], v[6:7], off
	s_branch .LBB132_26
.LBB132_25:
	s_mov_b32 s8, 0
.LBB132_26:
	s_and_b32 vcc_lo, exec_lo, s8
	s_cbranch_vccz .LBB132_42
; %bb.27:
	s_cmp_lt_i32 s6, 27
	s_mov_b32 s7, -1
	s_cbranch_scc1 .LBB132_33
; %bb.28:
	v_cvt_u32_f64_e32 v2, v[0:1]
	s_cmp_gt_i32 s6, 27
	s_cbranch_scc0 .LBB132_30
; %bb.29:
	s_mov_b32 s7, 0
	global_store_dword v[4:5], v2, off
.LBB132_30:
	s_andn2_b32 vcc_lo, exec_lo, s7
	s_cbranch_vccnz .LBB132_32
; %bb.31:
	global_store_short v[4:5], v2, off
.LBB132_32:
	s_mov_b32 s7, 0
.LBB132_33:
	s_andn2_b32 vcc_lo, exec_lo, s7
	s_cbranch_vccnz .LBB132_41
; %bb.34:
	v_cvt_f32_f64_e32 v2, v[0:1]
	v_mov_b32_e32 v6, 0x80
	s_mov_b32 s7, exec_lo
	v_and_b32_e32 v3, 0x7fffffff, v2
	v_cmpx_gt_u32_e32 0x43800000, v3
	s_cbranch_execz .LBB132_40
; %bb.35:
	v_cmp_lt_u32_e32 vcc_lo, 0x3bffffff, v3
	s_mov_b32 s8, 0
                                        ; implicit-def: $vgpr3
	s_and_saveexec_b32 s9, vcc_lo
	s_xor_b32 s9, exec_lo, s9
	s_cbranch_execz .LBB132_141
; %bb.36:
	v_bfe_u32 v3, v2, 20, 1
	s_mov_b32 s8, exec_lo
	v_add3_u32 v3, v2, v3, 0x487ffff
	v_lshrrev_b32_e32 v3, 20, v3
	s_andn2_saveexec_b32 s9, s9
	s_cbranch_execnz .LBB132_142
.LBB132_37:
	s_or_b32 exec_lo, exec_lo, s9
	v_mov_b32_e32 v6, 0
	s_and_saveexec_b32 s9, s8
.LBB132_38:
	v_lshrrev_b32_e32 v2, 24, v2
	v_and_or_b32 v6, 0x80, v2, v3
.LBB132_39:
	s_or_b32 exec_lo, exec_lo, s9
.LBB132_40:
	s_or_b32 exec_lo, exec_lo, s7
	global_store_byte v[4:5], v6, off
.LBB132_41:
	s_mov_b32 s7, -1
.LBB132_42:
	s_branch .LBB132_83
.LBB132_43:
	s_cmp_gt_i32 s6, 22
	s_mov_b32 s8, -1
	s_cbranch_scc0 .LBB132_75
; %bb.44:
	s_cmp_lt_i32 s6, 24
	s_mov_b32 s7, -1
	s_cbranch_scc1 .LBB132_64
; %bb.45:
	s_cmp_gt_i32 s6, 24
	s_cbranch_scc0 .LBB132_53
; %bb.46:
	v_cvt_f32_f64_e32 v2, v[0:1]
	v_mov_b32_e32 v6, 0x80
	s_mov_b32 s7, exec_lo
	v_and_b32_e32 v3, 0x7fffffff, v2
	v_cmpx_gt_u32_e32 0x47800000, v3
	s_cbranch_execz .LBB132_52
; %bb.47:
	v_cmp_lt_u32_e32 vcc_lo, 0x37ffffff, v3
	s_mov_b32 s8, 0
                                        ; implicit-def: $vgpr3
	s_and_saveexec_b32 s9, vcc_lo
	s_xor_b32 s9, exec_lo, s9
	s_cbranch_execz .LBB132_144
; %bb.48:
	v_bfe_u32 v3, v2, 21, 1
	s_mov_b32 s8, exec_lo
	v_add3_u32 v3, v2, v3, 0x88fffff
	v_lshrrev_b32_e32 v3, 21, v3
	s_andn2_saveexec_b32 s9, s9
	s_cbranch_execnz .LBB132_145
.LBB132_49:
	s_or_b32 exec_lo, exec_lo, s9
	v_mov_b32_e32 v6, 0
	s_and_saveexec_b32 s9, s8
.LBB132_50:
	v_lshrrev_b32_e32 v2, 24, v2
	v_and_or_b32 v6, 0x80, v2, v3
.LBB132_51:
	s_or_b32 exec_lo, exec_lo, s9
.LBB132_52:
	s_or_b32 exec_lo, exec_lo, s7
	s_mov_b32 s7, 0
	global_store_byte v[4:5], v6, off
.LBB132_53:
	s_and_b32 vcc_lo, exec_lo, s7
	s_cbranch_vccz .LBB132_63
; %bb.54:
	v_cvt_f32_f64_e32 v2, v[0:1]
	s_mov_b32 s7, exec_lo
                                        ; implicit-def: $vgpr3
	v_and_b32_e32 v6, 0x7fffffff, v2
	v_cmpx_gt_u32_e32 0x43f00000, v6
	s_xor_b32 s7, exec_lo, s7
	s_cbranch_execz .LBB132_60
; %bb.55:
	s_mov_b32 s8, exec_lo
                                        ; implicit-def: $vgpr3
	v_cmpx_lt_u32_e32 0x3c7fffff, v6
	s_xor_b32 s8, exec_lo, s8
; %bb.56:
	v_bfe_u32 v3, v2, 20, 1
	v_add3_u32 v3, v2, v3, 0x407ffff
	v_and_b32_e32 v6, 0xff00000, v3
	v_lshrrev_b32_e32 v3, 20, v3
	v_cmp_ne_u32_e32 vcc_lo, 0x7f00000, v6
	v_cndmask_b32_e32 v3, 0x7e, v3, vcc_lo
; %bb.57:
	s_andn2_saveexec_b32 s8, s8
; %bb.58:
	v_add_f32_e64 v3, 0x46800000, |v2|
; %bb.59:
	s_or_b32 exec_lo, exec_lo, s8
                                        ; implicit-def: $vgpr6
.LBB132_60:
	s_andn2_saveexec_b32 s7, s7
; %bb.61:
	v_mov_b32_e32 v3, 0x7f
	v_cmp_lt_u32_e32 vcc_lo, 0x7f800000, v6
	v_cndmask_b32_e32 v3, 0x7e, v3, vcc_lo
; %bb.62:
	s_or_b32 exec_lo, exec_lo, s7
	v_lshrrev_b32_e32 v2, 24, v2
	v_and_or_b32 v2, 0x80, v2, v3
	global_store_byte v[4:5], v2, off
.LBB132_63:
	s_mov_b32 s7, 0
.LBB132_64:
	s_andn2_b32 vcc_lo, exec_lo, s7
	s_cbranch_vccnz .LBB132_74
; %bb.65:
	v_cvt_f32_f64_e32 v2, v[0:1]
	s_mov_b32 s7, exec_lo
                                        ; implicit-def: $vgpr3
	v_and_b32_e32 v6, 0x7fffffff, v2
	v_cmpx_gt_u32_e32 0x47800000, v6
	s_xor_b32 s7, exec_lo, s7
	s_cbranch_execz .LBB132_71
; %bb.66:
	s_mov_b32 s8, exec_lo
                                        ; implicit-def: $vgpr3
	v_cmpx_lt_u32_e32 0x387fffff, v6
	s_xor_b32 s8, exec_lo, s8
; %bb.67:
	v_bfe_u32 v3, v2, 21, 1
	v_add3_u32 v3, v2, v3, 0x80fffff
	v_lshrrev_b32_e32 v3, 21, v3
; %bb.68:
	s_andn2_saveexec_b32 s8, s8
; %bb.69:
	v_add_f32_e64 v3, 0x43000000, |v2|
; %bb.70:
	s_or_b32 exec_lo, exec_lo, s8
                                        ; implicit-def: $vgpr6
.LBB132_71:
	s_andn2_saveexec_b32 s7, s7
; %bb.72:
	v_mov_b32_e32 v3, 0x7f
	v_cmp_lt_u32_e32 vcc_lo, 0x7f800000, v6
	v_cndmask_b32_e32 v3, 0x7c, v3, vcc_lo
; %bb.73:
	s_or_b32 exec_lo, exec_lo, s7
	v_lshrrev_b32_e32 v2, 24, v2
	v_and_or_b32 v2, 0x80, v2, v3
	global_store_byte v[4:5], v2, off
.LBB132_74:
	s_mov_b32 s8, 0
	s_mov_b32 s7, -1
.LBB132_75:
	s_andn2_b32 vcc_lo, exec_lo, s8
	s_cbranch_vccnz .LBB132_83
; %bb.76:
	s_cmp_gt_i32 s6, 14
	s_mov_b32 s8, -1
	s_cbranch_scc0 .LBB132_80
; %bb.77:
	s_cmp_eq_u32 s6, 15
	s_mov_b32 s4, -1
	s_cbranch_scc0 .LBB132_79
; %bb.78:
	v_cvt_f32_f64_e32 v2, v[0:1]
	s_mov_b32 s7, -1
	s_mov_b32 s4, 0
	v_bfe_u32 v3, v2, 16, 1
	v_cmp_o_f32_e32 vcc_lo, v2, v2
	v_add3_u32 v2, v2, v3, 0x7fff
	v_mov_b32_e32 v3, 0x7fc0
	v_cndmask_b32_sdwa v2, v3, v2, vcc_lo dst_sel:DWORD dst_unused:UNUSED_PAD src0_sel:DWORD src1_sel:WORD_1
	global_store_short v[4:5], v2, off
.LBB132_79:
	s_mov_b32 s8, 0
.LBB132_80:
	s_and_b32 vcc_lo, exec_lo, s8
	s_cbranch_vccz .LBB132_83
; %bb.81:
	s_cmp_eq_u32 s6, 11
	s_mov_b32 s4, -1
	s_cbranch_scc0 .LBB132_83
; %bb.82:
	v_cmp_neq_f64_e32 vcc_lo, 0, v[0:1]
	s_mov_b32 s7, -1
	s_mov_b32 s4, 0
	v_cndmask_b32_e64 v2, 0, 1, vcc_lo
	global_store_byte v[4:5], v2, off
.LBB132_83:
	s_branch .LBB132_10
.LBB132_84:
	s_and_b32 s5, 0xffff, s5
	s_mov_b32 s6, -1
	s_cmp_lt_i32 s5, 5
	s_cbranch_scc1 .LBB132_105
; %bb.85:
	s_cmp_lt_i32 s5, 8
	s_cbranch_scc1 .LBB132_95
; %bb.86:
	;; [unrolled: 3-line block ×3, first 2 shown]
	s_cmp_gt_i32 s5, 9
	s_cbranch_scc0 .LBB132_89
; %bb.88:
	v_mov_b32_e32 v2, 0
	s_mov_b32 s6, 0
	v_mov_b32_e32 v3, v2
	global_store_dwordx4 v[4:5], v[0:3], off
.LBB132_89:
	s_andn2_b32 vcc_lo, exec_lo, s6
	s_cbranch_vccnz .LBB132_91
; %bb.90:
	v_cvt_f32_f64_e32 v2, v[0:1]
	v_mov_b32_e32 v3, 0
	global_store_dwordx2 v[4:5], v[2:3], off
.LBB132_91:
	s_mov_b32 s6, 0
.LBB132_92:
	s_andn2_b32 vcc_lo, exec_lo, s6
	s_cbranch_vccnz .LBB132_94
; %bb.93:
	v_and_or_b32 v2, 0x1ff, v1, v0
	v_lshrrev_b32_e32 v3, 8, v1
	v_bfe_u32 v6, v1, 20, 11
	v_cmp_ne_u32_e32 vcc_lo, 0, v2
	v_sub_nc_u32_e32 v7, 0x3f1, v6
	v_add_nc_u32_e32 v6, 0xfffffc10, v6
	v_cndmask_b32_e64 v2, 0, 1, vcc_lo
	v_and_or_b32 v2, 0xffe, v3, v2
	v_med3_i32 v3, v7, 0, 13
	v_or_b32_e32 v7, 0x1000, v2
	v_lshrrev_b32_e32 v8, v3, v7
	v_lshlrev_b32_e32 v3, v3, v8
	v_cmp_ne_u32_e32 vcc_lo, v3, v7
	v_lshl_or_b32 v7, v6, 12, v2
	v_cndmask_b32_e64 v3, 0, 1, vcc_lo
	v_cmp_gt_i32_e32 vcc_lo, 1, v6
	v_or_b32_e32 v3, v8, v3
	v_cndmask_b32_e32 v3, v7, v3, vcc_lo
	v_and_b32_e32 v7, 7, v3
	v_lshrrev_b32_e32 v3, 2, v3
	v_cmp_lt_i32_e32 vcc_lo, 5, v7
	v_cndmask_b32_e64 v8, 0, 1, vcc_lo
	v_cmp_eq_u32_e32 vcc_lo, 3, v7
	v_cndmask_b32_e64 v7, 0, 1, vcc_lo
	v_cmp_ne_u32_e32 vcc_lo, 0, v2
	v_or_b32_e32 v7, v7, v8
	v_mov_b32_e32 v8, 0x7e00
	v_add_nc_u32_e32 v3, v3, v7
	v_cndmask_b32_e32 v2, 0x7c00, v8, vcc_lo
	v_cmp_gt_i32_e32 vcc_lo, 31, v6
	v_cndmask_b32_e32 v3, 0x7c00, v3, vcc_lo
	v_cmp_eq_u32_e32 vcc_lo, 0x40f, v6
	v_cndmask_b32_e32 v2, v3, v2, vcc_lo
	v_lshrrev_b32_e32 v3, 16, v1
	v_and_or_b32 v2, 0x8000, v3, v2
	v_and_b32_e32 v2, 0xffff, v2
	global_store_dword v[4:5], v2, off
.LBB132_94:
	s_mov_b32 s6, 0
.LBB132_95:
	s_andn2_b32 vcc_lo, exec_lo, s6
	s_cbranch_vccnz .LBB132_104
; %bb.96:
	s_cmp_lt_i32 s5, 6
	s_mov_b32 s6, -1
	s_cbranch_scc1 .LBB132_102
; %bb.97:
	s_cmp_gt_i32 s5, 6
	s_cbranch_scc0 .LBB132_99
; %bb.98:
	s_mov_b32 s6, 0
	global_store_dwordx2 v[4:5], v[0:1], off
.LBB132_99:
	s_andn2_b32 vcc_lo, exec_lo, s6
	s_cbranch_vccnz .LBB132_101
; %bb.100:
	v_cvt_f32_f64_e32 v2, v[0:1]
	global_store_dword v[4:5], v2, off
.LBB132_101:
	s_mov_b32 s6, 0
.LBB132_102:
	s_andn2_b32 vcc_lo, exec_lo, s6
	s_cbranch_vccnz .LBB132_104
; %bb.103:
	v_and_or_b32 v2, 0x1ff, v1, v0
	v_lshrrev_b32_e32 v3, 8, v1
	v_bfe_u32 v6, v1, 20, 11
	v_cmp_ne_u32_e32 vcc_lo, 0, v2
	v_sub_nc_u32_e32 v7, 0x3f1, v6
	v_add_nc_u32_e32 v6, 0xfffffc10, v6
	v_cndmask_b32_e64 v2, 0, 1, vcc_lo
	v_and_or_b32 v2, 0xffe, v3, v2
	v_med3_i32 v3, v7, 0, 13
	v_or_b32_e32 v7, 0x1000, v2
	v_lshrrev_b32_e32 v8, v3, v7
	v_lshlrev_b32_e32 v3, v3, v8
	v_cmp_ne_u32_e32 vcc_lo, v3, v7
	v_lshl_or_b32 v7, v6, 12, v2
	v_cndmask_b32_e64 v3, 0, 1, vcc_lo
	v_cmp_gt_i32_e32 vcc_lo, 1, v6
	v_or_b32_e32 v3, v8, v3
	v_cndmask_b32_e32 v3, v7, v3, vcc_lo
	v_and_b32_e32 v7, 7, v3
	v_lshrrev_b32_e32 v3, 2, v3
	v_cmp_lt_i32_e32 vcc_lo, 5, v7
	v_cndmask_b32_e64 v8, 0, 1, vcc_lo
	v_cmp_eq_u32_e32 vcc_lo, 3, v7
	v_cndmask_b32_e64 v7, 0, 1, vcc_lo
	v_cmp_ne_u32_e32 vcc_lo, 0, v2
	v_or_b32_e32 v7, v7, v8
	v_mov_b32_e32 v8, 0x7e00
	v_add_nc_u32_e32 v3, v3, v7
	v_cndmask_b32_e32 v2, 0x7c00, v8, vcc_lo
	v_cmp_gt_i32_e32 vcc_lo, 31, v6
	v_cndmask_b32_e32 v3, 0x7c00, v3, vcc_lo
	v_cmp_eq_u32_e32 vcc_lo, 0x40f, v6
	v_cndmask_b32_e32 v2, v3, v2, vcc_lo
	v_lshrrev_b32_e32 v3, 16, v1
	v_and_or_b32 v2, 0x8000, v3, v2
	global_store_short v[4:5], v2, off
.LBB132_104:
	s_mov_b32 s6, 0
.LBB132_105:
	s_andn2_b32 vcc_lo, exec_lo, s6
	s_cbranch_vccnz .LBB132_121
; %bb.106:
	s_cmp_lt_i32 s5, 2
	s_mov_b32 s6, -1
	s_cbranch_scc1 .LBB132_116
; %bb.107:
	s_cmp_lt_i32 s5, 3
	s_cbranch_scc1 .LBB132_113
; %bb.108:
	s_cmp_gt_i32 s5, 3
	s_cbranch_scc0 .LBB132_110
; %bb.109:
	v_trunc_f64_e32 v[2:3], v[0:1]
	s_mov_b32 s6, 0
	v_ldexp_f64 v[6:7], v[2:3], 0xffffffe0
	v_floor_f64_e32 v[6:7], v[6:7]
	v_fma_f64 v[2:3], 0xc1f00000, v[6:7], v[2:3]
	v_cvt_i32_f64_e32 v7, v[6:7]
	v_cvt_u32_f64_e32 v6, v[2:3]
	global_store_dwordx2 v[4:5], v[6:7], off
.LBB132_110:
	s_andn2_b32 vcc_lo, exec_lo, s6
	s_cbranch_vccnz .LBB132_112
; %bb.111:
	v_cvt_i32_f64_e32 v2, v[0:1]
	global_store_dword v[4:5], v2, off
.LBB132_112:
	s_mov_b32 s6, 0
.LBB132_113:
	s_andn2_b32 vcc_lo, exec_lo, s6
	s_cbranch_vccnz .LBB132_115
; %bb.114:
	v_cvt_i32_f64_e32 v2, v[0:1]
	global_store_short v[4:5], v2, off
.LBB132_115:
	s_mov_b32 s6, 0
.LBB132_116:
	s_andn2_b32 vcc_lo, exec_lo, s6
	s_cbranch_vccnz .LBB132_121
; %bb.117:
	s_cmp_gt_i32 s5, 0
	s_mov_b32 s5, -1
	s_cbranch_scc0 .LBB132_119
; %bb.118:
	v_cvt_i32_f64_e32 v2, v[0:1]
	s_mov_b32 s5, 0
	global_store_byte v[4:5], v2, off
.LBB132_119:
	s_andn2_b32 vcc_lo, exec_lo, s5
	s_cbranch_vccnz .LBB132_121
; %bb.120:
	v_trunc_f64_e32 v[0:1], v[0:1]
	v_ldexp_f64 v[2:3], v[0:1], 0xffffffe0
	v_floor_f64_e32 v[2:3], v[2:3]
	v_fma_f64 v[0:1], 0xc1f00000, v[2:3], v[0:1]
	v_cvt_u32_f64_e32 v0, v[0:1]
	global_store_byte v[4:5], v0, off
.LBB132_121:
	s_branch .LBB132_11
.LBB132_122:
	s_mov_b32 s5, 0
                                        ; implicit-def: $vgpr42
.LBB132_123:
	s_and_b32 s27, s4, exec_lo
	s_orn2_b32 s4, s5, exec_lo
.LBB132_124:
	s_or_b32 exec_lo, exec_lo, s29
	s_mov_b32 s6, 0
                                        ; implicit-def: $sgpr5
                                        ; implicit-def: $vgpr4_vgpr5
                                        ; implicit-def: $vgpr0_vgpr1
	s_and_saveexec_b32 s29, s4
	s_cbranch_execz .LBB132_133
; %bb.125:
	s_mov_b32 s7, -1
	s_mov_b32 s33, s27
	s_mov_b32 s34, exec_lo
	v_cmpx_gt_i32_e64 s28, v42
	s_cbranch_execz .LBB132_256
; %bb.126:
	v_mov_b32_e32 v0, s22
	v_mov_b32_e32 v1, s23
	v_mov_b32_e32 v2, s19
	v_mov_b32_e32 v3, v43
	v_mov_b32_e32 v4, v42
	s_getpc_b64 s[4:5]
	s_add_u32 s4, s4, _ZN2at6native6invokeIZZZNS0_18lgamma_kernel_cudaERNS_18TensorIteratorBaseEENKUlvE_clEvENKUlvE_clEvEUldE_i15function_traitsIS6_EEENT1_11result_typeERKT_PrKPcPKT0_PKN3c1010ScalarTypeEi@rel32@lo+4
	s_addc_u32 s5, s5, _ZN2at6native6invokeIZZZNS0_18lgamma_kernel_cudaERNS_18TensorIteratorBaseEENKUlvE_clEvENKUlvE_clEvEUldE_i15function_traitsIS6_EEENT1_11result_typeERKT_PrKPcPKT0_PKN3c1010ScalarTypeEi@rel32@hi+12
	s_swappc_b64 s[30:31], s[4:5]
	v_mul_lo_u32 v2, v42, s18
	s_and_b32 s5, s24, 0xff
	s_cmp_lt_i32 s5, 11
	v_ashrrev_i32_e32 v3, 31, v2
	v_add_co_u32 v4, vcc_lo, s20, v2
	v_add_co_ci_u32_e64 v5, null, s21, v3, vcc_lo
	s_cbranch_scc1 .LBB132_136
; %bb.127:
	s_and_b32 s6, 0xffff, s5
	s_cmp_gt_i32 s6, 25
	s_cbranch_scc0 .LBB132_139
; %bb.128:
	s_cmp_gt_i32 s6, 28
	s_cbranch_scc0 .LBB132_140
; %bb.129:
	;; [unrolled: 3-line block ×4, first 2 shown]
	s_mov_b32 s8, 0
	s_mov_b32 s4, -1
	s_cmp_eq_u32 s6, 46
	s_mov_b32 s7, 0
	s_cbranch_scc0 .LBB132_147
; %bb.132:
	v_cvt_f32_f64_e32 v2, v[0:1]
	s_mov_b32 s7, -1
	s_mov_b32 s4, 0
	v_bfe_u32 v3, v2, 16, 1
	v_cmp_o_f32_e32 vcc_lo, v2, v2
	v_add3_u32 v2, v2, v3, 0x7fff
	v_mov_b32_e32 v3, 0x7fc0
	v_cndmask_b32_sdwa v2, v3, v2, vcc_lo dst_sel:DWORD dst_unused:UNUSED_PAD src0_sel:DWORD src1_sel:WORD_1
	global_store_dword v[4:5], v2, off
	s_branch .LBB132_147
.LBB132_133:
	s_or_b32 exec_lo, exec_lo, s29
	s_mov_b32 s4, 0
	s_and_saveexec_b32 s7, s27
	s_cbranch_execnz .LBB132_472
.LBB132_134:
	s_or_b32 exec_lo, exec_lo, s7
	s_and_saveexec_b32 s7, s33
	s_xor_b32 s7, exec_lo, s7
	s_cbranch_execz .LBB132_473
.LBB132_135:
	v_cmp_neq_f64_e32 vcc_lo, 0, v[0:1]
	v_cndmask_b32_e64 v2, 0, 1, vcc_lo
	global_store_byte v[4:5], v2, off
	s_or_b32 exec_lo, exec_lo, s7
	s_and_saveexec_b32 s7, s6
	s_xor_b32 s6, exec_lo, s7
	s_cbranch_execz .LBB132_511
	s_branch .LBB132_474
.LBB132_136:
	s_mov_b32 s7, 0
	s_mov_b32 s4, s27
	s_cbranch_execnz .LBB132_216
.LBB132_137:
	s_andn2_b32 vcc_lo, exec_lo, s7
	s_cbranch_vccnz .LBB132_254
.LBB132_138:
	v_add_nc_u32_e32 v42, 0x80, v42
	s_mov_b32 s5, -1
	s_branch .LBB132_255
.LBB132_139:
	s_mov_b32 s8, -1
	s_mov_b32 s7, 0
	s_mov_b32 s4, s27
	s_branch .LBB132_174
.LBB132_140:
	s_mov_b32 s8, -1
	s_mov_b32 s7, 0
	s_mov_b32 s4, s27
	s_branch .LBB132_157
.LBB132_141:
	s_andn2_saveexec_b32 s9, s9
	s_cbranch_execz .LBB132_37
.LBB132_142:
	v_add_f32_e64 v3, 0x46000000, |v2|
	s_andn2_b32 s8, s8, exec_lo
	v_and_b32_e32 v3, 0xff, v3
	v_cmp_ne_u32_e32 vcc_lo, 0, v3
	s_and_b32 s10, vcc_lo, exec_lo
	s_or_b32 s8, s8, s10
	s_or_b32 exec_lo, exec_lo, s9
	v_mov_b32_e32 v6, 0
	s_and_saveexec_b32 s9, s8
	s_cbranch_execnz .LBB132_38
	s_branch .LBB132_39
.LBB132_143:
	s_mov_b32 s8, -1
	s_mov_b32 s7, 0
	s_mov_b32 s4, s27
	s_branch .LBB132_153
.LBB132_144:
	s_andn2_saveexec_b32 s9, s9
	s_cbranch_execz .LBB132_49
.LBB132_145:
	v_add_f32_e64 v3, 0x42800000, |v2|
	s_andn2_b32 s8, s8, exec_lo
	v_and_b32_e32 v3, 0xff, v3
	v_cmp_ne_u32_e32 vcc_lo, 0, v3
	s_and_b32 s10, vcc_lo, exec_lo
	s_or_b32 s8, s8, s10
	s_or_b32 exec_lo, exec_lo, s9
	v_mov_b32_e32 v6, 0
	s_and_saveexec_b32 s9, s8
	s_cbranch_execnz .LBB132_50
	s_branch .LBB132_51
.LBB132_146:
	s_mov_b32 s8, -1
	s_mov_b32 s7, 0
	s_mov_b32 s4, s27
.LBB132_147:
	s_and_b32 vcc_lo, exec_lo, s8
	s_cbranch_vccz .LBB132_152
; %bb.148:
	s_cmp_eq_u32 s6, 44
	s_mov_b32 s4, -1
	s_cbranch_scc0 .LBB132_152
; %bb.149:
	v_cvt_f32_f64_e32 v2, v[0:1]
	v_mov_b32_e32 v3, 0xff
	s_mov_b32 s7, exec_lo
	v_bfe_u32 v6, v2, 23, 8
	v_cmpx_ne_u32_e32 0xff, v6
	s_cbranch_execz .LBB132_151
; %bb.150:
	v_and_b32_e32 v3, 0x400000, v2
	v_and_or_b32 v6, 0x3fffff, v2, v6
	v_lshrrev_b32_e32 v2, 23, v2
	v_cmp_ne_u32_e32 vcc_lo, 0, v3
	v_cmp_ne_u32_e64 s4, 0, v6
	s_and_b32 s4, vcc_lo, s4
	v_cndmask_b32_e64 v3, 0, 1, s4
	v_add_nc_u32_e32 v3, v2, v3
.LBB132_151:
	s_or_b32 exec_lo, exec_lo, s7
	s_mov_b32 s7, -1
	s_mov_b32 s4, 0
	global_store_byte v[4:5], v3, off
.LBB132_152:
	s_mov_b32 s8, 0
.LBB132_153:
	s_and_b32 vcc_lo, exec_lo, s8
	s_cbranch_vccz .LBB132_156
; %bb.154:
	s_cmp_eq_u32 s6, 29
	s_mov_b32 s4, -1
	s_cbranch_scc0 .LBB132_156
; %bb.155:
	v_trunc_f64_e32 v[2:3], v[0:1]
	s_mov_b32 s7, -1
	s_mov_b32 s4, 0
	s_mov_b32 s8, 0
	v_ldexp_f64 v[6:7], v[2:3], 0xffffffe0
	v_floor_f64_e32 v[6:7], v[6:7]
	v_fma_f64 v[2:3], 0xc1f00000, v[6:7], v[2:3]
	v_cvt_u32_f64_e32 v7, v[6:7]
	v_cvt_u32_f64_e32 v6, v[2:3]
	global_store_dwordx2 v[4:5], v[6:7], off
	s_branch .LBB132_157
.LBB132_156:
	s_mov_b32 s8, 0
.LBB132_157:
	s_and_b32 vcc_lo, exec_lo, s8
	s_cbranch_vccz .LBB132_173
; %bb.158:
	s_cmp_lt_i32 s6, 27
	s_mov_b32 s7, -1
	s_cbranch_scc1 .LBB132_164
; %bb.159:
	v_cvt_u32_f64_e32 v2, v[0:1]
	s_cmp_gt_i32 s6, 27
	s_cbranch_scc0 .LBB132_161
; %bb.160:
	s_mov_b32 s7, 0
	global_store_dword v[4:5], v2, off
.LBB132_161:
	s_andn2_b32 vcc_lo, exec_lo, s7
	s_cbranch_vccnz .LBB132_163
; %bb.162:
	global_store_short v[4:5], v2, off
.LBB132_163:
	s_mov_b32 s7, 0
.LBB132_164:
	s_andn2_b32 vcc_lo, exec_lo, s7
	s_cbranch_vccnz .LBB132_172
; %bb.165:
	v_cvt_f32_f64_e32 v2, v[0:1]
	v_mov_b32_e32 v6, 0x80
	s_mov_b32 s7, exec_lo
	v_and_b32_e32 v3, 0x7fffffff, v2
	v_cmpx_gt_u32_e32 0x43800000, v3
	s_cbranch_execz .LBB132_171
; %bb.166:
	v_cmp_lt_u32_e32 vcc_lo, 0x3bffffff, v3
	s_mov_b32 s8, 0
                                        ; implicit-def: $vgpr3
	s_and_saveexec_b32 s9, vcc_lo
	s_xor_b32 s9, exec_lo, s9
	s_cbranch_execz .LBB132_268
; %bb.167:
	v_bfe_u32 v3, v2, 20, 1
	s_mov_b32 s8, exec_lo
	v_add3_u32 v3, v2, v3, 0x487ffff
	v_lshrrev_b32_e32 v3, 20, v3
	s_andn2_saveexec_b32 s9, s9
	s_cbranch_execnz .LBB132_269
.LBB132_168:
	s_or_b32 exec_lo, exec_lo, s9
	v_mov_b32_e32 v6, 0
	s_and_saveexec_b32 s9, s8
.LBB132_169:
	v_lshrrev_b32_e32 v2, 24, v2
	v_and_or_b32 v6, 0x80, v2, v3
.LBB132_170:
	s_or_b32 exec_lo, exec_lo, s9
.LBB132_171:
	s_or_b32 exec_lo, exec_lo, s7
	global_store_byte v[4:5], v6, off
.LBB132_172:
	s_mov_b32 s7, -1
.LBB132_173:
	s_mov_b32 s8, 0
.LBB132_174:
	s_and_b32 vcc_lo, exec_lo, s8
	s_cbranch_vccz .LBB132_215
; %bb.175:
	s_cmp_gt_i32 s6, 22
	s_mov_b32 s8, -1
	s_cbranch_scc0 .LBB132_207
; %bb.176:
	s_cmp_lt_i32 s6, 24
	s_mov_b32 s7, -1
	s_cbranch_scc1 .LBB132_196
; %bb.177:
	s_cmp_gt_i32 s6, 24
	s_cbranch_scc0 .LBB132_185
; %bb.178:
	v_cvt_f32_f64_e32 v2, v[0:1]
	v_mov_b32_e32 v6, 0x80
	s_mov_b32 s7, exec_lo
	v_and_b32_e32 v3, 0x7fffffff, v2
	v_cmpx_gt_u32_e32 0x47800000, v3
	s_cbranch_execz .LBB132_184
; %bb.179:
	v_cmp_lt_u32_e32 vcc_lo, 0x37ffffff, v3
	s_mov_b32 s8, 0
                                        ; implicit-def: $vgpr3
	s_and_saveexec_b32 s9, vcc_lo
	s_xor_b32 s9, exec_lo, s9
	s_cbranch_execz .LBB132_271
; %bb.180:
	v_bfe_u32 v3, v2, 21, 1
	s_mov_b32 s8, exec_lo
	v_add3_u32 v3, v2, v3, 0x88fffff
	v_lshrrev_b32_e32 v3, 21, v3
	s_andn2_saveexec_b32 s9, s9
	s_cbranch_execnz .LBB132_272
.LBB132_181:
	s_or_b32 exec_lo, exec_lo, s9
	v_mov_b32_e32 v6, 0
	s_and_saveexec_b32 s9, s8
.LBB132_182:
	v_lshrrev_b32_e32 v2, 24, v2
	v_and_or_b32 v6, 0x80, v2, v3
.LBB132_183:
	s_or_b32 exec_lo, exec_lo, s9
.LBB132_184:
	s_or_b32 exec_lo, exec_lo, s7
	s_mov_b32 s7, 0
	global_store_byte v[4:5], v6, off
.LBB132_185:
	s_and_b32 vcc_lo, exec_lo, s7
	s_cbranch_vccz .LBB132_195
; %bb.186:
	v_cvt_f32_f64_e32 v2, v[0:1]
	s_mov_b32 s7, exec_lo
                                        ; implicit-def: $vgpr3
	v_and_b32_e32 v6, 0x7fffffff, v2
	v_cmpx_gt_u32_e32 0x43f00000, v6
	s_xor_b32 s7, exec_lo, s7
	s_cbranch_execz .LBB132_192
; %bb.187:
	s_mov_b32 s8, exec_lo
                                        ; implicit-def: $vgpr3
	v_cmpx_lt_u32_e32 0x3c7fffff, v6
	s_xor_b32 s8, exec_lo, s8
; %bb.188:
	v_bfe_u32 v3, v2, 20, 1
	v_add3_u32 v3, v2, v3, 0x407ffff
	v_and_b32_e32 v6, 0xff00000, v3
	v_lshrrev_b32_e32 v3, 20, v3
	v_cmp_ne_u32_e32 vcc_lo, 0x7f00000, v6
	v_cndmask_b32_e32 v3, 0x7e, v3, vcc_lo
; %bb.189:
	s_andn2_saveexec_b32 s8, s8
; %bb.190:
	v_add_f32_e64 v3, 0x46800000, |v2|
; %bb.191:
	s_or_b32 exec_lo, exec_lo, s8
                                        ; implicit-def: $vgpr6
.LBB132_192:
	s_andn2_saveexec_b32 s7, s7
; %bb.193:
	v_mov_b32_e32 v3, 0x7f
	v_cmp_lt_u32_e32 vcc_lo, 0x7f800000, v6
	v_cndmask_b32_e32 v3, 0x7e, v3, vcc_lo
; %bb.194:
	s_or_b32 exec_lo, exec_lo, s7
	v_lshrrev_b32_e32 v2, 24, v2
	v_and_or_b32 v2, 0x80, v2, v3
	global_store_byte v[4:5], v2, off
.LBB132_195:
	s_mov_b32 s7, 0
.LBB132_196:
	s_andn2_b32 vcc_lo, exec_lo, s7
	s_cbranch_vccnz .LBB132_206
; %bb.197:
	v_cvt_f32_f64_e32 v2, v[0:1]
	s_mov_b32 s7, exec_lo
                                        ; implicit-def: $vgpr3
	v_and_b32_e32 v6, 0x7fffffff, v2
	v_cmpx_gt_u32_e32 0x47800000, v6
	s_xor_b32 s7, exec_lo, s7
	s_cbranch_execz .LBB132_203
; %bb.198:
	s_mov_b32 s8, exec_lo
                                        ; implicit-def: $vgpr3
	v_cmpx_lt_u32_e32 0x387fffff, v6
	s_xor_b32 s8, exec_lo, s8
; %bb.199:
	v_bfe_u32 v3, v2, 21, 1
	v_add3_u32 v3, v2, v3, 0x80fffff
	v_lshrrev_b32_e32 v3, 21, v3
; %bb.200:
	s_andn2_saveexec_b32 s8, s8
; %bb.201:
	v_add_f32_e64 v3, 0x43000000, |v2|
; %bb.202:
	s_or_b32 exec_lo, exec_lo, s8
                                        ; implicit-def: $vgpr6
.LBB132_203:
	s_andn2_saveexec_b32 s7, s7
; %bb.204:
	v_mov_b32_e32 v3, 0x7f
	v_cmp_lt_u32_e32 vcc_lo, 0x7f800000, v6
	v_cndmask_b32_e32 v3, 0x7c, v3, vcc_lo
; %bb.205:
	s_or_b32 exec_lo, exec_lo, s7
	v_lshrrev_b32_e32 v2, 24, v2
	v_and_or_b32 v2, 0x80, v2, v3
	global_store_byte v[4:5], v2, off
.LBB132_206:
	s_mov_b32 s8, 0
	s_mov_b32 s7, -1
.LBB132_207:
	s_andn2_b32 vcc_lo, exec_lo, s8
	s_cbranch_vccnz .LBB132_215
; %bb.208:
	s_cmp_gt_i32 s6, 14
	s_mov_b32 s8, -1
	s_cbranch_scc0 .LBB132_212
; %bb.209:
	s_cmp_eq_u32 s6, 15
	s_mov_b32 s4, -1
	s_cbranch_scc0 .LBB132_211
; %bb.210:
	v_cvt_f32_f64_e32 v2, v[0:1]
	s_mov_b32 s7, -1
	s_mov_b32 s4, 0
	v_bfe_u32 v3, v2, 16, 1
	v_cmp_o_f32_e32 vcc_lo, v2, v2
	v_add3_u32 v2, v2, v3, 0x7fff
	v_mov_b32_e32 v3, 0x7fc0
	v_cndmask_b32_sdwa v2, v3, v2, vcc_lo dst_sel:DWORD dst_unused:UNUSED_PAD src0_sel:DWORD src1_sel:WORD_1
	global_store_short v[4:5], v2, off
.LBB132_211:
	s_mov_b32 s8, 0
.LBB132_212:
	s_and_b32 vcc_lo, exec_lo, s8
	s_cbranch_vccz .LBB132_215
; %bb.213:
	s_cmp_eq_u32 s6, 11
	s_mov_b32 s4, -1
	s_cbranch_scc0 .LBB132_215
; %bb.214:
	v_cmp_neq_f64_e32 vcc_lo, 0, v[0:1]
	s_mov_b32 s7, -1
	s_mov_b32 s4, 0
	v_cndmask_b32_e64 v2, 0, 1, vcc_lo
	global_store_byte v[4:5], v2, off
.LBB132_215:
	s_branch .LBB132_137
.LBB132_216:
	s_and_b32 s5, 0xffff, s5
	s_mov_b32 s6, -1
	s_cmp_lt_i32 s5, 5
	s_cbranch_scc1 .LBB132_237
; %bb.217:
	s_cmp_lt_i32 s5, 8
	s_cbranch_scc1 .LBB132_227
; %bb.218:
	;; [unrolled: 3-line block ×3, first 2 shown]
	s_cmp_gt_i32 s5, 9
	s_cbranch_scc0 .LBB132_221
; %bb.220:
	v_mov_b32_e32 v2, 0
	s_mov_b32 s6, 0
	v_mov_b32_e32 v3, v2
	global_store_dwordx4 v[4:5], v[0:3], off
.LBB132_221:
	s_andn2_b32 vcc_lo, exec_lo, s6
	s_cbranch_vccnz .LBB132_223
; %bb.222:
	v_cvt_f32_f64_e32 v2, v[0:1]
	v_mov_b32_e32 v3, 0
	global_store_dwordx2 v[4:5], v[2:3], off
.LBB132_223:
	s_mov_b32 s6, 0
.LBB132_224:
	s_andn2_b32 vcc_lo, exec_lo, s6
	s_cbranch_vccnz .LBB132_226
; %bb.225:
	v_and_or_b32 v2, 0x1ff, v1, v0
	v_lshrrev_b32_e32 v3, 8, v1
	v_bfe_u32 v6, v1, 20, 11
	v_cmp_ne_u32_e32 vcc_lo, 0, v2
	v_sub_nc_u32_e32 v7, 0x3f1, v6
	v_add_nc_u32_e32 v6, 0xfffffc10, v6
	v_cndmask_b32_e64 v2, 0, 1, vcc_lo
	v_and_or_b32 v2, 0xffe, v3, v2
	v_med3_i32 v3, v7, 0, 13
	v_or_b32_e32 v7, 0x1000, v2
	v_lshrrev_b32_e32 v8, v3, v7
	v_lshlrev_b32_e32 v3, v3, v8
	v_cmp_ne_u32_e32 vcc_lo, v3, v7
	v_lshl_or_b32 v7, v6, 12, v2
	v_cndmask_b32_e64 v3, 0, 1, vcc_lo
	v_cmp_gt_i32_e32 vcc_lo, 1, v6
	v_or_b32_e32 v3, v8, v3
	v_cndmask_b32_e32 v3, v7, v3, vcc_lo
	v_and_b32_e32 v7, 7, v3
	v_lshrrev_b32_e32 v3, 2, v3
	v_cmp_lt_i32_e32 vcc_lo, 5, v7
	v_cndmask_b32_e64 v8, 0, 1, vcc_lo
	v_cmp_eq_u32_e32 vcc_lo, 3, v7
	v_cndmask_b32_e64 v7, 0, 1, vcc_lo
	v_cmp_ne_u32_e32 vcc_lo, 0, v2
	v_or_b32_e32 v7, v7, v8
	v_mov_b32_e32 v8, 0x7e00
	v_add_nc_u32_e32 v3, v3, v7
	v_cndmask_b32_e32 v2, 0x7c00, v8, vcc_lo
	v_cmp_gt_i32_e32 vcc_lo, 31, v6
	v_cndmask_b32_e32 v3, 0x7c00, v3, vcc_lo
	v_cmp_eq_u32_e32 vcc_lo, 0x40f, v6
	v_cndmask_b32_e32 v2, v3, v2, vcc_lo
	v_lshrrev_b32_e32 v3, 16, v1
	v_and_or_b32 v2, 0x8000, v3, v2
	v_and_b32_e32 v2, 0xffff, v2
	global_store_dword v[4:5], v2, off
.LBB132_226:
	s_mov_b32 s6, 0
.LBB132_227:
	s_andn2_b32 vcc_lo, exec_lo, s6
	s_cbranch_vccnz .LBB132_236
; %bb.228:
	s_cmp_lt_i32 s5, 6
	s_mov_b32 s6, -1
	s_cbranch_scc1 .LBB132_234
; %bb.229:
	s_cmp_gt_i32 s5, 6
	s_cbranch_scc0 .LBB132_231
; %bb.230:
	s_mov_b32 s6, 0
	global_store_dwordx2 v[4:5], v[0:1], off
.LBB132_231:
	s_andn2_b32 vcc_lo, exec_lo, s6
	s_cbranch_vccnz .LBB132_233
; %bb.232:
	v_cvt_f32_f64_e32 v2, v[0:1]
	global_store_dword v[4:5], v2, off
.LBB132_233:
	s_mov_b32 s6, 0
.LBB132_234:
	s_andn2_b32 vcc_lo, exec_lo, s6
	s_cbranch_vccnz .LBB132_236
; %bb.235:
	v_and_or_b32 v2, 0x1ff, v1, v0
	v_lshrrev_b32_e32 v3, 8, v1
	v_bfe_u32 v6, v1, 20, 11
	v_cmp_ne_u32_e32 vcc_lo, 0, v2
	v_sub_nc_u32_e32 v7, 0x3f1, v6
	v_add_nc_u32_e32 v6, 0xfffffc10, v6
	v_cndmask_b32_e64 v2, 0, 1, vcc_lo
	v_and_or_b32 v2, 0xffe, v3, v2
	v_med3_i32 v3, v7, 0, 13
	v_or_b32_e32 v7, 0x1000, v2
	v_lshrrev_b32_e32 v8, v3, v7
	v_lshlrev_b32_e32 v3, v3, v8
	v_cmp_ne_u32_e32 vcc_lo, v3, v7
	v_lshl_or_b32 v7, v6, 12, v2
	v_cndmask_b32_e64 v3, 0, 1, vcc_lo
	v_cmp_gt_i32_e32 vcc_lo, 1, v6
	v_or_b32_e32 v3, v8, v3
	v_cndmask_b32_e32 v3, v7, v3, vcc_lo
	v_and_b32_e32 v7, 7, v3
	v_lshrrev_b32_e32 v3, 2, v3
	v_cmp_lt_i32_e32 vcc_lo, 5, v7
	v_cndmask_b32_e64 v8, 0, 1, vcc_lo
	v_cmp_eq_u32_e32 vcc_lo, 3, v7
	v_cndmask_b32_e64 v7, 0, 1, vcc_lo
	v_cmp_ne_u32_e32 vcc_lo, 0, v2
	v_or_b32_e32 v7, v7, v8
	v_mov_b32_e32 v8, 0x7e00
	v_add_nc_u32_e32 v3, v3, v7
	v_cndmask_b32_e32 v2, 0x7c00, v8, vcc_lo
	v_cmp_gt_i32_e32 vcc_lo, 31, v6
	v_cndmask_b32_e32 v3, 0x7c00, v3, vcc_lo
	v_cmp_eq_u32_e32 vcc_lo, 0x40f, v6
	v_cndmask_b32_e32 v2, v3, v2, vcc_lo
	v_lshrrev_b32_e32 v3, 16, v1
	v_and_or_b32 v2, 0x8000, v3, v2
	global_store_short v[4:5], v2, off
.LBB132_236:
	s_mov_b32 s6, 0
.LBB132_237:
	s_andn2_b32 vcc_lo, exec_lo, s6
	s_cbranch_vccnz .LBB132_253
; %bb.238:
	s_cmp_lt_i32 s5, 2
	s_mov_b32 s6, -1
	s_cbranch_scc1 .LBB132_248
; %bb.239:
	s_cmp_lt_i32 s5, 3
	s_cbranch_scc1 .LBB132_245
; %bb.240:
	s_cmp_gt_i32 s5, 3
	s_cbranch_scc0 .LBB132_242
; %bb.241:
	v_trunc_f64_e32 v[2:3], v[0:1]
	s_mov_b32 s6, 0
	v_ldexp_f64 v[6:7], v[2:3], 0xffffffe0
	v_floor_f64_e32 v[6:7], v[6:7]
	v_fma_f64 v[2:3], 0xc1f00000, v[6:7], v[2:3]
	v_cvt_i32_f64_e32 v7, v[6:7]
	v_cvt_u32_f64_e32 v6, v[2:3]
	global_store_dwordx2 v[4:5], v[6:7], off
.LBB132_242:
	s_andn2_b32 vcc_lo, exec_lo, s6
	s_cbranch_vccnz .LBB132_244
; %bb.243:
	v_cvt_i32_f64_e32 v2, v[0:1]
	global_store_dword v[4:5], v2, off
.LBB132_244:
	s_mov_b32 s6, 0
.LBB132_245:
	s_andn2_b32 vcc_lo, exec_lo, s6
	s_cbranch_vccnz .LBB132_247
; %bb.246:
	v_cvt_i32_f64_e32 v2, v[0:1]
	global_store_short v[4:5], v2, off
.LBB132_247:
	s_mov_b32 s6, 0
.LBB132_248:
	s_andn2_b32 vcc_lo, exec_lo, s6
	s_cbranch_vccnz .LBB132_253
; %bb.249:
	s_cmp_gt_i32 s5, 0
	s_mov_b32 s5, -1
	s_cbranch_scc0 .LBB132_251
; %bb.250:
	v_cvt_i32_f64_e32 v2, v[0:1]
	s_mov_b32 s5, 0
	global_store_byte v[4:5], v2, off
.LBB132_251:
	s_andn2_b32 vcc_lo, exec_lo, s5
	s_cbranch_vccnz .LBB132_253
; %bb.252:
	v_trunc_f64_e32 v[0:1], v[0:1]
	v_ldexp_f64 v[2:3], v[0:1], 0xffffffe0
	v_floor_f64_e32 v[2:3], v[2:3]
	v_fma_f64 v[0:1], 0xc1f00000, v[2:3], v[0:1]
	v_cvt_u32_f64_e32 v0, v[0:1]
	global_store_byte v[4:5], v0, off
.LBB132_253:
	s_branch .LBB132_138
.LBB132_254:
	s_mov_b32 s5, 0
                                        ; implicit-def: $vgpr42
.LBB132_255:
	s_andn2_b32 s6, s27, exec_lo
	s_and_b32 s4, s4, exec_lo
	s_orn2_b32 s7, s5, exec_lo
	s_or_b32 s33, s6, s4
.LBB132_256:
	s_or_b32 exec_lo, exec_lo, s34
	s_mov_b32 s4, 0
	s_mov_b32 s6, 0
                                        ; implicit-def: $sgpr5
                                        ; implicit-def: $vgpr4_vgpr5
                                        ; implicit-def: $vgpr0_vgpr1
	s_and_saveexec_b32 s34, s7
	s_cbranch_execz .LBB132_471
; %bb.257:
	s_mov_b32 s7, -1
	s_mov_b32 s36, s33
	s_mov_b32 s35, exec_lo
	v_cmpx_gt_i32_e64 s28, v42
	s_cbranch_execz .LBB132_386
; %bb.258:
	v_mov_b32_e32 v0, s22
	v_mov_b32_e32 v1, s23
	;; [unrolled: 1-line block ×5, first 2 shown]
	s_getpc_b64 s[4:5]
	s_add_u32 s4, s4, _ZN2at6native6invokeIZZZNS0_18lgamma_kernel_cudaERNS_18TensorIteratorBaseEENKUlvE_clEvENKUlvE_clEvEUldE_i15function_traitsIS6_EEENT1_11result_typeERKT_PrKPcPKT0_PKN3c1010ScalarTypeEi@rel32@lo+4
	s_addc_u32 s5, s5, _ZN2at6native6invokeIZZZNS0_18lgamma_kernel_cudaERNS_18TensorIteratorBaseEENKUlvE_clEvENKUlvE_clEvEUldE_i15function_traitsIS6_EEENT1_11result_typeERKT_PrKPcPKT0_PKN3c1010ScalarTypeEi@rel32@hi+12
	s_swappc_b64 s[30:31], s[4:5]
	v_mul_lo_u32 v2, v42, s18
	s_and_b32 s5, s24, 0xff
	s_cmp_lt_i32 s5, 11
	v_ashrrev_i32_e32 v3, 31, v2
	v_add_co_u32 v4, vcc_lo, s20, v2
	v_add_co_ci_u32_e64 v5, null, s21, v3, vcc_lo
	s_cbranch_scc1 .LBB132_265
; %bb.259:
	s_and_b32 s6, 0xffff, s5
	s_cmp_gt_i32 s6, 25
	s_cbranch_scc0 .LBB132_266
; %bb.260:
	s_cmp_gt_i32 s6, 28
	s_cbranch_scc0 .LBB132_267
; %bb.261:
	;; [unrolled: 3-line block ×4, first 2 shown]
	s_mov_b32 s8, 0
	s_mov_b32 s4, -1
	s_cmp_eq_u32 s6, 46
	s_mov_b32 s7, 0
	s_cbranch_scc0 .LBB132_274
; %bb.264:
	v_cvt_f32_f64_e32 v2, v[0:1]
	s_mov_b32 s7, -1
	s_mov_b32 s4, 0
	v_bfe_u32 v3, v2, 16, 1
	v_cmp_o_f32_e32 vcc_lo, v2, v2
	v_add3_u32 v2, v2, v3, 0x7fff
	v_mov_b32_e32 v3, 0x7fc0
	v_cndmask_b32_sdwa v2, v3, v2, vcc_lo dst_sel:DWORD dst_unused:UNUSED_PAD src0_sel:DWORD src1_sel:WORD_1
	global_store_dword v[4:5], v2, off
	s_branch .LBB132_274
.LBB132_265:
	s_mov_b32 s6, -1
	s_mov_b32 s7, 0
	s_mov_b32 s4, s33
	s_branch .LBB132_343
.LBB132_266:
	s_mov_b32 s8, -1
	s_mov_b32 s7, 0
	s_mov_b32 s4, s33
	s_branch .LBB132_301
.LBB132_267:
	s_mov_b32 s8, -1
	s_mov_b32 s7, 0
	s_mov_b32 s4, s33
	s_branch .LBB132_284
.LBB132_268:
	s_andn2_saveexec_b32 s9, s9
	s_cbranch_execz .LBB132_168
.LBB132_269:
	v_add_f32_e64 v3, 0x46000000, |v2|
	s_andn2_b32 s8, s8, exec_lo
	v_and_b32_e32 v3, 0xff, v3
	v_cmp_ne_u32_e32 vcc_lo, 0, v3
	s_and_b32 s10, vcc_lo, exec_lo
	s_or_b32 s8, s8, s10
	s_or_b32 exec_lo, exec_lo, s9
	v_mov_b32_e32 v6, 0
	s_and_saveexec_b32 s9, s8
	s_cbranch_execnz .LBB132_169
	s_branch .LBB132_170
.LBB132_270:
	s_mov_b32 s8, -1
	s_mov_b32 s7, 0
	s_mov_b32 s4, s33
	s_branch .LBB132_280
.LBB132_271:
	s_andn2_saveexec_b32 s9, s9
	s_cbranch_execz .LBB132_181
.LBB132_272:
	v_add_f32_e64 v3, 0x42800000, |v2|
	s_andn2_b32 s8, s8, exec_lo
	v_and_b32_e32 v3, 0xff, v3
	v_cmp_ne_u32_e32 vcc_lo, 0, v3
	s_and_b32 s10, vcc_lo, exec_lo
	s_or_b32 s8, s8, s10
	s_or_b32 exec_lo, exec_lo, s9
	v_mov_b32_e32 v6, 0
	s_and_saveexec_b32 s9, s8
	s_cbranch_execnz .LBB132_182
	s_branch .LBB132_183
.LBB132_273:
	s_mov_b32 s8, -1
	s_mov_b32 s7, 0
	s_mov_b32 s4, s33
.LBB132_274:
	s_and_b32 vcc_lo, exec_lo, s8
	s_cbranch_vccz .LBB132_279
; %bb.275:
	s_cmp_eq_u32 s6, 44
	s_mov_b32 s4, -1
	s_cbranch_scc0 .LBB132_279
; %bb.276:
	v_cvt_f32_f64_e32 v2, v[0:1]
	v_mov_b32_e32 v3, 0xff
	s_mov_b32 s7, exec_lo
	v_bfe_u32 v6, v2, 23, 8
	v_cmpx_ne_u32_e32 0xff, v6
	s_cbranch_execz .LBB132_278
; %bb.277:
	v_and_b32_e32 v3, 0x400000, v2
	v_and_or_b32 v6, 0x3fffff, v2, v6
	v_lshrrev_b32_e32 v2, 23, v2
	v_cmp_ne_u32_e32 vcc_lo, 0, v3
	v_cmp_ne_u32_e64 s4, 0, v6
	s_and_b32 s4, vcc_lo, s4
	v_cndmask_b32_e64 v3, 0, 1, s4
	v_add_nc_u32_e32 v3, v2, v3
.LBB132_278:
	s_or_b32 exec_lo, exec_lo, s7
	s_mov_b32 s7, -1
	s_mov_b32 s4, 0
	global_store_byte v[4:5], v3, off
.LBB132_279:
	s_mov_b32 s8, 0
.LBB132_280:
	s_and_b32 vcc_lo, exec_lo, s8
	s_cbranch_vccz .LBB132_283
; %bb.281:
	s_cmp_eq_u32 s6, 29
	s_mov_b32 s4, -1
	s_cbranch_scc0 .LBB132_283
; %bb.282:
	v_trunc_f64_e32 v[2:3], v[0:1]
	s_mov_b32 s7, -1
	s_mov_b32 s4, 0
	s_mov_b32 s8, 0
	v_ldexp_f64 v[6:7], v[2:3], 0xffffffe0
	v_floor_f64_e32 v[6:7], v[6:7]
	v_fma_f64 v[2:3], 0xc1f00000, v[6:7], v[2:3]
	v_cvt_u32_f64_e32 v7, v[6:7]
	v_cvt_u32_f64_e32 v6, v[2:3]
	global_store_dwordx2 v[4:5], v[6:7], off
	s_branch .LBB132_284
.LBB132_283:
	s_mov_b32 s8, 0
.LBB132_284:
	s_and_b32 vcc_lo, exec_lo, s8
	s_cbranch_vccz .LBB132_300
; %bb.285:
	s_cmp_lt_i32 s6, 27
	s_mov_b32 s7, -1
	s_cbranch_scc1 .LBB132_291
; %bb.286:
	v_cvt_u32_f64_e32 v2, v[0:1]
	s_cmp_gt_i32 s6, 27
	s_cbranch_scc0 .LBB132_288
; %bb.287:
	s_mov_b32 s7, 0
	global_store_dword v[4:5], v2, off
.LBB132_288:
	s_andn2_b32 vcc_lo, exec_lo, s7
	s_cbranch_vccnz .LBB132_290
; %bb.289:
	global_store_short v[4:5], v2, off
.LBB132_290:
	s_mov_b32 s7, 0
.LBB132_291:
	s_andn2_b32 vcc_lo, exec_lo, s7
	s_cbranch_vccnz .LBB132_299
; %bb.292:
	v_cvt_f32_f64_e32 v2, v[0:1]
	v_mov_b32_e32 v6, 0x80
	s_mov_b32 s7, exec_lo
	v_and_b32_e32 v3, 0x7fffffff, v2
	v_cmpx_gt_u32_e32 0x43800000, v3
	s_cbranch_execz .LBB132_298
; %bb.293:
	v_cmp_lt_u32_e32 vcc_lo, 0x3bffffff, v3
	s_mov_b32 s8, 0
                                        ; implicit-def: $vgpr3
	s_and_saveexec_b32 s9, vcc_lo
	s_xor_b32 s9, exec_lo, s9
	s_cbranch_execz .LBB132_396
; %bb.294:
	v_bfe_u32 v3, v2, 20, 1
	s_mov_b32 s8, exec_lo
	v_add3_u32 v3, v2, v3, 0x487ffff
	v_lshrrev_b32_e32 v3, 20, v3
	s_andn2_saveexec_b32 s9, s9
	s_cbranch_execnz .LBB132_397
.LBB132_295:
	s_or_b32 exec_lo, exec_lo, s9
	v_mov_b32_e32 v6, 0
	s_and_saveexec_b32 s9, s8
.LBB132_296:
	v_lshrrev_b32_e32 v2, 24, v2
	v_and_or_b32 v6, 0x80, v2, v3
.LBB132_297:
	s_or_b32 exec_lo, exec_lo, s9
.LBB132_298:
	s_or_b32 exec_lo, exec_lo, s7
	global_store_byte v[4:5], v6, off
.LBB132_299:
	s_mov_b32 s7, -1
.LBB132_300:
	s_mov_b32 s8, 0
.LBB132_301:
	s_and_b32 vcc_lo, exec_lo, s8
	s_cbranch_vccz .LBB132_342
; %bb.302:
	s_cmp_gt_i32 s6, 22
	s_mov_b32 s8, -1
	s_cbranch_scc0 .LBB132_334
; %bb.303:
	s_cmp_lt_i32 s6, 24
	s_mov_b32 s7, -1
	s_cbranch_scc1 .LBB132_323
; %bb.304:
	s_cmp_gt_i32 s6, 24
	s_cbranch_scc0 .LBB132_312
; %bb.305:
	v_cvt_f32_f64_e32 v2, v[0:1]
	v_mov_b32_e32 v6, 0x80
	s_mov_b32 s7, exec_lo
	v_and_b32_e32 v3, 0x7fffffff, v2
	v_cmpx_gt_u32_e32 0x47800000, v3
	s_cbranch_execz .LBB132_311
; %bb.306:
	v_cmp_lt_u32_e32 vcc_lo, 0x37ffffff, v3
	s_mov_b32 s8, 0
                                        ; implicit-def: $vgpr3
	s_and_saveexec_b32 s9, vcc_lo
	s_xor_b32 s9, exec_lo, s9
	s_cbranch_execz .LBB132_398
; %bb.307:
	v_bfe_u32 v3, v2, 21, 1
	s_mov_b32 s8, exec_lo
	v_add3_u32 v3, v2, v3, 0x88fffff
	v_lshrrev_b32_e32 v3, 21, v3
	s_andn2_saveexec_b32 s9, s9
	s_cbranch_execnz .LBB132_399
.LBB132_308:
	s_or_b32 exec_lo, exec_lo, s9
	v_mov_b32_e32 v6, 0
	s_and_saveexec_b32 s9, s8
.LBB132_309:
	v_lshrrev_b32_e32 v2, 24, v2
	v_and_or_b32 v6, 0x80, v2, v3
.LBB132_310:
	s_or_b32 exec_lo, exec_lo, s9
.LBB132_311:
	s_or_b32 exec_lo, exec_lo, s7
	s_mov_b32 s7, 0
	global_store_byte v[4:5], v6, off
.LBB132_312:
	s_and_b32 vcc_lo, exec_lo, s7
	s_cbranch_vccz .LBB132_322
; %bb.313:
	v_cvt_f32_f64_e32 v2, v[0:1]
	s_mov_b32 s7, exec_lo
                                        ; implicit-def: $vgpr3
	v_and_b32_e32 v6, 0x7fffffff, v2
	v_cmpx_gt_u32_e32 0x43f00000, v6
	s_xor_b32 s7, exec_lo, s7
	s_cbranch_execz .LBB132_319
; %bb.314:
	s_mov_b32 s8, exec_lo
                                        ; implicit-def: $vgpr3
	v_cmpx_lt_u32_e32 0x3c7fffff, v6
	s_xor_b32 s8, exec_lo, s8
; %bb.315:
	v_bfe_u32 v3, v2, 20, 1
	v_add3_u32 v3, v2, v3, 0x407ffff
	v_and_b32_e32 v6, 0xff00000, v3
	v_lshrrev_b32_e32 v3, 20, v3
	v_cmp_ne_u32_e32 vcc_lo, 0x7f00000, v6
	v_cndmask_b32_e32 v3, 0x7e, v3, vcc_lo
; %bb.316:
	s_andn2_saveexec_b32 s8, s8
; %bb.317:
	v_add_f32_e64 v3, 0x46800000, |v2|
; %bb.318:
	s_or_b32 exec_lo, exec_lo, s8
                                        ; implicit-def: $vgpr6
.LBB132_319:
	s_andn2_saveexec_b32 s7, s7
; %bb.320:
	v_mov_b32_e32 v3, 0x7f
	v_cmp_lt_u32_e32 vcc_lo, 0x7f800000, v6
	v_cndmask_b32_e32 v3, 0x7e, v3, vcc_lo
; %bb.321:
	s_or_b32 exec_lo, exec_lo, s7
	v_lshrrev_b32_e32 v2, 24, v2
	v_and_or_b32 v2, 0x80, v2, v3
	global_store_byte v[4:5], v2, off
.LBB132_322:
	s_mov_b32 s7, 0
.LBB132_323:
	s_andn2_b32 vcc_lo, exec_lo, s7
	s_cbranch_vccnz .LBB132_333
; %bb.324:
	v_cvt_f32_f64_e32 v2, v[0:1]
	s_mov_b32 s7, exec_lo
                                        ; implicit-def: $vgpr3
	v_and_b32_e32 v6, 0x7fffffff, v2
	v_cmpx_gt_u32_e32 0x47800000, v6
	s_xor_b32 s7, exec_lo, s7
	s_cbranch_execz .LBB132_330
; %bb.325:
	s_mov_b32 s8, exec_lo
                                        ; implicit-def: $vgpr3
	v_cmpx_lt_u32_e32 0x387fffff, v6
	s_xor_b32 s8, exec_lo, s8
; %bb.326:
	v_bfe_u32 v3, v2, 21, 1
	v_add3_u32 v3, v2, v3, 0x80fffff
	v_lshrrev_b32_e32 v3, 21, v3
; %bb.327:
	s_andn2_saveexec_b32 s8, s8
; %bb.328:
	v_add_f32_e64 v3, 0x43000000, |v2|
; %bb.329:
	s_or_b32 exec_lo, exec_lo, s8
                                        ; implicit-def: $vgpr6
.LBB132_330:
	s_andn2_saveexec_b32 s7, s7
; %bb.331:
	v_mov_b32_e32 v3, 0x7f
	v_cmp_lt_u32_e32 vcc_lo, 0x7f800000, v6
	v_cndmask_b32_e32 v3, 0x7c, v3, vcc_lo
; %bb.332:
	s_or_b32 exec_lo, exec_lo, s7
	v_lshrrev_b32_e32 v2, 24, v2
	v_and_or_b32 v2, 0x80, v2, v3
	global_store_byte v[4:5], v2, off
.LBB132_333:
	s_mov_b32 s8, 0
	s_mov_b32 s7, -1
.LBB132_334:
	s_andn2_b32 vcc_lo, exec_lo, s8
	s_cbranch_vccnz .LBB132_342
; %bb.335:
	s_cmp_gt_i32 s6, 14
	s_mov_b32 s8, -1
	s_cbranch_scc0 .LBB132_339
; %bb.336:
	s_cmp_eq_u32 s6, 15
	s_mov_b32 s4, -1
	s_cbranch_scc0 .LBB132_338
; %bb.337:
	v_cvt_f32_f64_e32 v2, v[0:1]
	s_mov_b32 s7, -1
	s_mov_b32 s4, 0
	v_bfe_u32 v3, v2, 16, 1
	v_cmp_o_f32_e32 vcc_lo, v2, v2
	v_add3_u32 v2, v2, v3, 0x7fff
	v_mov_b32_e32 v3, 0x7fc0
	v_cndmask_b32_sdwa v2, v3, v2, vcc_lo dst_sel:DWORD dst_unused:UNUSED_PAD src0_sel:DWORD src1_sel:WORD_1
	global_store_short v[4:5], v2, off
.LBB132_338:
	s_mov_b32 s8, 0
.LBB132_339:
	s_and_b32 vcc_lo, exec_lo, s8
	s_cbranch_vccz .LBB132_342
; %bb.340:
	s_cmp_eq_u32 s6, 11
	s_mov_b32 s4, -1
	s_cbranch_scc0 .LBB132_342
; %bb.341:
	v_cmp_neq_f64_e32 vcc_lo, 0, v[0:1]
	s_mov_b32 s7, -1
	s_mov_b32 s4, 0
	v_cndmask_b32_e64 v2, 0, 1, vcc_lo
	global_store_byte v[4:5], v2, off
.LBB132_342:
	s_mov_b32 s6, 0
.LBB132_343:
	s_and_b32 vcc_lo, exec_lo, s6
	s_cbranch_vccz .LBB132_382
; %bb.344:
	s_and_b32 s5, 0xffff, s5
	s_mov_b32 s6, -1
	s_cmp_lt_i32 s5, 5
	s_cbranch_scc1 .LBB132_365
; %bb.345:
	s_cmp_lt_i32 s5, 8
	s_cbranch_scc1 .LBB132_355
; %bb.346:
	;; [unrolled: 3-line block ×3, first 2 shown]
	s_cmp_gt_i32 s5, 9
	s_cbranch_scc0 .LBB132_349
; %bb.348:
	v_mov_b32_e32 v2, 0
	s_mov_b32 s6, 0
	v_mov_b32_e32 v3, v2
	global_store_dwordx4 v[4:5], v[0:3], off
.LBB132_349:
	s_andn2_b32 vcc_lo, exec_lo, s6
	s_cbranch_vccnz .LBB132_351
; %bb.350:
	v_cvt_f32_f64_e32 v2, v[0:1]
	v_mov_b32_e32 v3, 0
	global_store_dwordx2 v[4:5], v[2:3], off
.LBB132_351:
	s_mov_b32 s6, 0
.LBB132_352:
	s_andn2_b32 vcc_lo, exec_lo, s6
	s_cbranch_vccnz .LBB132_354
; %bb.353:
	v_and_or_b32 v2, 0x1ff, v1, v0
	v_lshrrev_b32_e32 v3, 8, v1
	v_bfe_u32 v6, v1, 20, 11
	v_cmp_ne_u32_e32 vcc_lo, 0, v2
	v_sub_nc_u32_e32 v7, 0x3f1, v6
	v_add_nc_u32_e32 v6, 0xfffffc10, v6
	v_cndmask_b32_e64 v2, 0, 1, vcc_lo
	v_and_or_b32 v2, 0xffe, v3, v2
	v_med3_i32 v3, v7, 0, 13
	v_or_b32_e32 v7, 0x1000, v2
	v_lshrrev_b32_e32 v8, v3, v7
	v_lshlrev_b32_e32 v3, v3, v8
	v_cmp_ne_u32_e32 vcc_lo, v3, v7
	v_lshl_or_b32 v7, v6, 12, v2
	v_cndmask_b32_e64 v3, 0, 1, vcc_lo
	v_cmp_gt_i32_e32 vcc_lo, 1, v6
	v_or_b32_e32 v3, v8, v3
	v_cndmask_b32_e32 v3, v7, v3, vcc_lo
	v_and_b32_e32 v7, 7, v3
	v_lshrrev_b32_e32 v3, 2, v3
	v_cmp_lt_i32_e32 vcc_lo, 5, v7
	v_cndmask_b32_e64 v8, 0, 1, vcc_lo
	v_cmp_eq_u32_e32 vcc_lo, 3, v7
	v_cndmask_b32_e64 v7, 0, 1, vcc_lo
	v_cmp_ne_u32_e32 vcc_lo, 0, v2
	v_or_b32_e32 v7, v7, v8
	v_mov_b32_e32 v8, 0x7e00
	v_add_nc_u32_e32 v3, v3, v7
	v_cndmask_b32_e32 v2, 0x7c00, v8, vcc_lo
	v_cmp_gt_i32_e32 vcc_lo, 31, v6
	v_cndmask_b32_e32 v3, 0x7c00, v3, vcc_lo
	v_cmp_eq_u32_e32 vcc_lo, 0x40f, v6
	v_cndmask_b32_e32 v2, v3, v2, vcc_lo
	v_lshrrev_b32_e32 v3, 16, v1
	v_and_or_b32 v2, 0x8000, v3, v2
	v_and_b32_e32 v2, 0xffff, v2
	global_store_dword v[4:5], v2, off
.LBB132_354:
	s_mov_b32 s6, 0
.LBB132_355:
	s_andn2_b32 vcc_lo, exec_lo, s6
	s_cbranch_vccnz .LBB132_364
; %bb.356:
	s_cmp_lt_i32 s5, 6
	s_mov_b32 s6, -1
	s_cbranch_scc1 .LBB132_362
; %bb.357:
	s_cmp_gt_i32 s5, 6
	s_cbranch_scc0 .LBB132_359
; %bb.358:
	s_mov_b32 s6, 0
	global_store_dwordx2 v[4:5], v[0:1], off
.LBB132_359:
	s_andn2_b32 vcc_lo, exec_lo, s6
	s_cbranch_vccnz .LBB132_361
; %bb.360:
	v_cvt_f32_f64_e32 v2, v[0:1]
	global_store_dword v[4:5], v2, off
.LBB132_361:
	s_mov_b32 s6, 0
.LBB132_362:
	s_andn2_b32 vcc_lo, exec_lo, s6
	s_cbranch_vccnz .LBB132_364
; %bb.363:
	v_and_or_b32 v2, 0x1ff, v1, v0
	v_lshrrev_b32_e32 v3, 8, v1
	v_bfe_u32 v6, v1, 20, 11
	v_cmp_ne_u32_e32 vcc_lo, 0, v2
	v_sub_nc_u32_e32 v7, 0x3f1, v6
	v_add_nc_u32_e32 v6, 0xfffffc10, v6
	v_cndmask_b32_e64 v2, 0, 1, vcc_lo
	v_and_or_b32 v2, 0xffe, v3, v2
	v_med3_i32 v3, v7, 0, 13
	v_or_b32_e32 v7, 0x1000, v2
	v_lshrrev_b32_e32 v8, v3, v7
	v_lshlrev_b32_e32 v3, v3, v8
	v_cmp_ne_u32_e32 vcc_lo, v3, v7
	v_lshl_or_b32 v7, v6, 12, v2
	v_cndmask_b32_e64 v3, 0, 1, vcc_lo
	v_cmp_gt_i32_e32 vcc_lo, 1, v6
	v_or_b32_e32 v3, v8, v3
	v_cndmask_b32_e32 v3, v7, v3, vcc_lo
	v_and_b32_e32 v7, 7, v3
	v_lshrrev_b32_e32 v3, 2, v3
	v_cmp_lt_i32_e32 vcc_lo, 5, v7
	v_cndmask_b32_e64 v8, 0, 1, vcc_lo
	v_cmp_eq_u32_e32 vcc_lo, 3, v7
	v_cndmask_b32_e64 v7, 0, 1, vcc_lo
	v_cmp_ne_u32_e32 vcc_lo, 0, v2
	v_or_b32_e32 v7, v7, v8
	v_mov_b32_e32 v8, 0x7e00
	v_add_nc_u32_e32 v3, v3, v7
	v_cndmask_b32_e32 v2, 0x7c00, v8, vcc_lo
	v_cmp_gt_i32_e32 vcc_lo, 31, v6
	v_cndmask_b32_e32 v3, 0x7c00, v3, vcc_lo
	v_cmp_eq_u32_e32 vcc_lo, 0x40f, v6
	v_cndmask_b32_e32 v2, v3, v2, vcc_lo
	v_lshrrev_b32_e32 v3, 16, v1
	v_and_or_b32 v2, 0x8000, v3, v2
	global_store_short v[4:5], v2, off
.LBB132_364:
	s_mov_b32 s6, 0
.LBB132_365:
	s_andn2_b32 vcc_lo, exec_lo, s6
	s_cbranch_vccnz .LBB132_381
; %bb.366:
	s_cmp_lt_i32 s5, 2
	s_mov_b32 s6, -1
	s_cbranch_scc1 .LBB132_376
; %bb.367:
	s_cmp_lt_i32 s5, 3
	s_cbranch_scc1 .LBB132_373
; %bb.368:
	s_cmp_gt_i32 s5, 3
	s_cbranch_scc0 .LBB132_370
; %bb.369:
	v_trunc_f64_e32 v[2:3], v[0:1]
	s_mov_b32 s6, 0
	v_ldexp_f64 v[6:7], v[2:3], 0xffffffe0
	v_floor_f64_e32 v[6:7], v[6:7]
	v_fma_f64 v[2:3], 0xc1f00000, v[6:7], v[2:3]
	v_cvt_i32_f64_e32 v7, v[6:7]
	v_cvt_u32_f64_e32 v6, v[2:3]
	global_store_dwordx2 v[4:5], v[6:7], off
.LBB132_370:
	s_andn2_b32 vcc_lo, exec_lo, s6
	s_cbranch_vccnz .LBB132_372
; %bb.371:
	v_cvt_i32_f64_e32 v2, v[0:1]
	global_store_dword v[4:5], v2, off
.LBB132_372:
	s_mov_b32 s6, 0
.LBB132_373:
	s_andn2_b32 vcc_lo, exec_lo, s6
	s_cbranch_vccnz .LBB132_375
; %bb.374:
	v_cvt_i32_f64_e32 v2, v[0:1]
	global_store_short v[4:5], v2, off
.LBB132_375:
	s_mov_b32 s6, 0
.LBB132_376:
	s_andn2_b32 vcc_lo, exec_lo, s6
	s_cbranch_vccnz .LBB132_381
; %bb.377:
	s_cmp_gt_i32 s5, 0
	s_mov_b32 s5, -1
	s_cbranch_scc0 .LBB132_379
; %bb.378:
	v_cvt_i32_f64_e32 v2, v[0:1]
	s_mov_b32 s5, 0
	global_store_byte v[4:5], v2, off
.LBB132_379:
	s_andn2_b32 vcc_lo, exec_lo, s5
	s_cbranch_vccnz .LBB132_381
; %bb.380:
	v_trunc_f64_e32 v[0:1], v[0:1]
	v_ldexp_f64 v[2:3], v[0:1], 0xffffffe0
	v_floor_f64_e32 v[2:3], v[2:3]
	v_fma_f64 v[0:1], 0xc1f00000, v[2:3], v[0:1]
	v_cvt_u32_f64_e32 v0, v[0:1]
	global_store_byte v[4:5], v0, off
.LBB132_381:
	s_mov_b32 s7, -1
.LBB132_382:
	s_andn2_b32 vcc_lo, exec_lo, s7
	s_cbranch_vccnz .LBB132_384
; %bb.383:
	v_add_nc_u32_e32 v42, 0x80, v42
	s_mov_b32 s5, -1
	s_branch .LBB132_385
.LBB132_384:
	s_mov_b32 s5, 0
                                        ; implicit-def: $vgpr42
.LBB132_385:
	s_andn2_b32 s6, s33, exec_lo
	s_and_b32 s4, s4, exec_lo
	s_orn2_b32 s7, s5, exec_lo
	s_or_b32 s36, s6, s4
.LBB132_386:
	s_or_b32 exec_lo, exec_lo, s35
	s_mov_b32 s4, 0
	s_mov_b32 s6, 0
                                        ; implicit-def: $sgpr5
                                        ; implicit-def: $vgpr4_vgpr5
                                        ; implicit-def: $vgpr0_vgpr1
	s_and_saveexec_b32 s35, s7
	s_cbranch_execz .LBB132_470
; %bb.387:
	v_cmp_gt_i32_e32 vcc_lo, s28, v42
	s_mov_b32 s7, s36
                                        ; implicit-def: $sgpr5
                                        ; implicit-def: $vgpr4_vgpr5
                                        ; implicit-def: $vgpr0_vgpr1
	s_and_saveexec_b32 s28, vcc_lo
	s_cbranch_execz .LBB132_469
; %bb.388:
	v_mov_b32_e32 v0, s22
	v_mov_b32_e32 v1, s23
	;; [unrolled: 1-line block ×5, first 2 shown]
	s_getpc_b64 s[4:5]
	s_add_u32 s4, s4, _ZN2at6native6invokeIZZZNS0_18lgamma_kernel_cudaERNS_18TensorIteratorBaseEENKUlvE_clEvENKUlvE_clEvEUldE_i15function_traitsIS6_EEENT1_11result_typeERKT_PrKPcPKT0_PKN3c1010ScalarTypeEi@rel32@lo+4
	s_addc_u32 s5, s5, _ZN2at6native6invokeIZZZNS0_18lgamma_kernel_cudaERNS_18TensorIteratorBaseEENKUlvE_clEvENKUlvE_clEvEUldE_i15function_traitsIS6_EEENT1_11result_typeERKT_PrKPcPKT0_PKN3c1010ScalarTypeEi@rel32@hi+12
	s_swappc_b64 s[30:31], s[4:5]
	v_mul_lo_u32 v2, v42, s18
	s_and_b32 s5, s24, 0xff
	s_cmp_lt_i32 s5, 11
	v_ashrrev_i32_e32 v3, 31, v2
	v_add_co_u32 v4, vcc_lo, s20, v2
	v_add_co_ci_u32_e64 v5, null, s21, v3, vcc_lo
	s_cbranch_scc1 .LBB132_395
; %bb.389:
	s_and_b32 s6, 0xffff, s5
	s_mov_b32 s7, -1
	s_cmp_gt_i32 s6, 25
	s_mov_b32 s4, s36
	s_cbranch_scc0 .LBB132_427
; %bb.390:
	s_cmp_gt_i32 s6, 28
	s_mov_b32 s4, s36
	s_cbranch_scc0 .LBB132_411
; %bb.391:
	;; [unrolled: 4-line block ×4, first 2 shown]
	s_cmp_eq_u32 s6, 46
	s_mov_b32 s4, -1
	s_cbranch_scc0 .LBB132_400
; %bb.394:
	v_cvt_f32_f64_e32 v2, v[0:1]
	s_mov_b32 s4, 0
	s_mov_b32 s7, 0
	v_bfe_u32 v3, v2, 16, 1
	v_cmp_o_f32_e32 vcc_lo, v2, v2
	v_add3_u32 v2, v2, v3, 0x7fff
	v_mov_b32_e32 v3, 0x7fc0
	v_cndmask_b32_sdwa v2, v3, v2, vcc_lo dst_sel:DWORD dst_unused:UNUSED_PAD src0_sel:DWORD src1_sel:WORD_1
	global_store_dword v[4:5], v2, off
	s_branch .LBB132_401
.LBB132_395:
	s_mov_b32 s8, 0
	s_mov_b32 s7, -1
	s_mov_b32 s4, s36
	s_branch .LBB132_468
.LBB132_396:
	s_andn2_saveexec_b32 s9, s9
	s_cbranch_execz .LBB132_295
.LBB132_397:
	v_add_f32_e64 v3, 0x46000000, |v2|
	s_andn2_b32 s8, s8, exec_lo
	v_and_b32_e32 v3, 0xff, v3
	v_cmp_ne_u32_e32 vcc_lo, 0, v3
	s_and_b32 s10, vcc_lo, exec_lo
	s_or_b32 s8, s8, s10
	s_or_b32 exec_lo, exec_lo, s9
	v_mov_b32_e32 v6, 0
	s_and_saveexec_b32 s9, s8
	s_cbranch_execnz .LBB132_296
	s_branch .LBB132_297
.LBB132_398:
	s_andn2_saveexec_b32 s9, s9
	s_cbranch_execz .LBB132_308
.LBB132_399:
	v_add_f32_e64 v3, 0x42800000, |v2|
	s_andn2_b32 s8, s8, exec_lo
	v_and_b32_e32 v3, 0xff, v3
	v_cmp_ne_u32_e32 vcc_lo, 0, v3
	s_and_b32 s10, vcc_lo, exec_lo
	s_or_b32 s8, s8, s10
	s_or_b32 exec_lo, exec_lo, s9
	v_mov_b32_e32 v6, 0
	s_and_saveexec_b32 s9, s8
	s_cbranch_execnz .LBB132_309
	s_branch .LBB132_310
.LBB132_400:
	s_mov_b32 s7, 0
.LBB132_401:
	s_and_b32 vcc_lo, exec_lo, s7
	s_cbranch_vccz .LBB132_406
; %bb.402:
	s_cmp_eq_u32 s6, 44
	s_mov_b32 s4, -1
	s_cbranch_scc0 .LBB132_406
; %bb.403:
	v_cvt_f32_f64_e32 v2, v[0:1]
	v_mov_b32_e32 v3, 0xff
	s_mov_b32 s7, exec_lo
	v_bfe_u32 v6, v2, 23, 8
	v_cmpx_ne_u32_e32 0xff, v6
	s_cbranch_execz .LBB132_405
; %bb.404:
	v_and_b32_e32 v3, 0x400000, v2
	v_and_or_b32 v6, 0x3fffff, v2, v6
	v_lshrrev_b32_e32 v2, 23, v2
	v_cmp_ne_u32_e32 vcc_lo, 0, v3
	v_cmp_ne_u32_e64 s4, 0, v6
	s_and_b32 s4, vcc_lo, s4
	v_cndmask_b32_e64 v3, 0, 1, s4
	v_add_nc_u32_e32 v3, v2, v3
.LBB132_405:
	s_or_b32 exec_lo, exec_lo, s7
	s_mov_b32 s4, 0
	global_store_byte v[4:5], v3, off
.LBB132_406:
	s_mov_b32 s7, 0
.LBB132_407:
	s_and_b32 vcc_lo, exec_lo, s7
	s_cbranch_vccz .LBB132_410
; %bb.408:
	s_cmp_eq_u32 s6, 29
	s_mov_b32 s4, -1
	s_cbranch_scc0 .LBB132_410
; %bb.409:
	v_trunc_f64_e32 v[2:3], v[0:1]
	s_mov_b32 s4, 0
	s_mov_b32 s7, 0
	v_ldexp_f64 v[6:7], v[2:3], 0xffffffe0
	v_floor_f64_e32 v[6:7], v[6:7]
	v_fma_f64 v[2:3], 0xc1f00000, v[6:7], v[2:3]
	v_cvt_u32_f64_e32 v7, v[6:7]
	v_cvt_u32_f64_e32 v6, v[2:3]
	global_store_dwordx2 v[4:5], v[6:7], off
	s_branch .LBB132_411
.LBB132_410:
	s_mov_b32 s7, 0
.LBB132_411:
	s_and_b32 vcc_lo, exec_lo, s7
	s_cbranch_vccz .LBB132_426
; %bb.412:
	s_cmp_lt_i32 s6, 27
	s_mov_b32 s7, -1
	s_cbranch_scc1 .LBB132_418
; %bb.413:
	v_cvt_u32_f64_e32 v2, v[0:1]
	s_cmp_gt_i32 s6, 27
	s_cbranch_scc0 .LBB132_415
; %bb.414:
	s_mov_b32 s7, 0
	global_store_dword v[4:5], v2, off
.LBB132_415:
	s_andn2_b32 vcc_lo, exec_lo, s7
	s_cbranch_vccnz .LBB132_417
; %bb.416:
	global_store_short v[4:5], v2, off
.LBB132_417:
	s_mov_b32 s7, 0
.LBB132_418:
	s_andn2_b32 vcc_lo, exec_lo, s7
	s_cbranch_vccnz .LBB132_426
; %bb.419:
	v_cvt_f32_f64_e32 v2, v[0:1]
	v_mov_b32_e32 v6, 0x80
	s_mov_b32 s7, exec_lo
	v_and_b32_e32 v3, 0x7fffffff, v2
	v_cmpx_gt_u32_e32 0x43800000, v3
	s_cbranch_execz .LBB132_425
; %bb.420:
	v_cmp_lt_u32_e32 vcc_lo, 0x3bffffff, v3
	s_mov_b32 s8, 0
                                        ; implicit-def: $vgpr3
	s_and_saveexec_b32 s9, vcc_lo
	s_xor_b32 s9, exec_lo, s9
	s_cbranch_execz .LBB132_1007
; %bb.421:
	v_bfe_u32 v3, v2, 20, 1
	s_mov_b32 s8, exec_lo
	v_add3_u32 v3, v2, v3, 0x487ffff
	v_lshrrev_b32_e32 v3, 20, v3
	s_andn2_saveexec_b32 s9, s9
	s_cbranch_execnz .LBB132_1008
.LBB132_422:
	s_or_b32 exec_lo, exec_lo, s9
	v_mov_b32_e32 v6, 0
	s_and_saveexec_b32 s9, s8
.LBB132_423:
	v_lshrrev_b32_e32 v2, 24, v2
	v_and_or_b32 v6, 0x80, v2, v3
.LBB132_424:
	s_or_b32 exec_lo, exec_lo, s9
.LBB132_425:
	s_or_b32 exec_lo, exec_lo, s7
	global_store_byte v[4:5], v6, off
.LBB132_426:
	s_mov_b32 s7, 0
.LBB132_427:
	s_and_b32 vcc_lo, exec_lo, s7
	s_mov_b32 s7, 0
	s_cbranch_vccz .LBB132_467
; %bb.428:
	s_cmp_gt_i32 s6, 22
	s_mov_b32 s8, -1
	s_cbranch_scc0 .LBB132_460
; %bb.429:
	s_cmp_lt_i32 s6, 24
	s_cbranch_scc1 .LBB132_449
; %bb.430:
	s_cmp_gt_i32 s6, 24
	s_cbranch_scc0 .LBB132_438
; %bb.431:
	v_cvt_f32_f64_e32 v2, v[0:1]
	v_mov_b32_e32 v6, 0x80
	s_mov_b32 s8, exec_lo
	v_and_b32_e32 v3, 0x7fffffff, v2
	v_cmpx_gt_u32_e32 0x47800000, v3
	s_cbranch_execz .LBB132_437
; %bb.432:
	v_cmp_lt_u32_e32 vcc_lo, 0x37ffffff, v3
	s_mov_b32 s9, 0
                                        ; implicit-def: $vgpr3
	s_and_saveexec_b32 s10, vcc_lo
	s_xor_b32 s10, exec_lo, s10
	s_cbranch_execz .LBB132_1011
; %bb.433:
	v_bfe_u32 v3, v2, 21, 1
	s_mov_b32 s9, exec_lo
	v_add3_u32 v3, v2, v3, 0x88fffff
	v_lshrrev_b32_e32 v3, 21, v3
	s_andn2_saveexec_b32 s10, s10
	s_cbranch_execnz .LBB132_1012
.LBB132_434:
	s_or_b32 exec_lo, exec_lo, s10
	v_mov_b32_e32 v6, 0
	s_and_saveexec_b32 s10, s9
.LBB132_435:
	v_lshrrev_b32_e32 v2, 24, v2
	v_and_or_b32 v6, 0x80, v2, v3
.LBB132_436:
	s_or_b32 exec_lo, exec_lo, s10
.LBB132_437:
	s_or_b32 exec_lo, exec_lo, s8
	s_mov_b32 s8, 0
	global_store_byte v[4:5], v6, off
.LBB132_438:
	s_and_b32 vcc_lo, exec_lo, s8
	s_cbranch_vccz .LBB132_448
; %bb.439:
	v_cvt_f32_f64_e32 v2, v[0:1]
	s_mov_b32 s8, exec_lo
                                        ; implicit-def: $vgpr3
	v_and_b32_e32 v6, 0x7fffffff, v2
	v_cmpx_gt_u32_e32 0x43f00000, v6
	s_xor_b32 s8, exec_lo, s8
	s_cbranch_execz .LBB132_445
; %bb.440:
	s_mov_b32 s9, exec_lo
                                        ; implicit-def: $vgpr3
	v_cmpx_lt_u32_e32 0x3c7fffff, v6
	s_xor_b32 s9, exec_lo, s9
; %bb.441:
	v_bfe_u32 v3, v2, 20, 1
	v_add3_u32 v3, v2, v3, 0x407ffff
	v_and_b32_e32 v6, 0xff00000, v3
	v_lshrrev_b32_e32 v3, 20, v3
	v_cmp_ne_u32_e32 vcc_lo, 0x7f00000, v6
	v_cndmask_b32_e32 v3, 0x7e, v3, vcc_lo
; %bb.442:
	s_andn2_saveexec_b32 s9, s9
; %bb.443:
	v_add_f32_e64 v3, 0x46800000, |v2|
; %bb.444:
	s_or_b32 exec_lo, exec_lo, s9
                                        ; implicit-def: $vgpr6
.LBB132_445:
	s_andn2_saveexec_b32 s8, s8
; %bb.446:
	v_mov_b32_e32 v3, 0x7f
	v_cmp_lt_u32_e32 vcc_lo, 0x7f800000, v6
	v_cndmask_b32_e32 v3, 0x7e, v3, vcc_lo
; %bb.447:
	s_or_b32 exec_lo, exec_lo, s8
	v_lshrrev_b32_e32 v2, 24, v2
	v_and_or_b32 v2, 0x80, v2, v3
	global_store_byte v[4:5], v2, off
.LBB132_448:
	s_mov_b32 s8, 0
.LBB132_449:
	s_andn2_b32 vcc_lo, exec_lo, s8
	s_cbranch_vccnz .LBB132_459
; %bb.450:
	v_cvt_f32_f64_e32 v2, v[0:1]
	s_mov_b32 s8, exec_lo
                                        ; implicit-def: $vgpr3
	v_and_b32_e32 v6, 0x7fffffff, v2
	v_cmpx_gt_u32_e32 0x47800000, v6
	s_xor_b32 s8, exec_lo, s8
	s_cbranch_execz .LBB132_456
; %bb.451:
	s_mov_b32 s9, exec_lo
                                        ; implicit-def: $vgpr3
	v_cmpx_lt_u32_e32 0x387fffff, v6
	s_xor_b32 s9, exec_lo, s9
; %bb.452:
	v_bfe_u32 v3, v2, 21, 1
	v_add3_u32 v3, v2, v3, 0x80fffff
	v_lshrrev_b32_e32 v3, 21, v3
; %bb.453:
	s_andn2_saveexec_b32 s9, s9
; %bb.454:
	v_add_f32_e64 v3, 0x43000000, |v2|
; %bb.455:
	s_or_b32 exec_lo, exec_lo, s9
                                        ; implicit-def: $vgpr6
.LBB132_456:
	s_andn2_saveexec_b32 s8, s8
; %bb.457:
	v_mov_b32_e32 v3, 0x7f
	v_cmp_lt_u32_e32 vcc_lo, 0x7f800000, v6
	v_cndmask_b32_e32 v3, 0x7c, v3, vcc_lo
; %bb.458:
	s_or_b32 exec_lo, exec_lo, s8
	v_lshrrev_b32_e32 v2, 24, v2
	v_and_or_b32 v2, 0x80, v2, v3
	global_store_byte v[4:5], v2, off
.LBB132_459:
	s_mov_b32 s8, 0
.LBB132_460:
	s_andn2_b32 vcc_lo, exec_lo, s8
	s_mov_b32 s8, 0
	s_cbranch_vccnz .LBB132_468
; %bb.461:
	s_cmp_gt_i32 s6, 14
	s_mov_b32 s8, -1
	s_cbranch_scc0 .LBB132_465
; %bb.462:
	s_cmp_eq_u32 s6, 15
	s_mov_b32 s4, -1
	s_cbranch_scc0 .LBB132_464
; %bb.463:
	v_cvt_f32_f64_e32 v2, v[0:1]
	s_mov_b32 s4, 0
	v_bfe_u32 v3, v2, 16, 1
	v_cmp_o_f32_e32 vcc_lo, v2, v2
	v_add3_u32 v2, v2, v3, 0x7fff
	v_mov_b32_e32 v3, 0x7fc0
	v_cndmask_b32_sdwa v2, v3, v2, vcc_lo dst_sel:DWORD dst_unused:UNUSED_PAD src0_sel:DWORD src1_sel:WORD_1
	global_store_short v[4:5], v2, off
.LBB132_464:
	s_mov_b32 s8, 0
.LBB132_465:
	s_and_b32 vcc_lo, exec_lo, s8
	s_mov_b32 s8, 0
	s_cbranch_vccz .LBB132_468
; %bb.466:
	s_cmp_lg_u32 s6, 11
	s_mov_b32 s8, -1
	s_cselect_b32 s6, -1, 0
	s_andn2_b32 s4, s4, exec_lo
	s_and_b32 s6, s6, exec_lo
	s_or_b32 s4, s4, s6
	s_branch .LBB132_468
.LBB132_467:
	s_mov_b32 s8, 0
.LBB132_468:
	s_and_b32 s6, s7, exec_lo
	s_andn2_b32 s7, s36, exec_lo
	s_and_b32 s9, s4, exec_lo
	s_and_b32 s4, s8, exec_lo
	s_or_b32 s7, s7, s9
.LBB132_469:
	s_or_b32 exec_lo, exec_lo, s28
	s_andn2_b32 s8, s36, exec_lo
	s_and_b32 s7, s7, exec_lo
	s_and_b32 s6, s6, exec_lo
	;; [unrolled: 1-line block ×3, first 2 shown]
	s_or_b32 s36, s8, s7
.LBB132_470:
	s_or_b32 exec_lo, exec_lo, s35
	s_andn2_b32 s7, s33, exec_lo
	s_and_b32 s8, s36, exec_lo
	s_and_b32 s6, s6, exec_lo
	;; [unrolled: 1-line block ×3, first 2 shown]
	s_or_b32 s33, s7, s8
.LBB132_471:
	s_or_b32 exec_lo, exec_lo, s34
	s_andn2_b32 s7, s27, exec_lo
	s_and_b32 s8, s33, exec_lo
	s_and_b32 s6, s6, exec_lo
	;; [unrolled: 1-line block ×3, first 2 shown]
	s_or_b32 s27, s7, s8
	s_or_b32 exec_lo, exec_lo, s29
	s_mov_b32 s4, 0
	s_and_saveexec_b32 s7, s27
	s_cbranch_execz .LBB132_134
.LBB132_472:
	s_mov_b32 s4, exec_lo
	s_andn2_b32 s33, s33, exec_lo
	s_trap 2
	s_or_b32 exec_lo, exec_lo, s7
	s_and_saveexec_b32 s7, s33
	s_xor_b32 s7, exec_lo, s7
	s_cbranch_execnz .LBB132_135
.LBB132_473:
	s_or_b32 exec_lo, exec_lo, s7
	s_and_saveexec_b32 s7, s6
	s_xor_b32 s6, exec_lo, s7
	s_cbranch_execz .LBB132_511
.LBB132_474:
	s_sext_i32_i16 s8, s5
	s_mov_b32 s7, -1
	s_cmp_lt_i32 s8, 5
	s_cbranch_scc1 .LBB132_495
; %bb.475:
	s_cmp_lt_i32 s8, 8
	s_cbranch_scc1 .LBB132_485
; %bb.476:
	;; [unrolled: 3-line block ×3, first 2 shown]
	s_cmp_gt_i32 s8, 9
	s_cbranch_scc0 .LBB132_479
; %bb.478:
	v_mov_b32_e32 v2, 0
	s_mov_b32 s7, 0
	v_mov_b32_e32 v3, v2
	global_store_dwordx4 v[4:5], v[0:3], off
.LBB132_479:
	s_andn2_b32 vcc_lo, exec_lo, s7
	s_cbranch_vccnz .LBB132_481
; %bb.480:
	v_cvt_f32_f64_e32 v2, v[0:1]
	v_mov_b32_e32 v3, 0
	global_store_dwordx2 v[4:5], v[2:3], off
.LBB132_481:
	s_mov_b32 s7, 0
.LBB132_482:
	s_andn2_b32 vcc_lo, exec_lo, s7
	s_cbranch_vccnz .LBB132_484
; %bb.483:
	v_and_or_b32 v2, 0x1ff, v1, v0
	v_lshrrev_b32_e32 v3, 8, v1
	v_bfe_u32 v6, v1, 20, 11
	v_cmp_ne_u32_e32 vcc_lo, 0, v2
	v_sub_nc_u32_e32 v7, 0x3f1, v6
	v_add_nc_u32_e32 v6, 0xfffffc10, v6
	v_cndmask_b32_e64 v2, 0, 1, vcc_lo
	v_and_or_b32 v2, 0xffe, v3, v2
	v_med3_i32 v3, v7, 0, 13
	v_or_b32_e32 v7, 0x1000, v2
	v_lshrrev_b32_e32 v8, v3, v7
	v_lshlrev_b32_e32 v3, v3, v8
	v_cmp_ne_u32_e32 vcc_lo, v3, v7
	v_lshl_or_b32 v7, v6, 12, v2
	v_cndmask_b32_e64 v3, 0, 1, vcc_lo
	v_cmp_gt_i32_e32 vcc_lo, 1, v6
	v_or_b32_e32 v3, v8, v3
	v_cndmask_b32_e32 v3, v7, v3, vcc_lo
	v_and_b32_e32 v7, 7, v3
	v_lshrrev_b32_e32 v3, 2, v3
	v_cmp_lt_i32_e32 vcc_lo, 5, v7
	v_cndmask_b32_e64 v8, 0, 1, vcc_lo
	v_cmp_eq_u32_e32 vcc_lo, 3, v7
	v_cndmask_b32_e64 v7, 0, 1, vcc_lo
	v_cmp_ne_u32_e32 vcc_lo, 0, v2
	v_or_b32_e32 v7, v7, v8
	v_mov_b32_e32 v8, 0x7e00
	v_add_nc_u32_e32 v3, v3, v7
	v_cndmask_b32_e32 v2, 0x7c00, v8, vcc_lo
	v_cmp_gt_i32_e32 vcc_lo, 31, v6
	v_cndmask_b32_e32 v3, 0x7c00, v3, vcc_lo
	v_cmp_eq_u32_e32 vcc_lo, 0x40f, v6
	v_cndmask_b32_e32 v2, v3, v2, vcc_lo
	v_lshrrev_b32_e32 v3, 16, v1
	v_and_or_b32 v2, 0x8000, v3, v2
	v_and_b32_e32 v2, 0xffff, v2
	global_store_dword v[4:5], v2, off
.LBB132_484:
	s_mov_b32 s7, 0
.LBB132_485:
	s_andn2_b32 vcc_lo, exec_lo, s7
	s_cbranch_vccnz .LBB132_494
; %bb.486:
	s_sext_i32_i16 s8, s5
	s_mov_b32 s7, -1
	s_cmp_lt_i32 s8, 6
	s_cbranch_scc1 .LBB132_492
; %bb.487:
	s_cmp_gt_i32 s8, 6
	s_cbranch_scc0 .LBB132_489
; %bb.488:
	s_mov_b32 s7, 0
	global_store_dwordx2 v[4:5], v[0:1], off
.LBB132_489:
	s_andn2_b32 vcc_lo, exec_lo, s7
	s_cbranch_vccnz .LBB132_491
; %bb.490:
	v_cvt_f32_f64_e32 v2, v[0:1]
	global_store_dword v[4:5], v2, off
.LBB132_491:
	s_mov_b32 s7, 0
.LBB132_492:
	s_andn2_b32 vcc_lo, exec_lo, s7
	s_cbranch_vccnz .LBB132_494
; %bb.493:
	v_and_or_b32 v2, 0x1ff, v1, v0
	v_lshrrev_b32_e32 v3, 8, v1
	v_bfe_u32 v6, v1, 20, 11
	v_cmp_ne_u32_e32 vcc_lo, 0, v2
	v_sub_nc_u32_e32 v7, 0x3f1, v6
	v_add_nc_u32_e32 v6, 0xfffffc10, v6
	v_cndmask_b32_e64 v2, 0, 1, vcc_lo
	v_and_or_b32 v2, 0xffe, v3, v2
	v_med3_i32 v3, v7, 0, 13
	v_or_b32_e32 v7, 0x1000, v2
	v_lshrrev_b32_e32 v8, v3, v7
	v_lshlrev_b32_e32 v3, v3, v8
	v_cmp_ne_u32_e32 vcc_lo, v3, v7
	v_lshl_or_b32 v7, v6, 12, v2
	v_cndmask_b32_e64 v3, 0, 1, vcc_lo
	v_cmp_gt_i32_e32 vcc_lo, 1, v6
	v_or_b32_e32 v3, v8, v3
	v_cndmask_b32_e32 v3, v7, v3, vcc_lo
	v_and_b32_e32 v7, 7, v3
	v_lshrrev_b32_e32 v3, 2, v3
	v_cmp_lt_i32_e32 vcc_lo, 5, v7
	v_cndmask_b32_e64 v8, 0, 1, vcc_lo
	v_cmp_eq_u32_e32 vcc_lo, 3, v7
	v_cndmask_b32_e64 v7, 0, 1, vcc_lo
	v_cmp_ne_u32_e32 vcc_lo, 0, v2
	v_or_b32_e32 v7, v7, v8
	v_mov_b32_e32 v8, 0x7e00
	v_add_nc_u32_e32 v3, v3, v7
	v_cndmask_b32_e32 v2, 0x7c00, v8, vcc_lo
	v_cmp_gt_i32_e32 vcc_lo, 31, v6
	v_cndmask_b32_e32 v3, 0x7c00, v3, vcc_lo
	v_cmp_eq_u32_e32 vcc_lo, 0x40f, v6
	v_cndmask_b32_e32 v2, v3, v2, vcc_lo
	v_lshrrev_b32_e32 v3, 16, v1
	v_and_or_b32 v2, 0x8000, v3, v2
	global_store_short v[4:5], v2, off
.LBB132_494:
	s_mov_b32 s7, 0
.LBB132_495:
	s_andn2_b32 vcc_lo, exec_lo, s7
	s_cbranch_vccnz .LBB132_511
; %bb.496:
	s_sext_i32_i16 s8, s5
	s_mov_b32 s7, -1
	s_cmp_lt_i32 s8, 2
	s_cbranch_scc1 .LBB132_506
; %bb.497:
	s_cmp_lt_i32 s8, 3
	s_cbranch_scc1 .LBB132_503
; %bb.498:
	s_cmp_gt_i32 s8, 3
	s_cbranch_scc0 .LBB132_500
; %bb.499:
	v_trunc_f64_e32 v[2:3], v[0:1]
	s_mov_b32 s7, 0
	v_ldexp_f64 v[6:7], v[2:3], 0xffffffe0
	v_floor_f64_e32 v[6:7], v[6:7]
	v_fma_f64 v[2:3], 0xc1f00000, v[6:7], v[2:3]
	v_cvt_i32_f64_e32 v7, v[6:7]
	v_cvt_u32_f64_e32 v6, v[2:3]
	global_store_dwordx2 v[4:5], v[6:7], off
.LBB132_500:
	s_andn2_b32 vcc_lo, exec_lo, s7
	s_cbranch_vccnz .LBB132_502
; %bb.501:
	v_cvt_i32_f64_e32 v2, v[0:1]
	global_store_dword v[4:5], v2, off
.LBB132_502:
	s_mov_b32 s7, 0
.LBB132_503:
	s_andn2_b32 vcc_lo, exec_lo, s7
	s_cbranch_vccnz .LBB132_505
; %bb.504:
	v_cvt_i32_f64_e32 v2, v[0:1]
	global_store_short v[4:5], v2, off
.LBB132_505:
	s_mov_b32 s7, 0
.LBB132_506:
	s_andn2_b32 vcc_lo, exec_lo, s7
	s_cbranch_vccnz .LBB132_511
; %bb.507:
	s_sext_i32_i16 s5, s5
	s_cmp_gt_i32 s5, 0
	s_mov_b32 s5, -1
	s_cbranch_scc0 .LBB132_509
; %bb.508:
	v_cvt_i32_f64_e32 v2, v[0:1]
	s_mov_b32 s5, 0
	global_store_byte v[4:5], v2, off
.LBB132_509:
	s_andn2_b32 vcc_lo, exec_lo, s5
	s_cbranch_vccnz .LBB132_511
; %bb.510:
	v_trunc_f64_e32 v[0:1], v[0:1]
	v_ldexp_f64 v[2:3], v[0:1], 0xffffffe0
	v_floor_f64_e32 v[2:3], v[2:3]
	v_fma_f64 v[0:1], 0xc1f00000, v[2:3], v[0:1]
	v_cvt_u32_f64_e32 v0, v[0:1]
	global_store_byte v[4:5], v0, off
.LBB132_511:
	s_or_b32 exec_lo, exec_lo, s6
	s_and_b32 s27, s4, exec_lo
                                        ; implicit-def: $vgpr42
                                        ; implicit-def: $vgpr43
                                        ; implicit-def: $vgpr44
.LBB132_512:
	s_or_saveexec_b32 s26, s26
	s_mov_b32 s4, 0
                                        ; implicit-def: $sgpr5
                                        ; implicit-def: $vgpr4_vgpr5
                                        ; implicit-def: $vgpr0_vgpr1
	s_xor_b32 exec_lo, exec_lo, s26
	s_cbranch_execz .LBB132_945
; %bb.513:
	v_mov_b32_e32 v0, s22
	v_mov_b32_e32 v1, s23
	;; [unrolled: 1-line block ×5, first 2 shown]
	s_getpc_b64 s[28:29]
	s_add_u32 s28, s28, _ZN2at6native6invokeIZZZNS0_18lgamma_kernel_cudaERNS_18TensorIteratorBaseEENKUlvE_clEvENKUlvE_clEvEUldE_i15function_traitsIS6_EEENT1_11result_typeERKT_PrKPcPKT0_PKN3c1010ScalarTypeEi@rel32@lo+4
	s_addc_u32 s29, s29, _ZN2at6native6invokeIZZZNS0_18lgamma_kernel_cudaERNS_18TensorIteratorBaseEENKUlvE_clEvENKUlvE_clEvEUldE_i15function_traitsIS6_EEENT1_11result_typeERKT_PrKPcPKT0_PKN3c1010ScalarTypeEi@rel32@hi+12
	v_add_nc_u32_e32 v36, 0x80, v42
	v_add_nc_u32_e32 v37, 0x100, v42
	s_swappc_b64 s[30:31], s[28:29]
	v_mov_b32_e32 v40, v0
	v_mov_b32_e32 v41, v1
	v_mov_b32_e32 v0, s22
	v_mov_b32_e32 v1, s23
	v_mov_b32_e32 v2, s19
	v_mov_b32_e32 v3, v43
	v_mov_b32_e32 v4, v36
	s_swappc_b64 s[30:31], s[28:29]
	v_mov_b32_e32 v38, v0
	v_mov_b32_e32 v39, v1
	v_mov_b32_e32 v0, s22
	v_mov_b32_e32 v1, s23
	v_mov_b32_e32 v2, s19
	v_mov_b32_e32 v3, v43
	v_mov_b32_e32 v4, v37
	;; [unrolled: 8-line block ×3, first 2 shown]
	s_swappc_b64 s[30:31], s[28:29]
	v_mul_lo_u32 v4, s18, v42
	s_and_b32 s5, s24, 0xff
	s_cmp_lt_i32 s5, 11
	v_ashrrev_i32_e32 v3, 31, v4
	v_add_co_u32 v2, vcc_lo, s20, v4
	v_add_co_ci_u32_e64 v3, null, s21, v3, vcc_lo
	s_cbranch_scc1 .LBB132_592
; %bb.514:
	s_and_b32 s6, 0xffff, s5
	s_mov_b32 s9, -1
	s_mov_b32 s7, 0
	s_cmp_gt_i32 s6, 25
	s_mov_b32 s8, 0
	s_mov_b32 s4, 0
	s_cbranch_scc0 .LBB132_547
; %bb.515:
	s_cmp_gt_i32 s6, 28
	s_cbranch_scc0 .LBB132_530
; %bb.516:
	s_cmp_gt_i32 s6, 43
	;; [unrolled: 3-line block ×3, first 2 shown]
	s_cbranch_scc0 .LBB132_520
; %bb.518:
	s_mov_b32 s4, -1
	s_mov_b32 s9, 0
	s_cmp_eq_u32 s6, 46
	s_cbranch_scc0 .LBB132_520
; %bb.519:
	v_cvt_f32_f64_e32 v5, v[40:41]
	s_mov_b32 s4, 0
	s_mov_b32 s8, -1
	v_bfe_u32 v6, v5, 16, 1
	v_cmp_o_f32_e32 vcc_lo, v5, v5
	v_add3_u32 v5, v5, v6, 0x7fff
	v_mov_b32_e32 v6, 0x7fc0
	v_cndmask_b32_sdwa v5, v6, v5, vcc_lo dst_sel:DWORD dst_unused:UNUSED_PAD src0_sel:DWORD src1_sel:WORD_1
	global_store_dword v[2:3], v5, off
.LBB132_520:
	s_and_b32 vcc_lo, exec_lo, s9
	s_cbranch_vccz .LBB132_525
; %bb.521:
	s_cmp_eq_u32 s6, 44
	s_mov_b32 s4, -1
	s_cbranch_scc0 .LBB132_525
; %bb.522:
	v_cvt_f32_f64_e32 v5, v[40:41]
	v_mov_b32_e32 v6, 0xff
	s_mov_b32 s8, exec_lo
	v_bfe_u32 v7, v5, 23, 8
	v_cmpx_ne_u32_e32 0xff, v7
	s_cbranch_execz .LBB132_524
; %bb.523:
	v_and_b32_e32 v6, 0x400000, v5
	v_and_or_b32 v7, 0x3fffff, v5, v7
	v_lshrrev_b32_e32 v5, 23, v5
	v_cmp_ne_u32_e32 vcc_lo, 0, v6
	v_cmp_ne_u32_e64 s4, 0, v7
	s_and_b32 s4, vcc_lo, s4
	v_cndmask_b32_e64 v6, 0, 1, s4
	v_add_nc_u32_e32 v6, v5, v6
.LBB132_524:
	s_or_b32 exec_lo, exec_lo, s8
	s_mov_b32 s4, 0
	s_mov_b32 s8, -1
	global_store_byte v[2:3], v6, off
.LBB132_525:
	s_mov_b32 s9, 0
.LBB132_526:
	s_and_b32 vcc_lo, exec_lo, s9
	s_cbranch_vccz .LBB132_529
; %bb.527:
	s_cmp_eq_u32 s6, 29
	s_mov_b32 s4, -1
	s_cbranch_scc0 .LBB132_529
; %bb.528:
	v_trunc_f64_e32 v[5:6], v[40:41]
	s_mov_b32 s4, 0
	s_mov_b32 s8, -1
	v_ldexp_f64 v[7:8], v[5:6], 0xffffffe0
	v_floor_f64_e32 v[7:8], v[7:8]
	v_fma_f64 v[5:6], 0xc1f00000, v[7:8], v[5:6]
	v_cvt_u32_f64_e32 v7, v[7:8]
	v_cvt_u32_f64_e32 v6, v[5:6]
	global_store_dwordx2 v[2:3], v[6:7], off
.LBB132_529:
	s_mov_b32 s9, 0
.LBB132_530:
	s_and_b32 vcc_lo, exec_lo, s9
	s_cbranch_vccz .LBB132_546
; %bb.531:
	s_cmp_lt_i32 s6, 27
	s_mov_b32 s8, -1
	s_cbranch_scc1 .LBB132_537
; %bb.532:
	v_cvt_u32_f64_e32 v5, v[40:41]
	s_cmp_gt_i32 s6, 27
	s_cbranch_scc0 .LBB132_534
; %bb.533:
	s_mov_b32 s8, 0
	global_store_dword v[2:3], v5, off
.LBB132_534:
	s_andn2_b32 vcc_lo, exec_lo, s8
	s_cbranch_vccnz .LBB132_536
; %bb.535:
	global_store_short v[2:3], v5, off
.LBB132_536:
	s_mov_b32 s8, 0
.LBB132_537:
	s_andn2_b32 vcc_lo, exec_lo, s8
	s_cbranch_vccnz .LBB132_545
; %bb.538:
	v_cvt_f32_f64_e32 v5, v[40:41]
	v_mov_b32_e32 v7, 0x80
	s_mov_b32 s8, exec_lo
	v_and_b32_e32 v6, 0x7fffffff, v5
	v_cmpx_gt_u32_e32 0x43800000, v6
	s_cbranch_execz .LBB132_544
; %bb.539:
	v_cmp_lt_u32_e32 vcc_lo, 0x3bffffff, v6
	s_mov_b32 s9, 0
                                        ; implicit-def: $vgpr6
	s_and_saveexec_b32 s10, vcc_lo
	s_xor_b32 s10, exec_lo, s10
	s_cbranch_execz .LBB132_989
; %bb.540:
	v_bfe_u32 v6, v5, 20, 1
	s_mov_b32 s9, exec_lo
	v_add3_u32 v6, v5, v6, 0x487ffff
	v_lshrrev_b32_e32 v6, 20, v6
	s_andn2_saveexec_b32 s10, s10
	s_cbranch_execnz .LBB132_990
.LBB132_541:
	s_or_b32 exec_lo, exec_lo, s10
	v_mov_b32_e32 v7, 0
	s_and_saveexec_b32 s10, s9
.LBB132_542:
	v_lshrrev_b32_e32 v5, 24, v5
	v_and_or_b32 v7, 0x80, v5, v6
.LBB132_543:
	s_or_b32 exec_lo, exec_lo, s10
.LBB132_544:
	s_or_b32 exec_lo, exec_lo, s8
	global_store_byte v[2:3], v7, off
.LBB132_545:
	s_mov_b32 s8, -1
.LBB132_546:
	s_mov_b32 s9, 0
.LBB132_547:
	s_and_b32 vcc_lo, exec_lo, s9
	s_cbranch_vccz .LBB132_587
; %bb.548:
	s_cmp_gt_i32 s6, 22
	s_mov_b32 s7, -1
	s_cbranch_scc0 .LBB132_580
; %bb.549:
	s_cmp_lt_i32 s6, 24
	s_cbranch_scc1 .LBB132_569
; %bb.550:
	s_cmp_gt_i32 s6, 24
	s_cbranch_scc0 .LBB132_558
; %bb.551:
	v_cvt_f32_f64_e32 v5, v[40:41]
	v_mov_b32_e32 v7, 0x80
	s_mov_b32 s7, exec_lo
	v_and_b32_e32 v6, 0x7fffffff, v5
	v_cmpx_gt_u32_e32 0x47800000, v6
	s_cbranch_execz .LBB132_557
; %bb.552:
	v_cmp_lt_u32_e32 vcc_lo, 0x37ffffff, v6
	s_mov_b32 s8, 0
                                        ; implicit-def: $vgpr6
	s_and_saveexec_b32 s9, vcc_lo
	s_xor_b32 s9, exec_lo, s9
	s_cbranch_execz .LBB132_992
; %bb.553:
	v_bfe_u32 v6, v5, 21, 1
	s_mov_b32 s8, exec_lo
	v_add3_u32 v6, v5, v6, 0x88fffff
	v_lshrrev_b32_e32 v6, 21, v6
	s_andn2_saveexec_b32 s9, s9
	s_cbranch_execnz .LBB132_993
.LBB132_554:
	s_or_b32 exec_lo, exec_lo, s9
	v_mov_b32_e32 v7, 0
	s_and_saveexec_b32 s9, s8
.LBB132_555:
	v_lshrrev_b32_e32 v5, 24, v5
	v_and_or_b32 v7, 0x80, v5, v6
.LBB132_556:
	s_or_b32 exec_lo, exec_lo, s9
.LBB132_557:
	s_or_b32 exec_lo, exec_lo, s7
	s_mov_b32 s7, 0
	global_store_byte v[2:3], v7, off
.LBB132_558:
	s_and_b32 vcc_lo, exec_lo, s7
	s_cbranch_vccz .LBB132_568
; %bb.559:
	v_cvt_f32_f64_e32 v5, v[40:41]
	s_mov_b32 s7, exec_lo
                                        ; implicit-def: $vgpr6
	v_and_b32_e32 v7, 0x7fffffff, v5
	v_cmpx_gt_u32_e32 0x43f00000, v7
	s_xor_b32 s7, exec_lo, s7
	s_cbranch_execz .LBB132_565
; %bb.560:
	s_mov_b32 s8, exec_lo
                                        ; implicit-def: $vgpr6
	v_cmpx_lt_u32_e32 0x3c7fffff, v7
	s_xor_b32 s8, exec_lo, s8
; %bb.561:
	v_bfe_u32 v6, v5, 20, 1
	v_add3_u32 v6, v5, v6, 0x407ffff
	v_and_b32_e32 v7, 0xff00000, v6
	v_lshrrev_b32_e32 v6, 20, v6
	v_cmp_ne_u32_e32 vcc_lo, 0x7f00000, v7
	v_cndmask_b32_e32 v6, 0x7e, v6, vcc_lo
; %bb.562:
	s_andn2_saveexec_b32 s8, s8
; %bb.563:
	v_add_f32_e64 v6, 0x46800000, |v5|
; %bb.564:
	s_or_b32 exec_lo, exec_lo, s8
                                        ; implicit-def: $vgpr7
.LBB132_565:
	s_andn2_saveexec_b32 s7, s7
; %bb.566:
	v_mov_b32_e32 v6, 0x7f
	v_cmp_lt_u32_e32 vcc_lo, 0x7f800000, v7
	v_cndmask_b32_e32 v6, 0x7e, v6, vcc_lo
; %bb.567:
	s_or_b32 exec_lo, exec_lo, s7
	v_lshrrev_b32_e32 v5, 24, v5
	v_and_or_b32 v5, 0x80, v5, v6
	global_store_byte v[2:3], v5, off
.LBB132_568:
	s_mov_b32 s7, 0
.LBB132_569:
	s_andn2_b32 vcc_lo, exec_lo, s7
	s_cbranch_vccnz .LBB132_579
; %bb.570:
	v_cvt_f32_f64_e32 v5, v[40:41]
	s_mov_b32 s7, exec_lo
                                        ; implicit-def: $vgpr6
	v_and_b32_e32 v7, 0x7fffffff, v5
	v_cmpx_gt_u32_e32 0x47800000, v7
	s_xor_b32 s7, exec_lo, s7
	s_cbranch_execz .LBB132_576
; %bb.571:
	s_mov_b32 s8, exec_lo
                                        ; implicit-def: $vgpr6
	v_cmpx_lt_u32_e32 0x387fffff, v7
	s_xor_b32 s8, exec_lo, s8
; %bb.572:
	v_bfe_u32 v6, v5, 21, 1
	v_add3_u32 v6, v5, v6, 0x80fffff
	v_lshrrev_b32_e32 v6, 21, v6
; %bb.573:
	s_andn2_saveexec_b32 s8, s8
; %bb.574:
	v_add_f32_e64 v6, 0x43000000, |v5|
; %bb.575:
	s_or_b32 exec_lo, exec_lo, s8
                                        ; implicit-def: $vgpr7
.LBB132_576:
	s_andn2_saveexec_b32 s7, s7
; %bb.577:
	v_mov_b32_e32 v6, 0x7f
	v_cmp_lt_u32_e32 vcc_lo, 0x7f800000, v7
	v_cndmask_b32_e32 v6, 0x7c, v6, vcc_lo
; %bb.578:
	s_or_b32 exec_lo, exec_lo, s7
	v_lshrrev_b32_e32 v5, 24, v5
	v_and_or_b32 v5, 0x80, v5, v6
	global_store_byte v[2:3], v5, off
.LBB132_579:
	s_mov_b32 s7, 0
	s_mov_b32 s8, -1
.LBB132_580:
	s_andn2_b32 vcc_lo, exec_lo, s7
	s_mov_b32 s7, 0
	s_cbranch_vccnz .LBB132_587
; %bb.581:
	s_cmp_gt_i32 s6, 14
	s_mov_b32 s7, -1
	s_cbranch_scc0 .LBB132_585
; %bb.582:
	s_cmp_eq_u32 s6, 15
	s_mov_b32 s4, -1
	s_cbranch_scc0 .LBB132_584
; %bb.583:
	v_cvt_f32_f64_e32 v5, v[40:41]
	s_mov_b32 s4, 0
	s_mov_b32 s8, -1
	v_bfe_u32 v6, v5, 16, 1
	v_cmp_o_f32_e32 vcc_lo, v5, v5
	v_add3_u32 v5, v5, v6, 0x7fff
	v_mov_b32_e32 v6, 0x7fc0
	v_cndmask_b32_sdwa v5, v6, v5, vcc_lo dst_sel:DWORD dst_unused:UNUSED_PAD src0_sel:DWORD src1_sel:WORD_1
	global_store_short v[2:3], v5, off
.LBB132_584:
	s_mov_b32 s7, 0
.LBB132_585:
	s_and_b32 vcc_lo, exec_lo, s7
	s_mov_b32 s7, 0
	s_cbranch_vccz .LBB132_587
; %bb.586:
	s_cmp_lg_u32 s6, 11
	s_mov_b32 s7, -1
	s_cselect_b32 s4, -1, 0
.LBB132_587:
	s_and_b32 vcc_lo, exec_lo, s4
	s_mov_b32 s6, s27
	s_cbranch_vccnz .LBB132_991
; %bb.588:
	s_andn2_b32 vcc_lo, exec_lo, s7
	s_cbranch_vccnz .LBB132_590
.LBB132_589:
	v_cmp_neq_f64_e32 vcc_lo, 0, v[40:41]
	s_mov_b32 s8, -1
	v_cndmask_b32_e64 v5, 0, 1, vcc_lo
	global_store_byte v[2:3], v5, off
.LBB132_590:
.LBB132_591:
	s_andn2_b32 vcc_lo, exec_lo, s8
	s_cbranch_vccz .LBB132_631
	s_branch .LBB132_943
.LBB132_592:
	s_mov_b32 s8, 0
	s_mov_b32 s6, s27
	s_cbranch_execz .LBB132_591
; %bb.593:
	s_and_b32 s4, 0xffff, s5
	s_mov_b32 s7, -1
	s_cmp_lt_i32 s4, 5
	s_cbranch_scc1 .LBB132_614
; %bb.594:
	s_cmp_lt_i32 s4, 8
	s_cbranch_scc1 .LBB132_604
; %bb.595:
	;; [unrolled: 3-line block ×3, first 2 shown]
	s_cmp_gt_i32 s4, 9
	s_cbranch_scc0 .LBB132_598
; %bb.597:
	v_mov_b32_e32 v42, 0
	s_mov_b32 s7, 0
	v_mov_b32_e32 v43, v42
	global_store_dwordx4 v[2:3], v[40:43], off
.LBB132_598:
	s_andn2_b32 vcc_lo, exec_lo, s7
	s_cbranch_vccnz .LBB132_600
; %bb.599:
	v_cvt_f32_f64_e32 v5, v[40:41]
	v_mov_b32_e32 v6, 0
	global_store_dwordx2 v[2:3], v[5:6], off
.LBB132_600:
	s_mov_b32 s7, 0
.LBB132_601:
	s_andn2_b32 vcc_lo, exec_lo, s7
	s_cbranch_vccnz .LBB132_603
; %bb.602:
	v_and_or_b32 v5, 0x1ff, v41, v40
	v_lshrrev_b32_e32 v6, 8, v41
	v_bfe_u32 v7, v41, 20, 11
	v_cmp_ne_u32_e32 vcc_lo, 0, v5
	v_sub_nc_u32_e32 v8, 0x3f1, v7
	v_add_nc_u32_e32 v7, 0xfffffc10, v7
	v_cndmask_b32_e64 v5, 0, 1, vcc_lo
	v_and_or_b32 v5, 0xffe, v6, v5
	v_med3_i32 v6, v8, 0, 13
	v_or_b32_e32 v8, 0x1000, v5
	v_lshrrev_b32_e32 v9, v6, v8
	v_lshlrev_b32_e32 v6, v6, v9
	v_cmp_ne_u32_e32 vcc_lo, v6, v8
	v_lshl_or_b32 v8, v7, 12, v5
	v_cndmask_b32_e64 v6, 0, 1, vcc_lo
	v_cmp_gt_i32_e32 vcc_lo, 1, v7
	v_or_b32_e32 v6, v9, v6
	v_cndmask_b32_e32 v6, v8, v6, vcc_lo
	v_and_b32_e32 v8, 7, v6
	v_lshrrev_b32_e32 v6, 2, v6
	v_cmp_lt_i32_e32 vcc_lo, 5, v8
	v_cndmask_b32_e64 v9, 0, 1, vcc_lo
	v_cmp_eq_u32_e32 vcc_lo, 3, v8
	v_cndmask_b32_e64 v8, 0, 1, vcc_lo
	v_cmp_ne_u32_e32 vcc_lo, 0, v5
	v_or_b32_e32 v8, v8, v9
	v_mov_b32_e32 v9, 0x7e00
	v_add_nc_u32_e32 v6, v6, v8
	v_cndmask_b32_e32 v5, 0x7c00, v9, vcc_lo
	v_cmp_gt_i32_e32 vcc_lo, 31, v7
	v_cndmask_b32_e32 v6, 0x7c00, v6, vcc_lo
	v_cmp_eq_u32_e32 vcc_lo, 0x40f, v7
	v_cndmask_b32_e32 v5, v6, v5, vcc_lo
	v_lshrrev_b32_e32 v6, 16, v41
	v_and_or_b32 v5, 0x8000, v6, v5
	v_and_b32_e32 v5, 0xffff, v5
	global_store_dword v[2:3], v5, off
.LBB132_603:
	s_mov_b32 s7, 0
.LBB132_604:
	s_andn2_b32 vcc_lo, exec_lo, s7
	s_cbranch_vccnz .LBB132_613
; %bb.605:
	s_cmp_lt_i32 s4, 6
	s_mov_b32 s7, -1
	s_cbranch_scc1 .LBB132_611
; %bb.606:
	s_cmp_gt_i32 s4, 6
	s_cbranch_scc0 .LBB132_608
; %bb.607:
	s_mov_b32 s7, 0
	global_store_dwordx2 v[2:3], v[40:41], off
.LBB132_608:
	s_andn2_b32 vcc_lo, exec_lo, s7
	s_cbranch_vccnz .LBB132_610
; %bb.609:
	v_cvt_f32_f64_e32 v5, v[40:41]
	global_store_dword v[2:3], v5, off
.LBB132_610:
	s_mov_b32 s7, 0
.LBB132_611:
	s_andn2_b32 vcc_lo, exec_lo, s7
	s_cbranch_vccnz .LBB132_613
; %bb.612:
	v_and_or_b32 v5, 0x1ff, v41, v40
	v_lshrrev_b32_e32 v6, 8, v41
	v_bfe_u32 v7, v41, 20, 11
	v_cmp_ne_u32_e32 vcc_lo, 0, v5
	v_sub_nc_u32_e32 v8, 0x3f1, v7
	v_add_nc_u32_e32 v7, 0xfffffc10, v7
	v_cndmask_b32_e64 v5, 0, 1, vcc_lo
	v_and_or_b32 v5, 0xffe, v6, v5
	v_med3_i32 v6, v8, 0, 13
	v_or_b32_e32 v8, 0x1000, v5
	v_lshrrev_b32_e32 v9, v6, v8
	v_lshlrev_b32_e32 v6, v6, v9
	v_cmp_ne_u32_e32 vcc_lo, v6, v8
	v_lshl_or_b32 v8, v7, 12, v5
	v_cndmask_b32_e64 v6, 0, 1, vcc_lo
	v_cmp_gt_i32_e32 vcc_lo, 1, v7
	v_or_b32_e32 v6, v9, v6
	v_cndmask_b32_e32 v6, v8, v6, vcc_lo
	v_and_b32_e32 v8, 7, v6
	v_lshrrev_b32_e32 v6, 2, v6
	v_cmp_lt_i32_e32 vcc_lo, 5, v8
	v_cndmask_b32_e64 v9, 0, 1, vcc_lo
	v_cmp_eq_u32_e32 vcc_lo, 3, v8
	v_cndmask_b32_e64 v8, 0, 1, vcc_lo
	v_cmp_ne_u32_e32 vcc_lo, 0, v5
	v_or_b32_e32 v8, v8, v9
	v_mov_b32_e32 v9, 0x7e00
	v_add_nc_u32_e32 v6, v6, v8
	v_cndmask_b32_e32 v5, 0x7c00, v9, vcc_lo
	v_cmp_gt_i32_e32 vcc_lo, 31, v7
	v_cndmask_b32_e32 v6, 0x7c00, v6, vcc_lo
	v_cmp_eq_u32_e32 vcc_lo, 0x40f, v7
	v_cndmask_b32_e32 v5, v6, v5, vcc_lo
	v_lshrrev_b32_e32 v6, 16, v41
	v_and_or_b32 v5, 0x8000, v6, v5
	global_store_short v[2:3], v5, off
.LBB132_613:
	s_mov_b32 s7, 0
.LBB132_614:
	s_andn2_b32 vcc_lo, exec_lo, s7
	s_cbranch_vccnz .LBB132_630
; %bb.615:
	s_cmp_lt_i32 s4, 2
	s_mov_b32 s7, -1
	s_cbranch_scc1 .LBB132_625
; %bb.616:
	s_cmp_lt_i32 s4, 3
	s_cbranch_scc1 .LBB132_622
; %bb.617:
	s_cmp_gt_i32 s4, 3
	s_cbranch_scc0 .LBB132_619
; %bb.618:
	v_trunc_f64_e32 v[5:6], v[40:41]
	s_mov_b32 s7, 0
	v_ldexp_f64 v[7:8], v[5:6], 0xffffffe0
	v_floor_f64_e32 v[7:8], v[7:8]
	v_fma_f64 v[5:6], 0xc1f00000, v[7:8], v[5:6]
	v_cvt_i32_f64_e32 v7, v[7:8]
	v_cvt_u32_f64_e32 v6, v[5:6]
	global_store_dwordx2 v[2:3], v[6:7], off
.LBB132_619:
	s_andn2_b32 vcc_lo, exec_lo, s7
	s_cbranch_vccnz .LBB132_621
; %bb.620:
	v_cvt_i32_f64_e32 v5, v[40:41]
	global_store_dword v[2:3], v5, off
.LBB132_621:
	s_mov_b32 s7, 0
.LBB132_622:
	s_andn2_b32 vcc_lo, exec_lo, s7
	s_cbranch_vccnz .LBB132_624
; %bb.623:
	v_cvt_i32_f64_e32 v5, v[40:41]
	global_store_short v[2:3], v5, off
.LBB132_624:
	s_mov_b32 s7, 0
.LBB132_625:
	s_andn2_b32 vcc_lo, exec_lo, s7
	s_cbranch_vccnz .LBB132_630
; %bb.626:
	s_cmp_gt_i32 s4, 0
	s_mov_b32 s4, -1
	s_cbranch_scc0 .LBB132_628
; %bb.627:
	v_cvt_i32_f64_e32 v5, v[40:41]
	s_mov_b32 s4, 0
	global_store_byte v[2:3], v5, off
.LBB132_628:
	s_andn2_b32 vcc_lo, exec_lo, s4
	s_cbranch_vccnz .LBB132_630
; %bb.629:
	v_trunc_f64_e32 v[5:6], v[40:41]
	v_ldexp_f64 v[7:8], v[5:6], 0xffffffe0
	v_floor_f64_e32 v[7:8], v[7:8]
	v_fma_f64 v[5:6], 0xc1f00000, v[7:8], v[5:6]
	v_cvt_u32_f64_e32 v5, v[5:6]
	global_store_byte v[2:3], v5, off
.LBB132_630:
.LBB132_631:
	s_lshl_b32 s7, s18, 7
	s_cmp_lt_i32 s5, 11
	v_add_nc_u32_e32 v4, s7, v4
	v_ashrrev_i32_e32 v3, 31, v4
	v_add_co_u32 v2, vcc_lo, s20, v4
	v_add_co_ci_u32_e64 v3, null, s21, v3, vcc_lo
	s_cbranch_scc1 .LBB132_710
; %bb.632:
	s_and_b32 s8, 0xffff, s5
	s_mov_b32 s11, -1
	s_mov_b32 s9, 0
	s_cmp_gt_i32 s8, 25
	s_mov_b32 s10, 0
	s_mov_b32 s4, 0
	s_cbranch_scc0 .LBB132_665
; %bb.633:
	s_cmp_gt_i32 s8, 28
	s_cbranch_scc0 .LBB132_648
; %bb.634:
	s_cmp_gt_i32 s8, 43
	;; [unrolled: 3-line block ×3, first 2 shown]
	s_cbranch_scc0 .LBB132_638
; %bb.636:
	s_mov_b32 s4, -1
	s_mov_b32 s11, 0
	s_cmp_eq_u32 s8, 46
	s_cbranch_scc0 .LBB132_638
; %bb.637:
	v_cvt_f32_f64_e32 v5, v[38:39]
	s_mov_b32 s4, 0
	s_mov_b32 s10, -1
	v_bfe_u32 v6, v5, 16, 1
	v_cmp_o_f32_e32 vcc_lo, v5, v5
	v_add3_u32 v5, v5, v6, 0x7fff
	v_mov_b32_e32 v6, 0x7fc0
	v_cndmask_b32_sdwa v5, v6, v5, vcc_lo dst_sel:DWORD dst_unused:UNUSED_PAD src0_sel:DWORD src1_sel:WORD_1
	global_store_dword v[2:3], v5, off
.LBB132_638:
	s_and_b32 vcc_lo, exec_lo, s11
	s_cbranch_vccz .LBB132_643
; %bb.639:
	s_cmp_eq_u32 s8, 44
	s_mov_b32 s4, -1
	s_cbranch_scc0 .LBB132_643
; %bb.640:
	v_cvt_f32_f64_e32 v5, v[38:39]
	v_mov_b32_e32 v6, 0xff
	s_mov_b32 s10, exec_lo
	v_bfe_u32 v7, v5, 23, 8
	v_cmpx_ne_u32_e32 0xff, v7
	s_cbranch_execz .LBB132_642
; %bb.641:
	v_and_b32_e32 v6, 0x400000, v5
	v_and_or_b32 v7, 0x3fffff, v5, v7
	v_lshrrev_b32_e32 v5, 23, v5
	v_cmp_ne_u32_e32 vcc_lo, 0, v6
	v_cmp_ne_u32_e64 s4, 0, v7
	s_and_b32 s4, vcc_lo, s4
	v_cndmask_b32_e64 v6, 0, 1, s4
	v_add_nc_u32_e32 v6, v5, v6
.LBB132_642:
	s_or_b32 exec_lo, exec_lo, s10
	s_mov_b32 s4, 0
	s_mov_b32 s10, -1
	global_store_byte v[2:3], v6, off
.LBB132_643:
	s_mov_b32 s11, 0
.LBB132_644:
	s_and_b32 vcc_lo, exec_lo, s11
	s_cbranch_vccz .LBB132_647
; %bb.645:
	s_cmp_eq_u32 s8, 29
	s_mov_b32 s4, -1
	s_cbranch_scc0 .LBB132_647
; %bb.646:
	v_trunc_f64_e32 v[5:6], v[38:39]
	s_mov_b32 s4, 0
	s_mov_b32 s10, -1
	v_ldexp_f64 v[7:8], v[5:6], 0xffffffe0
	v_floor_f64_e32 v[7:8], v[7:8]
	v_fma_f64 v[5:6], 0xc1f00000, v[7:8], v[5:6]
	v_cvt_u32_f64_e32 v7, v[7:8]
	v_cvt_u32_f64_e32 v6, v[5:6]
	global_store_dwordx2 v[2:3], v[6:7], off
.LBB132_647:
	s_mov_b32 s11, 0
.LBB132_648:
	s_and_b32 vcc_lo, exec_lo, s11
	s_cbranch_vccz .LBB132_664
; %bb.649:
	s_cmp_lt_i32 s8, 27
	s_mov_b32 s10, -1
	s_cbranch_scc1 .LBB132_655
; %bb.650:
	v_cvt_u32_f64_e32 v5, v[38:39]
	s_cmp_gt_i32 s8, 27
	s_cbranch_scc0 .LBB132_652
; %bb.651:
	s_mov_b32 s10, 0
	global_store_dword v[2:3], v5, off
.LBB132_652:
	s_andn2_b32 vcc_lo, exec_lo, s10
	s_cbranch_vccnz .LBB132_654
; %bb.653:
	global_store_short v[2:3], v5, off
.LBB132_654:
	s_mov_b32 s10, 0
.LBB132_655:
	s_andn2_b32 vcc_lo, exec_lo, s10
	s_cbranch_vccnz .LBB132_663
; %bb.656:
	v_cvt_f32_f64_e32 v5, v[38:39]
	v_mov_b32_e32 v7, 0x80
	s_mov_b32 s10, exec_lo
	v_and_b32_e32 v6, 0x7fffffff, v5
	v_cmpx_gt_u32_e32 0x43800000, v6
	s_cbranch_execz .LBB132_662
; %bb.657:
	v_cmp_lt_u32_e32 vcc_lo, 0x3bffffff, v6
	s_mov_b32 s11, 0
                                        ; implicit-def: $vgpr6
	s_and_saveexec_b32 s12, vcc_lo
	s_xor_b32 s12, exec_lo, s12
	s_cbranch_execz .LBB132_994
; %bb.658:
	v_bfe_u32 v6, v5, 20, 1
	s_mov_b32 s11, exec_lo
	v_add3_u32 v6, v5, v6, 0x487ffff
	v_lshrrev_b32_e32 v6, 20, v6
	s_andn2_saveexec_b32 s12, s12
	s_cbranch_execnz .LBB132_995
.LBB132_659:
	s_or_b32 exec_lo, exec_lo, s12
	v_mov_b32_e32 v7, 0
	s_and_saveexec_b32 s12, s11
.LBB132_660:
	v_lshrrev_b32_e32 v5, 24, v5
	v_and_or_b32 v7, 0x80, v5, v6
.LBB132_661:
	s_or_b32 exec_lo, exec_lo, s12
.LBB132_662:
	s_or_b32 exec_lo, exec_lo, s10
	global_store_byte v[2:3], v7, off
.LBB132_663:
	s_mov_b32 s10, -1
.LBB132_664:
	s_mov_b32 s11, 0
.LBB132_665:
	s_and_b32 vcc_lo, exec_lo, s11
	s_cbranch_vccz .LBB132_705
; %bb.666:
	s_cmp_gt_i32 s8, 22
	s_mov_b32 s9, -1
	s_cbranch_scc0 .LBB132_698
; %bb.667:
	s_cmp_lt_i32 s8, 24
	s_cbranch_scc1 .LBB132_687
; %bb.668:
	s_cmp_gt_i32 s8, 24
	s_cbranch_scc0 .LBB132_676
; %bb.669:
	v_cvt_f32_f64_e32 v5, v[38:39]
	v_mov_b32_e32 v7, 0x80
	s_mov_b32 s9, exec_lo
	v_and_b32_e32 v6, 0x7fffffff, v5
	v_cmpx_gt_u32_e32 0x47800000, v6
	s_cbranch_execz .LBB132_675
; %bb.670:
	v_cmp_lt_u32_e32 vcc_lo, 0x37ffffff, v6
	s_mov_b32 s10, 0
                                        ; implicit-def: $vgpr6
	s_and_saveexec_b32 s11, vcc_lo
	s_xor_b32 s11, exec_lo, s11
	s_cbranch_execz .LBB132_997
; %bb.671:
	v_bfe_u32 v6, v5, 21, 1
	s_mov_b32 s10, exec_lo
	v_add3_u32 v6, v5, v6, 0x88fffff
	v_lshrrev_b32_e32 v6, 21, v6
	s_andn2_saveexec_b32 s11, s11
	s_cbranch_execnz .LBB132_998
.LBB132_672:
	s_or_b32 exec_lo, exec_lo, s11
	v_mov_b32_e32 v7, 0
	s_and_saveexec_b32 s11, s10
.LBB132_673:
	v_lshrrev_b32_e32 v5, 24, v5
	v_and_or_b32 v7, 0x80, v5, v6
.LBB132_674:
	s_or_b32 exec_lo, exec_lo, s11
.LBB132_675:
	s_or_b32 exec_lo, exec_lo, s9
	s_mov_b32 s9, 0
	global_store_byte v[2:3], v7, off
.LBB132_676:
	s_and_b32 vcc_lo, exec_lo, s9
	s_cbranch_vccz .LBB132_686
; %bb.677:
	v_cvt_f32_f64_e32 v5, v[38:39]
	s_mov_b32 s9, exec_lo
                                        ; implicit-def: $vgpr6
	v_and_b32_e32 v7, 0x7fffffff, v5
	v_cmpx_gt_u32_e32 0x43f00000, v7
	s_xor_b32 s9, exec_lo, s9
	s_cbranch_execz .LBB132_683
; %bb.678:
	s_mov_b32 s10, exec_lo
                                        ; implicit-def: $vgpr6
	v_cmpx_lt_u32_e32 0x3c7fffff, v7
	s_xor_b32 s10, exec_lo, s10
; %bb.679:
	v_bfe_u32 v6, v5, 20, 1
	v_add3_u32 v6, v5, v6, 0x407ffff
	v_and_b32_e32 v7, 0xff00000, v6
	v_lshrrev_b32_e32 v6, 20, v6
	v_cmp_ne_u32_e32 vcc_lo, 0x7f00000, v7
	v_cndmask_b32_e32 v6, 0x7e, v6, vcc_lo
; %bb.680:
	s_andn2_saveexec_b32 s10, s10
; %bb.681:
	v_add_f32_e64 v6, 0x46800000, |v5|
; %bb.682:
	s_or_b32 exec_lo, exec_lo, s10
                                        ; implicit-def: $vgpr7
.LBB132_683:
	s_andn2_saveexec_b32 s9, s9
; %bb.684:
	v_mov_b32_e32 v6, 0x7f
	v_cmp_lt_u32_e32 vcc_lo, 0x7f800000, v7
	v_cndmask_b32_e32 v6, 0x7e, v6, vcc_lo
; %bb.685:
	s_or_b32 exec_lo, exec_lo, s9
	v_lshrrev_b32_e32 v5, 24, v5
	v_and_or_b32 v5, 0x80, v5, v6
	global_store_byte v[2:3], v5, off
.LBB132_686:
	s_mov_b32 s9, 0
.LBB132_687:
	s_andn2_b32 vcc_lo, exec_lo, s9
	s_cbranch_vccnz .LBB132_697
; %bb.688:
	v_cvt_f32_f64_e32 v5, v[38:39]
	s_mov_b32 s9, exec_lo
                                        ; implicit-def: $vgpr6
	v_and_b32_e32 v7, 0x7fffffff, v5
	v_cmpx_gt_u32_e32 0x47800000, v7
	s_xor_b32 s9, exec_lo, s9
	s_cbranch_execz .LBB132_694
; %bb.689:
	s_mov_b32 s10, exec_lo
                                        ; implicit-def: $vgpr6
	v_cmpx_lt_u32_e32 0x387fffff, v7
	s_xor_b32 s10, exec_lo, s10
; %bb.690:
	v_bfe_u32 v6, v5, 21, 1
	v_add3_u32 v6, v5, v6, 0x80fffff
	v_lshrrev_b32_e32 v6, 21, v6
; %bb.691:
	s_andn2_saveexec_b32 s10, s10
; %bb.692:
	v_add_f32_e64 v6, 0x43000000, |v5|
; %bb.693:
	s_or_b32 exec_lo, exec_lo, s10
                                        ; implicit-def: $vgpr7
.LBB132_694:
	s_andn2_saveexec_b32 s9, s9
; %bb.695:
	v_mov_b32_e32 v6, 0x7f
	v_cmp_lt_u32_e32 vcc_lo, 0x7f800000, v7
	v_cndmask_b32_e32 v6, 0x7c, v6, vcc_lo
; %bb.696:
	s_or_b32 exec_lo, exec_lo, s9
	v_lshrrev_b32_e32 v5, 24, v5
	v_and_or_b32 v5, 0x80, v5, v6
	global_store_byte v[2:3], v5, off
.LBB132_697:
	s_mov_b32 s9, 0
	s_mov_b32 s10, -1
.LBB132_698:
	s_andn2_b32 vcc_lo, exec_lo, s9
	s_mov_b32 s9, 0
	s_cbranch_vccnz .LBB132_705
; %bb.699:
	s_cmp_gt_i32 s8, 14
	s_mov_b32 s9, -1
	s_cbranch_scc0 .LBB132_703
; %bb.700:
	s_cmp_eq_u32 s8, 15
	s_mov_b32 s4, -1
	s_cbranch_scc0 .LBB132_702
; %bb.701:
	v_cvt_f32_f64_e32 v5, v[38:39]
	s_mov_b32 s4, 0
	s_mov_b32 s10, -1
	v_bfe_u32 v6, v5, 16, 1
	v_cmp_o_f32_e32 vcc_lo, v5, v5
	v_add3_u32 v5, v5, v6, 0x7fff
	v_mov_b32_e32 v6, 0x7fc0
	v_cndmask_b32_sdwa v5, v6, v5, vcc_lo dst_sel:DWORD dst_unused:UNUSED_PAD src0_sel:DWORD src1_sel:WORD_1
	global_store_short v[2:3], v5, off
.LBB132_702:
	s_mov_b32 s9, 0
.LBB132_703:
	s_and_b32 vcc_lo, exec_lo, s9
	s_mov_b32 s9, 0
	s_cbranch_vccz .LBB132_705
; %bb.704:
	s_cmp_lg_u32 s8, 11
	s_mov_b32 s9, -1
	s_cselect_b32 s4, -1, 0
.LBB132_705:
	s_and_b32 vcc_lo, exec_lo, s4
	s_cbranch_vccnz .LBB132_996
; %bb.706:
	s_andn2_b32 vcc_lo, exec_lo, s9
	s_cbranch_vccnz .LBB132_708
.LBB132_707:
	v_cmp_neq_f64_e32 vcc_lo, 0, v[38:39]
	s_mov_b32 s10, -1
	v_cndmask_b32_e64 v5, 0, 1, vcc_lo
	global_store_byte v[2:3], v5, off
.LBB132_708:
.LBB132_709:
	s_andn2_b32 vcc_lo, exec_lo, s10
	s_cbranch_vccz .LBB132_749
	s_branch .LBB132_943
.LBB132_710:
	s_mov_b32 s10, 0
	s_cbranch_execz .LBB132_709
; %bb.711:
	s_and_b32 s4, 0xffff, s5
	s_mov_b32 s8, -1
	s_cmp_lt_i32 s4, 5
	s_cbranch_scc1 .LBB132_732
; %bb.712:
	s_cmp_lt_i32 s4, 8
	s_cbranch_scc1 .LBB132_722
; %bb.713:
	;; [unrolled: 3-line block ×3, first 2 shown]
	s_cmp_gt_i32 s4, 9
	s_cbranch_scc0 .LBB132_716
; %bb.715:
	v_mov_b32_e32 v40, 0
	s_mov_b32 s8, 0
	v_mov_b32_e32 v41, v40
	global_store_dwordx4 v[2:3], v[38:41], off
.LBB132_716:
	s_andn2_b32 vcc_lo, exec_lo, s8
	s_cbranch_vccnz .LBB132_718
; %bb.717:
	v_cvt_f32_f64_e32 v5, v[38:39]
	v_mov_b32_e32 v6, 0
	global_store_dwordx2 v[2:3], v[5:6], off
.LBB132_718:
	s_mov_b32 s8, 0
.LBB132_719:
	s_andn2_b32 vcc_lo, exec_lo, s8
	s_cbranch_vccnz .LBB132_721
; %bb.720:
	v_and_or_b32 v5, 0x1ff, v39, v38
	v_lshrrev_b32_e32 v6, 8, v39
	v_bfe_u32 v7, v39, 20, 11
	v_cmp_ne_u32_e32 vcc_lo, 0, v5
	v_sub_nc_u32_e32 v8, 0x3f1, v7
	v_add_nc_u32_e32 v7, 0xfffffc10, v7
	v_cndmask_b32_e64 v5, 0, 1, vcc_lo
	v_and_or_b32 v5, 0xffe, v6, v5
	v_med3_i32 v6, v8, 0, 13
	v_or_b32_e32 v8, 0x1000, v5
	v_lshrrev_b32_e32 v9, v6, v8
	v_lshlrev_b32_e32 v6, v6, v9
	v_cmp_ne_u32_e32 vcc_lo, v6, v8
	v_lshl_or_b32 v8, v7, 12, v5
	v_cndmask_b32_e64 v6, 0, 1, vcc_lo
	v_cmp_gt_i32_e32 vcc_lo, 1, v7
	v_or_b32_e32 v6, v9, v6
	v_cndmask_b32_e32 v6, v8, v6, vcc_lo
	v_and_b32_e32 v8, 7, v6
	v_lshrrev_b32_e32 v6, 2, v6
	v_cmp_lt_i32_e32 vcc_lo, 5, v8
	v_cndmask_b32_e64 v9, 0, 1, vcc_lo
	v_cmp_eq_u32_e32 vcc_lo, 3, v8
	v_cndmask_b32_e64 v8, 0, 1, vcc_lo
	v_cmp_ne_u32_e32 vcc_lo, 0, v5
	v_or_b32_e32 v8, v8, v9
	v_mov_b32_e32 v9, 0x7e00
	v_add_nc_u32_e32 v6, v6, v8
	v_cndmask_b32_e32 v5, 0x7c00, v9, vcc_lo
	v_cmp_gt_i32_e32 vcc_lo, 31, v7
	v_cndmask_b32_e32 v6, 0x7c00, v6, vcc_lo
	v_cmp_eq_u32_e32 vcc_lo, 0x40f, v7
	v_cndmask_b32_e32 v5, v6, v5, vcc_lo
	v_lshrrev_b32_e32 v6, 16, v39
	v_and_or_b32 v5, 0x8000, v6, v5
	v_and_b32_e32 v5, 0xffff, v5
	global_store_dword v[2:3], v5, off
.LBB132_721:
	s_mov_b32 s8, 0
.LBB132_722:
	s_andn2_b32 vcc_lo, exec_lo, s8
	s_cbranch_vccnz .LBB132_731
; %bb.723:
	s_cmp_lt_i32 s4, 6
	s_mov_b32 s8, -1
	s_cbranch_scc1 .LBB132_729
; %bb.724:
	s_cmp_gt_i32 s4, 6
	s_cbranch_scc0 .LBB132_726
; %bb.725:
	s_mov_b32 s8, 0
	global_store_dwordx2 v[2:3], v[38:39], off
.LBB132_726:
	s_andn2_b32 vcc_lo, exec_lo, s8
	s_cbranch_vccnz .LBB132_728
; %bb.727:
	v_cvt_f32_f64_e32 v5, v[38:39]
	global_store_dword v[2:3], v5, off
.LBB132_728:
	s_mov_b32 s8, 0
.LBB132_729:
	s_andn2_b32 vcc_lo, exec_lo, s8
	s_cbranch_vccnz .LBB132_731
; %bb.730:
	v_and_or_b32 v5, 0x1ff, v39, v38
	v_lshrrev_b32_e32 v6, 8, v39
	v_bfe_u32 v7, v39, 20, 11
	v_cmp_ne_u32_e32 vcc_lo, 0, v5
	v_sub_nc_u32_e32 v8, 0x3f1, v7
	v_add_nc_u32_e32 v7, 0xfffffc10, v7
	v_cndmask_b32_e64 v5, 0, 1, vcc_lo
	v_and_or_b32 v5, 0xffe, v6, v5
	v_med3_i32 v6, v8, 0, 13
	v_or_b32_e32 v8, 0x1000, v5
	v_lshrrev_b32_e32 v9, v6, v8
	v_lshlrev_b32_e32 v6, v6, v9
	v_cmp_ne_u32_e32 vcc_lo, v6, v8
	v_lshl_or_b32 v8, v7, 12, v5
	v_cndmask_b32_e64 v6, 0, 1, vcc_lo
	v_cmp_gt_i32_e32 vcc_lo, 1, v7
	v_or_b32_e32 v6, v9, v6
	v_cndmask_b32_e32 v6, v8, v6, vcc_lo
	v_and_b32_e32 v8, 7, v6
	v_lshrrev_b32_e32 v6, 2, v6
	v_cmp_lt_i32_e32 vcc_lo, 5, v8
	v_cndmask_b32_e64 v9, 0, 1, vcc_lo
	v_cmp_eq_u32_e32 vcc_lo, 3, v8
	v_cndmask_b32_e64 v8, 0, 1, vcc_lo
	v_cmp_ne_u32_e32 vcc_lo, 0, v5
	v_or_b32_e32 v8, v8, v9
	v_mov_b32_e32 v9, 0x7e00
	v_add_nc_u32_e32 v6, v6, v8
	v_cndmask_b32_e32 v5, 0x7c00, v9, vcc_lo
	v_cmp_gt_i32_e32 vcc_lo, 31, v7
	v_cndmask_b32_e32 v6, 0x7c00, v6, vcc_lo
	v_cmp_eq_u32_e32 vcc_lo, 0x40f, v7
	v_cndmask_b32_e32 v5, v6, v5, vcc_lo
	v_lshrrev_b32_e32 v6, 16, v39
	v_and_or_b32 v5, 0x8000, v6, v5
	global_store_short v[2:3], v5, off
.LBB132_731:
	s_mov_b32 s8, 0
.LBB132_732:
	s_andn2_b32 vcc_lo, exec_lo, s8
	s_cbranch_vccnz .LBB132_748
; %bb.733:
	s_cmp_lt_i32 s4, 2
	s_mov_b32 s8, -1
	s_cbranch_scc1 .LBB132_743
; %bb.734:
	s_cmp_lt_i32 s4, 3
	s_cbranch_scc1 .LBB132_740
; %bb.735:
	s_cmp_gt_i32 s4, 3
	s_cbranch_scc0 .LBB132_737
; %bb.736:
	v_trunc_f64_e32 v[5:6], v[38:39]
	s_mov_b32 s8, 0
	v_ldexp_f64 v[7:8], v[5:6], 0xffffffe0
	v_floor_f64_e32 v[7:8], v[7:8]
	v_fma_f64 v[5:6], 0xc1f00000, v[7:8], v[5:6]
	v_cvt_i32_f64_e32 v7, v[7:8]
	v_cvt_u32_f64_e32 v6, v[5:6]
	global_store_dwordx2 v[2:3], v[6:7], off
.LBB132_737:
	s_andn2_b32 vcc_lo, exec_lo, s8
	s_cbranch_vccnz .LBB132_739
; %bb.738:
	v_cvt_i32_f64_e32 v5, v[38:39]
	global_store_dword v[2:3], v5, off
.LBB132_739:
	s_mov_b32 s8, 0
.LBB132_740:
	s_andn2_b32 vcc_lo, exec_lo, s8
	s_cbranch_vccnz .LBB132_742
; %bb.741:
	v_cvt_i32_f64_e32 v5, v[38:39]
	global_store_short v[2:3], v5, off
.LBB132_742:
	s_mov_b32 s8, 0
.LBB132_743:
	s_andn2_b32 vcc_lo, exec_lo, s8
	s_cbranch_vccnz .LBB132_748
; %bb.744:
	s_cmp_gt_i32 s4, 0
	s_mov_b32 s4, -1
	s_cbranch_scc0 .LBB132_746
; %bb.745:
	v_cvt_i32_f64_e32 v5, v[38:39]
	s_mov_b32 s4, 0
	global_store_byte v[2:3], v5, off
.LBB132_746:
	s_andn2_b32 vcc_lo, exec_lo, s4
	s_cbranch_vccnz .LBB132_748
; %bb.747:
	v_trunc_f64_e32 v[5:6], v[38:39]
	v_ldexp_f64 v[7:8], v[5:6], 0xffffffe0
	v_floor_f64_e32 v[7:8], v[7:8]
	v_fma_f64 v[5:6], 0xc1f00000, v[7:8], v[5:6]
	v_cvt_u32_f64_e32 v5, v[5:6]
	global_store_byte v[2:3], v5, off
.LBB132_748:
.LBB132_749:
	v_add_nc_u32_e32 v4, s7, v4
	s_cmp_lt_i32 s5, 11
	v_ashrrev_i32_e32 v3, 31, v4
	v_add_co_u32 v2, vcc_lo, s20, v4
	v_add_co_ci_u32_e64 v3, null, s21, v3, vcc_lo
	s_cbranch_scc1 .LBB132_904
; %bb.750:
	s_and_b32 s8, 0xffff, s5
	s_mov_b32 s11, -1
	s_mov_b32 s9, 0
	s_cmp_gt_i32 s8, 25
	s_mov_b32 s10, 0
	s_mov_b32 s4, 0
	s_cbranch_scc0 .LBB132_783
; %bb.751:
	s_cmp_gt_i32 s8, 28
	s_cbranch_scc0 .LBB132_766
; %bb.752:
	s_cmp_gt_i32 s8, 43
	;; [unrolled: 3-line block ×3, first 2 shown]
	s_cbranch_scc0 .LBB132_756
; %bb.754:
	s_mov_b32 s4, -1
	s_mov_b32 s11, 0
	s_cmp_eq_u32 s8, 46
	s_cbranch_scc0 .LBB132_756
; %bb.755:
	v_cvt_f32_f64_e32 v5, v[36:37]
	s_mov_b32 s4, 0
	s_mov_b32 s10, -1
	v_bfe_u32 v6, v5, 16, 1
	v_cmp_o_f32_e32 vcc_lo, v5, v5
	v_add3_u32 v5, v5, v6, 0x7fff
	v_mov_b32_e32 v6, 0x7fc0
	v_cndmask_b32_sdwa v5, v6, v5, vcc_lo dst_sel:DWORD dst_unused:UNUSED_PAD src0_sel:DWORD src1_sel:WORD_1
	global_store_dword v[2:3], v5, off
.LBB132_756:
	s_and_b32 vcc_lo, exec_lo, s11
	s_cbranch_vccz .LBB132_761
; %bb.757:
	s_cmp_eq_u32 s8, 44
	s_mov_b32 s4, -1
	s_cbranch_scc0 .LBB132_761
; %bb.758:
	v_cvt_f32_f64_e32 v5, v[36:37]
	v_mov_b32_e32 v6, 0xff
	s_mov_b32 s10, exec_lo
	v_bfe_u32 v7, v5, 23, 8
	v_cmpx_ne_u32_e32 0xff, v7
	s_cbranch_execz .LBB132_760
; %bb.759:
	v_and_b32_e32 v6, 0x400000, v5
	v_and_or_b32 v7, 0x3fffff, v5, v7
	v_lshrrev_b32_e32 v5, 23, v5
	v_cmp_ne_u32_e32 vcc_lo, 0, v6
	v_cmp_ne_u32_e64 s4, 0, v7
	s_and_b32 s4, vcc_lo, s4
	v_cndmask_b32_e64 v6, 0, 1, s4
	v_add_nc_u32_e32 v6, v5, v6
.LBB132_760:
	s_or_b32 exec_lo, exec_lo, s10
	s_mov_b32 s4, 0
	s_mov_b32 s10, -1
	global_store_byte v[2:3], v6, off
.LBB132_761:
	s_mov_b32 s11, 0
.LBB132_762:
	s_and_b32 vcc_lo, exec_lo, s11
	s_cbranch_vccz .LBB132_765
; %bb.763:
	s_cmp_eq_u32 s8, 29
	s_mov_b32 s4, -1
	s_cbranch_scc0 .LBB132_765
; %bb.764:
	v_trunc_f64_e32 v[5:6], v[36:37]
	s_mov_b32 s4, 0
	s_mov_b32 s10, -1
	v_ldexp_f64 v[7:8], v[5:6], 0xffffffe0
	v_floor_f64_e32 v[7:8], v[7:8]
	v_fma_f64 v[5:6], 0xc1f00000, v[7:8], v[5:6]
	v_cvt_u32_f64_e32 v7, v[7:8]
	v_cvt_u32_f64_e32 v6, v[5:6]
	global_store_dwordx2 v[2:3], v[6:7], off
.LBB132_765:
	s_mov_b32 s11, 0
.LBB132_766:
	s_and_b32 vcc_lo, exec_lo, s11
	s_cbranch_vccz .LBB132_782
; %bb.767:
	s_cmp_lt_i32 s8, 27
	s_mov_b32 s10, -1
	s_cbranch_scc1 .LBB132_773
; %bb.768:
	v_cvt_u32_f64_e32 v5, v[36:37]
	s_cmp_gt_i32 s8, 27
	s_cbranch_scc0 .LBB132_770
; %bb.769:
	s_mov_b32 s10, 0
	global_store_dword v[2:3], v5, off
.LBB132_770:
	s_andn2_b32 vcc_lo, exec_lo, s10
	s_cbranch_vccnz .LBB132_772
; %bb.771:
	global_store_short v[2:3], v5, off
.LBB132_772:
	s_mov_b32 s10, 0
.LBB132_773:
	s_andn2_b32 vcc_lo, exec_lo, s10
	s_cbranch_vccnz .LBB132_781
; %bb.774:
	v_cvt_f32_f64_e32 v5, v[36:37]
	v_mov_b32_e32 v7, 0x80
	s_mov_b32 s10, exec_lo
	v_and_b32_e32 v6, 0x7fffffff, v5
	v_cmpx_gt_u32_e32 0x43800000, v6
	s_cbranch_execz .LBB132_780
; %bb.775:
	v_cmp_lt_u32_e32 vcc_lo, 0x3bffffff, v6
	s_mov_b32 s11, 0
                                        ; implicit-def: $vgpr6
	s_and_saveexec_b32 s12, vcc_lo
	s_xor_b32 s12, exec_lo, s12
	s_cbranch_execz .LBB132_999
; %bb.776:
	v_bfe_u32 v6, v5, 20, 1
	s_mov_b32 s11, exec_lo
	v_add3_u32 v6, v5, v6, 0x487ffff
	v_lshrrev_b32_e32 v6, 20, v6
	s_andn2_saveexec_b32 s12, s12
	s_cbranch_execnz .LBB132_1000
.LBB132_777:
	s_or_b32 exec_lo, exec_lo, s12
	v_mov_b32_e32 v7, 0
	s_and_saveexec_b32 s12, s11
.LBB132_778:
	v_lshrrev_b32_e32 v5, 24, v5
	v_and_or_b32 v7, 0x80, v5, v6
.LBB132_779:
	s_or_b32 exec_lo, exec_lo, s12
.LBB132_780:
	s_or_b32 exec_lo, exec_lo, s10
	global_store_byte v[2:3], v7, off
.LBB132_781:
	s_mov_b32 s10, -1
.LBB132_782:
	s_mov_b32 s11, 0
.LBB132_783:
	s_and_b32 vcc_lo, exec_lo, s11
	s_cbranch_vccz .LBB132_823
; %bb.784:
	s_cmp_gt_i32 s8, 22
	s_mov_b32 s9, -1
	s_cbranch_scc0 .LBB132_816
; %bb.785:
	s_cmp_lt_i32 s8, 24
	s_cbranch_scc1 .LBB132_805
; %bb.786:
	s_cmp_gt_i32 s8, 24
	s_cbranch_scc0 .LBB132_794
; %bb.787:
	v_cvt_f32_f64_e32 v5, v[36:37]
	v_mov_b32_e32 v7, 0x80
	s_mov_b32 s9, exec_lo
	v_and_b32_e32 v6, 0x7fffffff, v5
	v_cmpx_gt_u32_e32 0x47800000, v6
	s_cbranch_execz .LBB132_793
; %bb.788:
	v_cmp_lt_u32_e32 vcc_lo, 0x37ffffff, v6
	s_mov_b32 s10, 0
                                        ; implicit-def: $vgpr6
	s_and_saveexec_b32 s11, vcc_lo
	s_xor_b32 s11, exec_lo, s11
	s_cbranch_execz .LBB132_1002
; %bb.789:
	v_bfe_u32 v6, v5, 21, 1
	s_mov_b32 s10, exec_lo
	v_add3_u32 v6, v5, v6, 0x88fffff
	v_lshrrev_b32_e32 v6, 21, v6
	s_andn2_saveexec_b32 s11, s11
	s_cbranch_execnz .LBB132_1003
.LBB132_790:
	s_or_b32 exec_lo, exec_lo, s11
	v_mov_b32_e32 v7, 0
	s_and_saveexec_b32 s11, s10
.LBB132_791:
	v_lshrrev_b32_e32 v5, 24, v5
	v_and_or_b32 v7, 0x80, v5, v6
.LBB132_792:
	s_or_b32 exec_lo, exec_lo, s11
.LBB132_793:
	s_or_b32 exec_lo, exec_lo, s9
	s_mov_b32 s9, 0
	global_store_byte v[2:3], v7, off
.LBB132_794:
	s_and_b32 vcc_lo, exec_lo, s9
	s_cbranch_vccz .LBB132_804
; %bb.795:
	v_cvt_f32_f64_e32 v5, v[36:37]
	s_mov_b32 s9, exec_lo
                                        ; implicit-def: $vgpr6
	v_and_b32_e32 v7, 0x7fffffff, v5
	v_cmpx_gt_u32_e32 0x43f00000, v7
	s_xor_b32 s9, exec_lo, s9
	s_cbranch_execz .LBB132_801
; %bb.796:
	s_mov_b32 s10, exec_lo
                                        ; implicit-def: $vgpr6
	v_cmpx_lt_u32_e32 0x3c7fffff, v7
	s_xor_b32 s10, exec_lo, s10
; %bb.797:
	v_bfe_u32 v6, v5, 20, 1
	v_add3_u32 v6, v5, v6, 0x407ffff
	v_and_b32_e32 v7, 0xff00000, v6
	v_lshrrev_b32_e32 v6, 20, v6
	v_cmp_ne_u32_e32 vcc_lo, 0x7f00000, v7
	v_cndmask_b32_e32 v6, 0x7e, v6, vcc_lo
; %bb.798:
	s_andn2_saveexec_b32 s10, s10
; %bb.799:
	v_add_f32_e64 v6, 0x46800000, |v5|
; %bb.800:
	s_or_b32 exec_lo, exec_lo, s10
                                        ; implicit-def: $vgpr7
.LBB132_801:
	s_andn2_saveexec_b32 s9, s9
; %bb.802:
	v_mov_b32_e32 v6, 0x7f
	v_cmp_lt_u32_e32 vcc_lo, 0x7f800000, v7
	v_cndmask_b32_e32 v6, 0x7e, v6, vcc_lo
; %bb.803:
	s_or_b32 exec_lo, exec_lo, s9
	v_lshrrev_b32_e32 v5, 24, v5
	v_and_or_b32 v5, 0x80, v5, v6
	global_store_byte v[2:3], v5, off
.LBB132_804:
	s_mov_b32 s9, 0
.LBB132_805:
	s_andn2_b32 vcc_lo, exec_lo, s9
	s_cbranch_vccnz .LBB132_815
; %bb.806:
	v_cvt_f32_f64_e32 v5, v[36:37]
	s_mov_b32 s9, exec_lo
                                        ; implicit-def: $vgpr6
	v_and_b32_e32 v7, 0x7fffffff, v5
	v_cmpx_gt_u32_e32 0x47800000, v7
	s_xor_b32 s9, exec_lo, s9
	s_cbranch_execz .LBB132_812
; %bb.807:
	s_mov_b32 s10, exec_lo
                                        ; implicit-def: $vgpr6
	v_cmpx_lt_u32_e32 0x387fffff, v7
	s_xor_b32 s10, exec_lo, s10
; %bb.808:
	v_bfe_u32 v6, v5, 21, 1
	v_add3_u32 v6, v5, v6, 0x80fffff
	v_lshrrev_b32_e32 v6, 21, v6
; %bb.809:
	s_andn2_saveexec_b32 s10, s10
; %bb.810:
	v_add_f32_e64 v6, 0x43000000, |v5|
; %bb.811:
	s_or_b32 exec_lo, exec_lo, s10
                                        ; implicit-def: $vgpr7
.LBB132_812:
	s_andn2_saveexec_b32 s9, s9
; %bb.813:
	v_mov_b32_e32 v6, 0x7f
	v_cmp_lt_u32_e32 vcc_lo, 0x7f800000, v7
	v_cndmask_b32_e32 v6, 0x7c, v6, vcc_lo
; %bb.814:
	s_or_b32 exec_lo, exec_lo, s9
	v_lshrrev_b32_e32 v5, 24, v5
	v_and_or_b32 v5, 0x80, v5, v6
	global_store_byte v[2:3], v5, off
.LBB132_815:
	s_mov_b32 s9, 0
	s_mov_b32 s10, -1
.LBB132_816:
	s_andn2_b32 vcc_lo, exec_lo, s9
	s_mov_b32 s9, 0
	s_cbranch_vccnz .LBB132_823
; %bb.817:
	s_cmp_gt_i32 s8, 14
	s_mov_b32 s9, -1
	s_cbranch_scc0 .LBB132_821
; %bb.818:
	s_cmp_eq_u32 s8, 15
	s_mov_b32 s4, -1
	s_cbranch_scc0 .LBB132_820
; %bb.819:
	v_cvt_f32_f64_e32 v5, v[36:37]
	s_mov_b32 s4, 0
	s_mov_b32 s10, -1
	v_bfe_u32 v6, v5, 16, 1
	v_cmp_o_f32_e32 vcc_lo, v5, v5
	v_add3_u32 v5, v5, v6, 0x7fff
	v_mov_b32_e32 v6, 0x7fc0
	v_cndmask_b32_sdwa v5, v6, v5, vcc_lo dst_sel:DWORD dst_unused:UNUSED_PAD src0_sel:DWORD src1_sel:WORD_1
	global_store_short v[2:3], v5, off
.LBB132_820:
	s_mov_b32 s9, 0
.LBB132_821:
	s_and_b32 vcc_lo, exec_lo, s9
	s_mov_b32 s9, 0
	s_cbranch_vccz .LBB132_823
; %bb.822:
	s_cmp_lg_u32 s8, 11
	s_mov_b32 s9, -1
	s_cselect_b32 s4, -1, 0
.LBB132_823:
	s_and_b32 vcc_lo, exec_lo, s4
	s_cbranch_vccnz .LBB132_1001
; %bb.824:
	s_andn2_b32 vcc_lo, exec_lo, s9
	s_cbranch_vccnz .LBB132_826
.LBB132_825:
	v_cmp_neq_f64_e32 vcc_lo, 0, v[36:37]
	s_mov_b32 s10, -1
	v_cndmask_b32_e64 v5, 0, 1, vcc_lo
	global_store_byte v[2:3], v5, off
.LBB132_826:
.LBB132_827:
	s_andn2_b32 vcc_lo, exec_lo, s10
	s_cbranch_vccnz .LBB132_943
.LBB132_828:
	v_add_nc_u32_e32 v2, s7, v4
	s_cmp_lt_i32 s5, 11
	v_ashrrev_i32_e32 v3, 31, v2
	v_add_co_u32 v4, vcc_lo, s20, v2
	v_add_co_ci_u32_e64 v5, null, s21, v3, vcc_lo
	s_cbranch_scc1 .LBB132_988
; %bb.829:
	s_and_b32 s7, 0xffff, s5
	s_mov_b32 s9, -1
	s_mov_b32 s8, 0
	s_cmp_gt_i32 s7, 25
	s_mov_b32 s4, 0
	s_cbranch_scc0 .LBB132_862
; %bb.830:
	s_cmp_gt_i32 s7, 28
	s_cbranch_scc0 .LBB132_846
; %bb.831:
	s_cmp_gt_i32 s7, 43
	;; [unrolled: 3-line block ×3, first 2 shown]
	s_cbranch_scc0 .LBB132_836
; %bb.833:
	s_cmp_eq_u32 s7, 46
	s_mov_b32 s4, -1
	s_cbranch_scc0 .LBB132_835
; %bb.834:
	v_cvt_f32_f64_e32 v2, v[0:1]
	s_mov_b32 s4, 0
	v_bfe_u32 v3, v2, 16, 1
	v_cmp_o_f32_e32 vcc_lo, v2, v2
	v_add3_u32 v2, v2, v3, 0x7fff
	v_mov_b32_e32 v3, 0x7fc0
	v_cndmask_b32_sdwa v2, v3, v2, vcc_lo dst_sel:DWORD dst_unused:UNUSED_PAD src0_sel:DWORD src1_sel:WORD_1
	global_store_dword v[4:5], v2, off
.LBB132_835:
	s_mov_b32 s9, 0
.LBB132_836:
	s_and_b32 vcc_lo, exec_lo, s9
	s_cbranch_vccz .LBB132_841
; %bb.837:
	s_cmp_eq_u32 s7, 44
	s_mov_b32 s4, -1
	s_cbranch_scc0 .LBB132_841
; %bb.838:
	v_cvt_f32_f64_e32 v2, v[0:1]
	v_mov_b32_e32 v3, 0xff
	s_mov_b32 s9, exec_lo
	v_bfe_u32 v6, v2, 23, 8
	v_cmpx_ne_u32_e32 0xff, v6
	s_cbranch_execz .LBB132_840
; %bb.839:
	v_and_b32_e32 v3, 0x400000, v2
	v_and_or_b32 v6, 0x3fffff, v2, v6
	v_lshrrev_b32_e32 v2, 23, v2
	v_cmp_ne_u32_e32 vcc_lo, 0, v3
	v_cmp_ne_u32_e64 s4, 0, v6
	s_and_b32 s4, vcc_lo, s4
	v_cndmask_b32_e64 v3, 0, 1, s4
	v_add_nc_u32_e32 v3, v2, v3
.LBB132_840:
	s_or_b32 exec_lo, exec_lo, s9
	s_mov_b32 s4, 0
	global_store_byte v[4:5], v3, off
.LBB132_841:
	s_mov_b32 s9, 0
.LBB132_842:
	s_and_b32 vcc_lo, exec_lo, s9
	s_cbranch_vccz .LBB132_845
; %bb.843:
	s_cmp_eq_u32 s7, 29
	s_mov_b32 s4, -1
	s_cbranch_scc0 .LBB132_845
; %bb.844:
	v_trunc_f64_e32 v[2:3], v[0:1]
	s_mov_b32 s4, 0
	v_ldexp_f64 v[6:7], v[2:3], 0xffffffe0
	v_floor_f64_e32 v[6:7], v[6:7]
	v_fma_f64 v[2:3], 0xc1f00000, v[6:7], v[2:3]
	v_cvt_u32_f64_e32 v7, v[6:7]
	v_cvt_u32_f64_e32 v6, v[2:3]
	global_store_dwordx2 v[4:5], v[6:7], off
.LBB132_845:
	s_mov_b32 s9, 0
.LBB132_846:
	s_and_b32 vcc_lo, exec_lo, s9
	s_cbranch_vccz .LBB132_861
; %bb.847:
	s_cmp_lt_i32 s7, 27
	s_mov_b32 s9, -1
	s_cbranch_scc1 .LBB132_853
; %bb.848:
	v_cvt_u32_f64_e32 v2, v[0:1]
	s_cmp_gt_i32 s7, 27
	s_cbranch_scc0 .LBB132_850
; %bb.849:
	s_mov_b32 s9, 0
	global_store_dword v[4:5], v2, off
.LBB132_850:
	s_andn2_b32 vcc_lo, exec_lo, s9
	s_cbranch_vccnz .LBB132_852
; %bb.851:
	global_store_short v[4:5], v2, off
.LBB132_852:
	s_mov_b32 s9, 0
.LBB132_853:
	s_andn2_b32 vcc_lo, exec_lo, s9
	s_cbranch_vccnz .LBB132_861
; %bb.854:
	v_cvt_f32_f64_e32 v2, v[0:1]
	v_mov_b32_e32 v6, 0x80
	s_mov_b32 s9, exec_lo
	v_and_b32_e32 v3, 0x7fffffff, v2
	v_cmpx_gt_u32_e32 0x43800000, v3
	s_cbranch_execz .LBB132_860
; %bb.855:
	v_cmp_lt_u32_e32 vcc_lo, 0x3bffffff, v3
	s_mov_b32 s10, 0
                                        ; implicit-def: $vgpr3
	s_and_saveexec_b32 s11, vcc_lo
	s_xor_b32 s11, exec_lo, s11
	s_cbranch_execz .LBB132_1004
; %bb.856:
	v_bfe_u32 v3, v2, 20, 1
	s_mov_b32 s10, exec_lo
	v_add3_u32 v3, v2, v3, 0x487ffff
	v_lshrrev_b32_e32 v3, 20, v3
	s_andn2_saveexec_b32 s11, s11
	s_cbranch_execnz .LBB132_1005
.LBB132_857:
	s_or_b32 exec_lo, exec_lo, s11
	v_mov_b32_e32 v6, 0
	s_and_saveexec_b32 s11, s10
.LBB132_858:
	v_lshrrev_b32_e32 v2, 24, v2
	v_and_or_b32 v6, 0x80, v2, v3
.LBB132_859:
	s_or_b32 exec_lo, exec_lo, s11
.LBB132_860:
	s_or_b32 exec_lo, exec_lo, s9
	global_store_byte v[4:5], v6, off
.LBB132_861:
	s_mov_b32 s9, 0
.LBB132_862:
	s_and_b32 vcc_lo, exec_lo, s9
	s_cbranch_vccz .LBB132_902
; %bb.863:
	s_cmp_gt_i32 s7, 22
	s_mov_b32 s8, -1
	s_cbranch_scc0 .LBB132_895
; %bb.864:
	s_cmp_lt_i32 s7, 24
	s_cbranch_scc1 .LBB132_884
; %bb.865:
	s_cmp_gt_i32 s7, 24
	s_cbranch_scc0 .LBB132_873
; %bb.866:
	v_cvt_f32_f64_e32 v2, v[0:1]
	v_mov_b32_e32 v6, 0x80
	s_mov_b32 s8, exec_lo
	v_and_b32_e32 v3, 0x7fffffff, v2
	v_cmpx_gt_u32_e32 0x47800000, v3
	s_cbranch_execz .LBB132_872
; %bb.867:
	v_cmp_lt_u32_e32 vcc_lo, 0x37ffffff, v3
	s_mov_b32 s9, 0
                                        ; implicit-def: $vgpr3
	s_and_saveexec_b32 s10, vcc_lo
	s_xor_b32 s10, exec_lo, s10
	s_cbranch_execz .LBB132_1009
; %bb.868:
	v_bfe_u32 v3, v2, 21, 1
	s_mov_b32 s9, exec_lo
	v_add3_u32 v3, v2, v3, 0x88fffff
	v_lshrrev_b32_e32 v3, 21, v3
	s_andn2_saveexec_b32 s10, s10
	s_cbranch_execnz .LBB132_1010
.LBB132_869:
	s_or_b32 exec_lo, exec_lo, s10
	v_mov_b32_e32 v6, 0
	s_and_saveexec_b32 s10, s9
.LBB132_870:
	v_lshrrev_b32_e32 v2, 24, v2
	v_and_or_b32 v6, 0x80, v2, v3
.LBB132_871:
	s_or_b32 exec_lo, exec_lo, s10
.LBB132_872:
	s_or_b32 exec_lo, exec_lo, s8
	s_mov_b32 s8, 0
	global_store_byte v[4:5], v6, off
.LBB132_873:
	s_and_b32 vcc_lo, exec_lo, s8
	s_cbranch_vccz .LBB132_883
; %bb.874:
	v_cvt_f32_f64_e32 v2, v[0:1]
	s_mov_b32 s8, exec_lo
                                        ; implicit-def: $vgpr3
	v_and_b32_e32 v6, 0x7fffffff, v2
	v_cmpx_gt_u32_e32 0x43f00000, v6
	s_xor_b32 s8, exec_lo, s8
	s_cbranch_execz .LBB132_880
; %bb.875:
	s_mov_b32 s9, exec_lo
                                        ; implicit-def: $vgpr3
	v_cmpx_lt_u32_e32 0x3c7fffff, v6
	s_xor_b32 s9, exec_lo, s9
; %bb.876:
	v_bfe_u32 v3, v2, 20, 1
	v_add3_u32 v3, v2, v3, 0x407ffff
	v_and_b32_e32 v6, 0xff00000, v3
	v_lshrrev_b32_e32 v3, 20, v3
	v_cmp_ne_u32_e32 vcc_lo, 0x7f00000, v6
	v_cndmask_b32_e32 v3, 0x7e, v3, vcc_lo
; %bb.877:
	s_andn2_saveexec_b32 s9, s9
; %bb.878:
	v_add_f32_e64 v3, 0x46800000, |v2|
; %bb.879:
	s_or_b32 exec_lo, exec_lo, s9
                                        ; implicit-def: $vgpr6
.LBB132_880:
	s_andn2_saveexec_b32 s8, s8
; %bb.881:
	v_mov_b32_e32 v3, 0x7f
	v_cmp_lt_u32_e32 vcc_lo, 0x7f800000, v6
	v_cndmask_b32_e32 v3, 0x7e, v3, vcc_lo
; %bb.882:
	s_or_b32 exec_lo, exec_lo, s8
	v_lshrrev_b32_e32 v2, 24, v2
	v_and_or_b32 v2, 0x80, v2, v3
	global_store_byte v[4:5], v2, off
.LBB132_883:
	s_mov_b32 s8, 0
.LBB132_884:
	s_andn2_b32 vcc_lo, exec_lo, s8
	s_cbranch_vccnz .LBB132_894
; %bb.885:
	v_cvt_f32_f64_e32 v2, v[0:1]
	s_mov_b32 s8, exec_lo
                                        ; implicit-def: $vgpr3
	v_and_b32_e32 v6, 0x7fffffff, v2
	v_cmpx_gt_u32_e32 0x47800000, v6
	s_xor_b32 s8, exec_lo, s8
	s_cbranch_execz .LBB132_891
; %bb.886:
	s_mov_b32 s9, exec_lo
                                        ; implicit-def: $vgpr3
	v_cmpx_lt_u32_e32 0x387fffff, v6
	s_xor_b32 s9, exec_lo, s9
; %bb.887:
	v_bfe_u32 v3, v2, 21, 1
	v_add3_u32 v3, v2, v3, 0x80fffff
	v_lshrrev_b32_e32 v3, 21, v3
; %bb.888:
	s_andn2_saveexec_b32 s9, s9
; %bb.889:
	v_add_f32_e64 v3, 0x43000000, |v2|
; %bb.890:
	s_or_b32 exec_lo, exec_lo, s9
                                        ; implicit-def: $vgpr6
.LBB132_891:
	s_andn2_saveexec_b32 s8, s8
; %bb.892:
	v_mov_b32_e32 v3, 0x7f
	v_cmp_lt_u32_e32 vcc_lo, 0x7f800000, v6
	v_cndmask_b32_e32 v3, 0x7c, v3, vcc_lo
; %bb.893:
	s_or_b32 exec_lo, exec_lo, s8
	v_lshrrev_b32_e32 v2, 24, v2
	v_and_or_b32 v2, 0x80, v2, v3
	global_store_byte v[4:5], v2, off
.LBB132_894:
	s_mov_b32 s8, 0
.LBB132_895:
	s_andn2_b32 vcc_lo, exec_lo, s8
	s_mov_b32 s8, 0
	s_cbranch_vccnz .LBB132_902
; %bb.896:
	s_cmp_gt_i32 s7, 14
	s_mov_b32 s8, -1
	s_cbranch_scc0 .LBB132_900
; %bb.897:
	s_cmp_eq_u32 s7, 15
	s_mov_b32 s4, -1
	s_cbranch_scc0 .LBB132_899
; %bb.898:
	v_cvt_f32_f64_e32 v2, v[0:1]
	s_mov_b32 s4, 0
	v_bfe_u32 v3, v2, 16, 1
	v_cmp_o_f32_e32 vcc_lo, v2, v2
	v_add3_u32 v2, v2, v3, 0x7fff
	v_mov_b32_e32 v3, 0x7fc0
	v_cndmask_b32_sdwa v2, v3, v2, vcc_lo dst_sel:DWORD dst_unused:UNUSED_PAD src0_sel:DWORD src1_sel:WORD_1
	global_store_short v[4:5], v2, off
.LBB132_899:
	s_mov_b32 s8, 0
.LBB132_900:
	s_and_b32 vcc_lo, exec_lo, s8
	s_mov_b32 s8, 0
	s_cbranch_vccz .LBB132_902
; %bb.901:
	s_cmp_lg_u32 s7, 11
	s_mov_b32 s8, -1
	s_cselect_b32 s4, -1, 0
.LBB132_902:
	s_and_b32 vcc_lo, exec_lo, s4
	s_cbranch_vccnz .LBB132_1006
.LBB132_903:
	s_mov_b32 s4, 0
	s_branch .LBB132_944
.LBB132_904:
	s_mov_b32 s10, 0
	s_cbranch_execz .LBB132_827
; %bb.905:
	s_and_b32 s4, 0xffff, s5
	s_mov_b32 s8, -1
	s_cmp_lt_i32 s4, 5
	s_cbranch_scc1 .LBB132_926
; %bb.906:
	s_cmp_lt_i32 s4, 8
	s_cbranch_scc1 .LBB132_916
; %bb.907:
	;; [unrolled: 3-line block ×3, first 2 shown]
	s_cmp_gt_i32 s4, 9
	s_cbranch_scc0 .LBB132_910
; %bb.909:
	v_mov_b32_e32 v38, 0
	s_mov_b32 s8, 0
	v_mov_b32_e32 v39, v38
	global_store_dwordx4 v[2:3], v[36:39], off
.LBB132_910:
	s_andn2_b32 vcc_lo, exec_lo, s8
	s_cbranch_vccnz .LBB132_912
; %bb.911:
	v_cvt_f32_f64_e32 v5, v[36:37]
	v_mov_b32_e32 v6, 0
	global_store_dwordx2 v[2:3], v[5:6], off
.LBB132_912:
	s_mov_b32 s8, 0
.LBB132_913:
	s_andn2_b32 vcc_lo, exec_lo, s8
	s_cbranch_vccnz .LBB132_915
; %bb.914:
	v_and_or_b32 v5, 0x1ff, v37, v36
	v_lshrrev_b32_e32 v6, 8, v37
	v_bfe_u32 v7, v37, 20, 11
	v_cmp_ne_u32_e32 vcc_lo, 0, v5
	v_sub_nc_u32_e32 v8, 0x3f1, v7
	v_add_nc_u32_e32 v7, 0xfffffc10, v7
	v_cndmask_b32_e64 v5, 0, 1, vcc_lo
	v_and_or_b32 v5, 0xffe, v6, v5
	v_med3_i32 v6, v8, 0, 13
	v_or_b32_e32 v8, 0x1000, v5
	v_lshrrev_b32_e32 v9, v6, v8
	v_lshlrev_b32_e32 v6, v6, v9
	v_cmp_ne_u32_e32 vcc_lo, v6, v8
	v_lshl_or_b32 v8, v7, 12, v5
	v_cndmask_b32_e64 v6, 0, 1, vcc_lo
	v_cmp_gt_i32_e32 vcc_lo, 1, v7
	v_or_b32_e32 v6, v9, v6
	v_cndmask_b32_e32 v6, v8, v6, vcc_lo
	v_and_b32_e32 v8, 7, v6
	v_lshrrev_b32_e32 v6, 2, v6
	v_cmp_lt_i32_e32 vcc_lo, 5, v8
	v_cndmask_b32_e64 v9, 0, 1, vcc_lo
	v_cmp_eq_u32_e32 vcc_lo, 3, v8
	v_cndmask_b32_e64 v8, 0, 1, vcc_lo
	v_cmp_ne_u32_e32 vcc_lo, 0, v5
	v_or_b32_e32 v8, v8, v9
	v_mov_b32_e32 v9, 0x7e00
	v_add_nc_u32_e32 v6, v6, v8
	v_cndmask_b32_e32 v5, 0x7c00, v9, vcc_lo
	v_cmp_gt_i32_e32 vcc_lo, 31, v7
	v_cndmask_b32_e32 v6, 0x7c00, v6, vcc_lo
	v_cmp_eq_u32_e32 vcc_lo, 0x40f, v7
	v_cndmask_b32_e32 v5, v6, v5, vcc_lo
	v_lshrrev_b32_e32 v6, 16, v37
	v_and_or_b32 v5, 0x8000, v6, v5
	v_and_b32_e32 v5, 0xffff, v5
	global_store_dword v[2:3], v5, off
.LBB132_915:
	s_mov_b32 s8, 0
.LBB132_916:
	s_andn2_b32 vcc_lo, exec_lo, s8
	s_cbranch_vccnz .LBB132_925
; %bb.917:
	s_cmp_lt_i32 s4, 6
	s_mov_b32 s8, -1
	s_cbranch_scc1 .LBB132_923
; %bb.918:
	s_cmp_gt_i32 s4, 6
	s_cbranch_scc0 .LBB132_920
; %bb.919:
	s_mov_b32 s8, 0
	global_store_dwordx2 v[2:3], v[36:37], off
.LBB132_920:
	s_andn2_b32 vcc_lo, exec_lo, s8
	s_cbranch_vccnz .LBB132_922
; %bb.921:
	v_cvt_f32_f64_e32 v5, v[36:37]
	global_store_dword v[2:3], v5, off
.LBB132_922:
	s_mov_b32 s8, 0
.LBB132_923:
	s_andn2_b32 vcc_lo, exec_lo, s8
	s_cbranch_vccnz .LBB132_925
; %bb.924:
	v_and_or_b32 v5, 0x1ff, v37, v36
	v_lshrrev_b32_e32 v6, 8, v37
	v_bfe_u32 v7, v37, 20, 11
	v_cmp_ne_u32_e32 vcc_lo, 0, v5
	v_sub_nc_u32_e32 v8, 0x3f1, v7
	v_add_nc_u32_e32 v7, 0xfffffc10, v7
	v_cndmask_b32_e64 v5, 0, 1, vcc_lo
	v_and_or_b32 v5, 0xffe, v6, v5
	v_med3_i32 v6, v8, 0, 13
	v_or_b32_e32 v8, 0x1000, v5
	v_lshrrev_b32_e32 v9, v6, v8
	v_lshlrev_b32_e32 v6, v6, v9
	v_cmp_ne_u32_e32 vcc_lo, v6, v8
	v_lshl_or_b32 v8, v7, 12, v5
	v_cndmask_b32_e64 v6, 0, 1, vcc_lo
	v_cmp_gt_i32_e32 vcc_lo, 1, v7
	v_or_b32_e32 v6, v9, v6
	v_cndmask_b32_e32 v6, v8, v6, vcc_lo
	v_and_b32_e32 v8, 7, v6
	v_lshrrev_b32_e32 v6, 2, v6
	v_cmp_lt_i32_e32 vcc_lo, 5, v8
	v_cndmask_b32_e64 v9, 0, 1, vcc_lo
	v_cmp_eq_u32_e32 vcc_lo, 3, v8
	v_cndmask_b32_e64 v8, 0, 1, vcc_lo
	v_cmp_ne_u32_e32 vcc_lo, 0, v5
	v_or_b32_e32 v8, v8, v9
	v_mov_b32_e32 v9, 0x7e00
	v_add_nc_u32_e32 v6, v6, v8
	v_cndmask_b32_e32 v5, 0x7c00, v9, vcc_lo
	v_cmp_gt_i32_e32 vcc_lo, 31, v7
	v_cndmask_b32_e32 v6, 0x7c00, v6, vcc_lo
	v_cmp_eq_u32_e32 vcc_lo, 0x40f, v7
	v_cndmask_b32_e32 v5, v6, v5, vcc_lo
	v_lshrrev_b32_e32 v6, 16, v37
	v_and_or_b32 v5, 0x8000, v6, v5
	global_store_short v[2:3], v5, off
.LBB132_925:
	s_mov_b32 s8, 0
.LBB132_926:
	s_andn2_b32 vcc_lo, exec_lo, s8
	s_cbranch_vccnz .LBB132_942
; %bb.927:
	s_cmp_lt_i32 s4, 2
	s_mov_b32 s8, -1
	s_cbranch_scc1 .LBB132_937
; %bb.928:
	s_cmp_lt_i32 s4, 3
	s_cbranch_scc1 .LBB132_934
; %bb.929:
	s_cmp_gt_i32 s4, 3
	s_cbranch_scc0 .LBB132_931
; %bb.930:
	v_trunc_f64_e32 v[5:6], v[36:37]
	s_mov_b32 s8, 0
	v_ldexp_f64 v[7:8], v[5:6], 0xffffffe0
	v_floor_f64_e32 v[7:8], v[7:8]
	v_fma_f64 v[5:6], 0xc1f00000, v[7:8], v[5:6]
	v_cvt_i32_f64_e32 v7, v[7:8]
	v_cvt_u32_f64_e32 v6, v[5:6]
	global_store_dwordx2 v[2:3], v[6:7], off
.LBB132_931:
	s_andn2_b32 vcc_lo, exec_lo, s8
	s_cbranch_vccnz .LBB132_933
; %bb.932:
	v_cvt_i32_f64_e32 v5, v[36:37]
	global_store_dword v[2:3], v5, off
.LBB132_933:
	s_mov_b32 s8, 0
.LBB132_934:
	s_andn2_b32 vcc_lo, exec_lo, s8
	s_cbranch_vccnz .LBB132_936
; %bb.935:
	v_cvt_i32_f64_e32 v5, v[36:37]
	global_store_short v[2:3], v5, off
.LBB132_936:
	s_mov_b32 s8, 0
.LBB132_937:
	s_andn2_b32 vcc_lo, exec_lo, s8
	s_cbranch_vccnz .LBB132_942
; %bb.938:
	s_cmp_gt_i32 s4, 0
	s_mov_b32 s4, -1
	s_cbranch_scc0 .LBB132_940
; %bb.939:
	v_cvt_i32_f64_e32 v5, v[36:37]
	s_mov_b32 s4, 0
	global_store_byte v[2:3], v5, off
.LBB132_940:
	s_andn2_b32 vcc_lo, exec_lo, s4
	s_cbranch_vccnz .LBB132_942
; %bb.941:
	v_trunc_f64_e32 v[5:6], v[36:37]
	v_ldexp_f64 v[7:8], v[5:6], 0xffffffe0
	v_floor_f64_e32 v[7:8], v[7:8]
	v_fma_f64 v[5:6], 0xc1f00000, v[7:8], v[5:6]
	v_cvt_u32_f64_e32 v5, v[5:6]
	global_store_byte v[2:3], v5, off
.LBB132_942:
	s_branch .LBB132_828
.LBB132_943:
	s_mov_b32 s4, 0
	s_mov_b32 s8, 0
                                        ; implicit-def: $sgpr5
                                        ; implicit-def: $vgpr4_vgpr5
.LBB132_944:
	s_andn2_b32 s7, s27, exec_lo
	s_and_b32 s6, s6, exec_lo
	s_and_b32 s4, s4, exec_lo
	;; [unrolled: 1-line block ×3, first 2 shown]
	s_or_b32 s27, s7, s6
.LBB132_945:
	s_or_b32 exec_lo, exec_lo, s26
	s_and_saveexec_b32 s6, s27
	s_cbranch_execz .LBB132_948
; %bb.946:
	; divergent unreachable
	s_or_b32 exec_lo, exec_lo, s6
	s_and_saveexec_b32 s6, s25
	s_xor_b32 s6, exec_lo, s6
	s_cbranch_execnz .LBB132_949
.LBB132_947:
	s_or_b32 exec_lo, exec_lo, s6
	s_and_saveexec_b32 s6, s4
	s_cbranch_execnz .LBB132_950
	s_branch .LBB132_987
.LBB132_948:
	s_or_b32 exec_lo, exec_lo, s6
	s_and_saveexec_b32 s6, s25
	s_xor_b32 s6, exec_lo, s6
	s_cbranch_execz .LBB132_947
.LBB132_949:
	v_cmp_neq_f64_e32 vcc_lo, 0, v[0:1]
	v_cndmask_b32_e64 v2, 0, 1, vcc_lo
	global_store_byte v[4:5], v2, off
	s_or_b32 exec_lo, exec_lo, s6
	s_and_saveexec_b32 s6, s4
	s_cbranch_execz .LBB132_987
.LBB132_950:
	s_sext_i32_i16 s6, s5
	s_mov_b32 s4, -1
	s_cmp_lt_i32 s6, 5
	s_cbranch_scc1 .LBB132_971
; %bb.951:
	s_cmp_lt_i32 s6, 8
	s_cbranch_scc1 .LBB132_961
; %bb.952:
	;; [unrolled: 3-line block ×3, first 2 shown]
	s_cmp_gt_i32 s6, 9
	s_cbranch_scc0 .LBB132_955
; %bb.954:
	v_mov_b32_e32 v2, 0
	s_mov_b32 s4, 0
	v_mov_b32_e32 v3, v2
	global_store_dwordx4 v[4:5], v[0:3], off
.LBB132_955:
	s_andn2_b32 vcc_lo, exec_lo, s4
	s_cbranch_vccnz .LBB132_957
; %bb.956:
	v_cvt_f32_f64_e32 v2, v[0:1]
	v_mov_b32_e32 v3, 0
	global_store_dwordx2 v[4:5], v[2:3], off
.LBB132_957:
	s_mov_b32 s4, 0
.LBB132_958:
	s_andn2_b32 vcc_lo, exec_lo, s4
	s_cbranch_vccnz .LBB132_960
; %bb.959:
	v_and_or_b32 v2, 0x1ff, v1, v0
	v_lshrrev_b32_e32 v3, 8, v1
	v_bfe_u32 v6, v1, 20, 11
	v_cmp_ne_u32_e32 vcc_lo, 0, v2
	v_sub_nc_u32_e32 v7, 0x3f1, v6
	v_add_nc_u32_e32 v6, 0xfffffc10, v6
	v_cndmask_b32_e64 v2, 0, 1, vcc_lo
	v_and_or_b32 v2, 0xffe, v3, v2
	v_med3_i32 v3, v7, 0, 13
	v_or_b32_e32 v7, 0x1000, v2
	v_lshrrev_b32_e32 v8, v3, v7
	v_lshlrev_b32_e32 v3, v3, v8
	v_cmp_ne_u32_e32 vcc_lo, v3, v7
	v_lshl_or_b32 v7, v6, 12, v2
	v_cndmask_b32_e64 v3, 0, 1, vcc_lo
	v_cmp_gt_i32_e32 vcc_lo, 1, v6
	v_or_b32_e32 v3, v8, v3
	v_cndmask_b32_e32 v3, v7, v3, vcc_lo
	v_and_b32_e32 v7, 7, v3
	v_lshrrev_b32_e32 v3, 2, v3
	v_cmp_lt_i32_e32 vcc_lo, 5, v7
	v_cndmask_b32_e64 v8, 0, 1, vcc_lo
	v_cmp_eq_u32_e32 vcc_lo, 3, v7
	v_cndmask_b32_e64 v7, 0, 1, vcc_lo
	v_cmp_ne_u32_e32 vcc_lo, 0, v2
	v_or_b32_e32 v7, v7, v8
	v_mov_b32_e32 v8, 0x7e00
	v_add_nc_u32_e32 v3, v3, v7
	v_cndmask_b32_e32 v2, 0x7c00, v8, vcc_lo
	v_cmp_gt_i32_e32 vcc_lo, 31, v6
	v_cndmask_b32_e32 v3, 0x7c00, v3, vcc_lo
	v_cmp_eq_u32_e32 vcc_lo, 0x40f, v6
	v_cndmask_b32_e32 v2, v3, v2, vcc_lo
	v_lshrrev_b32_e32 v3, 16, v1
	v_and_or_b32 v2, 0x8000, v3, v2
	v_and_b32_e32 v2, 0xffff, v2
	global_store_dword v[4:5], v2, off
.LBB132_960:
	s_mov_b32 s4, 0
.LBB132_961:
	s_andn2_b32 vcc_lo, exec_lo, s4
	s_cbranch_vccnz .LBB132_970
; %bb.962:
	s_sext_i32_i16 s6, s5
	s_mov_b32 s4, -1
	s_cmp_lt_i32 s6, 6
	s_cbranch_scc1 .LBB132_968
; %bb.963:
	s_cmp_gt_i32 s6, 6
	s_cbranch_scc0 .LBB132_965
; %bb.964:
	s_mov_b32 s4, 0
	global_store_dwordx2 v[4:5], v[0:1], off
.LBB132_965:
	s_andn2_b32 vcc_lo, exec_lo, s4
	s_cbranch_vccnz .LBB132_967
; %bb.966:
	v_cvt_f32_f64_e32 v2, v[0:1]
	global_store_dword v[4:5], v2, off
.LBB132_967:
	s_mov_b32 s4, 0
.LBB132_968:
	s_andn2_b32 vcc_lo, exec_lo, s4
	s_cbranch_vccnz .LBB132_970
; %bb.969:
	v_and_or_b32 v2, 0x1ff, v1, v0
	v_lshrrev_b32_e32 v3, 8, v1
	v_bfe_u32 v6, v1, 20, 11
	v_cmp_ne_u32_e32 vcc_lo, 0, v2
	v_sub_nc_u32_e32 v7, 0x3f1, v6
	v_add_nc_u32_e32 v6, 0xfffffc10, v6
	v_cndmask_b32_e64 v2, 0, 1, vcc_lo
	v_and_or_b32 v2, 0xffe, v3, v2
	v_med3_i32 v3, v7, 0, 13
	v_or_b32_e32 v7, 0x1000, v2
	v_lshrrev_b32_e32 v8, v3, v7
	v_lshlrev_b32_e32 v3, v3, v8
	v_cmp_ne_u32_e32 vcc_lo, v3, v7
	v_lshl_or_b32 v7, v6, 12, v2
	v_cndmask_b32_e64 v3, 0, 1, vcc_lo
	v_cmp_gt_i32_e32 vcc_lo, 1, v6
	v_or_b32_e32 v3, v8, v3
	v_cndmask_b32_e32 v3, v7, v3, vcc_lo
	v_and_b32_e32 v7, 7, v3
	v_lshrrev_b32_e32 v3, 2, v3
	v_cmp_lt_i32_e32 vcc_lo, 5, v7
	v_cndmask_b32_e64 v8, 0, 1, vcc_lo
	v_cmp_eq_u32_e32 vcc_lo, 3, v7
	v_cndmask_b32_e64 v7, 0, 1, vcc_lo
	v_cmp_ne_u32_e32 vcc_lo, 0, v2
	v_or_b32_e32 v7, v7, v8
	v_mov_b32_e32 v8, 0x7e00
	v_add_nc_u32_e32 v3, v3, v7
	v_cndmask_b32_e32 v2, 0x7c00, v8, vcc_lo
	v_cmp_gt_i32_e32 vcc_lo, 31, v6
	v_cndmask_b32_e32 v3, 0x7c00, v3, vcc_lo
	v_cmp_eq_u32_e32 vcc_lo, 0x40f, v6
	v_cndmask_b32_e32 v2, v3, v2, vcc_lo
	v_lshrrev_b32_e32 v3, 16, v1
	v_and_or_b32 v2, 0x8000, v3, v2
	global_store_short v[4:5], v2, off
.LBB132_970:
	s_mov_b32 s4, 0
.LBB132_971:
	s_andn2_b32 vcc_lo, exec_lo, s4
	s_cbranch_vccnz .LBB132_987
; %bb.972:
	s_sext_i32_i16 s6, s5
	s_mov_b32 s4, -1
	s_cmp_lt_i32 s6, 2
	s_cbranch_scc1 .LBB132_982
; %bb.973:
	s_cmp_lt_i32 s6, 3
	s_cbranch_scc1 .LBB132_979
; %bb.974:
	s_cmp_gt_i32 s6, 3
	s_cbranch_scc0 .LBB132_976
; %bb.975:
	v_trunc_f64_e32 v[2:3], v[0:1]
	s_mov_b32 s4, 0
	v_ldexp_f64 v[6:7], v[2:3], 0xffffffe0
	v_floor_f64_e32 v[6:7], v[6:7]
	v_fma_f64 v[2:3], 0xc1f00000, v[6:7], v[2:3]
	v_cvt_i32_f64_e32 v7, v[6:7]
	v_cvt_u32_f64_e32 v6, v[2:3]
	global_store_dwordx2 v[4:5], v[6:7], off
.LBB132_976:
	s_andn2_b32 vcc_lo, exec_lo, s4
	s_cbranch_vccnz .LBB132_978
; %bb.977:
	v_cvt_i32_f64_e32 v2, v[0:1]
	global_store_dword v[4:5], v2, off
.LBB132_978:
	s_mov_b32 s4, 0
.LBB132_979:
	s_andn2_b32 vcc_lo, exec_lo, s4
	s_cbranch_vccnz .LBB132_981
; %bb.980:
	v_cvt_i32_f64_e32 v2, v[0:1]
	global_store_short v[4:5], v2, off
.LBB132_981:
	s_mov_b32 s4, 0
.LBB132_982:
	s_andn2_b32 vcc_lo, exec_lo, s4
	s_cbranch_vccnz .LBB132_987
; %bb.983:
	s_sext_i32_i16 s4, s5
	s_cmp_gt_i32 s4, 0
	s_mov_b32 s4, -1
	s_cbranch_scc0 .LBB132_985
; %bb.984:
	v_cvt_i32_f64_e32 v2, v[0:1]
	s_mov_b32 s4, 0
	global_store_byte v[4:5], v2, off
.LBB132_985:
	s_andn2_b32 vcc_lo, exec_lo, s4
	s_cbranch_vccnz .LBB132_987
; %bb.986:
	v_trunc_f64_e32 v[0:1], v[0:1]
	v_ldexp_f64 v[2:3], v[0:1], 0xffffffe0
	v_floor_f64_e32 v[2:3], v[2:3]
	v_fma_f64 v[0:1], 0xc1f00000, v[2:3], v[0:1]
	v_cvt_u32_f64_e32 v0, v[0:1]
	global_store_byte v[4:5], v0, off
	s_endpgm
.LBB132_987:
	s_endpgm
.LBB132_988:
	s_mov_b32 s8, 0
	s_mov_b32 s4, -1
	s_branch .LBB132_944
.LBB132_989:
	s_andn2_saveexec_b32 s10, s10
	s_cbranch_execz .LBB132_541
.LBB132_990:
	v_add_f32_e64 v6, 0x46000000, |v5|
	s_andn2_b32 s9, s9, exec_lo
	v_and_b32_e32 v6, 0xff, v6
	v_cmp_ne_u32_e32 vcc_lo, 0, v6
	s_and_b32 s11, vcc_lo, exec_lo
	s_or_b32 s9, s9, s11
	s_or_b32 exec_lo, exec_lo, s10
	v_mov_b32_e32 v7, 0
	s_and_saveexec_b32 s10, s9
	s_cbranch_execnz .LBB132_542
	s_branch .LBB132_543
.LBB132_991:
	s_or_b32 s6, s27, exec_lo
	s_trap 2
	s_cbranch_execz .LBB132_589
	s_branch .LBB132_590
.LBB132_992:
	s_andn2_saveexec_b32 s9, s9
	s_cbranch_execz .LBB132_554
.LBB132_993:
	v_add_f32_e64 v6, 0x42800000, |v5|
	s_andn2_b32 s8, s8, exec_lo
	v_and_b32_e32 v6, 0xff, v6
	v_cmp_ne_u32_e32 vcc_lo, 0, v6
	s_and_b32 s10, vcc_lo, exec_lo
	s_or_b32 s8, s8, s10
	s_or_b32 exec_lo, exec_lo, s9
	v_mov_b32_e32 v7, 0
	s_and_saveexec_b32 s9, s8
	s_cbranch_execnz .LBB132_555
	s_branch .LBB132_556
.LBB132_994:
	s_andn2_saveexec_b32 s12, s12
	s_cbranch_execz .LBB132_659
.LBB132_995:
	v_add_f32_e64 v6, 0x46000000, |v5|
	s_andn2_b32 s11, s11, exec_lo
	v_and_b32_e32 v6, 0xff, v6
	v_cmp_ne_u32_e32 vcc_lo, 0, v6
	s_and_b32 s13, vcc_lo, exec_lo
	s_or_b32 s11, s11, s13
	s_or_b32 exec_lo, exec_lo, s12
	v_mov_b32_e32 v7, 0
	s_and_saveexec_b32 s12, s11
	s_cbranch_execnz .LBB132_660
	s_branch .LBB132_661
.LBB132_996:
	s_or_b32 s6, s6, exec_lo
	s_trap 2
	s_cbranch_execz .LBB132_707
	s_branch .LBB132_708
.LBB132_997:
	s_andn2_saveexec_b32 s11, s11
	s_cbranch_execz .LBB132_672
.LBB132_998:
	v_add_f32_e64 v6, 0x42800000, |v5|
	s_andn2_b32 s10, s10, exec_lo
	v_and_b32_e32 v6, 0xff, v6
	v_cmp_ne_u32_e32 vcc_lo, 0, v6
	s_and_b32 s12, vcc_lo, exec_lo
	s_or_b32 s10, s10, s12
	s_or_b32 exec_lo, exec_lo, s11
	v_mov_b32_e32 v7, 0
	s_and_saveexec_b32 s11, s10
	s_cbranch_execnz .LBB132_673
	s_branch .LBB132_674
.LBB132_999:
	s_andn2_saveexec_b32 s12, s12
	s_cbranch_execz .LBB132_777
.LBB132_1000:
	v_add_f32_e64 v6, 0x46000000, |v5|
	s_andn2_b32 s11, s11, exec_lo
	v_and_b32_e32 v6, 0xff, v6
	v_cmp_ne_u32_e32 vcc_lo, 0, v6
	s_and_b32 s13, vcc_lo, exec_lo
	s_or_b32 s11, s11, s13
	s_or_b32 exec_lo, exec_lo, s12
	v_mov_b32_e32 v7, 0
	s_and_saveexec_b32 s12, s11
	s_cbranch_execnz .LBB132_778
	s_branch .LBB132_779
.LBB132_1001:
	s_or_b32 s6, s6, exec_lo
	s_trap 2
	s_cbranch_execz .LBB132_825
	s_branch .LBB132_826
.LBB132_1002:
	s_andn2_saveexec_b32 s11, s11
	s_cbranch_execz .LBB132_790
.LBB132_1003:
	v_add_f32_e64 v6, 0x42800000, |v5|
	s_andn2_b32 s10, s10, exec_lo
	v_and_b32_e32 v6, 0xff, v6
	v_cmp_ne_u32_e32 vcc_lo, 0, v6
	s_and_b32 s12, vcc_lo, exec_lo
	s_or_b32 s10, s10, s12
	s_or_b32 exec_lo, exec_lo, s11
	v_mov_b32_e32 v7, 0
	s_and_saveexec_b32 s11, s10
	s_cbranch_execnz .LBB132_791
	s_branch .LBB132_792
.LBB132_1004:
	s_andn2_saveexec_b32 s11, s11
	s_cbranch_execz .LBB132_857
.LBB132_1005:
	v_add_f32_e64 v3, 0x46000000, |v2|
	s_andn2_b32 s10, s10, exec_lo
	v_and_b32_e32 v3, 0xff, v3
	v_cmp_ne_u32_e32 vcc_lo, 0, v3
	s_and_b32 s12, vcc_lo, exec_lo
	s_or_b32 s10, s10, s12
	s_or_b32 exec_lo, exec_lo, s11
	v_mov_b32_e32 v6, 0
	s_and_saveexec_b32 s11, s10
	s_cbranch_execnz .LBB132_858
	s_branch .LBB132_859
.LBB132_1006:
	s_mov_b32 s8, 0
	s_or_b32 s6, s6, exec_lo
	s_trap 2
	s_branch .LBB132_903
.LBB132_1007:
	s_andn2_saveexec_b32 s9, s9
	s_cbranch_execz .LBB132_422
.LBB132_1008:
	v_add_f32_e64 v3, 0x46000000, |v2|
	s_andn2_b32 s8, s8, exec_lo
	v_and_b32_e32 v3, 0xff, v3
	v_cmp_ne_u32_e32 vcc_lo, 0, v3
	s_and_b32 s10, vcc_lo, exec_lo
	s_or_b32 s8, s8, s10
	s_or_b32 exec_lo, exec_lo, s9
	v_mov_b32_e32 v6, 0
	s_and_saveexec_b32 s9, s8
	s_cbranch_execnz .LBB132_423
	s_branch .LBB132_424
.LBB132_1009:
	s_andn2_saveexec_b32 s10, s10
	s_cbranch_execz .LBB132_869
.LBB132_1010:
	v_add_f32_e64 v3, 0x42800000, |v2|
	s_andn2_b32 s9, s9, exec_lo
	v_and_b32_e32 v3, 0xff, v3
	v_cmp_ne_u32_e32 vcc_lo, 0, v3
	s_and_b32 s11, vcc_lo, exec_lo
	s_or_b32 s9, s9, s11
	s_or_b32 exec_lo, exec_lo, s10
	v_mov_b32_e32 v6, 0
	s_and_saveexec_b32 s10, s9
	s_cbranch_execnz .LBB132_870
	s_branch .LBB132_871
.LBB132_1011:
	s_andn2_saveexec_b32 s10, s10
	s_cbranch_execz .LBB132_434
.LBB132_1012:
	v_add_f32_e64 v3, 0x42800000, |v2|
	s_andn2_b32 s9, s9, exec_lo
	v_and_b32_e32 v3, 0xff, v3
	v_cmp_ne_u32_e32 vcc_lo, 0, v3
	s_and_b32 s11, vcc_lo, exec_lo
	s_or_b32 s9, s9, s11
	s_or_b32 exec_lo, exec_lo, s10
	v_mov_b32_e32 v6, 0
	s_and_saveexec_b32 s10, s9
	s_cbranch_execnz .LBB132_435
	s_branch .LBB132_436
	.section	.rodata,"a",@progbits
	.p2align	6, 0x0
	.amdhsa_kernel _ZN2at6native32elementwise_kernel_manual_unrollILi128ELi4EZNS0_15gpu_kernel_implIZZZNS0_18lgamma_kernel_cudaERNS_18TensorIteratorBaseEENKUlvE_clEvENKUlvE_clEvEUldE_EEvS4_RKT_EUlibE_EEviT1_
		.amdhsa_group_segment_fixed_size 0
		.amdhsa_private_segment_fixed_size 0
		.amdhsa_kernarg_size 40
		.amdhsa_user_sgpr_count 6
		.amdhsa_user_sgpr_private_segment_buffer 1
		.amdhsa_user_sgpr_dispatch_ptr 0
		.amdhsa_user_sgpr_queue_ptr 0
		.amdhsa_user_sgpr_kernarg_segment_ptr 1
		.amdhsa_user_sgpr_dispatch_id 0
		.amdhsa_user_sgpr_flat_scratch_init 0
		.amdhsa_user_sgpr_private_segment_size 0
		.amdhsa_wavefront_size32 1
		.amdhsa_uses_dynamic_stack 0
		.amdhsa_system_sgpr_private_segment_wavefront_offset 0
		.amdhsa_system_sgpr_workgroup_id_x 1
		.amdhsa_system_sgpr_workgroup_id_y 0
		.amdhsa_system_sgpr_workgroup_id_z 0
		.amdhsa_system_sgpr_workgroup_info 0
		.amdhsa_system_vgpr_workitem_id 0
		.amdhsa_next_free_vgpr 45
		.amdhsa_next_free_sgpr 37
		.amdhsa_reserve_vcc 1
		.amdhsa_reserve_flat_scratch 0
		.amdhsa_float_round_mode_32 0
		.amdhsa_float_round_mode_16_64 0
		.amdhsa_float_denorm_mode_32 3
		.amdhsa_float_denorm_mode_16_64 3
		.amdhsa_dx10_clamp 1
		.amdhsa_ieee_mode 1
		.amdhsa_fp16_overflow 0
		.amdhsa_workgroup_processor_mode 1
		.amdhsa_memory_ordered 1
		.amdhsa_forward_progress 1
		.amdhsa_shared_vgpr_count 0
		.amdhsa_exception_fp_ieee_invalid_op 0
		.amdhsa_exception_fp_denorm_src 0
		.amdhsa_exception_fp_ieee_div_zero 0
		.amdhsa_exception_fp_ieee_overflow 0
		.amdhsa_exception_fp_ieee_underflow 0
		.amdhsa_exception_fp_ieee_inexact 0
		.amdhsa_exception_int_div_zero 0
	.end_amdhsa_kernel
	.section	.text._ZN2at6native32elementwise_kernel_manual_unrollILi128ELi4EZNS0_15gpu_kernel_implIZZZNS0_18lgamma_kernel_cudaERNS_18TensorIteratorBaseEENKUlvE_clEvENKUlvE_clEvEUldE_EEvS4_RKT_EUlibE_EEviT1_,"axG",@progbits,_ZN2at6native32elementwise_kernel_manual_unrollILi128ELi4EZNS0_15gpu_kernel_implIZZZNS0_18lgamma_kernel_cudaERNS_18TensorIteratorBaseEENKUlvE_clEvENKUlvE_clEvEUldE_EEvS4_RKT_EUlibE_EEviT1_,comdat
.Lfunc_end132:
	.size	_ZN2at6native32elementwise_kernel_manual_unrollILi128ELi4EZNS0_15gpu_kernel_implIZZZNS0_18lgamma_kernel_cudaERNS_18TensorIteratorBaseEENKUlvE_clEvENKUlvE_clEvEUldE_EEvS4_RKT_EUlibE_EEviT1_, .Lfunc_end132-_ZN2at6native32elementwise_kernel_manual_unrollILi128ELi4EZNS0_15gpu_kernel_implIZZZNS0_18lgamma_kernel_cudaERNS_18TensorIteratorBaseEENKUlvE_clEvENKUlvE_clEvEUldE_EEvS4_RKT_EUlibE_EEviT1_
                                        ; -- End function
	.set _ZN2at6native32elementwise_kernel_manual_unrollILi128ELi4EZNS0_15gpu_kernel_implIZZZNS0_18lgamma_kernel_cudaERNS_18TensorIteratorBaseEENKUlvE_clEvENKUlvE_clEvEUldE_EEvS4_RKT_EUlibE_EEviT1_.num_vgpr, max(45, .L_ZN2at6native6invokeIZZZNS0_18lgamma_kernel_cudaERNS_18TensorIteratorBaseEENKUlvE_clEvENKUlvE_clEvEUldE_i15function_traitsIS6_EEENT1_11result_typeERKT_PrKPcPKT0_PKN3c1010ScalarTypeEi.num_vgpr)
	.set _ZN2at6native32elementwise_kernel_manual_unrollILi128ELi4EZNS0_15gpu_kernel_implIZZZNS0_18lgamma_kernel_cudaERNS_18TensorIteratorBaseEENKUlvE_clEvENKUlvE_clEvEUldE_EEvS4_RKT_EUlibE_EEviT1_.num_agpr, max(0, .L_ZN2at6native6invokeIZZZNS0_18lgamma_kernel_cudaERNS_18TensorIteratorBaseEENKUlvE_clEvENKUlvE_clEvEUldE_i15function_traitsIS6_EEENT1_11result_typeERKT_PrKPcPKT0_PKN3c1010ScalarTypeEi.num_agpr)
	.set _ZN2at6native32elementwise_kernel_manual_unrollILi128ELi4EZNS0_15gpu_kernel_implIZZZNS0_18lgamma_kernel_cudaERNS_18TensorIteratorBaseEENKUlvE_clEvENKUlvE_clEvEUldE_EEvS4_RKT_EUlibE_EEviT1_.numbered_sgpr, max(37, .L_ZN2at6native6invokeIZZZNS0_18lgamma_kernel_cudaERNS_18TensorIteratorBaseEENKUlvE_clEvENKUlvE_clEvEUldE_i15function_traitsIS6_EEENT1_11result_typeERKT_PrKPcPKT0_PKN3c1010ScalarTypeEi.numbered_sgpr)
	.set _ZN2at6native32elementwise_kernel_manual_unrollILi128ELi4EZNS0_15gpu_kernel_implIZZZNS0_18lgamma_kernel_cudaERNS_18TensorIteratorBaseEENKUlvE_clEvENKUlvE_clEvEUldE_EEvS4_RKT_EUlibE_EEviT1_.num_named_barrier, max(0, .L_ZN2at6native6invokeIZZZNS0_18lgamma_kernel_cudaERNS_18TensorIteratorBaseEENKUlvE_clEvENKUlvE_clEvEUldE_i15function_traitsIS6_EEENT1_11result_typeERKT_PrKPcPKT0_PKN3c1010ScalarTypeEi.num_named_barrier)
	.set _ZN2at6native32elementwise_kernel_manual_unrollILi128ELi4EZNS0_15gpu_kernel_implIZZZNS0_18lgamma_kernel_cudaERNS_18TensorIteratorBaseEENKUlvE_clEvENKUlvE_clEvEUldE_EEvS4_RKT_EUlibE_EEviT1_.private_seg_size, 0+max(.L_ZN2at6native6invokeIZZZNS0_18lgamma_kernel_cudaERNS_18TensorIteratorBaseEENKUlvE_clEvENKUlvE_clEvEUldE_i15function_traitsIS6_EEENT1_11result_typeERKT_PrKPcPKT0_PKN3c1010ScalarTypeEi.private_seg_size)
	.set _ZN2at6native32elementwise_kernel_manual_unrollILi128ELi4EZNS0_15gpu_kernel_implIZZZNS0_18lgamma_kernel_cudaERNS_18TensorIteratorBaseEENKUlvE_clEvENKUlvE_clEvEUldE_EEvS4_RKT_EUlibE_EEviT1_.uses_vcc, or(1, .L_ZN2at6native6invokeIZZZNS0_18lgamma_kernel_cudaERNS_18TensorIteratorBaseEENKUlvE_clEvENKUlvE_clEvEUldE_i15function_traitsIS6_EEENT1_11result_typeERKT_PrKPcPKT0_PKN3c1010ScalarTypeEi.uses_vcc)
	.set _ZN2at6native32elementwise_kernel_manual_unrollILi128ELi4EZNS0_15gpu_kernel_implIZZZNS0_18lgamma_kernel_cudaERNS_18TensorIteratorBaseEENKUlvE_clEvENKUlvE_clEvEUldE_EEvS4_RKT_EUlibE_EEviT1_.uses_flat_scratch, or(0, .L_ZN2at6native6invokeIZZZNS0_18lgamma_kernel_cudaERNS_18TensorIteratorBaseEENKUlvE_clEvENKUlvE_clEvEUldE_i15function_traitsIS6_EEENT1_11result_typeERKT_PrKPcPKT0_PKN3c1010ScalarTypeEi.uses_flat_scratch)
	.set _ZN2at6native32elementwise_kernel_manual_unrollILi128ELi4EZNS0_15gpu_kernel_implIZZZNS0_18lgamma_kernel_cudaERNS_18TensorIteratorBaseEENKUlvE_clEvENKUlvE_clEvEUldE_EEvS4_RKT_EUlibE_EEviT1_.has_dyn_sized_stack, or(0, .L_ZN2at6native6invokeIZZZNS0_18lgamma_kernel_cudaERNS_18TensorIteratorBaseEENKUlvE_clEvENKUlvE_clEvEUldE_i15function_traitsIS6_EEENT1_11result_typeERKT_PrKPcPKT0_PKN3c1010ScalarTypeEi.has_dyn_sized_stack)
	.set _ZN2at6native32elementwise_kernel_manual_unrollILi128ELi4EZNS0_15gpu_kernel_implIZZZNS0_18lgamma_kernel_cudaERNS_18TensorIteratorBaseEENKUlvE_clEvENKUlvE_clEvEUldE_EEvS4_RKT_EUlibE_EEviT1_.has_recursion, or(0, .L_ZN2at6native6invokeIZZZNS0_18lgamma_kernel_cudaERNS_18TensorIteratorBaseEENKUlvE_clEvENKUlvE_clEvEUldE_i15function_traitsIS6_EEENT1_11result_typeERKT_PrKPcPKT0_PKN3c1010ScalarTypeEi.has_recursion)
	.set _ZN2at6native32elementwise_kernel_manual_unrollILi128ELi4EZNS0_15gpu_kernel_implIZZZNS0_18lgamma_kernel_cudaERNS_18TensorIteratorBaseEENKUlvE_clEvENKUlvE_clEvEUldE_EEvS4_RKT_EUlibE_EEviT1_.has_indirect_call, or(0, .L_ZN2at6native6invokeIZZZNS0_18lgamma_kernel_cudaERNS_18TensorIteratorBaseEENKUlvE_clEvENKUlvE_clEvEUldE_i15function_traitsIS6_EEENT1_11result_typeERKT_PrKPcPKT0_PKN3c1010ScalarTypeEi.has_indirect_call)
	.section	.AMDGPU.csdata,"",@progbits
; Kernel info:
; codeLenInByte = 19732
; TotalNumSgprs: 39
; NumVgprs: 45
; ScratchSize: 0
; MemoryBound: 0
; FloatMode: 240
; IeeeMode: 1
; LDSByteSize: 0 bytes/workgroup (compile time only)
; SGPRBlocks: 0
; VGPRBlocks: 5
; NumSGPRsForWavesPerEU: 39
; NumVGPRsForWavesPerEU: 45
; Occupancy: 16
; WaveLimiterHint : 0
; COMPUTE_PGM_RSRC2:SCRATCH_EN: 0
; COMPUTE_PGM_RSRC2:USER_SGPR: 6
; COMPUTE_PGM_RSRC2:TRAP_HANDLER: 0
; COMPUTE_PGM_RSRC2:TGID_X_EN: 1
; COMPUTE_PGM_RSRC2:TGID_Y_EN: 0
; COMPUTE_PGM_RSRC2:TGID_Z_EN: 0
; COMPUTE_PGM_RSRC2:TIDIG_COMP_CNT: 0
	.text
	.p2align	2                               ; -- Begin function _ZN2at6native6invokeIZZZNS0_18lgamma_kernel_cudaERNS_18TensorIteratorBaseEENKUlvE_clEvENKUlvE_clEvEUldE_j15function_traitsIS6_EEENT1_11result_typeERKT_PrKPcPKT0_PKN3c1010ScalarTypeEi
	.type	_ZN2at6native6invokeIZZZNS0_18lgamma_kernel_cudaERNS_18TensorIteratorBaseEENKUlvE_clEvENKUlvE_clEvEUldE_j15function_traitsIS6_EEENT1_11result_typeERKT_PrKPcPKT0_PKN3c1010ScalarTypeEi,@function
_ZN2at6native6invokeIZZZNS0_18lgamma_kernel_cudaERNS_18TensorIteratorBaseEENKUlvE_clEvENKUlvE_clEvEUldE_j15function_traitsIS6_EEENT1_11result_typeERKT_PrKPcPKT0_PKN3c1010ScalarTypeEi: ; @_ZN2at6native6invokeIZZZNS0_18lgamma_kernel_cudaERNS_18TensorIteratorBaseEENKUlvE_clEvENKUlvE_clEvEUldE_j15function_traitsIS6_EEENT1_11result_typeERKT_PrKPcPKT0_PKN3c1010ScalarTypeEi
; %bb.0:
	s_waitcnt vmcnt(0) expcnt(0) lgkmcnt(0)
	v_mov_b32_e32 v4, 10
	v_add_co_u32 v0, vcc_lo, v0, v2
	v_add_co_ci_u32_e64 v1, null, 0, v1, vcc_lo
	v_cmp_gt_i16_sdwa s4, v3, v4 src0_sel:BYTE_0 src1_sel:DWORD
	s_mov_b32 s5, 0
                                        ; implicit-def: $vgpr4_vgpr5
	s_and_saveexec_b32 s6, s4
	s_xor_b32 s4, exec_lo, s6
	s_cbranch_execnz .LBB133_4
; %bb.1:
	s_andn2_saveexec_b32 s4, s4
	s_cbranch_execnz .LBB133_10
.LBB133_2:
	s_or_b32 exec_lo, exec_lo, s4
                                        ; implicit-def: $vgpr0_vgpr1
	s_and_saveexec_b32 s7, s5
	s_cbranch_execnz .LBB133_51
.LBB133_3:
	s_or_b32 exec_lo, exec_lo, s7
	s_waitcnt vmcnt(0) lgkmcnt(0)
	s_setpc_b64 s[30:31]
.LBB133_4:
	v_mov_b32_e32 v2, 25
	s_mov_b32 s8, 0
	s_mov_b32 s7, 0
                                        ; implicit-def: $vgpr4_vgpr5
	v_cmp_gt_i16_sdwa s6, v3, v2 src0_sel:BYTE_0 src1_sel:DWORD
	s_and_saveexec_b32 s9, s6
	s_xor_b32 s6, exec_lo, s9
	s_cbranch_execnz .LBB133_86
; %bb.5:
	s_andn2_saveexec_b32 s6, s6
	s_cbranch_execnz .LBB133_121
.LBB133_6:
	s_or_b32 exec_lo, exec_lo, s6
	s_and_saveexec_b32 s6, s8
	s_cbranch_execnz .LBB133_148
.LBB133_7:
	s_or_b32 exec_lo, exec_lo, s6
	s_and_saveexec_b32 s6, s5
	s_xor_b32 s5, exec_lo, s6
	s_cbranch_execz .LBB133_9
.LBB133_8:
	flat_load_ubyte v0, v[0:1]
	v_mov_b32_e32 v4, 0
	s_or_b32 s7, s7, exec_lo
	s_waitcnt vmcnt(0) lgkmcnt(0)
	v_cmp_ne_u16_e32 vcc_lo, 0, v0
	v_cndmask_b32_e64 v5, 0, 0x3ff00000, vcc_lo
.LBB133_9:
	s_or_b32 exec_lo, exec_lo, s5
	s_and_b32 s5, s7, exec_lo
                                        ; implicit-def: $vgpr3
                                        ; implicit-def: $vgpr0_vgpr1
	s_andn2_saveexec_b32 s4, s4
	s_cbranch_execz .LBB133_2
.LBB133_10:
	v_mov_b32_e32 v2, 4
                                        ; implicit-def: $vgpr4_vgpr5
	v_cmp_gt_i16_sdwa s6, v3, v2 src0_sel:BYTE_0 src1_sel:DWORD
	s_and_saveexec_b32 s7, s6
	s_xor_b32 s6, exec_lo, s7
	s_cbranch_execz .LBB133_32
; %bb.11:
	v_mov_b32_e32 v2, 7
                                        ; implicit-def: $vgpr4_vgpr5
	v_cmp_gt_i16_sdwa s7, v3, v2 src0_sel:BYTE_0 src1_sel:DWORD
	s_and_saveexec_b32 s8, s7
	s_xor_b32 s7, exec_lo, s8
	s_cbranch_execz .LBB133_21
; %bb.12:
	v_mov_b32_e32 v2, 8
                                        ; implicit-def: $vgpr4_vgpr5
	v_cmp_gt_i16_sdwa s8, v3, v2 src0_sel:BYTE_0 src1_sel:DWORD
	s_and_saveexec_b32 s9, s8
	s_xor_b32 s8, exec_lo, s9
	s_cbranch_execz .LBB133_18
; %bb.13:
	v_mov_b32_e32 v2, 9
                                        ; implicit-def: $vgpr4_vgpr5
	v_cmp_gt_i16_sdwa s9, v3, v2 src0_sel:BYTE_0 src1_sel:DWORD
	s_and_saveexec_b32 s10, s9
	s_xor_b32 s9, exec_lo, s10
	s_cbranch_execz .LBB133_15
; %bb.14:
	flat_load_dwordx2 v[4:5], v[0:1]
                                        ; implicit-def: $vgpr0_vgpr1
.LBB133_15:
	s_andn2_saveexec_b32 s9, s9
	s_cbranch_execz .LBB133_17
; %bb.16:
	flat_load_dword v0, v[0:1]
	s_waitcnt vmcnt(0) lgkmcnt(0)
	v_cvt_f64_f32_e32 v[4:5], v0
.LBB133_17:
	s_or_b32 exec_lo, exec_lo, s9
                                        ; implicit-def: $vgpr0_vgpr1
.LBB133_18:
	s_andn2_saveexec_b32 s8, s8
	s_cbranch_execz .LBB133_20
; %bb.19:
	flat_load_dword v0, v[0:1]
	s_waitcnt vmcnt(0) lgkmcnt(0)
	v_cvt_f32_f16_e32 v0, v0
	v_cvt_f64_f32_e32 v[4:5], v0
.LBB133_20:
	s_or_b32 exec_lo, exec_lo, s8
                                        ; implicit-def: $vgpr0_vgpr1
                                        ; implicit-def: $vgpr3
.LBB133_21:
	s_andn2_saveexec_b32 s7, s7
	s_cbranch_execz .LBB133_31
; %bb.22:
	v_mov_b32_e32 v2, 5
                                        ; implicit-def: $vgpr4_vgpr5
	v_cmp_gt_i16_sdwa s8, v3, v2 src0_sel:BYTE_0 src1_sel:DWORD
	s_and_saveexec_b32 s9, s8
	s_xor_b32 s8, exec_lo, s9
	s_cbranch_execz .LBB133_28
; %bb.23:
	v_mov_b32_e32 v2, 6
                                        ; implicit-def: $vgpr4_vgpr5
	v_cmp_gt_i16_sdwa s9, v3, v2 src0_sel:BYTE_0 src1_sel:DWORD
	s_and_saveexec_b32 s10, s9
	s_xor_b32 s9, exec_lo, s10
	s_cbranch_execz .LBB133_25
; %bb.24:
	s_waitcnt vmcnt(0) lgkmcnt(0)
	flat_load_dwordx2 v[4:5], v[0:1]
                                        ; implicit-def: $vgpr0_vgpr1
.LBB133_25:
	s_andn2_saveexec_b32 s9, s9
	s_cbranch_execz .LBB133_27
; %bb.26:
	flat_load_dword v0, v[0:1]
	s_waitcnt vmcnt(0) lgkmcnt(0)
	v_cvt_f64_f32_e32 v[4:5], v0
.LBB133_27:
	s_or_b32 exec_lo, exec_lo, s9
                                        ; implicit-def: $vgpr0_vgpr1
.LBB133_28:
	s_andn2_saveexec_b32 s8, s8
	s_cbranch_execz .LBB133_30
; %bb.29:
	flat_load_ushort v0, v[0:1]
	s_waitcnt vmcnt(0) lgkmcnt(0)
	v_cvt_f32_f16_e32 v0, v0
	v_cvt_f64_f32_e32 v[4:5], v0
.LBB133_30:
	s_or_b32 exec_lo, exec_lo, s8
.LBB133_31:
	s_or_b32 exec_lo, exec_lo, s7
                                        ; implicit-def: $vgpr3
                                        ; implicit-def: $vgpr0_vgpr1
.LBB133_32:
	s_andn2_saveexec_b32 s6, s6
	s_cbranch_execz .LBB133_50
; %bb.33:
	v_mov_b32_e32 v2, 1
                                        ; implicit-def: $vgpr4_vgpr5
	v_cmp_gt_i16_sdwa s7, v3, v2 src0_sel:BYTE_0 src1_sel:DWORD
	s_and_saveexec_b32 s8, s7
	s_xor_b32 s7, exec_lo, s8
	s_cbranch_execz .LBB133_43
; %bb.34:
	v_mov_b32_e32 v2, 2
                                        ; implicit-def: $vgpr4_vgpr5
	v_cmp_gt_i16_sdwa s8, v3, v2 src0_sel:BYTE_0 src1_sel:DWORD
	s_and_saveexec_b32 s9, s8
	s_xor_b32 s8, exec_lo, s9
	;; [unrolled: 7-line block ×3, first 2 shown]
	s_cbranch_execz .LBB133_37
; %bb.36:
	flat_load_dwordx2 v[0:1], v[0:1]
	s_waitcnt vmcnt(0) lgkmcnt(0)
	v_cvt_f64_i32_e32 v[1:2], v1
	v_cvt_f64_u32_e32 v[3:4], v0
	v_ldexp_f64 v[1:2], v[1:2], 32
	v_add_f64 v[4:5], v[1:2], v[3:4]
                                        ; implicit-def: $vgpr0_vgpr1
.LBB133_37:
	s_andn2_saveexec_b32 s9, s9
	s_cbranch_execz .LBB133_39
; %bb.38:
	flat_load_dword v0, v[0:1]
	s_waitcnt vmcnt(0) lgkmcnt(0)
	v_cvt_f64_i32_e32 v[4:5], v0
.LBB133_39:
	s_or_b32 exec_lo, exec_lo, s9
                                        ; implicit-def: $vgpr0_vgpr1
.LBB133_40:
	s_andn2_saveexec_b32 s8, s8
	s_cbranch_execz .LBB133_42
; %bb.41:
	flat_load_sshort v0, v[0:1]
	s_waitcnt vmcnt(0) lgkmcnt(0)
	v_cvt_f64_i32_e32 v[4:5], v0
.LBB133_42:
	s_or_b32 exec_lo, exec_lo, s8
                                        ; implicit-def: $vgpr0_vgpr1
                                        ; implicit-def: $vgpr3
.LBB133_43:
	s_andn2_saveexec_b32 s7, s7
	s_cbranch_execz .LBB133_49
; %bb.44:
	v_mov_b32_e32 v2, 0
                                        ; implicit-def: $vgpr4_vgpr5
	v_cmp_gt_i16_sdwa s8, v3, v2 src0_sel:BYTE_0 src1_sel:DWORD
	s_and_saveexec_b32 s9, s8
	s_xor_b32 s8, exec_lo, s9
	s_cbranch_execz .LBB133_46
; %bb.45:
	flat_load_sbyte v0, v[0:1]
	s_waitcnt vmcnt(0) lgkmcnt(0)
	v_cvt_f64_i32_e32 v[4:5], v0
                                        ; implicit-def: $vgpr0_vgpr1
.LBB133_46:
	s_andn2_saveexec_b32 s8, s8
	s_cbranch_execz .LBB133_48
; %bb.47:
	flat_load_ubyte v0, v[0:1]
	s_waitcnt vmcnt(0) lgkmcnt(0)
	v_cvt_f64_u32_e32 v[4:5], v0
.LBB133_48:
	s_or_b32 exec_lo, exec_lo, s8
.LBB133_49:
	s_or_b32 exec_lo, exec_lo, s7
.LBB133_50:
	s_or_b32 exec_lo, exec_lo, s6
	s_or_b32 s5, s5, exec_lo
	s_or_b32 exec_lo, exec_lo, s4
                                        ; implicit-def: $vgpr0_vgpr1
	s_and_saveexec_b32 s7, s5
	s_cbranch_execz .LBB133_3
.LBB133_51:
	s_waitcnt vmcnt(0) lgkmcnt(0)
	v_and_b32_e32 v1, 0x7fffffff, v5
	v_mov_b32_e32 v0, v4
                                        ; implicit-def: $vgpr2_vgpr3
	s_mov_b32 s4, exec_lo
	v_cmpx_lt_u32_e32 0x3f6fffff, v1
	s_xor_b32 s8, exec_lo, s4
	s_cbranch_execz .LBB133_77
; %bb.52:
                                        ; implicit-def: $vgpr2_vgpr3
	s_mov_b32 s4, exec_lo
	v_cmpx_lt_u32_e32 0x3fffffff, v1
	s_xor_b32 s5, exec_lo, s4
	s_cbranch_execz .LBB133_62
; %bb.53:
	;; [unrolled: 6-line block ×4, first 2 shown]
	v_frexp_mant_f64_e64 v[2:3], |v[4:5]|
	s_mov_b32 s11, 0x3fe55555
	s_mov_b32 s10, 0x55555555
	;; [unrolled: 1-line block ×6, first 2 shown]
	v_cmp_neq_f64_e64 s4, 0, v[4:5]
	v_cmp_gt_f64_e32 vcc_lo, s[10:11], v[2:3]
	s_mov_b32 s10, 0x55555780
	v_cndmask_b32_e64 v0, 0, 1, vcc_lo
	v_ldexp_f64 v[2:3], v[2:3], v0
	v_frexp_exp_i32_f64_e32 v0, v[4:5]
	v_add_f64 v[6:7], v[2:3], 1.0
	v_add_f64 v[12:13], v[2:3], -1.0
	v_subrev_co_ci_u32_e64 v0, null, 0, v0, vcc_lo
	v_cmp_neq_f64_e64 vcc_lo, 0x7ff00000, |v[4:5]|
	v_rcp_f64_e32 v[8:9], v[6:7]
	v_add_f64 v[14:15], v[6:7], -1.0
	v_add_f64 v[2:3], v[2:3], -v[14:15]
	v_fma_f64 v[10:11], -v[6:7], v[8:9], 1.0
	v_fma_f64 v[8:9], v[10:11], v[8:9], v[8:9]
	v_fma_f64 v[10:11], -v[6:7], v[8:9], 1.0
	v_fma_f64 v[8:9], v[10:11], v[8:9], v[8:9]
	v_mul_f64 v[10:11], v[12:13], v[8:9]
	v_mul_f64 v[16:17], v[6:7], v[10:11]
	v_fma_f64 v[6:7], v[10:11], v[6:7], -v[16:17]
	v_fma_f64 v[2:3], v[10:11], v[2:3], v[6:7]
	v_add_f64 v[6:7], v[16:17], v[2:3]
	v_add_f64 v[14:15], v[12:13], -v[6:7]
	v_add_f64 v[16:17], v[6:7], -v[16:17]
	;; [unrolled: 1-line block ×5, first 2 shown]
	v_add_f64 v[2:3], v[2:3], v[6:7]
	v_add_f64 v[2:3], v[14:15], v[2:3]
	v_mul_f64 v[2:3], v[8:9], v[2:3]
	v_add_f64 v[6:7], v[10:11], v[2:3]
	v_mul_f64 v[8:9], v[6:7], v[6:7]
	v_fma_f64 v[12:13], v[8:9], s[14:15], s[12:13]
	s_mov_b32 s12, 0xd7f4df2e
	s_mov_b32 s13, 0x3fc7474d
	v_mul_f64 v[14:15], v[6:7], v[8:9]
	v_fma_f64 v[12:13], v[8:9], v[12:13], s[12:13]
	s_mov_b32 s12, 0x16291751
	s_mov_b32 s13, 0x3fcc71c0
	v_fma_f64 v[12:13], v[8:9], v[12:13], s[12:13]
	s_mov_b32 s12, 0x9b27acf1
	s_mov_b32 s13, 0x3fd24924
	v_fma_f64 v[12:13], v[8:9], v[12:13], s[12:13]
	s_mov_b32 s12, 0x998ef7b6
	s_mov_b32 s13, 0x3fd99999
	v_fma_f64 v[12:13], v[8:9], v[12:13], s[12:13]
	v_fma_f64 v[8:9], v[8:9], v[12:13], s[10:11]
	v_ldexp_f64 v[12:13], v[6:7], 1
	v_add_f64 v[6:7], v[6:7], -v[10:11]
	s_mov_b32 s10, 0xfefa39ef
	s_mov_b32 s11, 0x3fe62e42
	v_mul_f64 v[8:9], v[14:15], v[8:9]
	v_cvt_f64_i32_e32 v[14:15], v0
	v_add_f64 v[2:3], v[2:3], -v[6:7]
	v_add_f64 v[10:11], v[12:13], v[8:9]
	v_mul_f64 v[16:17], v[14:15], s[10:11]
	v_ldexp_f64 v[2:3], v[2:3], 1
	v_add_f64 v[6:7], v[10:11], -v[12:13]
	v_fma_f64 v[12:13], v[14:15], s[10:11], -v[16:17]
	s_mov_b32 s10, 0x3b39803f
	s_mov_b32 s11, 0x3c7abc9e
	v_add_f64 v[6:7], v[8:9], -v[6:7]
	v_fma_f64 v[8:9], v[14:15], s[10:11], v[12:13]
	v_add_f64 v[2:3], v[2:3], v[6:7]
	v_add_f64 v[6:7], v[16:17], v[8:9]
	;; [unrolled: 1-line block ×3, first 2 shown]
	v_add_f64 v[16:17], v[6:7], -v[16:17]
	v_add_f64 v[14:15], v[6:7], v[12:13]
	v_add_f64 v[10:11], v[12:13], -v[10:11]
	v_add_f64 v[8:9], v[8:9], -v[16:17]
	;; [unrolled: 1-line block ×6, first 2 shown]
	v_add_f64 v[12:13], v[8:9], v[2:3]
	v_add_f64 v[6:7], v[6:7], -v[20:21]
	v_add_f64 v[6:7], v[10:11], v[6:7]
	v_add_f64 v[10:11], v[12:13], -v[8:9]
	;; [unrolled: 2-line block ×3, first 2 shown]
	v_add_f64 v[2:3], v[2:3], -v[10:11]
	v_add_f64 v[16:17], v[14:15], v[6:7]
	v_add_f64 v[8:9], v[8:9], -v[12:13]
	v_add_f64 v[10:11], v[16:17], -v[14:15]
	v_add_f64 v[2:3], v[2:3], v[8:9]
	v_add_f64 v[6:7], v[6:7], -v[10:11]
	v_add_f64 v[2:3], v[2:3], v[6:7]
	v_add_f64 v[2:3], v[16:17], v[2:3]
	v_cndmask_b32_e32 v0, 0x7ff00000, v3, vcc_lo
	s_and_b32 vcc_lo, s4, vcc_lo
	v_cndmask_b32_e32 v2, 0, v2, vcc_lo
	v_cndmask_b32_e64 v3, 0xfff00000, v0, s4
	v_fma_f64 v[2:3], |v[4:5]|, v[2:3], -|v[4:5]|
.LBB133_56:
	s_andn2_saveexec_b32 s9, s9
	s_cbranch_execz .LBB133_58
; %bb.57:
	v_frexp_mant_f64_e64 v[2:3], |v[4:5]|
	s_mov_b32 s11, 0x3fe55555
	s_mov_b32 s10, 0x55555555
	;; [unrolled: 1-line block ×6, first 2 shown]
	v_cmp_neq_f64_e64 s4, 0, v[4:5]
	v_cmp_gt_f64_e32 vcc_lo, s[10:11], v[2:3]
	s_mov_b32 s10, 0x55555780
	v_cndmask_b32_e64 v0, 0, 1, vcc_lo
	v_ldexp_f64 v[2:3], v[2:3], v0
	v_frexp_exp_i32_f64_e32 v0, v[4:5]
	v_add_f64 v[6:7], v[2:3], 1.0
	v_add_f64 v[12:13], v[2:3], -1.0
	v_subrev_co_ci_u32_e64 v0, null, 0, v0, vcc_lo
	v_rcp_f64_e32 v[8:9], v[6:7]
	v_add_f64 v[14:15], v[6:7], -1.0
	v_add_f64 v[2:3], v[2:3], -v[14:15]
	v_fma_f64 v[10:11], -v[6:7], v[8:9], 1.0
	v_fma_f64 v[8:9], v[10:11], v[8:9], v[8:9]
	v_fma_f64 v[10:11], -v[6:7], v[8:9], 1.0
	v_fma_f64 v[8:9], v[10:11], v[8:9], v[8:9]
	v_mul_f64 v[10:11], v[12:13], v[8:9]
	v_mul_f64 v[16:17], v[6:7], v[10:11]
	v_fma_f64 v[6:7], v[10:11], v[6:7], -v[16:17]
	v_fma_f64 v[2:3], v[10:11], v[2:3], v[6:7]
	v_add_f64 v[6:7], v[16:17], v[2:3]
	v_add_f64 v[14:15], v[12:13], -v[6:7]
	v_add_f64 v[16:17], v[6:7], -v[16:17]
	;; [unrolled: 1-line block ×5, first 2 shown]
	v_add_f64 v[2:3], v[2:3], v[6:7]
	v_add_f64 v[2:3], v[14:15], v[2:3]
	v_mul_f64 v[2:3], v[8:9], v[2:3]
	v_add_f64 v[6:7], v[10:11], v[2:3]
	v_mul_f64 v[8:9], v[6:7], v[6:7]
	v_fma_f64 v[12:13], v[8:9], s[14:15], s[12:13]
	s_mov_b32 s12, 0xd7f4df2e
	s_mov_b32 s13, 0x3fc7474d
	v_mul_f64 v[14:15], v[6:7], v[8:9]
	v_fma_f64 v[12:13], v[8:9], v[12:13], s[12:13]
	s_mov_b32 s12, 0x16291751
	s_mov_b32 s13, 0x3fcc71c0
	v_fma_f64 v[12:13], v[8:9], v[12:13], s[12:13]
	s_mov_b32 s12, 0x9b27acf1
	s_mov_b32 s13, 0x3fd24924
	;; [unrolled: 3-line block ×4, first 2 shown]
	v_fma_f64 v[8:9], v[8:9], v[12:13], s[10:11]
	v_ldexp_f64 v[12:13], v[6:7], 1
	v_add_f64 v[6:7], v[6:7], -v[10:11]
	s_mov_b32 s10, 0xfefa39ef
	s_mov_b32 s11, 0x3fe62e42
	v_mul_f64 v[8:9], v[14:15], v[8:9]
	v_cvt_f64_i32_e32 v[14:15], v0
	v_mov_b32_e32 v0, v4
	v_add_f64 v[2:3], v[2:3], -v[6:7]
	v_div_scale_f64 v[26:27], vcc_lo, 1.0, v[0:1], 1.0
	v_add_f64 v[10:11], v[12:13], v[8:9]
	v_mul_f64 v[16:17], v[14:15], s[10:11]
	v_ldexp_f64 v[2:3], v[2:3], 1
	v_add_f64 v[6:7], v[10:11], -v[12:13]
	v_div_scale_f64 v[12:13], null, v[0:1], v[0:1], 1.0
	v_fma_f64 v[18:19], v[14:15], s[10:11], -v[16:17]
	s_mov_b32 s10, 0x3b39803f
	s_mov_b32 s11, 0x3c7abc9e
	v_add_f64 v[6:7], v[8:9], -v[6:7]
	v_rcp_f64_e32 v[8:9], v[12:13]
	v_fma_f64 v[14:15], v[14:15], s[10:11], v[18:19]
	s_mov_b32 s10, 0x4cdad5d1
	s_mov_b32 s11, 0x3f4b67ba
	v_add_f64 v[2:3], v[2:3], v[6:7]
	v_add_f64 v[18:19], v[16:17], v[14:15]
	v_fma_f64 v[6:7], -v[12:13], v[8:9], 1.0
	v_add_f64 v[20:21], v[10:11], v[2:3]
	v_add_f64 v[16:17], v[18:19], -v[16:17]
	v_fma_f64 v[6:7], v[8:9], v[6:7], v[8:9]
	v_add_f64 v[8:9], v[18:19], v[20:21]
	v_add_f64 v[10:11], v[20:21], -v[10:11]
	v_add_f64 v[14:15], v[14:15], -v[16:17]
	v_fma_f64 v[22:23], -v[12:13], v[6:7], 1.0
	v_add_f64 v[24:25], v[8:9], -v[18:19]
	v_add_f64 v[2:3], v[2:3], -v[10:11]
	v_fma_f64 v[6:7], v[6:7], v[22:23], v[6:7]
	v_add_f64 v[22:23], v[8:9], -v[24:25]
	v_add_f64 v[10:11], v[20:21], -v[24:25]
	v_mul_f64 v[28:29], v[26:27], v[6:7]
	v_add_f64 v[16:17], v[18:19], -v[22:23]
	v_add_f64 v[18:19], v[14:15], v[2:3]
	v_fma_f64 v[12:13], -v[12:13], v[28:29], v[26:27]
	v_add_f64 v[10:11], v[10:11], v[16:17]
	v_div_fmas_f64 v[6:7], v[12:13], v[6:7], v[28:29]
	v_add_f64 v[12:13], v[18:19], -v[14:15]
	v_cmp_neq_f64_e64 vcc_lo, 0x7ff00000, |v[4:5]|
	v_add_f64 v[10:11], v[18:19], v[10:11]
	v_div_fixup_f64 v[6:7], v[6:7], |v[4:5]|, 1.0
	v_add_f64 v[16:17], v[18:19], -v[12:13]
	v_add_f64 v[2:3], v[2:3], -v[12:13]
	v_add_f64 v[18:19], v[8:9], v[10:11]
	v_mul_f64 v[20:21], v[6:7], v[6:7]
	v_add_f64 v[12:13], v[14:15], -v[16:17]
	v_add_f64 v[8:9], v[18:19], -v[8:9]
	v_fma_f64 v[14:15], v[20:21], s[12:13], s[10:11]
	s_mov_b32 s10, 0x8c0fe741
	s_mov_b32 s11, 0xbf4380cb
	v_add_f64 v[2:3], v[2:3], v[12:13]
	v_add_f64 v[8:9], v[10:11], -v[8:9]
	v_fma_f64 v[10:11], v[20:21], v[14:15], s[10:11]
	s_mov_b32 s10, 0x98cf38b6
	s_mov_b32 s11, 0x3f4a019f
	v_add_f64 v[2:3], v[2:3], v[8:9]
	v_fma_f64 v[8:9], v[20:21], v[10:11], s[10:11]
	s_mov_b32 s10, 0x16b02e5c
	s_mov_b32 s11, 0xbf66c16c
	v_add_f64 v[10:11], |v[4:5]|, -0.5
	v_add_f64 v[2:3], v[18:19], v[2:3]
	v_fma_f64 v[8:9], v[20:21], v[8:9], s[10:11]
	s_mov_b32 s10, 0x5555553b
	s_mov_b32 s11, 0x3fb55555
	v_add_f64 v[2:3], v[2:3], -1.0
	v_fma_f64 v[8:9], v[20:21], v[8:9], s[10:11]
	s_mov_b32 s10, 0x90c97d69
	s_mov_b32 s11, 0x3fdacfe3
	v_cndmask_b32_e32 v0, 0x7ff00000, v3, vcc_lo
	s_and_b32 vcc_lo, s4, vcc_lo
	v_cndmask_b32_e32 v2, 0, v2, vcc_lo
	v_fma_f64 v[6:7], v[6:7], v[8:9], s[10:11]
	v_cndmask_b32_e64 v3, 0xfff00000, v0, s4
	v_fma_f64 v[2:3], v[10:11], v[2:3], v[6:7]
.LBB133_58:
	s_or_b32 exec_lo, exec_lo, s9
.LBB133_59:
	s_andn2_saveexec_b32 s6, s6
	s_cbranch_execz .LBB133_61
; %bb.60:
	v_cvt_i32_f64_e32 v0, v[0:1]
	s_mov_b32 s11, 0x3fe55555
	s_mov_b32 s10, 0x55555555
	;; [unrolled: 1-line block ×6, first 2 shown]
	v_cvt_f64_i32_e32 v[2:3], v0
	v_cmp_lt_i32_e32 vcc_lo, 2, v0
	v_cmp_lt_i32_e64 s4, 3, v0
	v_add_f64 v[2:3], |v[4:5]|, -v[2:3]
	v_add_f64 v[6:7], v[2:3], 2.0
	v_add_f64 v[8:9], 0x40080000, v[2:3]
	v_add_f64 v[10:11], v[2:3], 4.0
	v_cndmask_b32_e32 v7, 0x3ff00000, v7, vcc_lo
	v_cndmask_b32_e32 v6, 0, v6, vcc_lo
	v_cndmask_b32_e64 v9, 0x3ff00000, v9, s4
	v_cndmask_b32_e64 v8, 0, v8, s4
	v_cmp_lt_i32_e32 vcc_lo, 4, v0
	v_mul_f64 v[6:7], v[6:7], v[8:9]
	v_add_f64 v[8:9], 0x40140000, v[2:3]
	v_cndmask_b32_e32 v11, 0x3ff00000, v11, vcc_lo
	v_cndmask_b32_e32 v10, 0, v10, vcc_lo
	v_cmp_lt_i32_e32 vcc_lo, 5, v0
	v_mul_f64 v[6:7], v[10:11], v[6:7]
	v_add_f64 v[10:11], 0x40180000, v[2:3]
	v_cndmask_b32_e32 v9, 0x3ff00000, v9, vcc_lo
	v_cndmask_b32_e32 v8, 0, v8, vcc_lo
	v_cmp_lt_i32_e32 vcc_lo, 6, v0
	v_mul_f64 v[6:7], v[8:9], v[6:7]
	v_cndmask_b32_e32 v9, 0x3ff00000, v11, vcc_lo
	v_cndmask_b32_e32 v8, 0, v10, vcc_lo
	v_mul_f64 v[6:7], v[8:9], v[6:7]
	v_frexp_mant_f64_e32 v[8:9], v[6:7]
	v_cmp_gt_f64_e32 vcc_lo, s[10:11], v[8:9]
	s_mov_b32 s10, 0x55555780
	v_cndmask_b32_e64 v0, 0, 1, vcc_lo
	v_ldexp_f64 v[8:9], v[8:9], v0
	v_frexp_exp_i32_f64_e32 v0, v[6:7]
	v_add_f64 v[10:11], v[8:9], 1.0
	v_add_f64 v[16:17], v[8:9], -1.0
	v_subrev_co_ci_u32_e64 v0, null, 0, v0, vcc_lo
	v_cvt_f64_i32_e32 v[22:23], v0
	v_rcp_f64_e32 v[12:13], v[10:11]
	v_add_f64 v[18:19], v[10:11], -1.0
	v_add_f64 v[8:9], v[8:9], -v[18:19]
	v_fma_f64 v[14:15], -v[10:11], v[12:13], 1.0
	v_fma_f64 v[12:13], v[14:15], v[12:13], v[12:13]
	v_fma_f64 v[14:15], -v[10:11], v[12:13], 1.0
	v_fma_f64 v[12:13], v[14:15], v[12:13], v[12:13]
	v_mul_f64 v[14:15], v[16:17], v[12:13]
	v_mul_f64 v[20:21], v[10:11], v[14:15]
	v_fma_f64 v[10:11], v[14:15], v[10:11], -v[20:21]
	v_fma_f64 v[8:9], v[14:15], v[8:9], v[10:11]
	v_add_f64 v[10:11], v[20:21], v[8:9]
	v_add_f64 v[18:19], v[16:17], -v[10:11]
	v_add_f64 v[20:21], v[10:11], -v[20:21]
	;; [unrolled: 1-line block ×5, first 2 shown]
	v_add_f64 v[8:9], v[8:9], v[10:11]
	v_add_f64 v[8:9], v[18:19], v[8:9]
	v_mul_f64 v[8:9], v[12:13], v[8:9]
	v_add_f64 v[10:11], v[14:15], v[8:9]
	v_mul_f64 v[12:13], v[10:11], v[10:11]
	v_ldexp_f64 v[20:21], v[10:11], 1
	v_fma_f64 v[16:17], v[12:13], s[14:15], s[12:13]
	s_mov_b32 s12, 0xd7f4df2e
	s_mov_b32 s13, 0x3fc7474d
	v_mul_f64 v[18:19], v[10:11], v[12:13]
	s_mov_b32 s14, 0xa5b38140
	s_mov_b32 s15, 0x3edebaf7
	v_add_f64 v[10:11], v[10:11], -v[14:15]
	v_fma_f64 v[16:17], v[12:13], v[16:17], s[12:13]
	s_mov_b32 s12, 0x16291751
	s_mov_b32 s13, 0x3fcc71c0
	v_add_f64 v[8:9], v[8:9], -v[10:11]
	v_fma_f64 v[16:17], v[12:13], v[16:17], s[12:13]
	s_mov_b32 s12, 0x9b27acf1
	s_mov_b32 s13, 0x3fd24924
	v_ldexp_f64 v[8:9], v[8:9], 1
	v_fma_f64 v[16:17], v[12:13], v[16:17], s[12:13]
	s_mov_b32 s12, 0x998ef7b6
	s_mov_b32 s13, 0x3fd99999
	v_fma_f64 v[16:17], v[12:13], v[16:17], s[12:13]
	s_mov_b32 s12, 0xdd17e945
	s_mov_b32 s13, 0x3f00bfec
	;; [unrolled: 3-line block ×4, first 2 shown]
	s_mov_b32 s12, 0xca41a95b
	s_mov_b32 s13, 0x3f497dda
	v_mul_f64 v[12:13], v[18:19], v[12:13]
	v_fma_f64 v[18:19], v[2:3], s[14:15], s[12:13]
	s_mov_b32 s12, 0x742ed475
	s_mov_b32 s13, 0x3f9317ea
	v_fma_f64 v[16:17], v[2:3], v[16:17], s[10:11]
	s_mov_b32 s10, 0xbee5f2f7
	s_mov_b32 s11, 0x3fc2bb9c
	;; [unrolled: 1-line block ×4, first 2 shown]
	v_add_f64 v[14:15], v[20:21], v[12:13]
	v_fma_f64 v[18:19], v[2:3], v[18:19], s[12:13]
	s_mov_b32 s12, 0x4f139f59
	s_mov_b32 s13, 0x3fd4d98f
	v_fma_f64 v[16:17], v[2:3], v[16:17], s[10:11]
	s_mov_b32 s10, 0xfefa39ef
	s_mov_b32 s11, 0x3fe62e42
	v_mul_f64 v[24:25], v[22:23], s[10:11]
	v_add_f64 v[10:11], v[14:15], -v[20:21]
	v_fma_f64 v[18:19], v[2:3], v[18:19], s[14:15]
	v_fma_f64 v[16:17], v[2:3], v[16:17], s[12:13]
	s_mov_b32 s12, 0x93d3dcdc
	s_mov_b32 s13, 0x3fe71a18
	v_fma_f64 v[20:21], v[22:23], s[10:11], -v[24:25]
	s_mov_b32 s10, 0x36e20878
	s_mov_b32 s11, 0x3fcb848b
	v_add_f64 v[10:11], v[12:13], -v[10:11]
	v_fma_f64 v[12:13], v[2:3], v[18:19], s[12:13]
	s_mov_b32 s12, 0x62c4ab74
	s_mov_b32 s13, 0x3ff645a7
	v_fma_f64 v[16:17], v[2:3], v[16:17], s[10:11]
	s_mov_b32 s10, 0x3b39803f
	s_mov_b32 s11, 0x3c7abc9e
	;; [unrolled: 3-line block ×3, first 2 shown]
	v_add_f64 v[8:9], v[8:9], v[10:11]
	v_fma_f64 v[10:11], v[2:3], v[12:13], s[12:13]
	v_fma_f64 v[12:13], v[2:3], v[16:17], s[10:11]
	v_add_f64 v[16:17], v[24:25], v[18:19]
	v_add_f64 v[20:21], v[14:15], v[8:9]
	v_fma_f64 v[10:11], v[2:3], v[10:11], 1.0
	v_mul_f64 v[12:13], v[2:3], v[12:13]
	v_add_f64 v[24:25], v[16:17], -v[24:25]
	v_add_f64 v[22:23], v[16:17], v[20:21]
	v_add_f64 v[14:15], v[20:21], -v[14:15]
	v_div_scale_f64 v[26:27], null, v[10:11], v[10:11], v[12:13]
	v_add_f64 v[18:19], v[18:19], -v[24:25]
	v_add_f64 v[28:29], v[22:23], -v[16:17]
	;; [unrolled: 1-line block ×3, first 2 shown]
	v_rcp_f64_e32 v[30:31], v[26:27]
	v_add_f64 v[32:33], v[22:23], -v[28:29]
	v_add_f64 v[14:15], v[20:21], -v[28:29]
	v_add_f64 v[24:25], v[18:19], v[8:9]
	v_fma_f64 v[34:35], -v[26:27], v[30:31], 1.0
	v_add_f64 v[16:17], v[16:17], -v[32:33]
	v_add_f64 v[28:29], v[24:25], -v[18:19]
	v_fma_f64 v[20:21], v[30:31], v[34:35], v[30:31]
	v_div_scale_f64 v[30:31], vcc_lo, v[12:13], v[10:11], v[12:13]
	v_add_f64 v[14:15], v[14:15], v[16:17]
	v_add_f64 v[8:9], v[8:9], -v[28:29]
	v_fma_f64 v[16:17], -v[26:27], v[20:21], 1.0
	v_add_f64 v[14:15], v[24:25], v[14:15]
	v_fma_f64 v[16:17], v[20:21], v[16:17], v[20:21]
	v_add_f64 v[20:21], v[24:25], -v[28:29]
	v_add_f64 v[24:25], v[22:23], v[14:15]
	v_mul_f64 v[32:33], v[30:31], v[16:17]
	v_add_f64 v[18:19], v[18:19], -v[20:21]
	v_add_f64 v[20:21], v[24:25], -v[22:23]
	v_fma_f64 v[22:23], -v[26:27], v[32:33], v[30:31]
	v_add_f64 v[8:9], v[8:9], v[18:19]
	v_add_f64 v[14:15], v[14:15], -v[20:21]
	v_div_fmas_f64 v[16:17], v[22:23], v[16:17], v[32:33]
	v_cmp_class_f64_e64 vcc_lo, v[6:7], 0x204
	v_add_f64 v[8:9], v[8:9], v[14:15]
	v_div_fixup_f64 v[10:11], v[16:17], v[10:11], v[12:13]
	v_add_f64 v[8:9], v[24:25], v[8:9]
	v_fma_f64 v[2:3], v[2:3], 0.5, v[10:11]
	v_cndmask_b32_e32 v0, v8, v6, vcc_lo
	v_cndmask_b32_e32 v8, v9, v7, vcc_lo
	v_cmp_ngt_f64_e32 vcc_lo, 0, v[6:7]
	v_cndmask_b32_e32 v9, 0x7ff80000, v8, vcc_lo
	v_cmp_nge_f64_e32 vcc_lo, 0, v[6:7]
	v_cndmask_b32_e32 v8, 0, v0, vcc_lo
	v_cmp_neq_f64_e32 vcc_lo, 0, v[6:7]
	v_cndmask_b32_e32 v9, 0xfff00000, v9, vcc_lo
	v_add_f64 v[2:3], v[2:3], v[8:9]
.LBB133_61:
	s_or_b32 exec_lo, exec_lo, s6
.LBB133_62:
	s_andn2_saveexec_b32 s9, s5
	s_cbranch_execz .LBB133_76
; %bb.63:
                                        ; implicit-def: $vgpr0
                                        ; implicit-def: $vgpr6_vgpr7
	s_mov_b32 s4, exec_lo
	v_cmpx_lt_u32_e32 0x3feccccc, v1
	s_xor_b32 s5, exec_lo, s4
	s_cbranch_execz .LBB133_65
; %bb.64:
	s_mov_b32 s10, 0x6356be3f
	s_mov_b32 s11, 0xbff762d8
	v_add_f64 v[2:3], -|v[4:5]|, 2.0
	v_add_f64 v[6:7], |v[4:5]|, s[10:11]
	v_add_f64 v[8:9], |v[4:5]|, -1.0
	v_cmp_gt_u32_e32 vcc_lo, 0x3ffbb4c3, v1
	v_cmp_gt_u32_e64 s4, 0x3ff3b4c4, v1
	v_cndmask_b32_e32 v0, v2, v6, vcc_lo
	v_cndmask_b32_e32 v2, v3, v7, vcc_lo
	v_cndmask_b32_e64 v3, 0, 1, vcc_lo
	v_cndmask_b32_e64 v6, v0, v8, s4
	v_cndmask_b32_e64 v7, v2, v9, s4
	;; [unrolled: 1-line block ×3, first 2 shown]
.LBB133_65:
	s_or_saveexec_b32 s10, s5
	v_mov_b32_e32 v2, 0
	v_mov_b32_e32 v3, 0
	s_xor_b32 exec_lo, exec_lo, s10
	s_cbranch_execz .LBB133_67
; %bb.66:
	v_frexp_mant_f64_e64 v[2:3], |v[4:5]|
	s_mov_b32 s5, 0x3fe55555
	s_mov_b32 s4, 0x55555555
	;; [unrolled: 1-line block ×6, first 2 shown]
	v_cmp_gt_u32_e64 s6, 0x3fcda661, v1
	v_cmp_gt_f64_e32 vcc_lo, s[4:5], v[2:3]
	s_mov_b32 s4, 0x55555780
	v_cndmask_b32_e64 v0, 0, 1, vcc_lo
	v_ldexp_f64 v[2:3], v[2:3], v0
	v_frexp_exp_i32_f64_e32 v0, v[4:5]
	v_add_f64 v[6:7], v[2:3], 1.0
	v_add_f64 v[12:13], v[2:3], -1.0
	v_subrev_co_ci_u32_e64 v0, null, 0, v0, vcc_lo
	v_cmp_neq_f64_e64 vcc_lo, 0x7ff00000, |v[4:5]|
	v_rcp_f64_e32 v[8:9], v[6:7]
	v_add_f64 v[14:15], v[6:7], -1.0
	v_add_f64 v[2:3], v[2:3], -v[14:15]
	v_fma_f64 v[10:11], -v[6:7], v[8:9], 1.0
	v_fma_f64 v[8:9], v[10:11], v[8:9], v[8:9]
	v_fma_f64 v[10:11], -v[6:7], v[8:9], 1.0
	v_fma_f64 v[8:9], v[10:11], v[8:9], v[8:9]
	v_mul_f64 v[10:11], v[12:13], v[8:9]
	v_mul_f64 v[16:17], v[6:7], v[10:11]
	v_fma_f64 v[6:7], v[10:11], v[6:7], -v[16:17]
	v_fma_f64 v[2:3], v[10:11], v[2:3], v[6:7]
	v_add_f64 v[6:7], v[16:17], v[2:3]
	v_add_f64 v[14:15], v[12:13], -v[6:7]
	v_add_f64 v[16:17], v[6:7], -v[16:17]
	;; [unrolled: 1-line block ×5, first 2 shown]
	v_add_f64 v[2:3], v[2:3], v[6:7]
	v_add_f64 v[2:3], v[14:15], v[2:3]
	v_mul_f64 v[2:3], v[8:9], v[2:3]
	v_add_f64 v[6:7], v[10:11], v[2:3]
	v_mul_f64 v[8:9], v[6:7], v[6:7]
	v_fma_f64 v[12:13], v[8:9], s[14:15], s[12:13]
	s_mov_b32 s12, 0xd7f4df2e
	s_mov_b32 s13, 0x3fc7474d
	v_mul_f64 v[14:15], v[6:7], v[8:9]
	v_fma_f64 v[12:13], v[8:9], v[12:13], s[12:13]
	s_mov_b32 s12, 0x16291751
	s_mov_b32 s13, 0x3fcc71c0
	v_fma_f64 v[12:13], v[8:9], v[12:13], s[12:13]
	s_mov_b32 s12, 0x9b27acf1
	s_mov_b32 s13, 0x3fd24924
	;; [unrolled: 3-line block ×3, first 2 shown]
	v_fma_f64 v[12:13], v[8:9], v[12:13], s[12:13]
	v_fma_f64 v[8:9], v[8:9], v[12:13], s[4:5]
	v_ldexp_f64 v[12:13], v[6:7], 1
	v_add_f64 v[6:7], v[6:7], -v[10:11]
	s_mov_b32 s4, 0xfefa39ef
	s_mov_b32 s5, 0x3fe62e42
	v_mul_f64 v[8:9], v[14:15], v[8:9]
	v_cvt_f64_i32_e32 v[14:15], v0
	v_add_f64 v[2:3], v[2:3], -v[6:7]
	v_add_f64 v[10:11], v[12:13], v[8:9]
	v_mul_f64 v[16:17], v[14:15], s[4:5]
	v_ldexp_f64 v[2:3], v[2:3], 1
	v_add_f64 v[6:7], v[10:11], -v[12:13]
	v_fma_f64 v[12:13], v[14:15], s[4:5], -v[16:17]
	s_mov_b32 s4, 0x3b39803f
	s_mov_b32 s5, 0x3c7abc9e
	v_add_f64 v[6:7], v[8:9], -v[6:7]
	v_fma_f64 v[8:9], v[14:15], s[4:5], v[12:13]
	s_mov_b32 s4, 0x8d5af8fc
	s_mov_b32 s5, 0xbfdd8b61
	v_add_f64 v[2:3], v[2:3], v[6:7]
	v_add_f64 v[6:7], v[16:17], v[8:9]
	v_add_f64 v[12:13], v[10:11], v[2:3]
	v_add_f64 v[16:17], v[6:7], -v[16:17]
	v_add_f64 v[14:15], v[6:7], v[12:13]
	v_add_f64 v[10:11], v[12:13], -v[10:11]
	v_add_f64 v[8:9], v[8:9], -v[16:17]
	;; [unrolled: 1-line block ×6, first 2 shown]
	v_add_f64 v[12:13], v[8:9], v[2:3]
	v_add_f64 v[6:7], v[6:7], -v[20:21]
	v_add_f64 v[6:7], v[10:11], v[6:7]
	v_add_f64 v[10:11], v[12:13], -v[8:9]
	;; [unrolled: 2-line block ×3, first 2 shown]
	v_add_f64 v[2:3], v[2:3], -v[10:11]
	v_add_f64 v[16:17], v[14:15], v[6:7]
	v_add_f64 v[8:9], v[8:9], -v[12:13]
	v_add_f64 v[10:11], v[16:17], -v[14:15]
	v_add_f64 v[2:3], v[2:3], v[8:9]
	v_add_f64 v[8:9], |v[4:5]|, s[4:5]
	v_cmp_neq_f64_e64 s4, 0, v[4:5]
	v_cmp_gt_u32_e64 s5, 0x3fe76944, v1
	v_add_f64 v[6:7], v[6:7], -v[10:11]
	v_add_f64 v[2:3], v[2:3], v[6:7]
	v_add_f64 v[6:7], -|v[4:5]|, 1.0
	v_add_f64 v[2:3], v[16:17], v[2:3]
	v_xor_b32_e32 v0, 0x80000000, v3
	v_cndmask_b32_e64 v3, v6, v8, s5
	v_cndmask_b32_e64 v6, v7, v9, s5
	;; [unrolled: 1-line block ×3, first 2 shown]
	v_cndmask_b32_e32 v0, 0xfff00000, v0, vcc_lo
	s_and_b32 vcc_lo, s4, vcc_lo
	v_cndmask_b32_e64 v7, v6, v1, s6
	v_cndmask_b32_e64 v6, v3, v4, s6
	v_cndmask_b32_e32 v2, 0, v2, vcc_lo
	v_cndmask_b32_e64 v3, 0x7ff00000, v0, s4
	v_cndmask_b32_e64 v0, v8, 2, s6
.LBB133_67:
	s_or_b32 exec_lo, exec_lo, s10
	s_mov_b32 s4, exec_lo
                                        ; implicit-def: $vgpr10_vgpr11
	v_cmpx_lt_i32_e32 1, v0
	s_xor_b32 s4, exec_lo, s4
	s_cbranch_execz .LBB133_69
; %bb.68:
	s_mov_b32 s10, 0xf6010924
	s_mov_b32 s12, 0xbf2bab09
	s_mov_b32 s11, 0x3fcd4eae
	s_mov_b32 s13, 0x3f8b678b
	s_mov_b32 s14, 0x57d0cf61
	v_fma_f64 v[8:9], v[6:7], s[12:13], s[10:11]
	s_mov_b32 s10, 0x44ea8450
	s_mov_b32 s12, 0xd6537c88
	s_mov_b32 s11, 0x3fef4976
	s_mov_b32 s13, 0x3fbaae55
	s_mov_b32 s15, 0x3f6a5abb
                                        ; implicit-def: $vgpr0
	v_fma_f64 v[10:11], v[6:7], s[14:15], s[12:13]
	s_mov_b32 s12, 0xe45050af
	s_mov_b32 s13, 0x3fe89dfb
	v_fma_f64 v[8:9], v[6:7], v[8:9], s[10:11]
	s_mov_b32 s10, 0xd119bd6f
	s_mov_b32 s11, 0x3ff7475c
	;; [unrolled: 3-line block ×6, first 2 shown]
	v_fma_f64 v[10:11], v[6:7], v[10:11], s[12:13]
	v_fma_f64 v[8:9], v[6:7], v[8:9], s[10:11]
	v_fma_f64 v[10:11], v[6:7], v[10:11], 1.0
	v_mul_f64 v[8:9], v[6:7], v[8:9]
	v_div_scale_f64 v[12:13], null, v[10:11], v[10:11], v[8:9]
	v_rcp_f64_e32 v[14:15], v[12:13]
	v_fma_f64 v[16:17], -v[12:13], v[14:15], 1.0
	v_fma_f64 v[14:15], v[14:15], v[16:17], v[14:15]
	v_fma_f64 v[16:17], -v[12:13], v[14:15], 1.0
	v_fma_f64 v[14:15], v[14:15], v[16:17], v[14:15]
	v_div_scale_f64 v[16:17], vcc_lo, v[8:9], v[10:11], v[8:9]
	v_mul_f64 v[18:19], v[16:17], v[14:15]
	v_fma_f64 v[12:13], -v[12:13], v[18:19], v[16:17]
	v_div_fmas_f64 v[12:13], v[12:13], v[14:15], v[18:19]
	v_div_fixup_f64 v[8:9], v[12:13], v[10:11], v[8:9]
	v_fma_f64 v[10:11], v[6:7], -0.5, v[8:9]
                                        ; implicit-def: $vgpr6_vgpr7
.LBB133_69:
	s_andn2_saveexec_b32 s4, s4
	s_cbranch_execz .LBB133_75
; %bb.70:
	v_mul_f64 v[8:9], v[6:7], v[6:7]
	s_mov_b32 s5, exec_lo
                                        ; implicit-def: $vgpr10_vgpr11
	v_cmpx_ne_u32_e32 1, v0
	s_xor_b32 s5, exec_lo, s5
	s_cbranch_execz .LBB133_72
; %bb.71:
	s_mov_b32 s10, 0x987dfb07
	s_mov_b32 s12, 0x90a45837
	s_mov_b32 s11, 0x3f1c5088
	s_mov_b32 s13, 0x3f07858e
	s_mov_b32 s14, 0x89b99c00
	v_fma_f64 v[10:11], v[8:9], s[12:13], s[10:11]
	s_mov_b32 s10, 0xed10e54d
	s_mov_b32 s12, 0x428cfa52
	;; [unrolled: 1-line block ×5, first 2 shown]
	v_fma_f64 v[12:13], v[8:9], s[12:13], s[10:11]
	s_mov_b32 s10, 0x116f3f5d
	s_mov_b32 s12, 0xccb7926b
	;; [unrolled: 1-line block ×4, first 2 shown]
	v_fma_f64 v[10:11], v[8:9], v[10:11], s[14:15]
	v_fma_f64 v[12:13], v[8:9], v[12:13], s[10:11]
	s_mov_b32 s10, 0xb68fefe8
	s_mov_b32 s11, 0x3f7e404f
	v_fma_f64 v[10:11], v[8:9], v[10:11], s[12:13]
	s_mov_b32 s12, 0xac92547b
	s_mov_b32 s13, 0x3f951322
	;; [unrolled: 3-line block ×5, first 2 shown]
	v_fma_f64 v[10:11], v[8:9], v[10:11], s[12:13]
	v_fma_f64 v[12:13], v[8:9], v[12:13], s[10:11]
	v_mul_f64 v[8:9], v[8:9], v[10:11]
	v_fma_f64 v[8:9], v[6:7], v[12:13], v[8:9]
	v_fma_f64 v[10:11], v[6:7], -0.5, v[8:9]
                                        ; implicit-def: $vgpr6_vgpr7
                                        ; implicit-def: $vgpr8_vgpr9
.LBB133_72:
	s_andn2_saveexec_b32 s5, s5
	s_cbranch_execz .LBB133_74
; %bb.73:
	v_mul_f64 v[10:11], v[6:7], v[8:9]
	s_mov_b32 s10, 0xef61a8e9
	s_mov_b32 s12, 0xecc38c38
	;; [unrolled: 1-line block ×8, first 2 shown]
	v_fma_f64 v[12:13], v[10:11], s[12:13], s[10:11]
	v_fma_f64 v[14:15], v[10:11], s[16:17], s[14:15]
	s_mov_b32 s10, 0xb3e914d7
	s_mov_b32 s12, 0x2e15c915
	;; [unrolled: 1-line block ×8, first 2 shown]
	v_fma_f64 v[12:13], v[10:11], v[12:13], s[10:11]
	v_fma_f64 v[14:15], v[10:11], v[14:15], s[12:13]
	s_mov_b32 s10, 0xbf2d1af1
	s_mov_b32 s12, 0x6c0ebbf7
	;; [unrolled: 1-line block ×4, first 2 shown]
	v_fma_f64 v[16:17], v[10:11], s[12:13], s[10:11]
	s_mov_b32 s10, 0xe370e344
	s_mov_b32 s12, 0x8dc6c509
	;; [unrolled: 1-line block ×4, first 2 shown]
	v_fma_f64 v[12:13], v[10:11], v[12:13], s[14:15]
	v_fma_f64 v[14:15], v[10:11], v[14:15], s[16:17]
	s_mov_b32 s14, 0x94d5419b
	s_mov_b32 s15, 0x3fb08b42
	v_fma_f64 v[16:17], v[10:11], v[16:17], s[10:11]
	s_mov_b32 s10, 0xdf35b713
	s_mov_b32 s11, 0xbfa0c9a8
	v_fma_f64 v[12:13], v[10:11], v[12:13], s[12:13]
	v_fma_f64 v[14:15], v[10:11], v[14:15], s[14:15]
	s_mov_b32 s12, 0xa48a971f
	s_mov_b32 s13, 0xbc50c7ca
	v_fma_f64 v[16:17], v[10:11], v[16:17], s[10:11]
	s_mov_b32 s10, 0xc8ee38a2
	s_mov_b32 s11, 0x3fdef72b
	v_fma_f64 v[6:7], v[6:7], v[14:15], v[12:13]
	v_fma_f64 v[12:13], v[10:11], v[16:17], s[10:11]
	s_mov_b32 s10, 0xbcc38a42
	s_mov_b32 s11, 0xbfbf19b9
	v_fma_f64 v[6:7], v[10:11], -v[6:7], s[12:13]
	v_fma_f64 v[6:7], v[8:9], v[12:13], -v[6:7]
	v_add_f64 v[10:11], v[6:7], s[10:11]
.LBB133_74:
	s_or_b32 exec_lo, exec_lo, s5
.LBB133_75:
	s_or_b32 exec_lo, exec_lo, s4
	v_add_f64 v[2:3], v[2:3], v[10:11]
.LBB133_76:
	s_or_b32 exec_lo, exec_lo, s9
.LBB133_77:
	s_andn2_saveexec_b32 s5, s8
	s_cbranch_execz .LBB133_79
; %bb.78:
	v_frexp_mant_f64_e64 v[2:3], |v[4:5]|
	s_mov_b32 s9, 0x3fe55555
	s_mov_b32 s8, 0x55555555
	;; [unrolled: 1-line block ×6, first 2 shown]
	v_cmp_neq_f64_e64 s4, 0, v[4:5]
	v_cmp_gt_f64_e32 vcc_lo, s[8:9], v[2:3]
	s_mov_b32 s8, 0x55555780
	v_cndmask_b32_e64 v0, 0, 1, vcc_lo
	v_ldexp_f64 v[2:3], v[2:3], v0
	v_frexp_exp_i32_f64_e32 v0, v[4:5]
	v_add_f64 v[6:7], v[2:3], 1.0
	v_add_f64 v[12:13], v[2:3], -1.0
	v_subrev_co_ci_u32_e64 v0, null, 0, v0, vcc_lo
	v_cmp_neq_f64_e64 vcc_lo, 0x7ff00000, |v[4:5]|
	v_rcp_f64_e32 v[8:9], v[6:7]
	v_add_f64 v[14:15], v[6:7], -1.0
	v_add_f64 v[2:3], v[2:3], -v[14:15]
	v_fma_f64 v[10:11], -v[6:7], v[8:9], 1.0
	v_fma_f64 v[8:9], v[10:11], v[8:9], v[8:9]
	v_fma_f64 v[10:11], -v[6:7], v[8:9], 1.0
	v_fma_f64 v[8:9], v[10:11], v[8:9], v[8:9]
	v_mul_f64 v[10:11], v[12:13], v[8:9]
	v_mul_f64 v[16:17], v[6:7], v[10:11]
	v_fma_f64 v[6:7], v[10:11], v[6:7], -v[16:17]
	v_fma_f64 v[2:3], v[10:11], v[2:3], v[6:7]
	v_add_f64 v[6:7], v[16:17], v[2:3]
	v_add_f64 v[14:15], v[12:13], -v[6:7]
	v_add_f64 v[16:17], v[6:7], -v[16:17]
	;; [unrolled: 1-line block ×5, first 2 shown]
	v_add_f64 v[2:3], v[2:3], v[6:7]
	v_add_f64 v[2:3], v[14:15], v[2:3]
	v_mul_f64 v[2:3], v[8:9], v[2:3]
	v_add_f64 v[6:7], v[10:11], v[2:3]
	v_mul_f64 v[8:9], v[6:7], v[6:7]
	v_fma_f64 v[12:13], v[8:9], s[12:13], s[10:11]
	s_mov_b32 s10, 0xd7f4df2e
	s_mov_b32 s11, 0x3fc7474d
	v_mul_f64 v[14:15], v[6:7], v[8:9]
	v_fma_f64 v[12:13], v[8:9], v[12:13], s[10:11]
	s_mov_b32 s10, 0x16291751
	s_mov_b32 s11, 0x3fcc71c0
	v_fma_f64 v[12:13], v[8:9], v[12:13], s[10:11]
	s_mov_b32 s10, 0x9b27acf1
	s_mov_b32 s11, 0x3fd24924
	v_fma_f64 v[12:13], v[8:9], v[12:13], s[10:11]
	s_mov_b32 s10, 0x998ef7b6
	s_mov_b32 s11, 0x3fd99999
	v_fma_f64 v[12:13], v[8:9], v[12:13], s[10:11]
	s_mov_b32 s10, 0x17aa6149
	s_mov_b32 s11, 0xbfca8b9c
	v_fma_f64 v[8:9], v[8:9], v[12:13], s[8:9]
	v_ldexp_f64 v[12:13], v[6:7], 1
	v_add_f64 v[6:7], v[6:7], -v[10:11]
	s_mov_b32 s8, 0xfefa39ef
	s_mov_b32 s9, 0x3fe62e42
	v_mul_f64 v[8:9], v[14:15], v[8:9]
	v_cvt_f64_i32_e32 v[14:15], v0
	v_add_f64 v[2:3], v[2:3], -v[6:7]
	v_add_f64 v[10:11], v[12:13], v[8:9]
	v_mul_f64 v[16:17], v[14:15], s[8:9]
	v_ldexp_f64 v[2:3], v[2:3], 1
	v_add_f64 v[6:7], v[10:11], -v[12:13]
	v_fma_f64 v[12:13], v[14:15], s[8:9], -v[16:17]
	s_mov_b32 s8, 0x3b39803f
	s_mov_b32 s9, 0x3c7abc9e
	v_add_f64 v[6:7], v[8:9], -v[6:7]
	v_fma_f64 v[8:9], v[14:15], s[8:9], v[12:13]
	s_mov_b32 s8, 0x2ac7d848
	s_mov_b32 s9, 0x3fd15132
	v_add_f64 v[2:3], v[2:3], v[6:7]
	v_add_f64 v[6:7], v[16:17], v[8:9]
	;; [unrolled: 1-line block ×3, first 2 shown]
	v_add_f64 v[16:17], v[6:7], -v[16:17]
	v_add_f64 v[14:15], v[6:7], v[12:13]
	v_add_f64 v[10:11], v[12:13], -v[10:11]
	v_add_f64 v[8:9], v[8:9], -v[16:17]
	;; [unrolled: 1-line block ×6, first 2 shown]
	v_add_f64 v[12:13], v[8:9], v[2:3]
	v_add_f64 v[6:7], v[6:7], -v[20:21]
	v_add_f64 v[6:7], v[10:11], v[6:7]
	v_add_f64 v[10:11], v[12:13], -v[8:9]
	;; [unrolled: 2-line block ×3, first 2 shown]
	v_add_f64 v[2:3], v[2:3], -v[10:11]
	v_add_f64 v[16:17], v[14:15], v[6:7]
	v_add_f64 v[8:9], v[8:9], -v[12:13]
	v_add_f64 v[10:11], v[16:17], -v[14:15]
	v_add_f64 v[2:3], v[2:3], v[8:9]
	v_fma_f64 v[8:9], |v[4:5]|, s[10:11], s[8:9]
	s_mov_b32 s8, 0x5beab2d7
	s_mov_b32 s9, 0xbfd9a4d5
	v_add_f64 v[6:7], v[6:7], -v[10:11]
	v_add_f64 v[2:3], v[2:3], v[6:7]
	v_fma_f64 v[6:7], |v[4:5]|, v[8:9], s[8:9]
	s_mov_b32 s8, 0x625307d3
	s_mov_b32 s9, 0x3fea51a6
	v_add_f64 v[2:3], v[16:17], v[2:3]
	v_fma_f64 v[6:7], |v[4:5]|, v[6:7], s[8:9]
	s_mov_b32 s8, 0xfc6fb619
	s_mov_b32 s9, 0xbfe2788c
	v_xor_b32_e32 v0, 0x80000000, v3
	v_fma_f64 v[6:7], |v[4:5]|, v[6:7], s[8:9]
	v_cndmask_b32_e32 v0, 0xfff00000, v0, vcc_lo
	s_and_b32 vcc_lo, s4, vcc_lo
	v_cndmask_b32_e32 v2, 0, v2, vcc_lo
	v_cndmask_b32_e64 v3, 0x7ff00000, v0, s4
	v_fma_f64 v[2:3], |v[4:5]|, v[6:7], v[2:3]
.LBB133_79:
	s_or_b32 exec_lo, exec_lo, s5
	s_mov_b32 s4, exec_lo
	v_cmpx_le_f64_e32 0, v[4:5]
	s_xor_b32 s5, exec_lo, s4
	s_cbranch_execz .LBB133_81
; %bb.80:
	v_cmp_eq_f64_e32 vcc_lo, 1.0, v[4:5]
	v_cmp_eq_f64_e64 s4, 2.0, v[4:5]
	s_or_b32 s4, vcc_lo, s4
	v_cndmask_b32_e64 v3, v3, 0, s4
	v_cndmask_b32_e64 v2, v2, 0, s4
.LBB133_81:
	s_andn2_saveexec_b32 s5, s5
	s_cbranch_execz .LBB133_85
; %bb.82:
	v_add_nc_u32_e32 v0, 0xc32fffff, v1
	s_mov_b32 s6, exec_lo
	v_cmpx_gt_u32_e32 0x65fffff, v0
	s_cbranch_execz .LBB133_84
; %bb.83:
	v_mul_f64 v[6:7], |v[4:5]|, 0.5
	s_mov_b32 s8, 0x6fdffd2b
	s_mov_b32 s10, 0xf99eb0bb
	;; [unrolled: 1-line block ×8, first 2 shown]
	v_cmp_class_f64_e64 s4, v[4:5], 0x1f8
	v_fract_f64_e32 v[8:9], v[6:7]
	v_cmp_neq_f64_e64 vcc_lo, 0x7ff00000, |v[6:7]|
	v_add_f64 v[8:9], v[8:9], v[8:9]
	v_cndmask_b32_e32 v0, 0, v8, vcc_lo
	v_cndmask_b32_e32 v6, 0, v9, vcc_lo
	v_cmp_gt_f64_e64 vcc_lo, |v[4:5]|, 1.0
	v_cndmask_b32_e32 v7, v1, v6, vcc_lo
	v_cndmask_b32_e32 v6, v4, v0, vcc_lo
	v_add_f64 v[8:9], v[6:7], v[6:7]
	v_rndne_f64_e32 v[8:9], v[8:9]
	v_fma_f64 v[6:7], v[8:9], -0.5, v[6:7]
	v_cvt_i32_f64_e32 v0, v[8:9]
	v_mul_f64 v[10:11], v[6:7], v[6:7]
	v_fma_f64 v[12:13], v[10:11], s[10:11], s[8:9]
	v_fma_f64 v[14:15], v[10:11], s[14:15], s[12:13]
	s_mov_b32 s8, 0xd5f14825
	s_mov_b32 s10, 0x7294bff9
	;; [unrolled: 1-line block ×4, first 2 shown]
	v_mul_f64 v[16:17], v[6:7], v[10:11]
	s_mov_b32 s12, 0xbf559e2b
	s_mov_b32 s13, 0x3fc3ab76
	v_fma_f64 v[12:13], v[10:11], v[12:13], s[8:9]
	v_fma_f64 v[14:15], v[10:11], v[14:15], s[10:11]
	s_mov_b32 s8, 0xcdfe9424
	s_mov_b32 s10, 0x67b90b37
	s_mov_b32 s9, 0xbfe32d2c
	s_mov_b32 s11, 0x3fce1f50
	v_fma_f64 v[12:13], v[10:11], v[12:13], s[8:9]
	v_fma_f64 v[14:15], v[10:11], v[14:15], s[10:11]
	s_mov_b32 s8, 0x67754fff
	s_mov_b32 s10, 0x7e3c325b
	s_mov_b32 s9, 0x400466bc
	s_mov_b32 s11, 0xbff55d3c
	v_fma_f64 v[12:13], v[10:11], v[12:13], s[8:9]
	v_fma_f64 v[14:15], v[10:11], v[14:15], s[10:11]
	s_mov_b32 s8, 0xe625be09
	s_mov_b32 s10, 0x81b5a67
	s_mov_b32 s9, 0xc014abbc
	s_mov_b32 s11, 0x40103c1f
	v_fma_f64 v[12:13], v[10:11], v[12:13], s[8:9]
	v_fma_f64 v[14:15], v[10:11], v[14:15], s[10:11]
	s_mov_b32 s8, 0xc9be45de
	s_mov_b32 s9, 0xc013bd3c
	s_mov_b32 s10, 0x6b47b09a
	s_mov_b32 s11, 0x3fc38538
	v_mul_f64 v[12:13], v[16:17], v[12:13]
	v_fma_f64 v[14:15], v[10:11], v[14:15], s[8:9]
	s_mov_b32 s8, 0x54442d18
	s_mov_b32 s9, 0x400921fb
	v_fma_f64 v[6:7], v[6:7], s[8:9], v[12:13]
	v_fma_f64 v[8:9], v[10:11], v[14:15], 1.0
	v_and_b32_e32 v10, 1, v0
	v_lshlrev_b32_e32 v0, 30, v0
	v_cmp_eq_u32_e32 vcc_lo, 0, v10
	v_xor_b32_e32 v0, v0, v5
	v_and_b32_e32 v0, 0x80000000, v0
	v_cndmask_b32_e32 v7, v9, v7, vcc_lo
	v_cndmask_b32_e32 v6, v8, v6, vcc_lo
	v_xor_b32_e32 v0, v7, v0
	v_cndmask_b32_e64 v6, 0, v6, s4
	v_cndmask_b32_e64 v7, 0x7ff80000, v0, s4
	v_cmp_class_f64_e64 s4, v[4:5], 0x204
	v_mul_f64 v[6:7], v[4:5], v[6:7]
	v_and_b32_e32 v9, 0x7fffffff, v7
	v_mov_b32_e32 v8, v6
	v_div_scale_f64 v[10:11], null, v[8:9], v[8:9], s[8:9]
	v_div_scale_f64 v[8:9], vcc_lo, s[8:9], v[8:9], s[8:9]
	v_rcp_f64_e32 v[12:13], v[10:11]
	v_fma_f64 v[14:15], -v[10:11], v[12:13], 1.0
	v_fma_f64 v[12:13], v[12:13], v[14:15], v[12:13]
	v_fma_f64 v[14:15], -v[10:11], v[12:13], 1.0
	v_fma_f64 v[12:13], v[12:13], v[14:15], v[12:13]
	v_mul_f64 v[14:15], v[8:9], v[12:13]
	v_fma_f64 v[8:9], -v[10:11], v[14:15], v[8:9]
	v_div_fmas_f64 v[8:9], v[8:9], v[12:13], v[14:15]
	v_div_fixup_f64 v[6:7], v[8:9], |v[6:7]|, s[8:9]
	s_mov_b32 s9, 0x3fe55555
	s_mov_b32 s8, 0x55555555
	v_frexp_mant_f64_e32 v[8:9], v[6:7]
	v_cmp_gt_f64_e32 vcc_lo, s[8:9], v[8:9]
	s_mov_b32 s8, 0x55555780
	v_cndmask_b32_e64 v0, 0, 1, vcc_lo
	v_ldexp_f64 v[8:9], v[8:9], v0
	v_frexp_exp_i32_f64_e32 v0, v[6:7]
	v_add_f64 v[10:11], v[8:9], 1.0
	v_add_f64 v[16:17], v[8:9], -1.0
	v_subrev_co_ci_u32_e64 v0, null, 0, v0, vcc_lo
	v_cmp_class_f64_e64 vcc_lo, v[6:7], 0x204
	v_rcp_f64_e32 v[12:13], v[10:11]
	v_add_f64 v[18:19], v[10:11], -1.0
	v_add_f64 v[8:9], v[8:9], -v[18:19]
	v_fma_f64 v[14:15], -v[10:11], v[12:13], 1.0
	v_fma_f64 v[12:13], v[14:15], v[12:13], v[12:13]
	v_fma_f64 v[14:15], -v[10:11], v[12:13], 1.0
	v_fma_f64 v[12:13], v[14:15], v[12:13], v[12:13]
	v_mul_f64 v[14:15], v[16:17], v[12:13]
	v_mul_f64 v[20:21], v[10:11], v[14:15]
	v_fma_f64 v[10:11], v[14:15], v[10:11], -v[20:21]
	v_fma_f64 v[8:9], v[14:15], v[8:9], v[10:11]
	v_add_f64 v[10:11], v[20:21], v[8:9]
	v_add_f64 v[18:19], v[16:17], -v[10:11]
	v_add_f64 v[20:21], v[10:11], -v[20:21]
	;; [unrolled: 1-line block ×5, first 2 shown]
	v_add_f64 v[8:9], v[8:9], v[10:11]
	v_add_f64 v[8:9], v[18:19], v[8:9]
	v_mul_f64 v[8:9], v[12:13], v[8:9]
	v_add_f64 v[10:11], v[14:15], v[8:9]
	v_mul_f64 v[12:13], v[10:11], v[10:11]
	v_fma_f64 v[16:17], v[12:13], s[12:13], s[10:11]
	s_mov_b32 s10, 0xd7f4df2e
	s_mov_b32 s11, 0x3fc7474d
	v_mul_f64 v[18:19], v[10:11], v[12:13]
	v_fma_f64 v[16:17], v[12:13], v[16:17], s[10:11]
	s_mov_b32 s10, 0x16291751
	s_mov_b32 s11, 0x3fcc71c0
	v_fma_f64 v[16:17], v[12:13], v[16:17], s[10:11]
	s_mov_b32 s10, 0x9b27acf1
	s_mov_b32 s11, 0x3fd24924
	;; [unrolled: 3-line block ×3, first 2 shown]
	v_fma_f64 v[16:17], v[12:13], v[16:17], s[10:11]
	v_fma_f64 v[12:13], v[12:13], v[16:17], s[8:9]
	v_ldexp_f64 v[16:17], v[10:11], 1
	v_add_f64 v[10:11], v[10:11], -v[14:15]
	s_mov_b32 s8, 0xfefa39ef
	s_mov_b32 s9, 0x3fe62e42
	v_mul_f64 v[12:13], v[18:19], v[12:13]
	v_cvt_f64_i32_e32 v[18:19], v0
	v_add_f64 v[8:9], v[8:9], -v[10:11]
	v_add_f64 v[14:15], v[16:17], v[12:13]
	v_mul_f64 v[20:21], v[18:19], s[8:9]
	v_ldexp_f64 v[8:9], v[8:9], 1
	v_add_f64 v[10:11], v[14:15], -v[16:17]
	v_fma_f64 v[16:17], v[18:19], s[8:9], -v[20:21]
	s_mov_b32 s8, 0x3b39803f
	s_mov_b32 s9, 0x3c7abc9e
	v_add_f64 v[10:11], v[12:13], -v[10:11]
	v_fma_f64 v[12:13], v[18:19], s[8:9], v[16:17]
	v_add_f64 v[8:9], v[8:9], v[10:11]
	v_add_f64 v[10:11], v[20:21], v[12:13]
	;; [unrolled: 1-line block ×3, first 2 shown]
	v_add_f64 v[20:21], v[10:11], -v[20:21]
	v_add_f64 v[18:19], v[10:11], v[16:17]
	v_add_f64 v[14:15], v[16:17], -v[14:15]
	v_add_f64 v[12:13], v[12:13], -v[20:21]
	;; [unrolled: 1-line block ×6, first 2 shown]
	v_add_f64 v[16:17], v[12:13], v[8:9]
	v_add_f64 v[10:11], v[10:11], -v[24:25]
	v_add_f64 v[10:11], v[14:15], v[10:11]
	v_add_f64 v[14:15], v[16:17], -v[12:13]
	;; [unrolled: 2-line block ×3, first 2 shown]
	v_add_f64 v[8:9], v[8:9], -v[14:15]
	v_add_f64 v[20:21], v[18:19], v[10:11]
	v_add_f64 v[12:13], v[12:13], -v[16:17]
	v_add_f64 v[14:15], v[20:21], -v[18:19]
	v_add_f64 v[8:9], v[8:9], v[12:13]
	v_add_f64 v[10:11], v[10:11], -v[14:15]
	v_add_f64 v[8:9], v[8:9], v[10:11]
	v_add_f64 v[8:9], v[20:21], v[8:9]
	v_cndmask_b32_e32 v0, v8, v6, vcc_lo
	v_cndmask_b32_e32 v8, v9, v7, vcc_lo
	v_cmp_neq_f64_e32 vcc_lo, 0, v[6:7]
	v_fract_f64_e32 v[6:7], v[4:5]
	v_cndmask_b32_e32 v9, 0xfff00000, v8, vcc_lo
	v_cndmask_b32_e32 v8, 0, v0, vcc_lo
	v_cmp_eq_f64_e32 vcc_lo, 0, v[6:7]
	v_add_f64 v[2:3], v[8:9], -v[2:3]
	s_or_b32 s4, s4, vcc_lo
	v_cndmask_b32_e64 v3, v3, 0x7ff00000, s4
	v_cndmask_b32_e64 v2, v2, 0, s4
.LBB133_84:
	s_or_b32 exec_lo, exec_lo, s6
.LBB133_85:
	s_or_b32 exec_lo, exec_lo, s5
	v_cmp_gt_f64_e32 vcc_lo, 0, v[4:5]
	v_cmp_class_f64_e64 s5, v[4:5], 0x264
	v_cmp_lt_u32_e64 s4, 0x432fffff, v1
	s_and_b32 s4, vcc_lo, s4
	v_cmp_u_f64_e32 vcc_lo, v[4:5], v[4:5]
	s_or_b32 s4, s5, s4
	v_cndmask_b32_e64 v0, v2, 0, s4
	v_cndmask_b32_e64 v1, v3, 0x7ff00000, s4
	v_cndmask_b32_e32 v1, v1, v5, vcc_lo
	v_cndmask_b32_e32 v0, v0, v4, vcc_lo
	s_or_b32 exec_lo, exec_lo, s7
	s_setpc_b64 s[30:31]
.LBB133_86:
	v_mov_b32_e32 v2, 28
	s_mov_b32 s9, 0
                                        ; implicit-def: $vgpr4_vgpr5
	v_cmp_gt_i16_sdwa s7, v3, v2 src0_sel:BYTE_0 src1_sel:DWORD
	s_and_saveexec_b32 s10, s7
	s_xor_b32 s7, exec_lo, s10
	s_cbranch_execz .LBB133_102
; %bb.87:
	v_mov_b32_e32 v2, 43
	s_mov_b32 s10, 0
	s_mov_b32 s11, 0
                                        ; implicit-def: $vgpr4_vgpr5
	v_cmp_gt_i16_sdwa s8, v3, v2 src0_sel:BYTE_0 src1_sel:DWORD
	s_and_saveexec_b32 s9, s8
	s_xor_b32 s8, exec_lo, s9
	s_cbranch_execz .LBB133_97
; %bb.88:
	v_mov_b32_e32 v2, 45
	s_mov_b32 s9, 0
                                        ; implicit-def: $vgpr4_vgpr5
	v_cmp_gt_i16_sdwa s11, v3, v2 src0_sel:BYTE_0 src1_sel:DWORD
	s_and_saveexec_b32 s12, s11
	s_xor_b32 s11, exec_lo, s12
	s_cbranch_execz .LBB133_92
; %bb.89:
	v_mov_b32_e32 v2, 46
	s_mov_b32 s12, -1
                                        ; implicit-def: $vgpr4_vgpr5
	v_cmp_eq_u16_sdwa s13, v3, v2 src0_sel:BYTE_0 src1_sel:DWORD
	s_and_saveexec_b32 s10, s13
	s_cbranch_execz .LBB133_91
; %bb.90:
	flat_load_dword v2, v[0:1]
	s_mov_b32 s9, exec_lo
	s_xor_b32 s12, exec_lo, -1
	s_waitcnt vmcnt(0) lgkmcnt(0)
	v_lshlrev_b32_e32 v2, 16, v2
	v_cvt_f64_f32_e32 v[4:5], v2
.LBB133_91:
	s_or_b32 exec_lo, exec_lo, s10
	s_and_b32 s10, s9, exec_lo
	s_and_b32 s9, s12, exec_lo
                                        ; implicit-def: $vgpr3
.LBB133_92:
	s_andn2_saveexec_b32 s11, s11
	s_cbranch_execz .LBB133_96
; %bb.93:
	v_mov_b32_e32 v2, 44
	s_mov_b32 s13, -1
	s_mov_b32 s14, s10
                                        ; implicit-def: $vgpr4_vgpr5
	v_cmp_eq_u16_sdwa s15, v3, v2 src0_sel:BYTE_0 src1_sel:DWORD
	s_and_saveexec_b32 s12, s15
	s_cbranch_execz .LBB133_95
; %bb.94:
	flat_load_ubyte v4, v[0:1]
	s_or_b32 s14, s10, exec_lo
	s_xor_b32 s13, exec_lo, -1
	s_waitcnt vmcnt(0) lgkmcnt(0)
	v_lshlrev_b32_e32 v2, 23, v4
	v_cmp_ne_u32_e32 vcc_lo, 0xff, v4
	v_cvt_f64_f32_e32 v[2:3], v2
	v_cndmask_b32_e32 v2, 0x20000000, v2, vcc_lo
	v_cndmask_b32_e32 v3, 0x7ff80000, v3, vcc_lo
	v_cmp_ne_u32_e32 vcc_lo, 0, v4
	v_cndmask_b32_e32 v5, 0x38000000, v3, vcc_lo
	v_cndmask_b32_e32 v4, 0, v2, vcc_lo
.LBB133_95:
	s_or_b32 exec_lo, exec_lo, s12
	s_andn2_b32 s10, s10, exec_lo
	s_and_b32 s12, s14, exec_lo
	s_andn2_b32 s9, s9, exec_lo
	s_and_b32 s13, s13, exec_lo
	s_or_b32 s10, s10, s12
	s_or_b32 s9, s9, s13
.LBB133_96:
	s_or_b32 exec_lo, exec_lo, s11
	s_and_b32 s11, s10, exec_lo
	s_and_b32 s10, s9, exec_lo
                                        ; implicit-def: $vgpr3
.LBB133_97:
	s_andn2_saveexec_b32 s8, s8
	s_cbranch_execz .LBB133_101
; %bb.98:
	v_mov_b32_e32 v2, 29
	s_mov_b32 s9, -1
	s_mov_b32 s12, s11
                                        ; implicit-def: $vgpr4_vgpr5
	v_cmp_eq_u16_sdwa s14, v3, v2 src0_sel:BYTE_0 src1_sel:DWORD
	s_and_saveexec_b32 s13, s14
	s_cbranch_execz .LBB133_100
; %bb.99:
	flat_load_dwordx2 v[2:3], v[0:1]
	s_or_b32 s12, s11, exec_lo
	s_xor_b32 s9, exec_lo, -1
	s_waitcnt vmcnt(0) lgkmcnt(0)
	v_cvt_f64_u32_e32 v[3:4], v3
	v_cvt_f64_u32_e32 v[5:6], v2
	v_ldexp_f64 v[3:4], v[3:4], 32
	v_add_f64 v[4:5], v[3:4], v[5:6]
.LBB133_100:
	s_or_b32 exec_lo, exec_lo, s13
	s_andn2_b32 s11, s11, exec_lo
	s_and_b32 s12, s12, exec_lo
	s_andn2_b32 s10, s10, exec_lo
	s_and_b32 s9, s9, exec_lo
	s_or_b32 s11, s11, s12
	s_or_b32 s10, s10, s9
.LBB133_101:
	s_or_b32 exec_lo, exec_lo, s8
	s_and_b32 s9, s11, exec_lo
	s_and_b32 s8, s10, exec_lo
                                        ; implicit-def: $vgpr3
.LBB133_102:
	s_andn2_saveexec_b32 s7, s7
	s_cbranch_execz .LBB133_120
; %bb.103:
	v_mov_b32_e32 v2, 26
                                        ; implicit-def: $vgpr4_vgpr5
	v_cmp_gt_i16_sdwa s10, v3, v2 src0_sel:BYTE_0 src1_sel:DWORD
	s_and_saveexec_b32 s11, s10
	s_xor_b32 s10, exec_lo, s11
	s_cbranch_execz .LBB133_109
; %bb.104:
	v_mov_b32_e32 v2, 27
                                        ; implicit-def: $vgpr4_vgpr5
	v_cmp_gt_i16_sdwa s11, v3, v2 src0_sel:BYTE_0 src1_sel:DWORD
	s_and_saveexec_b32 s12, s11
	s_xor_b32 s11, exec_lo, s12
	s_cbranch_execz .LBB133_106
; %bb.105:
	flat_load_dword v2, v[0:1]
	s_waitcnt vmcnt(0) lgkmcnt(0)
	v_cvt_f64_u32_e32 v[4:5], v2
.LBB133_106:
	s_andn2_saveexec_b32 s11, s11
	s_cbranch_execz .LBB133_108
; %bb.107:
	flat_load_ushort v2, v[0:1]
	s_waitcnt vmcnt(0) lgkmcnt(0)
	v_cvt_f64_u32_e32 v[4:5], v2
.LBB133_108:
	s_or_b32 exec_lo, exec_lo, s11
.LBB133_109:
	s_andn2_saveexec_b32 s10, s10
	s_cbranch_execz .LBB133_119
; %bb.110:
	flat_load_ubyte v2, v[0:1]
	s_mov_b32 s11, 0
	s_mov_b32 s12, exec_lo
	s_waitcnt vmcnt(0) lgkmcnt(0)
	v_cmpx_lt_i16_e32 0x7f, v2
	s_xor_b32 s12, exec_lo, s12
	s_cbranch_execz .LBB133_114
; %bb.111:
	s_mov_b32 s11, -1
	s_mov_b32 s13, exec_lo
	v_cmpx_eq_u16_e32 0x80, v2
; %bb.112:
	s_xor_b32 s11, exec_lo, -1
; %bb.113:
	s_or_b32 exec_lo, exec_lo, s13
	s_and_b32 s11, s11, exec_lo
.LBB133_114:
	s_or_saveexec_b32 s12, s12
	v_bfrev_b32_e32 v4, 4
	v_mov_b32_e32 v5, 0x7ff80000
	s_xor_b32 exec_lo, exec_lo, s12
; %bb.115:
	v_cmp_ne_u16_e32 vcc_lo, 0, v2
	v_mov_b32_e32 v4, 0
	v_mov_b32_e32 v5, 0
	s_andn2_b32 s11, s11, exec_lo
	s_and_b32 s13, vcc_lo, exec_lo
	s_or_b32 s11, s11, s13
; %bb.116:
	s_or_b32 exec_lo, exec_lo, s12
	s_and_saveexec_b32 s12, s11
	s_cbranch_execz .LBB133_118
; %bb.117:
	v_and_b32_e32 v3, 0xffff, v2
	v_lshlrev_b32_e32 v2, 24, v2
	v_and_b32_e32 v4, 7, v3
	v_bfe_u32 v7, v3, 3, 4
	v_and_b32_e32 v2, 0x80000000, v2
	v_ffbh_u32_e32 v5, v4
	v_cmp_eq_u32_e32 vcc_lo, 0, v7
	v_min_u32_e32 v5, 32, v5
	v_subrev_nc_u32_e32 v6, 28, v5
	v_sub_nc_u32_e32 v5, 29, v5
	v_lshlrev_b32_e32 v3, v6, v3
	v_cndmask_b32_e32 v5, v7, v5, vcc_lo
	v_and_b32_e32 v3, 7, v3
	v_cndmask_b32_e32 v3, v4, v3, vcc_lo
	v_lshl_add_u32 v4, v5, 23, 0x3b800000
	v_lshlrev_b32_e32 v3, 20, v3
	v_or3_b32 v2, v2, v4, v3
	v_cvt_f64_f32_e32 v[4:5], v2
.LBB133_118:
	s_or_b32 exec_lo, exec_lo, s12
.LBB133_119:
	s_or_b32 exec_lo, exec_lo, s10
	s_or_b32 s9, s9, exec_lo
.LBB133_120:
	s_or_b32 exec_lo, exec_lo, s7
	s_and_b32 s7, s9, exec_lo
	s_and_b32 s8, s8, exec_lo
                                        ; implicit-def: $vgpr3
	s_andn2_saveexec_b32 s6, s6
	s_cbranch_execz .LBB133_6
.LBB133_121:
	v_mov_b32_e32 v2, 22
	s_mov_b32 s9, s7
                                        ; implicit-def: $vgpr4_vgpr5
	v_cmp_gt_i16_sdwa s5, v3, v2 src0_sel:BYTE_0 src1_sel:DWORD
	s_and_saveexec_b32 s10, s5
	s_xor_b32 s5, exec_lo, s10
	s_cbranch_execz .LBB133_139
; %bb.122:
	v_mov_b32_e32 v2, 23
                                        ; implicit-def: $vgpr4_vgpr5
	v_cmp_gt_i16_sdwa s9, v3, v2 src0_sel:BYTE_0 src1_sel:DWORD
	s_and_saveexec_b32 s10, s9
	s_xor_b32 s9, exec_lo, s10
	s_cbranch_execz .LBB133_136
; %bb.123:
	v_mov_b32_e32 v2, 24
                                        ; implicit-def: $vgpr4_vgpr5
	v_cmp_gt_i16_sdwa s10, v3, v2 src0_sel:BYTE_0 src1_sel:DWORD
	s_and_saveexec_b32 s11, s10
	s_xor_b32 s10, exec_lo, s11
	s_cbranch_execz .LBB133_133
; %bb.124:
	flat_load_ubyte v2, v[0:1]
	s_mov_b32 s11, 0
	s_mov_b32 s12, exec_lo
	s_waitcnt vmcnt(0) lgkmcnt(0)
	v_cmpx_lt_i16_e32 0x7f, v2
	s_xor_b32 s12, exec_lo, s12
	s_cbranch_execz .LBB133_128
; %bb.125:
	s_mov_b32 s11, -1
	s_mov_b32 s13, exec_lo
	v_cmpx_eq_u16_e32 0x80, v2
; %bb.126:
	s_xor_b32 s11, exec_lo, -1
; %bb.127:
	s_or_b32 exec_lo, exec_lo, s13
	s_and_b32 s11, s11, exec_lo
.LBB133_128:
	s_or_saveexec_b32 s12, s12
	v_bfrev_b32_e32 v4, 4
	v_mov_b32_e32 v5, 0x7ff80000
	s_xor_b32 exec_lo, exec_lo, s12
; %bb.129:
	v_cmp_ne_u16_e32 vcc_lo, 0, v2
	v_mov_b32_e32 v4, 0
	v_mov_b32_e32 v5, 0
	s_andn2_b32 s11, s11, exec_lo
	s_and_b32 s13, vcc_lo, exec_lo
	s_or_b32 s11, s11, s13
; %bb.130:
	s_or_b32 exec_lo, exec_lo, s12
	s_and_saveexec_b32 s12, s11
	s_cbranch_execz .LBB133_132
; %bb.131:
	v_and_b32_e32 v3, 0xffff, v2
	v_lshlrev_b32_e32 v2, 24, v2
	v_and_b32_e32 v4, 3, v3
	v_bfe_u32 v7, v3, 2, 5
	v_and_b32_e32 v2, 0x80000000, v2
	v_ffbh_u32_e32 v5, v4
	v_cmp_eq_u32_e32 vcc_lo, 0, v7
	v_min_u32_e32 v5, 32, v5
	v_subrev_nc_u32_e32 v6, 29, v5
	v_sub_nc_u32_e32 v5, 30, v5
	v_lshlrev_b32_e32 v3, v6, v3
	v_cndmask_b32_e32 v5, v7, v5, vcc_lo
	v_and_b32_e32 v3, 3, v3
	v_cndmask_b32_e32 v3, v4, v3, vcc_lo
	v_lshl_add_u32 v4, v5, 23, 0x37800000
	v_lshlrev_b32_e32 v3, 21, v3
	v_or3_b32 v2, v2, v4, v3
	v_cvt_f64_f32_e32 v[4:5], v2
.LBB133_132:
	s_or_b32 exec_lo, exec_lo, s12
.LBB133_133:
	s_andn2_saveexec_b32 s10, s10
	s_cbranch_execz .LBB133_135
; %bb.134:
	flat_load_ubyte v2, v[0:1]
	s_waitcnt vmcnt(0) lgkmcnt(0)
	v_lshlrev_b32_e32 v2, 24, v2
	v_and_b32_e32 v3, 0x7f000000, v2
	v_ffbh_u32_e32 v4, v3
	v_add_nc_u32_e32 v6, 0x1000000, v3
	v_cmp_ne_u32_e32 vcc_lo, 0, v3
	v_min_u32_e32 v4, 32, v4
	v_sub_nc_u32_e64 v4, v4, 4 clamp
	v_lshlrev_b32_e32 v5, v4, v3
	v_lshlrev_b32_e32 v4, 23, v4
	v_lshrrev_b32_e32 v5, 4, v5
	v_sub_nc_u32_e32 v4, v5, v4
	v_ashrrev_i32_e32 v5, 8, v6
	v_add_nc_u32_e32 v4, 0x3c000000, v4
	v_and_or_b32 v4, 0x7f800000, v5, v4
	v_cndmask_b32_e32 v3, 0, v4, vcc_lo
	v_and_or_b32 v2, 0x80000000, v2, v3
	v_cvt_f64_f32_e32 v[4:5], v2
.LBB133_135:
	s_or_b32 exec_lo, exec_lo, s10
.LBB133_136:
	s_andn2_saveexec_b32 s9, s9
	s_cbranch_execz .LBB133_138
; %bb.137:
	flat_load_ubyte v2, v[0:1]
	s_waitcnt vmcnt(0) lgkmcnt(0)
	v_lshlrev_b32_e32 v3, 25, v2
	v_lshlrev_b16 v2, 8, v2
	v_lshrrev_b32_e32 v4, 4, v3
	v_and_or_b32 v5, 0x7f00, v2, 0.5
	v_cmp_gt_u32_e32 vcc_lo, 0x8000000, v3
	v_bfe_i32 v2, v2, 0, 16
	v_or_b32_e32 v4, 0x70000000, v4
	v_add_f32_e32 v5, -0.5, v5
	v_mul_f32_e32 v4, 0x7800000, v4
	v_cndmask_b32_e32 v3, v4, v5, vcc_lo
	v_and_or_b32 v2, 0x80000000, v2, v3
	v_cvt_f64_f32_e32 v[4:5], v2
.LBB133_138:
	s_or_b32 exec_lo, exec_lo, s9
	s_or_b32 s9, s7, exec_lo
                                        ; implicit-def: $vgpr3
.LBB133_139:
	s_or_saveexec_b32 s5, s5
	s_mov_b32 s10, 0
	s_mov_b32 s11, s8
	s_xor_b32 exec_lo, exec_lo, s5
	s_cbranch_execz .LBB133_147
; %bb.140:
	v_mov_b32_e32 v2, 14
	s_mov_b32 s10, s8
	s_mov_b32 s11, s9
                                        ; implicit-def: $vgpr4_vgpr5
	v_cmp_gt_i16_sdwa s12, v3, v2 src0_sel:BYTE_0 src1_sel:DWORD
	s_and_saveexec_b32 s13, s12
	s_xor_b32 s12, exec_lo, s13
	s_cbranch_execz .LBB133_144
; %bb.141:
	v_mov_b32_e32 v2, 15
	s_mov_b32 s10, -1
	s_mov_b32 s11, s9
                                        ; implicit-def: $vgpr4_vgpr5
	v_cmp_eq_u16_sdwa s14, v3, v2 src0_sel:BYTE_0 src1_sel:DWORD
	s_and_saveexec_b32 s13, s14
	s_cbranch_execz .LBB133_143
; %bb.142:
	flat_load_ushort v2, v[0:1]
	s_or_b32 s11, s9, exec_lo
	s_xor_b32 s10, exec_lo, -1
	s_waitcnt vmcnt(0) lgkmcnt(0)
	v_lshlrev_b32_e32 v2, 16, v2
	v_cvt_f64_f32_e32 v[4:5], v2
.LBB133_143:
	s_or_b32 exec_lo, exec_lo, s13
	s_andn2_b32 s13, s9, exec_lo
	s_and_b32 s11, s11, exec_lo
	s_andn2_b32 s14, s8, exec_lo
	s_and_b32 s10, s10, exec_lo
	s_or_b32 s11, s13, s11
	s_or_b32 s10, s14, s10
                                        ; implicit-def: $vgpr3
.LBB133_144:
	s_or_saveexec_b32 s12, s12
	s_mov_b32 s13, 0
	s_xor_b32 exec_lo, exec_lo, s12
; %bb.145:
	v_mov_b32_e32 v2, 11
	s_andn2_b32 s10, s10, exec_lo
	s_mov_b32 s13, exec_lo
	v_cmp_ne_u16_sdwa s14, v3, v2 src0_sel:BYTE_0 src1_sel:DWORD
	s_and_b32 s14, s14, exec_lo
	s_or_b32 s10, s10, s14
; %bb.146:
	s_or_b32 exec_lo, exec_lo, s12
	s_andn2_b32 s9, s9, exec_lo
	s_and_b32 s11, s11, exec_lo
	s_and_b32 s12, s10, exec_lo
	s_or_b32 s9, s9, s11
	s_andn2_b32 s11, s8, exec_lo
	s_and_b32 s10, s13, exec_lo
	s_or_b32 s11, s11, s12
.LBB133_147:
	s_or_b32 exec_lo, exec_lo, s5
	s_andn2_b32 s5, s7, exec_lo
	s_and_b32 s7, s9, exec_lo
	s_andn2_b32 s8, s8, exec_lo
	s_and_b32 s9, s11, exec_lo
	s_or_b32 s7, s5, s7
	s_and_b32 s5, s10, exec_lo
	s_or_b32 s8, s8, s9
	s_or_b32 exec_lo, exec_lo, s6
	s_and_saveexec_b32 s6, s8
	s_cbranch_execz .LBB133_7
.LBB133_148:
	s_trap 2
	; divergent unreachable
	s_andn2_b32 s5, s5, exec_lo
	s_or_b32 exec_lo, exec_lo, s6
	s_and_saveexec_b32 s6, s5
	s_xor_b32 s5, exec_lo, s6
	s_cbranch_execnz .LBB133_8
	s_branch .LBB133_9
.Lfunc_end133:
	.size	_ZN2at6native6invokeIZZZNS0_18lgamma_kernel_cudaERNS_18TensorIteratorBaseEENKUlvE_clEvENKUlvE_clEvEUldE_j15function_traitsIS6_EEENT1_11result_typeERKT_PrKPcPKT0_PKN3c1010ScalarTypeEi, .Lfunc_end133-_ZN2at6native6invokeIZZZNS0_18lgamma_kernel_cudaERNS_18TensorIteratorBaseEENKUlvE_clEvENKUlvE_clEvEUldE_j15function_traitsIS6_EEENT1_11result_typeERKT_PrKPcPKT0_PKN3c1010ScalarTypeEi
                                        ; -- End function
	.set .L_ZN2at6native6invokeIZZZNS0_18lgamma_kernel_cudaERNS_18TensorIteratorBaseEENKUlvE_clEvENKUlvE_clEvEUldE_j15function_traitsIS6_EEENT1_11result_typeERKT_PrKPcPKT0_PKN3c1010ScalarTypeEi.num_vgpr, 36
	.set .L_ZN2at6native6invokeIZZZNS0_18lgamma_kernel_cudaERNS_18TensorIteratorBaseEENKUlvE_clEvENKUlvE_clEvEUldE_j15function_traitsIS6_EEENT1_11result_typeERKT_PrKPcPKT0_PKN3c1010ScalarTypeEi.num_agpr, 0
	.set .L_ZN2at6native6invokeIZZZNS0_18lgamma_kernel_cudaERNS_18TensorIteratorBaseEENKUlvE_clEvENKUlvE_clEvEUldE_j15function_traitsIS6_EEENT1_11result_typeERKT_PrKPcPKT0_PKN3c1010ScalarTypeEi.numbered_sgpr, 32
	.set .L_ZN2at6native6invokeIZZZNS0_18lgamma_kernel_cudaERNS_18TensorIteratorBaseEENKUlvE_clEvENKUlvE_clEvEUldE_j15function_traitsIS6_EEENT1_11result_typeERKT_PrKPcPKT0_PKN3c1010ScalarTypeEi.num_named_barrier, 0
	.set .L_ZN2at6native6invokeIZZZNS0_18lgamma_kernel_cudaERNS_18TensorIteratorBaseEENKUlvE_clEvENKUlvE_clEvEUldE_j15function_traitsIS6_EEENT1_11result_typeERKT_PrKPcPKT0_PKN3c1010ScalarTypeEi.private_seg_size, 0
	.set .L_ZN2at6native6invokeIZZZNS0_18lgamma_kernel_cudaERNS_18TensorIteratorBaseEENKUlvE_clEvENKUlvE_clEvEUldE_j15function_traitsIS6_EEENT1_11result_typeERKT_PrKPcPKT0_PKN3c1010ScalarTypeEi.uses_vcc, 1
	.set .L_ZN2at6native6invokeIZZZNS0_18lgamma_kernel_cudaERNS_18TensorIteratorBaseEENKUlvE_clEvENKUlvE_clEvEUldE_j15function_traitsIS6_EEENT1_11result_typeERKT_PrKPcPKT0_PKN3c1010ScalarTypeEi.uses_flat_scratch, 0
	.set .L_ZN2at6native6invokeIZZZNS0_18lgamma_kernel_cudaERNS_18TensorIteratorBaseEENKUlvE_clEvENKUlvE_clEvEUldE_j15function_traitsIS6_EEENT1_11result_typeERKT_PrKPcPKT0_PKN3c1010ScalarTypeEi.has_dyn_sized_stack, 0
	.set .L_ZN2at6native6invokeIZZZNS0_18lgamma_kernel_cudaERNS_18TensorIteratorBaseEENKUlvE_clEvENKUlvE_clEvEUldE_j15function_traitsIS6_EEENT1_11result_typeERKT_PrKPcPKT0_PKN3c1010ScalarTypeEi.has_recursion, 0
	.set .L_ZN2at6native6invokeIZZZNS0_18lgamma_kernel_cudaERNS_18TensorIteratorBaseEENKUlvE_clEvENKUlvE_clEvEUldE_j15function_traitsIS6_EEENT1_11result_typeERKT_PrKPcPKT0_PKN3c1010ScalarTypeEi.has_indirect_call, 0
	.section	.AMDGPU.csdata,"",@progbits
; Function info:
; codeLenInByte = 10364
; TotalNumSgprs: 34
; NumVgprs: 36
; ScratchSize: 0
; MemoryBound: 1
	.section	.text._ZN2at6native32elementwise_kernel_manual_unrollILi128ELi4EZNS0_15gpu_kernel_implIZZZNS0_18lgamma_kernel_cudaERNS_18TensorIteratorBaseEENKUlvE_clEvENKUlvE_clEvEUldE_EEvS4_RKT_EUlibE0_EEviT1_,"axG",@progbits,_ZN2at6native32elementwise_kernel_manual_unrollILi128ELi4EZNS0_15gpu_kernel_implIZZZNS0_18lgamma_kernel_cudaERNS_18TensorIteratorBaseEENKUlvE_clEvENKUlvE_clEvEUldE_EEvS4_RKT_EUlibE0_EEviT1_,comdat
	.globl	_ZN2at6native32elementwise_kernel_manual_unrollILi128ELi4EZNS0_15gpu_kernel_implIZZZNS0_18lgamma_kernel_cudaERNS_18TensorIteratorBaseEENKUlvE_clEvENKUlvE_clEvEUldE_EEvS4_RKT_EUlibE0_EEviT1_ ; -- Begin function _ZN2at6native32elementwise_kernel_manual_unrollILi128ELi4EZNS0_15gpu_kernel_implIZZZNS0_18lgamma_kernel_cudaERNS_18TensorIteratorBaseEENKUlvE_clEvENKUlvE_clEvEUldE_EEvS4_RKT_EUlibE0_EEviT1_
	.p2align	8
	.type	_ZN2at6native32elementwise_kernel_manual_unrollILi128ELi4EZNS0_15gpu_kernel_implIZZZNS0_18lgamma_kernel_cudaERNS_18TensorIteratorBaseEENKUlvE_clEvENKUlvE_clEvEUldE_EEvS4_RKT_EUlibE0_EEviT1_,@function
_ZN2at6native32elementwise_kernel_manual_unrollILi128ELi4EZNS0_15gpu_kernel_implIZZZNS0_18lgamma_kernel_cudaERNS_18TensorIteratorBaseEENKUlvE_clEvENKUlvE_clEvEUldE_EEvS4_RKT_EUlibE0_EEviT1_: ; @_ZN2at6native32elementwise_kernel_manual_unrollILi128ELi4EZNS0_15gpu_kernel_implIZZZNS0_18lgamma_kernel_cudaERNS_18TensorIteratorBaseEENKUlvE_clEvENKUlvE_clEvEUldE_EEvS4_RKT_EUlibE0_EEviT1_
; %bb.0:
	s_clause 0x1
	s_load_dword s33, s[4:5], 0x8
	s_load_dword s48, s[4:5], 0x0
	v_lshl_or_b32 v39, s6, 9, v0
	s_add_u32 s0, s0, s7
	s_mov_b64 s[18:19], s[4:5]
	s_addc_u32 s1, s1, 0
	s_add_u32 s28, s18, 8
	s_addc_u32 s29, s19, 0
	v_or_b32_e32 v6, 0x180, v39
	s_mov_b32 s4, -1
	s_mov_b32 s43, 0
	s_mov_b32 s24, 0
	;; [unrolled: 1-line block ×3, first 2 shown]
	s_mov_b32 s5, exec_lo
	s_waitcnt lgkmcnt(0)
	s_add_i32 s42, s33, -1
	s_cmp_gt_u32 s42, 1
	s_cselect_b32 s44, -1, 0
	v_cmpx_le_i32_e64 s48, v6
	s_xor_b32 s45, exec_lo, s5
	s_cbranch_execz .LBB134_570
; %bb.1:
	v_mov_b32_e32 v0, 0
	s_clause 0x3
	s_load_dwordx4 s[36:39], s[28:29], 0x4
	s_load_dwordx2 s[34:35], s[28:29], 0x14
	s_load_dwordx4 s[24:27], s[28:29], 0xc4
	s_load_dwordx4 s[20:23], s[28:29], 0x148
	v_mov_b32_e32 v1, 8
	s_cmp_lg_u32 s33, 0
	s_mov_b32 s53, 0
	global_load_ushort v0, v0, s[28:29] offset:345
	s_cselect_b32 s50, -1, 0
	s_add_u32 s40, s28, 0xc4
	s_addc_u32 s41, s29, 0
	s_min_u32 s49, s42, 15
	s_cmp_gt_u32 s33, 1
	s_mov_b32 s51, 0
	s_cselect_b32 s47, -1, 0
	s_mov_b32 s52, exec_lo
	s_waitcnt vmcnt(0)
	v_readfirstlane_b32 s46, v0
	v_lshrrev_b32_sdwa v36, v1, v0 dst_sel:DWORD dst_unused:UNUSED_PAD src0_sel:DWORD src1_sel:WORD_0
	v_cmpx_gt_i32_e64 s48, v39
                                        ; implicit-def: $vgpr2_vgpr3
	s_cbranch_execz .LBB134_138
; %bb.2:
	s_andn2_b32 vcc_lo, exec_lo, s44
	s_cbranch_vccnz .LBB134_7
; %bb.3:
	s_andn2_b32 vcc_lo, exec_lo, s50
	s_cbranch_vccnz .LBB134_8
; %bb.4:
	s_add_i32 s9, s49, 1
	s_cmp_eq_u32 s42, 2
	s_cbranch_scc1 .LBB134_9
; %bb.5:
	v_mov_b32_e32 v2, 0
	v_mov_b32_e32 v37, 0
	;; [unrolled: 1-line block ×3, first 2 shown]
	s_and_b32 s8, s9, 28
	s_mov_b32 s10, 0
	s_mov_b64 s[4:5], s[28:29]
	s_mov_b64 s[6:7], s[40:41]
.LBB134_6:                              ; =>This Inner Loop Header: Depth=1
	s_clause 0x1
	s_load_dwordx8 s[56:63], s[4:5], 0x4
	s_load_dwordx4 s[12:15], s[4:5], 0x24
	s_load_dwordx8 s[64:71], s[6:7], 0x0
	s_add_u32 s4, s4, 48
	s_addc_u32 s5, s5, 0
	s_add_i32 s10, s10, 4
	s_add_u32 s6, s6, 32
	s_addc_u32 s7, s7, 0
	s_cmp_lg_u32 s8, s10
	s_waitcnt lgkmcnt(0)
	v_mul_hi_u32 v1, s57, v0
	v_add_nc_u32_e32 v1, v0, v1
	v_lshrrev_b32_e32 v1, s58, v1
	v_mul_hi_u32 v3, s60, v1
	v_mul_lo_u32 v5, v1, s56
	v_add_nc_u32_e32 v3, v1, v3
	v_sub_nc_u32_e32 v0, v0, v5
	v_lshrrev_b32_e32 v3, s61, v3
	v_mul_lo_u32 v5, v0, s64
	v_mul_lo_u32 v7, v0, s65
	v_mul_hi_u32 v4, s63, v3
	v_add_nc_u32_e32 v4, v3, v4
	v_lshrrev_b32_e32 v4, s12, v4
	v_mul_hi_u32 v6, s14, v4
	v_mul_lo_u32 v8, v4, s62
	v_add_nc_u32_e32 v0, v4, v6
	v_mul_lo_u32 v6, v3, s59
	v_sub_nc_u32_e32 v3, v3, v8
	v_lshrrev_b32_e32 v0, s15, v0
	v_mul_lo_u32 v8, v3, s68
	v_mul_lo_u32 v3, v3, s69
	v_sub_nc_u32_e32 v1, v1, v6
	v_mul_lo_u32 v9, v0, s13
	v_mul_lo_u32 v6, v1, s66
	;; [unrolled: 1-line block ×3, first 2 shown]
	v_sub_nc_u32_e32 v4, v4, v9
	v_add3_u32 v5, v5, v37, v6
	v_mul_lo_u32 v9, v4, s70
	v_mul_lo_u32 v4, v4, s71
	v_add3_u32 v1, v7, v2, v1
	v_add3_u32 v37, v8, v5, v9
	;; [unrolled: 1-line block ×3, first 2 shown]
	s_cbranch_scc1 .LBB134_6
	s_branch .LBB134_10
.LBB134_7:
                                        ; implicit-def: $vgpr37
                                        ; implicit-def: $vgpr2
	s_andn2_b32 vcc_lo, exec_lo, s4
	s_cbranch_vccz .LBB134_14
	s_branch .LBB134_16
.LBB134_8:
	v_mov_b32_e32 v37, 0
	v_mov_b32_e32 v2, 0
	s_branch .LBB134_13
.LBB134_9:
	v_mov_b32_e32 v37, 0
	v_mov_b32_e32 v2, 0
	;; [unrolled: 1-line block ×3, first 2 shown]
	s_mov_b32 s8, 0
.LBB134_10:
	s_and_b32 s9, s9, 3
	s_cmp_eq_u32 s9, 0
	s_cbranch_scc1 .LBB134_13
; %bb.11:
	s_lshl_b32 s4, s8, 3
	s_mul_i32 s6, s8, 12
	s_add_u32 s4, s28, s4
	s_addc_u32 s5, s29, 0
	s_add_u32 s4, s4, 0xc4
	s_addc_u32 s5, s5, 0
	;; [unrolled: 2-line block ×3, first 2 shown]
	.p2align	6
.LBB134_12:                             ; =>This Inner Loop Header: Depth=1
	s_clause 0x1
	s_load_dwordx2 s[10:11], s[6:7], 0x4
	s_load_dword s8, s[6:7], 0xc
	s_load_dwordx2 s[12:13], s[4:5], 0x0
	s_add_u32 s6, s6, 12
	s_addc_u32 s7, s7, 0
	s_add_u32 s4, s4, 8
	s_addc_u32 s5, s5, 0
	s_add_i32 s9, s9, -1
	s_cmp_lg_u32 s9, 0
	s_waitcnt lgkmcnt(0)
	v_mul_hi_u32 v1, s11, v0
	v_add_nc_u32_e32 v1, v0, v1
	v_lshrrev_b32_e32 v1, s8, v1
	v_mul_lo_u32 v3, v1, s10
	v_sub_nc_u32_e32 v0, v0, v3
	v_mad_u64_u32 v[37:38], null, v0, s12, v[37:38]
	v_mad_u64_u32 v[2:3], null, v0, s13, v[2:3]
	v_mov_b32_e32 v0, v1
	s_cbranch_scc1 .LBB134_12
.LBB134_13:
	s_cbranch_execnz .LBB134_16
.LBB134_14:
	s_waitcnt lgkmcnt(0)
	v_mul_hi_u32 v0, s37, v39
	s_andn2_b32 vcc_lo, exec_lo, s47
	v_add_nc_u32_e32 v0, v39, v0
	v_lshrrev_b32_e32 v0, s38, v0
	v_mul_lo_u32 v1, v0, s36
	v_sub_nc_u32_e32 v1, v39, v1
	v_mul_lo_u32 v37, v1, s24
	v_mul_lo_u32 v2, v1, s25
	s_cbranch_vccnz .LBB134_16
; %bb.15:
	v_mul_hi_u32 v1, s34, v0
	v_add_nc_u32_e32 v1, v0, v1
	v_lshrrev_b32_e32 v1, s35, v1
	v_mul_lo_u32 v1, v1, s39
	v_sub_nc_u32_e32 v0, v0, v1
	v_mad_u64_u32 v[37:38], null, v0, s26, v[37:38]
	v_mad_u64_u32 v[2:3], null, v0, s27, v[2:3]
.LBB134_16:
	s_waitcnt lgkmcnt(0)
	v_mov_b32_e32 v0, s22
	v_mov_b32_e32 v1, s23
	;; [unrolled: 1-line block ×3, first 2 shown]
	s_getpc_b64 s[4:5]
	s_add_u32 s4, s4, _ZN2at6native6invokeIZZZNS0_18lgamma_kernel_cudaERNS_18TensorIteratorBaseEENKUlvE_clEvENKUlvE_clEvEUldE_j15function_traitsIS6_EEENT1_11result_typeERKT_PrKPcPKT0_PKN3c1010ScalarTypeEi@rel32@lo+4
	s_addc_u32 s5, s5, _ZN2at6native6invokeIZZZNS0_18lgamma_kernel_cudaERNS_18TensorIteratorBaseEENKUlvE_clEvENKUlvE_clEvEUldE_j15function_traitsIS6_EEENT1_11result_typeERKT_PrKPcPKT0_PKN3c1010ScalarTypeEi@rel32@hi+12
	s_swappc_b64 s[30:31], s[4:5]
	v_add_co_u32 v4, s4, s20, v37
	v_add_co_ci_u32_e64 v5, null, s21, 0, s4
	s_and_b32 s5, s46, 0xff
	s_cmp_lt_i32 s5, 11
	s_cbranch_scc1 .LBB134_23
; %bb.17:
	s_and_b32 s6, 0xffff, s5
	s_cmp_gt_i32 s6, 25
	s_cbranch_scc0 .LBB134_26
; %bb.18:
	s_cmp_gt_i32 s6, 28
	s_cbranch_scc0 .LBB134_27
; %bb.19:
	;; [unrolled: 3-line block ×4, first 2 shown]
	s_mov_b32 s8, 0
	s_mov_b32 s4, -1
	s_cmp_eq_u32 s6, 46
	s_mov_b32 s7, 0
	s_cbranch_scc0 .LBB134_30
; %bb.22:
	v_cvt_f32_f64_e32 v2, v[0:1]
	s_mov_b32 s7, -1
	s_mov_b32 s4, 0
	v_bfe_u32 v3, v2, 16, 1
	v_cmp_o_f32_e32 vcc_lo, v2, v2
	v_add3_u32 v2, v2, v3, 0x7fff
	v_mov_b32_e32 v3, 0x7fc0
	v_cndmask_b32_sdwa v2, v3, v2, vcc_lo dst_sel:DWORD dst_unused:UNUSED_PAD src0_sel:DWORD src1_sel:WORD_1
	global_store_dword v[4:5], v2, off
	s_branch .LBB134_30
.LBB134_23:
	s_mov_b32 s4, 0
	s_mov_b32 s7, 0
	s_cbranch_execnz .LBB134_98
.LBB134_24:
	s_andn2_b32 vcc_lo, exec_lo, s7
	s_cbranch_vccnz .LBB134_136
.LBB134_25:
	v_add_nc_u32_e32 v39, 0x80, v39
	s_mov_b32 s5, -1
	s_branch .LBB134_137
.LBB134_26:
	s_mov_b32 s4, 0
	s_mov_b32 s7, 0
	s_cbranch_execnz .LBB134_57
	s_branch .LBB134_97
.LBB134_27:
	s_mov_b32 s8, -1
	s_mov_b32 s4, 0
	s_mov_b32 s7, 0
	s_branch .LBB134_40
.LBB134_28:
	s_mov_b32 s8, -1
	s_mov_b32 s4, 0
	s_mov_b32 s7, 0
	s_branch .LBB134_36
.LBB134_29:
	s_mov_b32 s8, -1
	s_mov_b32 s4, 0
	s_mov_b32 s7, 0
.LBB134_30:
	s_and_b32 vcc_lo, exec_lo, s8
	s_cbranch_vccz .LBB134_35
; %bb.31:
	s_cmp_eq_u32 s6, 44
	s_mov_b32 s4, -1
	s_cbranch_scc0 .LBB134_35
; %bb.32:
	v_cvt_f32_f64_e32 v2, v[0:1]
	v_mov_b32_e32 v3, 0xff
	s_mov_b32 s7, exec_lo
	v_bfe_u32 v6, v2, 23, 8
	v_cmpx_ne_u32_e32 0xff, v6
	s_cbranch_execz .LBB134_34
; %bb.33:
	v_and_b32_e32 v3, 0x400000, v2
	v_and_or_b32 v6, 0x3fffff, v2, v6
	v_lshrrev_b32_e32 v2, 23, v2
	v_cmp_ne_u32_e32 vcc_lo, 0, v3
	v_cmp_ne_u32_e64 s4, 0, v6
	s_and_b32 s4, vcc_lo, s4
	v_cndmask_b32_e64 v3, 0, 1, s4
	v_add_nc_u32_e32 v3, v2, v3
.LBB134_34:
	s_or_b32 exec_lo, exec_lo, s7
	s_mov_b32 s7, -1
	s_mov_b32 s4, 0
	global_store_byte v[4:5], v3, off
.LBB134_35:
	s_mov_b32 s8, 0
.LBB134_36:
	s_and_b32 vcc_lo, exec_lo, s8
	s_cbranch_vccz .LBB134_39
; %bb.37:
	s_cmp_eq_u32 s6, 29
	s_mov_b32 s4, -1
	s_cbranch_scc0 .LBB134_39
; %bb.38:
	v_trunc_f64_e32 v[2:3], v[0:1]
	s_mov_b32 s7, -1
	s_mov_b32 s4, 0
	s_mov_b32 s8, 0
	v_ldexp_f64 v[6:7], v[2:3], 0xffffffe0
	v_floor_f64_e32 v[6:7], v[6:7]
	v_fma_f64 v[2:3], 0xc1f00000, v[6:7], v[2:3]
	v_cvt_u32_f64_e32 v7, v[6:7]
	v_cvt_u32_f64_e32 v6, v[2:3]
	global_store_dwordx2 v[4:5], v[6:7], off
	s_branch .LBB134_40
.LBB134_39:
	s_mov_b32 s8, 0
.LBB134_40:
	s_and_b32 vcc_lo, exec_lo, s8
	s_cbranch_vccz .LBB134_56
; %bb.41:
	s_cmp_lt_i32 s6, 27
	s_mov_b32 s7, -1
	s_cbranch_scc1 .LBB134_47
; %bb.42:
	s_cmp_gt_i32 s6, 27
	s_cbranch_scc0 .LBB134_44
; %bb.43:
	v_cvt_u32_f64_e32 v2, v[0:1]
	s_mov_b32 s7, 0
	global_store_dword v[4:5], v2, off
.LBB134_44:
	s_andn2_b32 vcc_lo, exec_lo, s7
	s_cbranch_vccnz .LBB134_46
; %bb.45:
	v_cvt_u32_f64_e32 v2, v[0:1]
	global_store_short v[4:5], v2, off
.LBB134_46:
	s_mov_b32 s7, 0
.LBB134_47:
	s_andn2_b32 vcc_lo, exec_lo, s7
	s_cbranch_vccnz .LBB134_55
; %bb.48:
	v_cvt_f32_f64_e32 v2, v[0:1]
	v_mov_b32_e32 v6, 0x80
	s_mov_b32 s7, exec_lo
	v_and_b32_e32 v3, 0x7fffffff, v2
	v_cmpx_gt_u32_e32 0x43800000, v3
	s_cbranch_execz .LBB134_54
; %bb.49:
	v_cmp_lt_u32_e32 vcc_lo, 0x3bffffff, v3
	s_mov_b32 s8, 0
                                        ; implicit-def: $vgpr3
	s_and_saveexec_b32 s9, vcc_lo
	s_xor_b32 s9, exec_lo, s9
	s_cbranch_execz .LBB134_169
; %bb.50:
	v_bfe_u32 v3, v2, 20, 1
	s_mov_b32 s8, exec_lo
	v_add3_u32 v3, v2, v3, 0x487ffff
	v_lshrrev_b32_e32 v3, 20, v3
	s_andn2_saveexec_b32 s9, s9
	s_cbranch_execnz .LBB134_170
.LBB134_51:
	s_or_b32 exec_lo, exec_lo, s9
	v_mov_b32_e32 v6, 0
	s_and_saveexec_b32 s9, s8
.LBB134_52:
	v_lshrrev_b32_e32 v2, 24, v2
	v_and_or_b32 v6, 0x80, v2, v3
.LBB134_53:
	s_or_b32 exec_lo, exec_lo, s9
.LBB134_54:
	s_or_b32 exec_lo, exec_lo, s7
	global_store_byte v[4:5], v6, off
.LBB134_55:
	s_mov_b32 s7, -1
.LBB134_56:
	s_branch .LBB134_97
.LBB134_57:
	s_cmp_gt_i32 s6, 22
	s_mov_b32 s8, -1
	s_cbranch_scc0 .LBB134_89
; %bb.58:
	s_cmp_lt_i32 s6, 24
	s_mov_b32 s7, -1
	s_cbranch_scc1 .LBB134_78
; %bb.59:
	s_cmp_gt_i32 s6, 24
	s_cbranch_scc0 .LBB134_67
; %bb.60:
	v_cvt_f32_f64_e32 v2, v[0:1]
	v_mov_b32_e32 v6, 0x80
	s_mov_b32 s7, exec_lo
	v_and_b32_e32 v3, 0x7fffffff, v2
	v_cmpx_gt_u32_e32 0x47800000, v3
	s_cbranch_execz .LBB134_66
; %bb.61:
	v_cmp_lt_u32_e32 vcc_lo, 0x37ffffff, v3
	s_mov_b32 s8, 0
                                        ; implicit-def: $vgpr3
	s_and_saveexec_b32 s9, vcc_lo
	s_xor_b32 s9, exec_lo, s9
	s_cbranch_execz .LBB134_172
; %bb.62:
	v_bfe_u32 v3, v2, 21, 1
	s_mov_b32 s8, exec_lo
	v_add3_u32 v3, v2, v3, 0x88fffff
	v_lshrrev_b32_e32 v3, 21, v3
	s_andn2_saveexec_b32 s9, s9
	s_cbranch_execnz .LBB134_173
.LBB134_63:
	s_or_b32 exec_lo, exec_lo, s9
	v_mov_b32_e32 v6, 0
	s_and_saveexec_b32 s9, s8
.LBB134_64:
	v_lshrrev_b32_e32 v2, 24, v2
	v_and_or_b32 v6, 0x80, v2, v3
.LBB134_65:
	s_or_b32 exec_lo, exec_lo, s9
.LBB134_66:
	s_or_b32 exec_lo, exec_lo, s7
	s_mov_b32 s7, 0
	global_store_byte v[4:5], v6, off
.LBB134_67:
	s_and_b32 vcc_lo, exec_lo, s7
	s_cbranch_vccz .LBB134_77
; %bb.68:
	v_cvt_f32_f64_e32 v2, v[0:1]
	s_mov_b32 s7, exec_lo
                                        ; implicit-def: $vgpr3
	v_and_b32_e32 v6, 0x7fffffff, v2
	v_cmpx_gt_u32_e32 0x43f00000, v6
	s_xor_b32 s7, exec_lo, s7
	s_cbranch_execz .LBB134_74
; %bb.69:
	s_mov_b32 s8, exec_lo
                                        ; implicit-def: $vgpr3
	v_cmpx_lt_u32_e32 0x3c7fffff, v6
	s_xor_b32 s8, exec_lo, s8
; %bb.70:
	v_bfe_u32 v3, v2, 20, 1
	v_add3_u32 v3, v2, v3, 0x407ffff
	v_and_b32_e32 v6, 0xff00000, v3
	v_lshrrev_b32_e32 v3, 20, v3
	v_cmp_ne_u32_e32 vcc_lo, 0x7f00000, v6
	v_cndmask_b32_e32 v3, 0x7e, v3, vcc_lo
; %bb.71:
	s_andn2_saveexec_b32 s8, s8
; %bb.72:
	v_add_f32_e64 v3, 0x46800000, |v2|
; %bb.73:
	s_or_b32 exec_lo, exec_lo, s8
                                        ; implicit-def: $vgpr6
.LBB134_74:
	s_andn2_saveexec_b32 s7, s7
; %bb.75:
	v_mov_b32_e32 v3, 0x7f
	v_cmp_lt_u32_e32 vcc_lo, 0x7f800000, v6
	v_cndmask_b32_e32 v3, 0x7e, v3, vcc_lo
; %bb.76:
	s_or_b32 exec_lo, exec_lo, s7
	v_lshrrev_b32_e32 v2, 24, v2
	v_and_or_b32 v2, 0x80, v2, v3
	global_store_byte v[4:5], v2, off
.LBB134_77:
	s_mov_b32 s7, 0
.LBB134_78:
	s_andn2_b32 vcc_lo, exec_lo, s7
	s_cbranch_vccnz .LBB134_88
; %bb.79:
	v_cvt_f32_f64_e32 v2, v[0:1]
	s_mov_b32 s7, exec_lo
                                        ; implicit-def: $vgpr3
	v_and_b32_e32 v6, 0x7fffffff, v2
	v_cmpx_gt_u32_e32 0x47800000, v6
	s_xor_b32 s7, exec_lo, s7
	s_cbranch_execz .LBB134_85
; %bb.80:
	s_mov_b32 s8, exec_lo
                                        ; implicit-def: $vgpr3
	v_cmpx_lt_u32_e32 0x387fffff, v6
	s_xor_b32 s8, exec_lo, s8
; %bb.81:
	v_bfe_u32 v3, v2, 21, 1
	v_add3_u32 v3, v2, v3, 0x80fffff
	v_lshrrev_b32_e32 v3, 21, v3
; %bb.82:
	s_andn2_saveexec_b32 s8, s8
; %bb.83:
	v_add_f32_e64 v3, 0x43000000, |v2|
; %bb.84:
	s_or_b32 exec_lo, exec_lo, s8
                                        ; implicit-def: $vgpr6
.LBB134_85:
	s_andn2_saveexec_b32 s7, s7
; %bb.86:
	v_mov_b32_e32 v3, 0x7f
	v_cmp_lt_u32_e32 vcc_lo, 0x7f800000, v6
	v_cndmask_b32_e32 v3, 0x7c, v3, vcc_lo
; %bb.87:
	s_or_b32 exec_lo, exec_lo, s7
	v_lshrrev_b32_e32 v2, 24, v2
	v_and_or_b32 v2, 0x80, v2, v3
	global_store_byte v[4:5], v2, off
.LBB134_88:
	s_mov_b32 s8, 0
	s_mov_b32 s7, -1
.LBB134_89:
	s_andn2_b32 vcc_lo, exec_lo, s8
	s_cbranch_vccnz .LBB134_97
; %bb.90:
	s_cmp_gt_i32 s6, 14
	s_mov_b32 s8, -1
	s_cbranch_scc0 .LBB134_94
; %bb.91:
	s_cmp_eq_u32 s6, 15
	s_mov_b32 s4, -1
	s_cbranch_scc0 .LBB134_93
; %bb.92:
	v_cvt_f32_f64_e32 v2, v[0:1]
	s_mov_b32 s7, -1
	s_mov_b32 s4, 0
	v_bfe_u32 v3, v2, 16, 1
	v_cmp_o_f32_e32 vcc_lo, v2, v2
	v_add3_u32 v2, v2, v3, 0x7fff
	v_mov_b32_e32 v3, 0x7fc0
	v_cndmask_b32_sdwa v2, v3, v2, vcc_lo dst_sel:DWORD dst_unused:UNUSED_PAD src0_sel:DWORD src1_sel:WORD_1
	global_store_short v[4:5], v2, off
.LBB134_93:
	s_mov_b32 s8, 0
.LBB134_94:
	s_and_b32 vcc_lo, exec_lo, s8
	s_cbranch_vccz .LBB134_97
; %bb.95:
	s_cmp_eq_u32 s6, 11
	s_mov_b32 s4, -1
	s_cbranch_scc0 .LBB134_97
; %bb.96:
	v_cmp_neq_f64_e32 vcc_lo, 0, v[0:1]
	s_mov_b32 s7, -1
	s_mov_b32 s4, 0
	v_cndmask_b32_e64 v2, 0, 1, vcc_lo
	global_store_byte v[4:5], v2, off
.LBB134_97:
	s_branch .LBB134_24
.LBB134_98:
	s_and_b32 s5, 0xffff, s5
	s_mov_b32 s6, -1
	s_cmp_lt_i32 s5, 5
	s_cbranch_scc1 .LBB134_119
; %bb.99:
	s_cmp_lt_i32 s5, 8
	s_cbranch_scc1 .LBB134_109
; %bb.100:
	;; [unrolled: 3-line block ×3, first 2 shown]
	s_cmp_gt_i32 s5, 9
	s_cbranch_scc0 .LBB134_103
; %bb.102:
	v_mov_b32_e32 v2, 0
	s_mov_b32 s6, 0
	v_mov_b32_e32 v3, v2
	global_store_dwordx4 v[4:5], v[0:3], off
.LBB134_103:
	s_andn2_b32 vcc_lo, exec_lo, s6
	s_cbranch_vccnz .LBB134_105
; %bb.104:
	v_cvt_f32_f64_e32 v2, v[0:1]
	v_mov_b32_e32 v3, 0
	global_store_dwordx2 v[4:5], v[2:3], off
.LBB134_105:
	s_mov_b32 s6, 0
.LBB134_106:
	s_andn2_b32 vcc_lo, exec_lo, s6
	s_cbranch_vccnz .LBB134_108
; %bb.107:
	v_and_or_b32 v2, 0x1ff, v1, v0
	v_lshrrev_b32_e32 v3, 8, v1
	v_bfe_u32 v6, v1, 20, 11
	v_cmp_ne_u32_e32 vcc_lo, 0, v2
	v_sub_nc_u32_e32 v7, 0x3f1, v6
	v_add_nc_u32_e32 v6, 0xfffffc10, v6
	v_cndmask_b32_e64 v2, 0, 1, vcc_lo
	v_and_or_b32 v2, 0xffe, v3, v2
	v_med3_i32 v3, v7, 0, 13
	v_or_b32_e32 v7, 0x1000, v2
	v_lshrrev_b32_e32 v8, v3, v7
	v_lshlrev_b32_e32 v3, v3, v8
	v_cmp_ne_u32_e32 vcc_lo, v3, v7
	v_lshl_or_b32 v7, v6, 12, v2
	v_cndmask_b32_e64 v3, 0, 1, vcc_lo
	v_cmp_gt_i32_e32 vcc_lo, 1, v6
	v_or_b32_e32 v3, v8, v3
	v_cndmask_b32_e32 v3, v7, v3, vcc_lo
	v_and_b32_e32 v7, 7, v3
	v_lshrrev_b32_e32 v3, 2, v3
	v_cmp_lt_i32_e32 vcc_lo, 5, v7
	v_cndmask_b32_e64 v8, 0, 1, vcc_lo
	v_cmp_eq_u32_e32 vcc_lo, 3, v7
	v_cndmask_b32_e64 v7, 0, 1, vcc_lo
	v_cmp_ne_u32_e32 vcc_lo, 0, v2
	v_or_b32_e32 v7, v7, v8
	v_mov_b32_e32 v8, 0x7e00
	v_add_nc_u32_e32 v3, v3, v7
	v_cndmask_b32_e32 v2, 0x7c00, v8, vcc_lo
	v_cmp_gt_i32_e32 vcc_lo, 31, v6
	v_cndmask_b32_e32 v3, 0x7c00, v3, vcc_lo
	v_cmp_eq_u32_e32 vcc_lo, 0x40f, v6
	v_cndmask_b32_e32 v2, v3, v2, vcc_lo
	v_lshrrev_b32_e32 v3, 16, v1
	v_and_or_b32 v2, 0x8000, v3, v2
	v_and_b32_e32 v2, 0xffff, v2
	global_store_dword v[4:5], v2, off
.LBB134_108:
	s_mov_b32 s6, 0
.LBB134_109:
	s_andn2_b32 vcc_lo, exec_lo, s6
	s_cbranch_vccnz .LBB134_118
; %bb.110:
	s_cmp_lt_i32 s5, 6
	s_mov_b32 s6, -1
	s_cbranch_scc1 .LBB134_116
; %bb.111:
	s_cmp_gt_i32 s5, 6
	s_cbranch_scc0 .LBB134_113
; %bb.112:
	s_mov_b32 s6, 0
	global_store_dwordx2 v[4:5], v[0:1], off
.LBB134_113:
	s_andn2_b32 vcc_lo, exec_lo, s6
	s_cbranch_vccnz .LBB134_115
; %bb.114:
	v_cvt_f32_f64_e32 v2, v[0:1]
	global_store_dword v[4:5], v2, off
.LBB134_115:
	s_mov_b32 s6, 0
.LBB134_116:
	s_andn2_b32 vcc_lo, exec_lo, s6
	s_cbranch_vccnz .LBB134_118
; %bb.117:
	v_and_or_b32 v2, 0x1ff, v1, v0
	v_lshrrev_b32_e32 v3, 8, v1
	v_bfe_u32 v6, v1, 20, 11
	v_cmp_ne_u32_e32 vcc_lo, 0, v2
	v_sub_nc_u32_e32 v7, 0x3f1, v6
	v_add_nc_u32_e32 v6, 0xfffffc10, v6
	v_cndmask_b32_e64 v2, 0, 1, vcc_lo
	v_and_or_b32 v2, 0xffe, v3, v2
	v_med3_i32 v3, v7, 0, 13
	v_or_b32_e32 v7, 0x1000, v2
	v_lshrrev_b32_e32 v8, v3, v7
	v_lshlrev_b32_e32 v3, v3, v8
	v_cmp_ne_u32_e32 vcc_lo, v3, v7
	v_lshl_or_b32 v7, v6, 12, v2
	v_cndmask_b32_e64 v3, 0, 1, vcc_lo
	v_cmp_gt_i32_e32 vcc_lo, 1, v6
	v_or_b32_e32 v3, v8, v3
	v_cndmask_b32_e32 v3, v7, v3, vcc_lo
	v_and_b32_e32 v7, 7, v3
	v_lshrrev_b32_e32 v3, 2, v3
	v_cmp_lt_i32_e32 vcc_lo, 5, v7
	v_cndmask_b32_e64 v8, 0, 1, vcc_lo
	v_cmp_eq_u32_e32 vcc_lo, 3, v7
	v_cndmask_b32_e64 v7, 0, 1, vcc_lo
	v_cmp_ne_u32_e32 vcc_lo, 0, v2
	v_or_b32_e32 v7, v7, v8
	v_mov_b32_e32 v8, 0x7e00
	v_add_nc_u32_e32 v3, v3, v7
	v_cndmask_b32_e32 v2, 0x7c00, v8, vcc_lo
	v_cmp_gt_i32_e32 vcc_lo, 31, v6
	v_cndmask_b32_e32 v3, 0x7c00, v3, vcc_lo
	v_cmp_eq_u32_e32 vcc_lo, 0x40f, v6
	v_cndmask_b32_e32 v2, v3, v2, vcc_lo
	v_lshrrev_b32_e32 v3, 16, v1
	v_and_or_b32 v2, 0x8000, v3, v2
	global_store_short v[4:5], v2, off
.LBB134_118:
	s_mov_b32 s6, 0
.LBB134_119:
	s_andn2_b32 vcc_lo, exec_lo, s6
	s_cbranch_vccnz .LBB134_135
; %bb.120:
	s_cmp_lt_i32 s5, 2
	s_mov_b32 s6, -1
	s_cbranch_scc1 .LBB134_130
; %bb.121:
	s_cmp_lt_i32 s5, 3
	s_cbranch_scc1 .LBB134_127
; %bb.122:
	s_cmp_gt_i32 s5, 3
	s_cbranch_scc0 .LBB134_124
; %bb.123:
	v_trunc_f64_e32 v[2:3], v[0:1]
	s_mov_b32 s6, 0
	v_ldexp_f64 v[6:7], v[2:3], 0xffffffe0
	v_floor_f64_e32 v[6:7], v[6:7]
	v_fma_f64 v[2:3], 0xc1f00000, v[6:7], v[2:3]
	v_cvt_i32_f64_e32 v7, v[6:7]
	v_cvt_u32_f64_e32 v6, v[2:3]
	global_store_dwordx2 v[4:5], v[6:7], off
.LBB134_124:
	s_andn2_b32 vcc_lo, exec_lo, s6
	s_cbranch_vccnz .LBB134_126
; %bb.125:
	v_cvt_i32_f64_e32 v2, v[0:1]
	global_store_dword v[4:5], v2, off
.LBB134_126:
	s_mov_b32 s6, 0
.LBB134_127:
	s_andn2_b32 vcc_lo, exec_lo, s6
	s_cbranch_vccnz .LBB134_129
; %bb.128:
	v_cvt_i32_f64_e32 v2, v[0:1]
	global_store_short v[4:5], v2, off
.LBB134_129:
	s_mov_b32 s6, 0
.LBB134_130:
	s_andn2_b32 vcc_lo, exec_lo, s6
	s_cbranch_vccnz .LBB134_135
; %bb.131:
	s_cmp_gt_i32 s5, 0
	s_mov_b32 s5, -1
	s_cbranch_scc0 .LBB134_133
; %bb.132:
	v_cvt_i32_f64_e32 v2, v[0:1]
	s_mov_b32 s5, 0
	global_store_byte v[4:5], v2, off
.LBB134_133:
	s_andn2_b32 vcc_lo, exec_lo, s5
	s_cbranch_vccnz .LBB134_135
; %bb.134:
	v_trunc_f64_e32 v[0:1], v[0:1]
	v_ldexp_f64 v[2:3], v[0:1], 0xffffffe0
	v_floor_f64_e32 v[2:3], v[2:3]
	v_fma_f64 v[0:1], 0xc1f00000, v[2:3], v[0:1]
	v_cvt_u32_f64_e32 v0, v[0:1]
	global_store_byte v[4:5], v0, off
.LBB134_135:
	s_branch .LBB134_25
.LBB134_136:
	s_mov_b32 s5, 0
                                        ; implicit-def: $vgpr39
.LBB134_137:
	s_and_b32 s51, s4, exec_lo
	s_orn2_b32 s4, s5, exec_lo
.LBB134_138:
	s_or_b32 exec_lo, exec_lo, s52
	s_mov_b32 s6, 0
                                        ; implicit-def: $sgpr5
                                        ; implicit-def: $vgpr4_vgpr5
                                        ; implicit-def: $vgpr0_vgpr1
	s_and_saveexec_b32 s52, s4
	s_cbranch_execz .LBB134_145
; %bb.139:
	s_mov_b32 s7, -1
	s_mov_b32 s53, s51
	s_mov_b32 s54, exec_lo
	v_cmpx_gt_i32_e64 s48, v39
	s_cbranch_execz .LBB134_284
; %bb.140:
	s_andn2_b32 vcc_lo, exec_lo, s44
	s_cbranch_vccnz .LBB134_148
; %bb.141:
	s_andn2_b32 vcc_lo, exec_lo, s50
	s_cbranch_vccnz .LBB134_149
; %bb.142:
	s_add_i32 s9, s49, 1
	s_cmp_eq_u32 s42, 2
	s_cbranch_scc1 .LBB134_150
; %bb.143:
	v_mov_b32_e32 v2, 0
	v_mov_b32_e32 v37, 0
	;; [unrolled: 1-line block ×3, first 2 shown]
	s_and_b32 s8, s9, 28
	s_mov_b32 s10, 0
	s_mov_b64 s[4:5], s[28:29]
	s_mov_b64 s[6:7], s[40:41]
.LBB134_144:                            ; =>This Inner Loop Header: Depth=1
	s_clause 0x1
	s_load_dwordx8 s[56:63], s[4:5], 0x4
	s_load_dwordx4 s[12:15], s[4:5], 0x24
	s_load_dwordx8 s[64:71], s[6:7], 0x0
	s_add_u32 s4, s4, 48
	s_addc_u32 s5, s5, 0
	s_add_i32 s10, s10, 4
	s_add_u32 s6, s6, 32
	s_addc_u32 s7, s7, 0
	s_cmp_eq_u32 s8, s10
	s_waitcnt lgkmcnt(0)
	v_mul_hi_u32 v1, s57, v0
	v_add_nc_u32_e32 v1, v0, v1
	v_lshrrev_b32_e32 v1, s58, v1
	v_mul_hi_u32 v3, s60, v1
	v_mul_lo_u32 v5, v1, s56
	v_add_nc_u32_e32 v3, v1, v3
	v_sub_nc_u32_e32 v0, v0, v5
	v_lshrrev_b32_e32 v3, s61, v3
	v_mul_lo_u32 v5, v0, s64
	v_mul_lo_u32 v7, v0, s65
	v_mul_hi_u32 v4, s63, v3
	v_add_nc_u32_e32 v4, v3, v4
	v_lshrrev_b32_e32 v4, s12, v4
	v_mul_hi_u32 v6, s14, v4
	v_mul_lo_u32 v8, v4, s62
	v_add_nc_u32_e32 v0, v4, v6
	v_mul_lo_u32 v6, v3, s59
	v_sub_nc_u32_e32 v3, v3, v8
	v_lshrrev_b32_e32 v0, s15, v0
	v_mul_lo_u32 v8, v3, s68
	v_mul_lo_u32 v3, v3, s69
	v_sub_nc_u32_e32 v1, v1, v6
	v_mul_lo_u32 v9, v0, s13
	v_mul_lo_u32 v6, v1, s66
	;; [unrolled: 1-line block ×3, first 2 shown]
	v_sub_nc_u32_e32 v4, v4, v9
	v_add3_u32 v5, v5, v37, v6
	v_mul_lo_u32 v9, v4, s70
	v_mul_lo_u32 v4, v4, s71
	v_add3_u32 v1, v7, v2, v1
	v_add3_u32 v37, v8, v5, v9
	;; [unrolled: 1-line block ×3, first 2 shown]
	s_cbranch_scc0 .LBB134_144
	s_branch .LBB134_151
.LBB134_145:
	s_or_b32 exec_lo, exec_lo, s52
	s_mov_b32 s4, 0
	s_and_saveexec_b32 s7, s51
	s_cbranch_execnz .LBB134_530
.LBB134_146:
	s_or_b32 exec_lo, exec_lo, s7
	s_and_saveexec_b32 s7, s53
	s_xor_b32 s7, exec_lo, s7
	s_cbranch_execz .LBB134_531
.LBB134_147:
	v_cmp_neq_f64_e32 vcc_lo, 0, v[0:1]
	v_cndmask_b32_e64 v2, 0, 1, vcc_lo
	global_store_byte v[4:5], v2, off
	s_or_b32 exec_lo, exec_lo, s7
	s_and_saveexec_b32 s7, s6
	s_xor_b32 s6, exec_lo, s7
	s_cbranch_execz .LBB134_569
	s_branch .LBB134_532
.LBB134_148:
                                        ; implicit-def: $vgpr37
                                        ; implicit-def: $vgpr2
	s_branch .LBB134_155
.LBB134_149:
	v_mov_b32_e32 v37, 0
	v_mov_b32_e32 v2, 0
	s_branch .LBB134_154
.LBB134_150:
	v_mov_b32_e32 v37, 0
	v_mov_b32_e32 v2, 0
	;; [unrolled: 1-line block ×3, first 2 shown]
	s_mov_b32 s8, 0
.LBB134_151:
	s_and_b32 s9, s9, 3
	s_cmp_eq_u32 s9, 0
	s_cbranch_scc1 .LBB134_154
; %bb.152:
	s_lshl_b32 s4, s8, 3
	s_mul_i32 s6, s8, 12
	s_add_u32 s4, s28, s4
	s_addc_u32 s5, s29, 0
	s_add_u32 s4, s4, 0xc4
	s_addc_u32 s5, s5, 0
	;; [unrolled: 2-line block ×3, first 2 shown]
	.p2align	6
.LBB134_153:                            ; =>This Inner Loop Header: Depth=1
	s_clause 0x1
	s_load_dwordx2 s[10:11], s[6:7], 0x4
	s_load_dword s8, s[6:7], 0xc
	s_load_dwordx2 s[12:13], s[4:5], 0x0
	s_add_u32 s6, s6, 12
	s_addc_u32 s7, s7, 0
	s_add_u32 s4, s4, 8
	s_addc_u32 s5, s5, 0
	s_add_i32 s9, s9, -1
	s_cmp_lg_u32 s9, 0
	s_waitcnt lgkmcnt(0)
	v_mul_hi_u32 v1, s11, v0
	v_add_nc_u32_e32 v1, v0, v1
	v_lshrrev_b32_e32 v1, s8, v1
	v_mul_lo_u32 v3, v1, s10
	v_sub_nc_u32_e32 v0, v0, v3
	v_mad_u64_u32 v[37:38], null, v0, s12, v[37:38]
	v_mad_u64_u32 v[2:3], null, v0, s13, v[2:3]
	v_mov_b32_e32 v0, v1
	s_cbranch_scc1 .LBB134_153
.LBB134_154:
	s_cbranch_execnz .LBB134_157
.LBB134_155:
	s_waitcnt lgkmcnt(0)
	v_mul_hi_u32 v0, s37, v39
	s_andn2_b32 vcc_lo, exec_lo, s47
	v_add_nc_u32_e32 v0, v39, v0
	v_lshrrev_b32_e32 v0, s38, v0
	v_mul_lo_u32 v1, v0, s36
	v_sub_nc_u32_e32 v1, v39, v1
	v_mul_lo_u32 v37, v1, s24
	v_mul_lo_u32 v2, v1, s25
	s_cbranch_vccnz .LBB134_157
; %bb.156:
	v_mul_hi_u32 v1, s34, v0
	v_add_nc_u32_e32 v1, v0, v1
	v_lshrrev_b32_e32 v1, s35, v1
	v_mul_lo_u32 v1, v1, s39
	v_sub_nc_u32_e32 v0, v0, v1
	v_mad_u64_u32 v[37:38], null, v0, s26, v[37:38]
	v_mad_u64_u32 v[2:3], null, v0, s27, v[2:3]
.LBB134_157:
	s_waitcnt lgkmcnt(0)
	v_mov_b32_e32 v0, s22
	v_mov_b32_e32 v1, s23
	;; [unrolled: 1-line block ×3, first 2 shown]
	s_getpc_b64 s[4:5]
	s_add_u32 s4, s4, _ZN2at6native6invokeIZZZNS0_18lgamma_kernel_cudaERNS_18TensorIteratorBaseEENKUlvE_clEvENKUlvE_clEvEUldE_j15function_traitsIS6_EEENT1_11result_typeERKT_PrKPcPKT0_PKN3c1010ScalarTypeEi@rel32@lo+4
	s_addc_u32 s5, s5, _ZN2at6native6invokeIZZZNS0_18lgamma_kernel_cudaERNS_18TensorIteratorBaseEENKUlvE_clEvENKUlvE_clEvEUldE_j15function_traitsIS6_EEENT1_11result_typeERKT_PrKPcPKT0_PKN3c1010ScalarTypeEi@rel32@hi+12
	s_swappc_b64 s[30:31], s[4:5]
	v_add_co_u32 v4, s4, s20, v37
	v_add_co_ci_u32_e64 v5, null, s21, 0, s4
	s_and_b32 s5, s46, 0xff
	s_cmp_lt_i32 s5, 11
	s_cbranch_scc1 .LBB134_164
; %bb.158:
	s_and_b32 s6, 0xffff, s5
	s_cmp_gt_i32 s6, 25
	s_cbranch_scc0 .LBB134_167
; %bb.159:
	s_cmp_gt_i32 s6, 28
	s_cbranch_scc0 .LBB134_168
; %bb.160:
	;; [unrolled: 3-line block ×4, first 2 shown]
	s_mov_b32 s8, 0
	s_mov_b32 s4, -1
	s_cmp_eq_u32 s6, 46
	s_mov_b32 s7, 0
	s_cbranch_scc0 .LBB134_175
; %bb.163:
	v_cvt_f32_f64_e32 v2, v[0:1]
	s_mov_b32 s7, -1
	s_mov_b32 s4, 0
	v_bfe_u32 v3, v2, 16, 1
	v_cmp_o_f32_e32 vcc_lo, v2, v2
	v_add3_u32 v2, v2, v3, 0x7fff
	v_mov_b32_e32 v3, 0x7fc0
	v_cndmask_b32_sdwa v2, v3, v2, vcc_lo dst_sel:DWORD dst_unused:UNUSED_PAD src0_sel:DWORD src1_sel:WORD_1
	global_store_dword v[4:5], v2, off
	s_branch .LBB134_175
.LBB134_164:
	s_mov_b32 s7, 0
	s_mov_b32 s4, s51
	s_cbranch_execnz .LBB134_244
.LBB134_165:
	s_andn2_b32 vcc_lo, exec_lo, s7
	s_cbranch_vccnz .LBB134_282
.LBB134_166:
	v_add_nc_u32_e32 v39, 0x80, v39
	s_mov_b32 s5, -1
	s_branch .LBB134_283
.LBB134_167:
	s_mov_b32 s8, -1
	s_mov_b32 s7, 0
	s_mov_b32 s4, s51
	s_branch .LBB134_202
.LBB134_168:
	s_mov_b32 s8, -1
	s_mov_b32 s7, 0
	s_mov_b32 s4, s51
	s_branch .LBB134_185
.LBB134_169:
	s_andn2_saveexec_b32 s9, s9
	s_cbranch_execz .LBB134_51
.LBB134_170:
	v_add_f32_e64 v3, 0x46000000, |v2|
	s_andn2_b32 s8, s8, exec_lo
	v_and_b32_e32 v3, 0xff, v3
	v_cmp_ne_u32_e32 vcc_lo, 0, v3
	s_and_b32 s10, vcc_lo, exec_lo
	s_or_b32 s8, s8, s10
	s_or_b32 exec_lo, exec_lo, s9
	v_mov_b32_e32 v6, 0
	s_and_saveexec_b32 s9, s8
	s_cbranch_execnz .LBB134_52
	s_branch .LBB134_53
.LBB134_171:
	s_mov_b32 s8, -1
	s_mov_b32 s7, 0
	s_mov_b32 s4, s51
	s_branch .LBB134_181
.LBB134_172:
	s_andn2_saveexec_b32 s9, s9
	s_cbranch_execz .LBB134_63
.LBB134_173:
	v_add_f32_e64 v3, 0x42800000, |v2|
	s_andn2_b32 s8, s8, exec_lo
	v_and_b32_e32 v3, 0xff, v3
	v_cmp_ne_u32_e32 vcc_lo, 0, v3
	s_and_b32 s10, vcc_lo, exec_lo
	s_or_b32 s8, s8, s10
	s_or_b32 exec_lo, exec_lo, s9
	v_mov_b32_e32 v6, 0
	s_and_saveexec_b32 s9, s8
	s_cbranch_execnz .LBB134_64
	s_branch .LBB134_65
.LBB134_174:
	s_mov_b32 s8, -1
	s_mov_b32 s7, 0
	s_mov_b32 s4, s51
.LBB134_175:
	s_and_b32 vcc_lo, exec_lo, s8
	s_cbranch_vccz .LBB134_180
; %bb.176:
	s_cmp_eq_u32 s6, 44
	s_mov_b32 s4, -1
	s_cbranch_scc0 .LBB134_180
; %bb.177:
	v_cvt_f32_f64_e32 v2, v[0:1]
	v_mov_b32_e32 v3, 0xff
	s_mov_b32 s7, exec_lo
	v_bfe_u32 v6, v2, 23, 8
	v_cmpx_ne_u32_e32 0xff, v6
	s_cbranch_execz .LBB134_179
; %bb.178:
	v_and_b32_e32 v3, 0x400000, v2
	v_and_or_b32 v6, 0x3fffff, v2, v6
	v_lshrrev_b32_e32 v2, 23, v2
	v_cmp_ne_u32_e32 vcc_lo, 0, v3
	v_cmp_ne_u32_e64 s4, 0, v6
	s_and_b32 s4, vcc_lo, s4
	v_cndmask_b32_e64 v3, 0, 1, s4
	v_add_nc_u32_e32 v3, v2, v3
.LBB134_179:
	s_or_b32 exec_lo, exec_lo, s7
	s_mov_b32 s7, -1
	s_mov_b32 s4, 0
	global_store_byte v[4:5], v3, off
.LBB134_180:
	s_mov_b32 s8, 0
.LBB134_181:
	s_and_b32 vcc_lo, exec_lo, s8
	s_cbranch_vccz .LBB134_184
; %bb.182:
	s_cmp_eq_u32 s6, 29
	s_mov_b32 s4, -1
	s_cbranch_scc0 .LBB134_184
; %bb.183:
	v_trunc_f64_e32 v[2:3], v[0:1]
	s_mov_b32 s7, -1
	s_mov_b32 s4, 0
	s_mov_b32 s8, 0
	v_ldexp_f64 v[6:7], v[2:3], 0xffffffe0
	v_floor_f64_e32 v[6:7], v[6:7]
	v_fma_f64 v[2:3], 0xc1f00000, v[6:7], v[2:3]
	v_cvt_u32_f64_e32 v7, v[6:7]
	v_cvt_u32_f64_e32 v6, v[2:3]
	global_store_dwordx2 v[4:5], v[6:7], off
	s_branch .LBB134_185
.LBB134_184:
	s_mov_b32 s8, 0
.LBB134_185:
	s_and_b32 vcc_lo, exec_lo, s8
	s_cbranch_vccz .LBB134_201
; %bb.186:
	s_cmp_lt_i32 s6, 27
	s_mov_b32 s7, -1
	s_cbranch_scc1 .LBB134_192
; %bb.187:
	v_cvt_u32_f64_e32 v2, v[0:1]
	s_cmp_gt_i32 s6, 27
	s_cbranch_scc0 .LBB134_189
; %bb.188:
	s_mov_b32 s7, 0
	global_store_dword v[4:5], v2, off
.LBB134_189:
	s_andn2_b32 vcc_lo, exec_lo, s7
	s_cbranch_vccnz .LBB134_191
; %bb.190:
	global_store_short v[4:5], v2, off
.LBB134_191:
	s_mov_b32 s7, 0
.LBB134_192:
	s_andn2_b32 vcc_lo, exec_lo, s7
	s_cbranch_vccnz .LBB134_200
; %bb.193:
	v_cvt_f32_f64_e32 v2, v[0:1]
	v_mov_b32_e32 v6, 0x80
	s_mov_b32 s7, exec_lo
	v_and_b32_e32 v3, 0x7fffffff, v2
	v_cmpx_gt_u32_e32 0x43800000, v3
	s_cbranch_execz .LBB134_199
; %bb.194:
	v_cmp_lt_u32_e32 vcc_lo, 0x3bffffff, v3
	s_mov_b32 s8, 0
                                        ; implicit-def: $vgpr3
	s_and_saveexec_b32 s9, vcc_lo
	s_xor_b32 s9, exec_lo, s9
	s_cbranch_execz .LBB134_311
; %bb.195:
	v_bfe_u32 v3, v2, 20, 1
	s_mov_b32 s8, exec_lo
	v_add3_u32 v3, v2, v3, 0x487ffff
	v_lshrrev_b32_e32 v3, 20, v3
	s_andn2_saveexec_b32 s9, s9
	s_cbranch_execnz .LBB134_312
.LBB134_196:
	s_or_b32 exec_lo, exec_lo, s9
	v_mov_b32_e32 v6, 0
	s_and_saveexec_b32 s9, s8
.LBB134_197:
	v_lshrrev_b32_e32 v2, 24, v2
	v_and_or_b32 v6, 0x80, v2, v3
.LBB134_198:
	s_or_b32 exec_lo, exec_lo, s9
.LBB134_199:
	s_or_b32 exec_lo, exec_lo, s7
	global_store_byte v[4:5], v6, off
.LBB134_200:
	s_mov_b32 s7, -1
.LBB134_201:
	s_mov_b32 s8, 0
.LBB134_202:
	s_and_b32 vcc_lo, exec_lo, s8
	s_cbranch_vccz .LBB134_243
; %bb.203:
	s_cmp_gt_i32 s6, 22
	s_mov_b32 s8, -1
	s_cbranch_scc0 .LBB134_235
; %bb.204:
	s_cmp_lt_i32 s6, 24
	s_mov_b32 s7, -1
	s_cbranch_scc1 .LBB134_224
; %bb.205:
	s_cmp_gt_i32 s6, 24
	s_cbranch_scc0 .LBB134_213
; %bb.206:
	v_cvt_f32_f64_e32 v2, v[0:1]
	v_mov_b32_e32 v6, 0x80
	s_mov_b32 s7, exec_lo
	v_and_b32_e32 v3, 0x7fffffff, v2
	v_cmpx_gt_u32_e32 0x47800000, v3
	s_cbranch_execz .LBB134_212
; %bb.207:
	v_cmp_lt_u32_e32 vcc_lo, 0x37ffffff, v3
	s_mov_b32 s8, 0
                                        ; implicit-def: $vgpr3
	s_and_saveexec_b32 s9, vcc_lo
	s_xor_b32 s9, exec_lo, s9
	s_cbranch_execz .LBB134_314
; %bb.208:
	v_bfe_u32 v3, v2, 21, 1
	s_mov_b32 s8, exec_lo
	v_add3_u32 v3, v2, v3, 0x88fffff
	v_lshrrev_b32_e32 v3, 21, v3
	s_andn2_saveexec_b32 s9, s9
	s_cbranch_execnz .LBB134_315
.LBB134_209:
	s_or_b32 exec_lo, exec_lo, s9
	v_mov_b32_e32 v6, 0
	s_and_saveexec_b32 s9, s8
.LBB134_210:
	v_lshrrev_b32_e32 v2, 24, v2
	v_and_or_b32 v6, 0x80, v2, v3
.LBB134_211:
	s_or_b32 exec_lo, exec_lo, s9
.LBB134_212:
	s_or_b32 exec_lo, exec_lo, s7
	s_mov_b32 s7, 0
	global_store_byte v[4:5], v6, off
.LBB134_213:
	s_and_b32 vcc_lo, exec_lo, s7
	s_cbranch_vccz .LBB134_223
; %bb.214:
	v_cvt_f32_f64_e32 v2, v[0:1]
	s_mov_b32 s7, exec_lo
                                        ; implicit-def: $vgpr3
	v_and_b32_e32 v6, 0x7fffffff, v2
	v_cmpx_gt_u32_e32 0x43f00000, v6
	s_xor_b32 s7, exec_lo, s7
	s_cbranch_execz .LBB134_220
; %bb.215:
	s_mov_b32 s8, exec_lo
                                        ; implicit-def: $vgpr3
	v_cmpx_lt_u32_e32 0x3c7fffff, v6
	s_xor_b32 s8, exec_lo, s8
; %bb.216:
	v_bfe_u32 v3, v2, 20, 1
	v_add3_u32 v3, v2, v3, 0x407ffff
	v_and_b32_e32 v6, 0xff00000, v3
	v_lshrrev_b32_e32 v3, 20, v3
	v_cmp_ne_u32_e32 vcc_lo, 0x7f00000, v6
	v_cndmask_b32_e32 v3, 0x7e, v3, vcc_lo
; %bb.217:
	s_andn2_saveexec_b32 s8, s8
; %bb.218:
	v_add_f32_e64 v3, 0x46800000, |v2|
; %bb.219:
	s_or_b32 exec_lo, exec_lo, s8
                                        ; implicit-def: $vgpr6
.LBB134_220:
	s_andn2_saveexec_b32 s7, s7
; %bb.221:
	v_mov_b32_e32 v3, 0x7f
	v_cmp_lt_u32_e32 vcc_lo, 0x7f800000, v6
	v_cndmask_b32_e32 v3, 0x7e, v3, vcc_lo
; %bb.222:
	s_or_b32 exec_lo, exec_lo, s7
	v_lshrrev_b32_e32 v2, 24, v2
	v_and_or_b32 v2, 0x80, v2, v3
	global_store_byte v[4:5], v2, off
.LBB134_223:
	s_mov_b32 s7, 0
.LBB134_224:
	s_andn2_b32 vcc_lo, exec_lo, s7
	s_cbranch_vccnz .LBB134_234
; %bb.225:
	v_cvt_f32_f64_e32 v2, v[0:1]
	s_mov_b32 s7, exec_lo
                                        ; implicit-def: $vgpr3
	v_and_b32_e32 v6, 0x7fffffff, v2
	v_cmpx_gt_u32_e32 0x47800000, v6
	s_xor_b32 s7, exec_lo, s7
	s_cbranch_execz .LBB134_231
; %bb.226:
	s_mov_b32 s8, exec_lo
                                        ; implicit-def: $vgpr3
	v_cmpx_lt_u32_e32 0x387fffff, v6
	s_xor_b32 s8, exec_lo, s8
; %bb.227:
	v_bfe_u32 v3, v2, 21, 1
	v_add3_u32 v3, v2, v3, 0x80fffff
	v_lshrrev_b32_e32 v3, 21, v3
; %bb.228:
	s_andn2_saveexec_b32 s8, s8
; %bb.229:
	v_add_f32_e64 v3, 0x43000000, |v2|
; %bb.230:
	s_or_b32 exec_lo, exec_lo, s8
                                        ; implicit-def: $vgpr6
.LBB134_231:
	s_andn2_saveexec_b32 s7, s7
; %bb.232:
	v_mov_b32_e32 v3, 0x7f
	v_cmp_lt_u32_e32 vcc_lo, 0x7f800000, v6
	v_cndmask_b32_e32 v3, 0x7c, v3, vcc_lo
; %bb.233:
	s_or_b32 exec_lo, exec_lo, s7
	v_lshrrev_b32_e32 v2, 24, v2
	v_and_or_b32 v2, 0x80, v2, v3
	global_store_byte v[4:5], v2, off
.LBB134_234:
	s_mov_b32 s8, 0
	s_mov_b32 s7, -1
.LBB134_235:
	s_andn2_b32 vcc_lo, exec_lo, s8
	s_cbranch_vccnz .LBB134_243
; %bb.236:
	s_cmp_gt_i32 s6, 14
	s_mov_b32 s8, -1
	s_cbranch_scc0 .LBB134_240
; %bb.237:
	s_cmp_eq_u32 s6, 15
	s_mov_b32 s4, -1
	s_cbranch_scc0 .LBB134_239
; %bb.238:
	v_cvt_f32_f64_e32 v2, v[0:1]
	s_mov_b32 s7, -1
	s_mov_b32 s4, 0
	v_bfe_u32 v3, v2, 16, 1
	v_cmp_o_f32_e32 vcc_lo, v2, v2
	v_add3_u32 v2, v2, v3, 0x7fff
	v_mov_b32_e32 v3, 0x7fc0
	v_cndmask_b32_sdwa v2, v3, v2, vcc_lo dst_sel:DWORD dst_unused:UNUSED_PAD src0_sel:DWORD src1_sel:WORD_1
	global_store_short v[4:5], v2, off
.LBB134_239:
	s_mov_b32 s8, 0
.LBB134_240:
	s_and_b32 vcc_lo, exec_lo, s8
	s_cbranch_vccz .LBB134_243
; %bb.241:
	s_cmp_eq_u32 s6, 11
	s_mov_b32 s4, -1
	s_cbranch_scc0 .LBB134_243
; %bb.242:
	v_cmp_neq_f64_e32 vcc_lo, 0, v[0:1]
	s_mov_b32 s7, -1
	s_mov_b32 s4, 0
	v_cndmask_b32_e64 v2, 0, 1, vcc_lo
	global_store_byte v[4:5], v2, off
.LBB134_243:
	s_branch .LBB134_165
.LBB134_244:
	s_and_b32 s5, 0xffff, s5
	s_mov_b32 s6, -1
	s_cmp_lt_i32 s5, 5
	s_cbranch_scc1 .LBB134_265
; %bb.245:
	s_cmp_lt_i32 s5, 8
	s_cbranch_scc1 .LBB134_255
; %bb.246:
	;; [unrolled: 3-line block ×3, first 2 shown]
	s_cmp_gt_i32 s5, 9
	s_cbranch_scc0 .LBB134_249
; %bb.248:
	v_mov_b32_e32 v2, 0
	s_mov_b32 s6, 0
	v_mov_b32_e32 v3, v2
	global_store_dwordx4 v[4:5], v[0:3], off
.LBB134_249:
	s_andn2_b32 vcc_lo, exec_lo, s6
	s_cbranch_vccnz .LBB134_251
; %bb.250:
	v_cvt_f32_f64_e32 v2, v[0:1]
	v_mov_b32_e32 v3, 0
	global_store_dwordx2 v[4:5], v[2:3], off
.LBB134_251:
	s_mov_b32 s6, 0
.LBB134_252:
	s_andn2_b32 vcc_lo, exec_lo, s6
	s_cbranch_vccnz .LBB134_254
; %bb.253:
	v_and_or_b32 v2, 0x1ff, v1, v0
	v_lshrrev_b32_e32 v3, 8, v1
	v_bfe_u32 v6, v1, 20, 11
	v_cmp_ne_u32_e32 vcc_lo, 0, v2
	v_sub_nc_u32_e32 v7, 0x3f1, v6
	v_add_nc_u32_e32 v6, 0xfffffc10, v6
	v_cndmask_b32_e64 v2, 0, 1, vcc_lo
	v_and_or_b32 v2, 0xffe, v3, v2
	v_med3_i32 v3, v7, 0, 13
	v_or_b32_e32 v7, 0x1000, v2
	v_lshrrev_b32_e32 v8, v3, v7
	v_lshlrev_b32_e32 v3, v3, v8
	v_cmp_ne_u32_e32 vcc_lo, v3, v7
	v_lshl_or_b32 v7, v6, 12, v2
	v_cndmask_b32_e64 v3, 0, 1, vcc_lo
	v_cmp_gt_i32_e32 vcc_lo, 1, v6
	v_or_b32_e32 v3, v8, v3
	v_cndmask_b32_e32 v3, v7, v3, vcc_lo
	v_and_b32_e32 v7, 7, v3
	v_lshrrev_b32_e32 v3, 2, v3
	v_cmp_lt_i32_e32 vcc_lo, 5, v7
	v_cndmask_b32_e64 v8, 0, 1, vcc_lo
	v_cmp_eq_u32_e32 vcc_lo, 3, v7
	v_cndmask_b32_e64 v7, 0, 1, vcc_lo
	v_cmp_ne_u32_e32 vcc_lo, 0, v2
	v_or_b32_e32 v7, v7, v8
	v_mov_b32_e32 v8, 0x7e00
	v_add_nc_u32_e32 v3, v3, v7
	v_cndmask_b32_e32 v2, 0x7c00, v8, vcc_lo
	v_cmp_gt_i32_e32 vcc_lo, 31, v6
	v_cndmask_b32_e32 v3, 0x7c00, v3, vcc_lo
	v_cmp_eq_u32_e32 vcc_lo, 0x40f, v6
	v_cndmask_b32_e32 v2, v3, v2, vcc_lo
	v_lshrrev_b32_e32 v3, 16, v1
	v_and_or_b32 v2, 0x8000, v3, v2
	v_and_b32_e32 v2, 0xffff, v2
	global_store_dword v[4:5], v2, off
.LBB134_254:
	s_mov_b32 s6, 0
.LBB134_255:
	s_andn2_b32 vcc_lo, exec_lo, s6
	s_cbranch_vccnz .LBB134_264
; %bb.256:
	s_cmp_lt_i32 s5, 6
	s_mov_b32 s6, -1
	s_cbranch_scc1 .LBB134_262
; %bb.257:
	s_cmp_gt_i32 s5, 6
	s_cbranch_scc0 .LBB134_259
; %bb.258:
	s_mov_b32 s6, 0
	global_store_dwordx2 v[4:5], v[0:1], off
.LBB134_259:
	s_andn2_b32 vcc_lo, exec_lo, s6
	s_cbranch_vccnz .LBB134_261
; %bb.260:
	v_cvt_f32_f64_e32 v2, v[0:1]
	global_store_dword v[4:5], v2, off
.LBB134_261:
	s_mov_b32 s6, 0
.LBB134_262:
	s_andn2_b32 vcc_lo, exec_lo, s6
	s_cbranch_vccnz .LBB134_264
; %bb.263:
	v_and_or_b32 v2, 0x1ff, v1, v0
	v_lshrrev_b32_e32 v3, 8, v1
	v_bfe_u32 v6, v1, 20, 11
	v_cmp_ne_u32_e32 vcc_lo, 0, v2
	v_sub_nc_u32_e32 v7, 0x3f1, v6
	v_add_nc_u32_e32 v6, 0xfffffc10, v6
	v_cndmask_b32_e64 v2, 0, 1, vcc_lo
	v_and_or_b32 v2, 0xffe, v3, v2
	v_med3_i32 v3, v7, 0, 13
	v_or_b32_e32 v7, 0x1000, v2
	v_lshrrev_b32_e32 v8, v3, v7
	v_lshlrev_b32_e32 v3, v3, v8
	v_cmp_ne_u32_e32 vcc_lo, v3, v7
	v_lshl_or_b32 v7, v6, 12, v2
	v_cndmask_b32_e64 v3, 0, 1, vcc_lo
	v_cmp_gt_i32_e32 vcc_lo, 1, v6
	v_or_b32_e32 v3, v8, v3
	v_cndmask_b32_e32 v3, v7, v3, vcc_lo
	v_and_b32_e32 v7, 7, v3
	v_lshrrev_b32_e32 v3, 2, v3
	v_cmp_lt_i32_e32 vcc_lo, 5, v7
	v_cndmask_b32_e64 v8, 0, 1, vcc_lo
	v_cmp_eq_u32_e32 vcc_lo, 3, v7
	v_cndmask_b32_e64 v7, 0, 1, vcc_lo
	v_cmp_ne_u32_e32 vcc_lo, 0, v2
	v_or_b32_e32 v7, v7, v8
	v_mov_b32_e32 v8, 0x7e00
	v_add_nc_u32_e32 v3, v3, v7
	v_cndmask_b32_e32 v2, 0x7c00, v8, vcc_lo
	v_cmp_gt_i32_e32 vcc_lo, 31, v6
	v_cndmask_b32_e32 v3, 0x7c00, v3, vcc_lo
	v_cmp_eq_u32_e32 vcc_lo, 0x40f, v6
	v_cndmask_b32_e32 v2, v3, v2, vcc_lo
	v_lshrrev_b32_e32 v3, 16, v1
	v_and_or_b32 v2, 0x8000, v3, v2
	global_store_short v[4:5], v2, off
.LBB134_264:
	s_mov_b32 s6, 0
.LBB134_265:
	s_andn2_b32 vcc_lo, exec_lo, s6
	s_cbranch_vccnz .LBB134_281
; %bb.266:
	s_cmp_lt_i32 s5, 2
	s_mov_b32 s6, -1
	s_cbranch_scc1 .LBB134_276
; %bb.267:
	s_cmp_lt_i32 s5, 3
	s_cbranch_scc1 .LBB134_273
; %bb.268:
	s_cmp_gt_i32 s5, 3
	s_cbranch_scc0 .LBB134_270
; %bb.269:
	v_trunc_f64_e32 v[2:3], v[0:1]
	s_mov_b32 s6, 0
	v_ldexp_f64 v[6:7], v[2:3], 0xffffffe0
	v_floor_f64_e32 v[6:7], v[6:7]
	v_fma_f64 v[2:3], 0xc1f00000, v[6:7], v[2:3]
	v_cvt_i32_f64_e32 v7, v[6:7]
	v_cvt_u32_f64_e32 v6, v[2:3]
	global_store_dwordx2 v[4:5], v[6:7], off
.LBB134_270:
	s_andn2_b32 vcc_lo, exec_lo, s6
	s_cbranch_vccnz .LBB134_272
; %bb.271:
	v_cvt_i32_f64_e32 v2, v[0:1]
	global_store_dword v[4:5], v2, off
.LBB134_272:
	s_mov_b32 s6, 0
.LBB134_273:
	s_andn2_b32 vcc_lo, exec_lo, s6
	s_cbranch_vccnz .LBB134_275
; %bb.274:
	v_cvt_i32_f64_e32 v2, v[0:1]
	global_store_short v[4:5], v2, off
.LBB134_275:
	s_mov_b32 s6, 0
.LBB134_276:
	s_andn2_b32 vcc_lo, exec_lo, s6
	s_cbranch_vccnz .LBB134_281
; %bb.277:
	s_cmp_gt_i32 s5, 0
	s_mov_b32 s5, -1
	s_cbranch_scc0 .LBB134_279
; %bb.278:
	v_cvt_i32_f64_e32 v2, v[0:1]
	s_mov_b32 s5, 0
	global_store_byte v[4:5], v2, off
.LBB134_279:
	s_andn2_b32 vcc_lo, exec_lo, s5
	s_cbranch_vccnz .LBB134_281
; %bb.280:
	v_trunc_f64_e32 v[0:1], v[0:1]
	v_ldexp_f64 v[2:3], v[0:1], 0xffffffe0
	v_floor_f64_e32 v[2:3], v[2:3]
	v_fma_f64 v[0:1], 0xc1f00000, v[2:3], v[0:1]
	v_cvt_u32_f64_e32 v0, v[0:1]
	global_store_byte v[4:5], v0, off
.LBB134_281:
	s_branch .LBB134_166
.LBB134_282:
	s_mov_b32 s5, 0
                                        ; implicit-def: $vgpr39
.LBB134_283:
	s_andn2_b32 s6, s51, exec_lo
	s_and_b32 s4, s4, exec_lo
	s_orn2_b32 s7, s5, exec_lo
	s_or_b32 s53, s6, s4
.LBB134_284:
	s_or_b32 exec_lo, exec_lo, s54
	s_mov_b32 s4, 0
	s_mov_b32 s6, 0
                                        ; implicit-def: $sgpr5
                                        ; implicit-def: $vgpr4_vgpr5
                                        ; implicit-def: $vgpr0_vgpr1
	s_and_saveexec_b32 s54, s7
	s_cbranch_execz .LBB134_529
; %bb.285:
	s_mov_b32 s7, -1
	s_mov_b32 s56, s53
	s_mov_b32 s55, exec_lo
	v_cmpx_gt_i32_e64 s48, v39
	s_cbranch_execz .LBB134_429
; %bb.286:
	s_andn2_b32 vcc_lo, exec_lo, s44
	s_cbranch_vccnz .LBB134_291
; %bb.287:
	s_andn2_b32 vcc_lo, exec_lo, s50
	s_cbranch_vccnz .LBB134_292
; %bb.288:
	s_add_i32 s9, s49, 1
	s_cmp_eq_u32 s42, 2
	s_cbranch_scc1 .LBB134_293
; %bb.289:
	v_mov_b32_e32 v2, 0
	v_mov_b32_e32 v37, 0
	v_mov_b32_e32 v0, v39
	s_and_b32 s8, s9, 28
	s_mov_b32 s10, 0
	s_mov_b64 s[4:5], s[28:29]
	s_mov_b64 s[6:7], s[40:41]
.LBB134_290:                            ; =>This Inner Loop Header: Depth=1
	s_clause 0x1
	s_load_dwordx8 s[56:63], s[4:5], 0x4
	s_load_dwordx4 s[12:15], s[4:5], 0x24
	s_load_dwordx8 s[64:71], s[6:7], 0x0
	s_add_u32 s4, s4, 48
	s_addc_u32 s5, s5, 0
	s_add_i32 s10, s10, 4
	s_add_u32 s6, s6, 32
	s_addc_u32 s7, s7, 0
	s_cmp_eq_u32 s8, s10
	s_waitcnt lgkmcnt(0)
	v_mul_hi_u32 v1, s57, v0
	v_add_nc_u32_e32 v1, v0, v1
	v_lshrrev_b32_e32 v1, s58, v1
	v_mul_hi_u32 v3, s60, v1
	v_mul_lo_u32 v5, v1, s56
	v_add_nc_u32_e32 v3, v1, v3
	v_sub_nc_u32_e32 v0, v0, v5
	v_lshrrev_b32_e32 v3, s61, v3
	v_mul_lo_u32 v5, v0, s64
	v_mul_lo_u32 v7, v0, s65
	v_mul_hi_u32 v4, s63, v3
	v_add_nc_u32_e32 v4, v3, v4
	v_lshrrev_b32_e32 v4, s12, v4
	v_mul_hi_u32 v6, s14, v4
	v_mul_lo_u32 v8, v4, s62
	v_add_nc_u32_e32 v0, v4, v6
	v_mul_lo_u32 v6, v3, s59
	v_sub_nc_u32_e32 v3, v3, v8
	v_lshrrev_b32_e32 v0, s15, v0
	v_mul_lo_u32 v8, v3, s68
	v_mul_lo_u32 v3, v3, s69
	v_sub_nc_u32_e32 v1, v1, v6
	v_mul_lo_u32 v9, v0, s13
	v_mul_lo_u32 v6, v1, s66
	;; [unrolled: 1-line block ×3, first 2 shown]
	v_sub_nc_u32_e32 v4, v4, v9
	v_add3_u32 v5, v5, v37, v6
	v_mul_lo_u32 v9, v4, s70
	v_mul_lo_u32 v4, v4, s71
	v_add3_u32 v1, v7, v2, v1
	v_add3_u32 v37, v8, v5, v9
	;; [unrolled: 1-line block ×3, first 2 shown]
	s_cbranch_scc0 .LBB134_290
	s_branch .LBB134_294
.LBB134_291:
	s_mov_b32 s4, -1
                                        ; implicit-def: $vgpr37
                                        ; implicit-def: $vgpr2
	s_branch .LBB134_298
.LBB134_292:
	v_mov_b32_e32 v37, 0
	v_mov_b32_e32 v2, 0
	s_branch .LBB134_297
.LBB134_293:
	v_mov_b32_e32 v37, 0
	v_mov_b32_e32 v2, 0
	;; [unrolled: 1-line block ×3, first 2 shown]
	s_mov_b32 s8, 0
.LBB134_294:
	s_and_b32 s9, s9, 3
	s_cmp_eq_u32 s9, 0
	s_cbranch_scc1 .LBB134_297
; %bb.295:
	s_lshl_b32 s4, s8, 3
	s_mul_i32 s6, s8, 12
	s_add_u32 s4, s28, s4
	s_addc_u32 s5, s29, 0
	s_add_u32 s4, s4, 0xc4
	s_addc_u32 s5, s5, 0
	;; [unrolled: 2-line block ×3, first 2 shown]
	.p2align	6
.LBB134_296:                            ; =>This Inner Loop Header: Depth=1
	s_clause 0x1
	s_load_dwordx2 s[10:11], s[6:7], 0x4
	s_load_dword s8, s[6:7], 0xc
	s_load_dwordx2 s[12:13], s[4:5], 0x0
	s_add_u32 s6, s6, 12
	s_addc_u32 s7, s7, 0
	s_add_u32 s4, s4, 8
	s_addc_u32 s5, s5, 0
	s_add_i32 s9, s9, -1
	s_cmp_lg_u32 s9, 0
	s_waitcnt lgkmcnt(0)
	v_mul_hi_u32 v1, s11, v0
	v_add_nc_u32_e32 v1, v0, v1
	v_lshrrev_b32_e32 v1, s8, v1
	v_mul_lo_u32 v3, v1, s10
	v_sub_nc_u32_e32 v0, v0, v3
	v_mad_u64_u32 v[37:38], null, v0, s12, v[37:38]
	v_mad_u64_u32 v[2:3], null, v0, s13, v[2:3]
	v_mov_b32_e32 v0, v1
	s_cbranch_scc1 .LBB134_296
.LBB134_297:
	s_mov_b32 s4, 0
.LBB134_298:
	s_andn2_b32 vcc_lo, exec_lo, s4
	s_cbranch_vccnz .LBB134_301
; %bb.299:
	s_waitcnt lgkmcnt(0)
	v_mul_hi_u32 v0, s37, v39
	s_andn2_b32 vcc_lo, exec_lo, s47
	v_add_nc_u32_e32 v0, v39, v0
	v_lshrrev_b32_e32 v0, s38, v0
	v_mul_lo_u32 v1, v0, s36
	v_sub_nc_u32_e32 v1, v39, v1
	v_mul_lo_u32 v37, v1, s24
	v_mul_lo_u32 v2, v1, s25
	s_cbranch_vccnz .LBB134_301
; %bb.300:
	v_mul_hi_u32 v1, s34, v0
	v_add_nc_u32_e32 v1, v0, v1
	v_lshrrev_b32_e32 v1, s35, v1
	v_mul_lo_u32 v1, v1, s39
	v_sub_nc_u32_e32 v0, v0, v1
	v_mad_u64_u32 v[37:38], null, v0, s26, v[37:38]
	v_mad_u64_u32 v[2:3], null, v0, s27, v[2:3]
.LBB134_301:
	s_waitcnt lgkmcnt(0)
	v_mov_b32_e32 v0, s22
	v_mov_b32_e32 v1, s23
	;; [unrolled: 1-line block ×3, first 2 shown]
	s_getpc_b64 s[4:5]
	s_add_u32 s4, s4, _ZN2at6native6invokeIZZZNS0_18lgamma_kernel_cudaERNS_18TensorIteratorBaseEENKUlvE_clEvENKUlvE_clEvEUldE_j15function_traitsIS6_EEENT1_11result_typeERKT_PrKPcPKT0_PKN3c1010ScalarTypeEi@rel32@lo+4
	s_addc_u32 s5, s5, _ZN2at6native6invokeIZZZNS0_18lgamma_kernel_cudaERNS_18TensorIteratorBaseEENKUlvE_clEvENKUlvE_clEvEUldE_j15function_traitsIS6_EEENT1_11result_typeERKT_PrKPcPKT0_PKN3c1010ScalarTypeEi@rel32@hi+12
	s_swappc_b64 s[30:31], s[4:5]
	v_add_co_u32 v4, s4, s20, v37
	v_add_co_ci_u32_e64 v5, null, s21, 0, s4
	s_and_b32 s5, s46, 0xff
	s_cmp_lt_i32 s5, 11
	s_cbranch_scc1 .LBB134_308
; %bb.302:
	s_and_b32 s6, 0xffff, s5
	s_cmp_gt_i32 s6, 25
	s_cbranch_scc0 .LBB134_309
; %bb.303:
	s_cmp_gt_i32 s6, 28
	s_cbranch_scc0 .LBB134_310
; %bb.304:
	;; [unrolled: 3-line block ×4, first 2 shown]
	s_mov_b32 s8, 0
	s_mov_b32 s4, -1
	s_cmp_eq_u32 s6, 46
	s_mov_b32 s7, 0
	s_cbranch_scc0 .LBB134_317
; %bb.307:
	v_cvt_f32_f64_e32 v2, v[0:1]
	s_mov_b32 s7, -1
	s_mov_b32 s4, 0
	v_bfe_u32 v3, v2, 16, 1
	v_cmp_o_f32_e32 vcc_lo, v2, v2
	v_add3_u32 v2, v2, v3, 0x7fff
	v_mov_b32_e32 v3, 0x7fc0
	v_cndmask_b32_sdwa v2, v3, v2, vcc_lo dst_sel:DWORD dst_unused:UNUSED_PAD src0_sel:DWORD src1_sel:WORD_1
	global_store_dword v[4:5], v2, off
	s_branch .LBB134_317
.LBB134_308:
	s_mov_b32 s6, -1
	s_mov_b32 s7, 0
	s_mov_b32 s4, s53
	s_branch .LBB134_386
.LBB134_309:
	s_mov_b32 s8, -1
	s_mov_b32 s7, 0
	s_mov_b32 s4, s53
	s_branch .LBB134_344
.LBB134_310:
	s_mov_b32 s8, -1
	s_mov_b32 s7, 0
	s_mov_b32 s4, s53
	s_branch .LBB134_327
.LBB134_311:
	s_andn2_saveexec_b32 s9, s9
	s_cbranch_execz .LBB134_196
.LBB134_312:
	v_add_f32_e64 v3, 0x46000000, |v2|
	s_andn2_b32 s8, s8, exec_lo
	v_and_b32_e32 v3, 0xff, v3
	v_cmp_ne_u32_e32 vcc_lo, 0, v3
	s_and_b32 s10, vcc_lo, exec_lo
	s_or_b32 s8, s8, s10
	s_or_b32 exec_lo, exec_lo, s9
	v_mov_b32_e32 v6, 0
	s_and_saveexec_b32 s9, s8
	s_cbranch_execnz .LBB134_197
	s_branch .LBB134_198
.LBB134_313:
	s_mov_b32 s8, -1
	s_mov_b32 s7, 0
	s_mov_b32 s4, s53
	s_branch .LBB134_323
.LBB134_314:
	s_andn2_saveexec_b32 s9, s9
	s_cbranch_execz .LBB134_209
.LBB134_315:
	v_add_f32_e64 v3, 0x42800000, |v2|
	s_andn2_b32 s8, s8, exec_lo
	v_and_b32_e32 v3, 0xff, v3
	v_cmp_ne_u32_e32 vcc_lo, 0, v3
	s_and_b32 s10, vcc_lo, exec_lo
	s_or_b32 s8, s8, s10
	s_or_b32 exec_lo, exec_lo, s9
	v_mov_b32_e32 v6, 0
	s_and_saveexec_b32 s9, s8
	s_cbranch_execnz .LBB134_210
	s_branch .LBB134_211
.LBB134_316:
	s_mov_b32 s8, -1
	s_mov_b32 s7, 0
	s_mov_b32 s4, s53
.LBB134_317:
	s_and_b32 vcc_lo, exec_lo, s8
	s_cbranch_vccz .LBB134_322
; %bb.318:
	s_cmp_eq_u32 s6, 44
	s_mov_b32 s4, -1
	s_cbranch_scc0 .LBB134_322
; %bb.319:
	v_cvt_f32_f64_e32 v2, v[0:1]
	v_mov_b32_e32 v3, 0xff
	s_mov_b32 s7, exec_lo
	v_bfe_u32 v6, v2, 23, 8
	v_cmpx_ne_u32_e32 0xff, v6
	s_cbranch_execz .LBB134_321
; %bb.320:
	v_and_b32_e32 v3, 0x400000, v2
	v_and_or_b32 v6, 0x3fffff, v2, v6
	v_lshrrev_b32_e32 v2, 23, v2
	v_cmp_ne_u32_e32 vcc_lo, 0, v3
	v_cmp_ne_u32_e64 s4, 0, v6
	s_and_b32 s4, vcc_lo, s4
	v_cndmask_b32_e64 v3, 0, 1, s4
	v_add_nc_u32_e32 v3, v2, v3
.LBB134_321:
	s_or_b32 exec_lo, exec_lo, s7
	s_mov_b32 s7, -1
	s_mov_b32 s4, 0
	global_store_byte v[4:5], v3, off
.LBB134_322:
	s_mov_b32 s8, 0
.LBB134_323:
	s_and_b32 vcc_lo, exec_lo, s8
	s_cbranch_vccz .LBB134_326
; %bb.324:
	s_cmp_eq_u32 s6, 29
	s_mov_b32 s4, -1
	s_cbranch_scc0 .LBB134_326
; %bb.325:
	v_trunc_f64_e32 v[2:3], v[0:1]
	s_mov_b32 s7, -1
	s_mov_b32 s4, 0
	s_mov_b32 s8, 0
	v_ldexp_f64 v[6:7], v[2:3], 0xffffffe0
	v_floor_f64_e32 v[6:7], v[6:7]
	v_fma_f64 v[2:3], 0xc1f00000, v[6:7], v[2:3]
	v_cvt_u32_f64_e32 v7, v[6:7]
	v_cvt_u32_f64_e32 v6, v[2:3]
	global_store_dwordx2 v[4:5], v[6:7], off
	s_branch .LBB134_327
.LBB134_326:
	s_mov_b32 s8, 0
.LBB134_327:
	s_and_b32 vcc_lo, exec_lo, s8
	s_cbranch_vccz .LBB134_343
; %bb.328:
	s_cmp_lt_i32 s6, 27
	s_mov_b32 s7, -1
	s_cbranch_scc1 .LBB134_334
; %bb.329:
	v_cvt_u32_f64_e32 v2, v[0:1]
	s_cmp_gt_i32 s6, 27
	s_cbranch_scc0 .LBB134_331
; %bb.330:
	s_mov_b32 s7, 0
	global_store_dword v[4:5], v2, off
.LBB134_331:
	s_andn2_b32 vcc_lo, exec_lo, s7
	s_cbranch_vccnz .LBB134_333
; %bb.332:
	global_store_short v[4:5], v2, off
.LBB134_333:
	s_mov_b32 s7, 0
.LBB134_334:
	s_andn2_b32 vcc_lo, exec_lo, s7
	s_cbranch_vccnz .LBB134_342
; %bb.335:
	v_cvt_f32_f64_e32 v2, v[0:1]
	v_mov_b32_e32 v6, 0x80
	s_mov_b32 s7, exec_lo
	v_and_b32_e32 v3, 0x7fffffff, v2
	v_cmpx_gt_u32_e32 0x43800000, v3
	s_cbranch_execz .LBB134_341
; %bb.336:
	v_cmp_lt_u32_e32 vcc_lo, 0x3bffffff, v3
	s_mov_b32 s8, 0
                                        ; implicit-def: $vgpr3
	s_and_saveexec_b32 s9, vcc_lo
	s_xor_b32 s9, exec_lo, s9
	s_cbranch_execz .LBB134_454
; %bb.337:
	v_bfe_u32 v3, v2, 20, 1
	s_mov_b32 s8, exec_lo
	v_add3_u32 v3, v2, v3, 0x487ffff
	v_lshrrev_b32_e32 v3, 20, v3
	s_andn2_saveexec_b32 s9, s9
	s_cbranch_execnz .LBB134_455
.LBB134_338:
	s_or_b32 exec_lo, exec_lo, s9
	v_mov_b32_e32 v6, 0
	s_and_saveexec_b32 s9, s8
.LBB134_339:
	v_lshrrev_b32_e32 v2, 24, v2
	v_and_or_b32 v6, 0x80, v2, v3
.LBB134_340:
	s_or_b32 exec_lo, exec_lo, s9
.LBB134_341:
	s_or_b32 exec_lo, exec_lo, s7
	global_store_byte v[4:5], v6, off
.LBB134_342:
	s_mov_b32 s7, -1
.LBB134_343:
	s_mov_b32 s8, 0
.LBB134_344:
	s_and_b32 vcc_lo, exec_lo, s8
	s_cbranch_vccz .LBB134_385
; %bb.345:
	s_cmp_gt_i32 s6, 22
	s_mov_b32 s8, -1
	s_cbranch_scc0 .LBB134_377
; %bb.346:
	s_cmp_lt_i32 s6, 24
	s_mov_b32 s7, -1
	s_cbranch_scc1 .LBB134_366
; %bb.347:
	s_cmp_gt_i32 s6, 24
	s_cbranch_scc0 .LBB134_355
; %bb.348:
	v_cvt_f32_f64_e32 v2, v[0:1]
	v_mov_b32_e32 v6, 0x80
	s_mov_b32 s7, exec_lo
	v_and_b32_e32 v3, 0x7fffffff, v2
	v_cmpx_gt_u32_e32 0x47800000, v3
	s_cbranch_execz .LBB134_354
; %bb.349:
	v_cmp_lt_u32_e32 vcc_lo, 0x37ffffff, v3
	s_mov_b32 s8, 0
                                        ; implicit-def: $vgpr3
	s_and_saveexec_b32 s9, vcc_lo
	s_xor_b32 s9, exec_lo, s9
	s_cbranch_execz .LBB134_456
; %bb.350:
	v_bfe_u32 v3, v2, 21, 1
	s_mov_b32 s8, exec_lo
	v_add3_u32 v3, v2, v3, 0x88fffff
	v_lshrrev_b32_e32 v3, 21, v3
	s_andn2_saveexec_b32 s9, s9
	s_cbranch_execnz .LBB134_457
.LBB134_351:
	s_or_b32 exec_lo, exec_lo, s9
	v_mov_b32_e32 v6, 0
	s_and_saveexec_b32 s9, s8
.LBB134_352:
	v_lshrrev_b32_e32 v2, 24, v2
	v_and_or_b32 v6, 0x80, v2, v3
.LBB134_353:
	s_or_b32 exec_lo, exec_lo, s9
.LBB134_354:
	s_or_b32 exec_lo, exec_lo, s7
	s_mov_b32 s7, 0
	global_store_byte v[4:5], v6, off
.LBB134_355:
	s_and_b32 vcc_lo, exec_lo, s7
	s_cbranch_vccz .LBB134_365
; %bb.356:
	v_cvt_f32_f64_e32 v2, v[0:1]
	s_mov_b32 s7, exec_lo
                                        ; implicit-def: $vgpr3
	v_and_b32_e32 v6, 0x7fffffff, v2
	v_cmpx_gt_u32_e32 0x43f00000, v6
	s_xor_b32 s7, exec_lo, s7
	s_cbranch_execz .LBB134_362
; %bb.357:
	s_mov_b32 s8, exec_lo
                                        ; implicit-def: $vgpr3
	v_cmpx_lt_u32_e32 0x3c7fffff, v6
	s_xor_b32 s8, exec_lo, s8
; %bb.358:
	v_bfe_u32 v3, v2, 20, 1
	v_add3_u32 v3, v2, v3, 0x407ffff
	v_and_b32_e32 v6, 0xff00000, v3
	v_lshrrev_b32_e32 v3, 20, v3
	v_cmp_ne_u32_e32 vcc_lo, 0x7f00000, v6
	v_cndmask_b32_e32 v3, 0x7e, v3, vcc_lo
; %bb.359:
	s_andn2_saveexec_b32 s8, s8
; %bb.360:
	v_add_f32_e64 v3, 0x46800000, |v2|
; %bb.361:
	s_or_b32 exec_lo, exec_lo, s8
                                        ; implicit-def: $vgpr6
.LBB134_362:
	s_andn2_saveexec_b32 s7, s7
; %bb.363:
	v_mov_b32_e32 v3, 0x7f
	v_cmp_lt_u32_e32 vcc_lo, 0x7f800000, v6
	v_cndmask_b32_e32 v3, 0x7e, v3, vcc_lo
; %bb.364:
	s_or_b32 exec_lo, exec_lo, s7
	v_lshrrev_b32_e32 v2, 24, v2
	v_and_or_b32 v2, 0x80, v2, v3
	global_store_byte v[4:5], v2, off
.LBB134_365:
	s_mov_b32 s7, 0
.LBB134_366:
	s_andn2_b32 vcc_lo, exec_lo, s7
	s_cbranch_vccnz .LBB134_376
; %bb.367:
	v_cvt_f32_f64_e32 v2, v[0:1]
	s_mov_b32 s7, exec_lo
                                        ; implicit-def: $vgpr3
	v_and_b32_e32 v6, 0x7fffffff, v2
	v_cmpx_gt_u32_e32 0x47800000, v6
	s_xor_b32 s7, exec_lo, s7
	s_cbranch_execz .LBB134_373
; %bb.368:
	s_mov_b32 s8, exec_lo
                                        ; implicit-def: $vgpr3
	v_cmpx_lt_u32_e32 0x387fffff, v6
	s_xor_b32 s8, exec_lo, s8
; %bb.369:
	v_bfe_u32 v3, v2, 21, 1
	v_add3_u32 v3, v2, v3, 0x80fffff
	v_lshrrev_b32_e32 v3, 21, v3
; %bb.370:
	s_andn2_saveexec_b32 s8, s8
; %bb.371:
	v_add_f32_e64 v3, 0x43000000, |v2|
; %bb.372:
	s_or_b32 exec_lo, exec_lo, s8
                                        ; implicit-def: $vgpr6
.LBB134_373:
	s_andn2_saveexec_b32 s7, s7
; %bb.374:
	v_mov_b32_e32 v3, 0x7f
	v_cmp_lt_u32_e32 vcc_lo, 0x7f800000, v6
	v_cndmask_b32_e32 v3, 0x7c, v3, vcc_lo
; %bb.375:
	s_or_b32 exec_lo, exec_lo, s7
	v_lshrrev_b32_e32 v2, 24, v2
	v_and_or_b32 v2, 0x80, v2, v3
	global_store_byte v[4:5], v2, off
.LBB134_376:
	s_mov_b32 s8, 0
	s_mov_b32 s7, -1
.LBB134_377:
	s_andn2_b32 vcc_lo, exec_lo, s8
	s_cbranch_vccnz .LBB134_385
; %bb.378:
	s_cmp_gt_i32 s6, 14
	s_mov_b32 s8, -1
	s_cbranch_scc0 .LBB134_382
; %bb.379:
	s_cmp_eq_u32 s6, 15
	s_mov_b32 s4, -1
	s_cbranch_scc0 .LBB134_381
; %bb.380:
	v_cvt_f32_f64_e32 v2, v[0:1]
	s_mov_b32 s7, -1
	s_mov_b32 s4, 0
	v_bfe_u32 v3, v2, 16, 1
	v_cmp_o_f32_e32 vcc_lo, v2, v2
	v_add3_u32 v2, v2, v3, 0x7fff
	v_mov_b32_e32 v3, 0x7fc0
	v_cndmask_b32_sdwa v2, v3, v2, vcc_lo dst_sel:DWORD dst_unused:UNUSED_PAD src0_sel:DWORD src1_sel:WORD_1
	global_store_short v[4:5], v2, off
.LBB134_381:
	s_mov_b32 s8, 0
.LBB134_382:
	s_and_b32 vcc_lo, exec_lo, s8
	s_cbranch_vccz .LBB134_385
; %bb.383:
	s_cmp_eq_u32 s6, 11
	s_mov_b32 s4, -1
	s_cbranch_scc0 .LBB134_385
; %bb.384:
	v_cmp_neq_f64_e32 vcc_lo, 0, v[0:1]
	s_mov_b32 s7, -1
	s_mov_b32 s4, 0
	v_cndmask_b32_e64 v2, 0, 1, vcc_lo
	global_store_byte v[4:5], v2, off
.LBB134_385:
	s_mov_b32 s6, 0
.LBB134_386:
	s_and_b32 vcc_lo, exec_lo, s6
	s_cbranch_vccz .LBB134_425
; %bb.387:
	s_and_b32 s5, 0xffff, s5
	s_mov_b32 s6, -1
	s_cmp_lt_i32 s5, 5
	s_cbranch_scc1 .LBB134_408
; %bb.388:
	s_cmp_lt_i32 s5, 8
	s_cbranch_scc1 .LBB134_398
; %bb.389:
	;; [unrolled: 3-line block ×3, first 2 shown]
	s_cmp_gt_i32 s5, 9
	s_cbranch_scc0 .LBB134_392
; %bb.391:
	v_mov_b32_e32 v2, 0
	s_mov_b32 s6, 0
	v_mov_b32_e32 v3, v2
	global_store_dwordx4 v[4:5], v[0:3], off
.LBB134_392:
	s_andn2_b32 vcc_lo, exec_lo, s6
	s_cbranch_vccnz .LBB134_394
; %bb.393:
	v_cvt_f32_f64_e32 v2, v[0:1]
	v_mov_b32_e32 v3, 0
	global_store_dwordx2 v[4:5], v[2:3], off
.LBB134_394:
	s_mov_b32 s6, 0
.LBB134_395:
	s_andn2_b32 vcc_lo, exec_lo, s6
	s_cbranch_vccnz .LBB134_397
; %bb.396:
	v_and_or_b32 v2, 0x1ff, v1, v0
	v_lshrrev_b32_e32 v3, 8, v1
	v_bfe_u32 v6, v1, 20, 11
	v_cmp_ne_u32_e32 vcc_lo, 0, v2
	v_sub_nc_u32_e32 v7, 0x3f1, v6
	v_add_nc_u32_e32 v6, 0xfffffc10, v6
	v_cndmask_b32_e64 v2, 0, 1, vcc_lo
	v_and_or_b32 v2, 0xffe, v3, v2
	v_med3_i32 v3, v7, 0, 13
	v_or_b32_e32 v7, 0x1000, v2
	v_lshrrev_b32_e32 v8, v3, v7
	v_lshlrev_b32_e32 v3, v3, v8
	v_cmp_ne_u32_e32 vcc_lo, v3, v7
	v_lshl_or_b32 v7, v6, 12, v2
	v_cndmask_b32_e64 v3, 0, 1, vcc_lo
	v_cmp_gt_i32_e32 vcc_lo, 1, v6
	v_or_b32_e32 v3, v8, v3
	v_cndmask_b32_e32 v3, v7, v3, vcc_lo
	v_and_b32_e32 v7, 7, v3
	v_lshrrev_b32_e32 v3, 2, v3
	v_cmp_lt_i32_e32 vcc_lo, 5, v7
	v_cndmask_b32_e64 v8, 0, 1, vcc_lo
	v_cmp_eq_u32_e32 vcc_lo, 3, v7
	v_cndmask_b32_e64 v7, 0, 1, vcc_lo
	v_cmp_ne_u32_e32 vcc_lo, 0, v2
	v_or_b32_e32 v7, v7, v8
	v_mov_b32_e32 v8, 0x7e00
	v_add_nc_u32_e32 v3, v3, v7
	v_cndmask_b32_e32 v2, 0x7c00, v8, vcc_lo
	v_cmp_gt_i32_e32 vcc_lo, 31, v6
	v_cndmask_b32_e32 v3, 0x7c00, v3, vcc_lo
	v_cmp_eq_u32_e32 vcc_lo, 0x40f, v6
	v_cndmask_b32_e32 v2, v3, v2, vcc_lo
	v_lshrrev_b32_e32 v3, 16, v1
	v_and_or_b32 v2, 0x8000, v3, v2
	v_and_b32_e32 v2, 0xffff, v2
	global_store_dword v[4:5], v2, off
.LBB134_397:
	s_mov_b32 s6, 0
.LBB134_398:
	s_andn2_b32 vcc_lo, exec_lo, s6
	s_cbranch_vccnz .LBB134_407
; %bb.399:
	s_cmp_lt_i32 s5, 6
	s_mov_b32 s6, -1
	s_cbranch_scc1 .LBB134_405
; %bb.400:
	s_cmp_gt_i32 s5, 6
	s_cbranch_scc0 .LBB134_402
; %bb.401:
	s_mov_b32 s6, 0
	global_store_dwordx2 v[4:5], v[0:1], off
.LBB134_402:
	s_andn2_b32 vcc_lo, exec_lo, s6
	s_cbranch_vccnz .LBB134_404
; %bb.403:
	v_cvt_f32_f64_e32 v2, v[0:1]
	global_store_dword v[4:5], v2, off
.LBB134_404:
	s_mov_b32 s6, 0
.LBB134_405:
	s_andn2_b32 vcc_lo, exec_lo, s6
	s_cbranch_vccnz .LBB134_407
; %bb.406:
	v_and_or_b32 v2, 0x1ff, v1, v0
	v_lshrrev_b32_e32 v3, 8, v1
	v_bfe_u32 v6, v1, 20, 11
	v_cmp_ne_u32_e32 vcc_lo, 0, v2
	v_sub_nc_u32_e32 v7, 0x3f1, v6
	v_add_nc_u32_e32 v6, 0xfffffc10, v6
	v_cndmask_b32_e64 v2, 0, 1, vcc_lo
	v_and_or_b32 v2, 0xffe, v3, v2
	v_med3_i32 v3, v7, 0, 13
	v_or_b32_e32 v7, 0x1000, v2
	v_lshrrev_b32_e32 v8, v3, v7
	v_lshlrev_b32_e32 v3, v3, v8
	v_cmp_ne_u32_e32 vcc_lo, v3, v7
	v_lshl_or_b32 v7, v6, 12, v2
	v_cndmask_b32_e64 v3, 0, 1, vcc_lo
	v_cmp_gt_i32_e32 vcc_lo, 1, v6
	v_or_b32_e32 v3, v8, v3
	v_cndmask_b32_e32 v3, v7, v3, vcc_lo
	v_and_b32_e32 v7, 7, v3
	v_lshrrev_b32_e32 v3, 2, v3
	v_cmp_lt_i32_e32 vcc_lo, 5, v7
	v_cndmask_b32_e64 v8, 0, 1, vcc_lo
	v_cmp_eq_u32_e32 vcc_lo, 3, v7
	v_cndmask_b32_e64 v7, 0, 1, vcc_lo
	v_cmp_ne_u32_e32 vcc_lo, 0, v2
	v_or_b32_e32 v7, v7, v8
	v_mov_b32_e32 v8, 0x7e00
	v_add_nc_u32_e32 v3, v3, v7
	v_cndmask_b32_e32 v2, 0x7c00, v8, vcc_lo
	v_cmp_gt_i32_e32 vcc_lo, 31, v6
	v_cndmask_b32_e32 v3, 0x7c00, v3, vcc_lo
	v_cmp_eq_u32_e32 vcc_lo, 0x40f, v6
	v_cndmask_b32_e32 v2, v3, v2, vcc_lo
	v_lshrrev_b32_e32 v3, 16, v1
	v_and_or_b32 v2, 0x8000, v3, v2
	global_store_short v[4:5], v2, off
.LBB134_407:
	s_mov_b32 s6, 0
.LBB134_408:
	s_andn2_b32 vcc_lo, exec_lo, s6
	s_cbranch_vccnz .LBB134_424
; %bb.409:
	s_cmp_lt_i32 s5, 2
	s_mov_b32 s6, -1
	s_cbranch_scc1 .LBB134_419
; %bb.410:
	s_cmp_lt_i32 s5, 3
	s_cbranch_scc1 .LBB134_416
; %bb.411:
	s_cmp_gt_i32 s5, 3
	s_cbranch_scc0 .LBB134_413
; %bb.412:
	v_trunc_f64_e32 v[2:3], v[0:1]
	s_mov_b32 s6, 0
	v_ldexp_f64 v[6:7], v[2:3], 0xffffffe0
	v_floor_f64_e32 v[6:7], v[6:7]
	v_fma_f64 v[2:3], 0xc1f00000, v[6:7], v[2:3]
	v_cvt_i32_f64_e32 v7, v[6:7]
	v_cvt_u32_f64_e32 v6, v[2:3]
	global_store_dwordx2 v[4:5], v[6:7], off
.LBB134_413:
	s_andn2_b32 vcc_lo, exec_lo, s6
	s_cbranch_vccnz .LBB134_415
; %bb.414:
	v_cvt_i32_f64_e32 v2, v[0:1]
	global_store_dword v[4:5], v2, off
.LBB134_415:
	s_mov_b32 s6, 0
.LBB134_416:
	s_andn2_b32 vcc_lo, exec_lo, s6
	s_cbranch_vccnz .LBB134_418
; %bb.417:
	v_cvt_i32_f64_e32 v2, v[0:1]
	global_store_short v[4:5], v2, off
.LBB134_418:
	s_mov_b32 s6, 0
.LBB134_419:
	s_andn2_b32 vcc_lo, exec_lo, s6
	s_cbranch_vccnz .LBB134_424
; %bb.420:
	s_cmp_gt_i32 s5, 0
	s_mov_b32 s5, -1
	s_cbranch_scc0 .LBB134_422
; %bb.421:
	v_cvt_i32_f64_e32 v2, v[0:1]
	s_mov_b32 s5, 0
	global_store_byte v[4:5], v2, off
.LBB134_422:
	s_andn2_b32 vcc_lo, exec_lo, s5
	s_cbranch_vccnz .LBB134_424
; %bb.423:
	v_trunc_f64_e32 v[0:1], v[0:1]
	v_ldexp_f64 v[2:3], v[0:1], 0xffffffe0
	v_floor_f64_e32 v[2:3], v[2:3]
	v_fma_f64 v[0:1], 0xc1f00000, v[2:3], v[0:1]
	v_cvt_u32_f64_e32 v0, v[0:1]
	global_store_byte v[4:5], v0, off
.LBB134_424:
	s_mov_b32 s7, -1
.LBB134_425:
	s_andn2_b32 vcc_lo, exec_lo, s7
	s_cbranch_vccnz .LBB134_427
; %bb.426:
	v_add_nc_u32_e32 v39, 0x80, v39
	s_mov_b32 s5, -1
	s_branch .LBB134_428
.LBB134_427:
	s_mov_b32 s5, 0
                                        ; implicit-def: $vgpr39
.LBB134_428:
	s_andn2_b32 s6, s53, exec_lo
	s_and_b32 s4, s4, exec_lo
	s_orn2_b32 s7, s5, exec_lo
	s_or_b32 s56, s6, s4
.LBB134_429:
	s_or_b32 exec_lo, exec_lo, s55
	s_mov_b32 s4, 0
	s_mov_b32 s6, 0
                                        ; implicit-def: $sgpr5
                                        ; implicit-def: $vgpr4_vgpr5
                                        ; implicit-def: $vgpr0_vgpr1
	s_and_saveexec_b32 s55, s7
	s_cbranch_execz .LBB134_528
; %bb.430:
	v_cmp_gt_i32_e32 vcc_lo, s48, v39
	s_mov_b32 s7, s56
                                        ; implicit-def: $sgpr5
                                        ; implicit-def: $vgpr4_vgpr5
                                        ; implicit-def: $vgpr0_vgpr1
	s_and_saveexec_b32 s48, vcc_lo
	s_cbranch_execz .LBB134_527
; %bb.431:
	s_andn2_b32 vcc_lo, exec_lo, s44
	s_cbranch_vccnz .LBB134_436
; %bb.432:
	s_andn2_b32 vcc_lo, exec_lo, s50
	s_cbranch_vccnz .LBB134_437
; %bb.433:
	s_add_i32 s49, s49, 1
	s_cmp_eq_u32 s42, 2
	s_cbranch_scc1 .LBB134_438
; %bb.434:
	v_mov_b32_e32 v2, 0
	v_mov_b32_e32 v37, 0
	;; [unrolled: 1-line block ×3, first 2 shown]
	s_and_b32 s6, s49, 28
	s_mov_b32 s7, 0
	s_mov_b64 s[4:5], s[28:29]
.LBB134_435:                            ; =>This Inner Loop Header: Depth=1
	s_clause 0x1
	s_load_dwordx8 s[8:15], s[4:5], 0x4
	s_load_dwordx4 s[68:71], s[4:5], 0x24
	s_load_dwordx8 s[60:67], s[40:41], 0x0
	s_add_u32 s4, s4, 48
	s_addc_u32 s5, s5, 0
	s_add_i32 s7, s7, 4
	s_add_u32 s40, s40, 32
	s_addc_u32 s41, s41, 0
	s_cmp_eq_u32 s6, s7
	s_waitcnt lgkmcnt(0)
	v_mul_hi_u32 v1, s9, v0
	v_add_nc_u32_e32 v1, v0, v1
	v_lshrrev_b32_e32 v1, s10, v1
	v_mul_hi_u32 v3, s12, v1
	v_mul_lo_u32 v5, v1, s8
	v_add_nc_u32_e32 v3, v1, v3
	v_sub_nc_u32_e32 v0, v0, v5
	v_lshrrev_b32_e32 v3, s13, v3
	v_mul_lo_u32 v5, v0, s60
	v_mul_lo_u32 v7, v0, s61
	v_mul_hi_u32 v4, s15, v3
	v_add_nc_u32_e32 v4, v3, v4
	v_lshrrev_b32_e32 v4, s68, v4
	v_mul_hi_u32 v6, s70, v4
	v_mul_lo_u32 v8, v4, s14
	v_add_nc_u32_e32 v0, v4, v6
	v_mul_lo_u32 v6, v3, s11
	v_sub_nc_u32_e32 v3, v3, v8
	v_lshrrev_b32_e32 v0, s71, v0
	v_mul_lo_u32 v8, v3, s64
	v_mul_lo_u32 v3, v3, s65
	v_sub_nc_u32_e32 v1, v1, v6
	v_mul_lo_u32 v9, v0, s69
	v_mul_lo_u32 v6, v1, s62
	;; [unrolled: 1-line block ×3, first 2 shown]
	v_sub_nc_u32_e32 v4, v4, v9
	v_add3_u32 v5, v5, v37, v6
	v_mul_lo_u32 v9, v4, s66
	v_mul_lo_u32 v4, v4, s67
	v_add3_u32 v1, v7, v2, v1
	v_add3_u32 v37, v8, v5, v9
	;; [unrolled: 1-line block ×3, first 2 shown]
	s_cbranch_scc0 .LBB134_435
	s_branch .LBB134_439
.LBB134_436:
	s_mov_b32 s4, -1
                                        ; implicit-def: $vgpr37
                                        ; implicit-def: $vgpr2
	s_branch .LBB134_443
.LBB134_437:
	v_mov_b32_e32 v37, 0
	v_mov_b32_e32 v2, 0
	s_branch .LBB134_442
.LBB134_438:
	v_mov_b32_e32 v37, 0
	v_mov_b32_e32 v2, 0
	v_mov_b32_e32 v0, v39
.LBB134_439:
	s_and_b32 s8, s49, 3
	s_cmp_eq_u32 s8, 0
	s_cbranch_scc1 .LBB134_442
; %bb.440:
	s_lshl_b32 s4, s6, 3
	s_mul_i32 s6, s6, 12
	s_add_u32 s4, s28, s4
	s_addc_u32 s5, s29, 0
	s_add_u32 s4, s4, 0xc4
	s_addc_u32 s5, s5, 0
	;; [unrolled: 2-line block ×3, first 2 shown]
.LBB134_441:                            ; =>This Inner Loop Header: Depth=1
	s_clause 0x1
	s_load_dwordx2 s[10:11], s[6:7], 0x4
	s_load_dword s9, s[6:7], 0xc
	s_load_dwordx2 s[12:13], s[4:5], 0x0
	s_add_u32 s6, s6, 12
	s_addc_u32 s7, s7, 0
	s_add_u32 s4, s4, 8
	s_addc_u32 s5, s5, 0
	s_add_i32 s8, s8, -1
	s_cmp_lg_u32 s8, 0
	s_waitcnt lgkmcnt(0)
	v_mul_hi_u32 v1, s11, v0
	v_add_nc_u32_e32 v1, v0, v1
	v_lshrrev_b32_e32 v1, s9, v1
	v_mul_lo_u32 v3, v1, s10
	v_sub_nc_u32_e32 v0, v0, v3
	v_mad_u64_u32 v[37:38], null, v0, s12, v[37:38]
	v_mad_u64_u32 v[2:3], null, v0, s13, v[2:3]
	v_mov_b32_e32 v0, v1
	s_cbranch_scc1 .LBB134_441
.LBB134_442:
	s_mov_b32 s4, 0
.LBB134_443:
	s_andn2_b32 vcc_lo, exec_lo, s4
	s_cbranch_vccnz .LBB134_446
; %bb.444:
	s_waitcnt lgkmcnt(0)
	v_mul_hi_u32 v0, s37, v39
	s_andn2_b32 vcc_lo, exec_lo, s47
	v_add_nc_u32_e32 v0, v39, v0
	v_lshrrev_b32_e32 v0, s38, v0
	v_mul_lo_u32 v1, v0, s36
	v_sub_nc_u32_e32 v1, v39, v1
	v_mul_lo_u32 v37, v1, s24
	v_mul_lo_u32 v2, v1, s25
	s_cbranch_vccnz .LBB134_446
; %bb.445:
	v_mul_hi_u32 v1, s34, v0
	v_add_nc_u32_e32 v1, v0, v1
	v_lshrrev_b32_e32 v1, s35, v1
	v_mul_lo_u32 v1, v1, s39
	v_sub_nc_u32_e32 v0, v0, v1
	v_mad_u64_u32 v[37:38], null, v0, s26, v[37:38]
	v_mad_u64_u32 v[2:3], null, v0, s27, v[2:3]
.LBB134_446:
	s_waitcnt lgkmcnt(0)
	v_mov_b32_e32 v0, s22
	v_mov_b32_e32 v1, s23
	;; [unrolled: 1-line block ×3, first 2 shown]
	s_getpc_b64 s[4:5]
	s_add_u32 s4, s4, _ZN2at6native6invokeIZZZNS0_18lgamma_kernel_cudaERNS_18TensorIteratorBaseEENKUlvE_clEvENKUlvE_clEvEUldE_j15function_traitsIS6_EEENT1_11result_typeERKT_PrKPcPKT0_PKN3c1010ScalarTypeEi@rel32@lo+4
	s_addc_u32 s5, s5, _ZN2at6native6invokeIZZZNS0_18lgamma_kernel_cudaERNS_18TensorIteratorBaseEENKUlvE_clEvENKUlvE_clEvEUldE_j15function_traitsIS6_EEENT1_11result_typeERKT_PrKPcPKT0_PKN3c1010ScalarTypeEi@rel32@hi+12
	s_swappc_b64 s[30:31], s[4:5]
	v_add_co_u32 v4, s4, s20, v37
	v_add_co_ci_u32_e64 v5, null, s21, 0, s4
	s_and_b32 s5, s46, 0xff
	s_cmp_lt_i32 s5, 11
	s_cbranch_scc1 .LBB134_453
; %bb.447:
	s_and_b32 s6, 0xffff, s5
	s_mov_b32 s7, -1
	s_cmp_gt_i32 s6, 25
	s_mov_b32 s4, s56
	s_cbranch_scc0 .LBB134_485
; %bb.448:
	s_cmp_gt_i32 s6, 28
	s_mov_b32 s4, s56
	s_cbranch_scc0 .LBB134_469
; %bb.449:
	;; [unrolled: 4-line block ×4, first 2 shown]
	s_cmp_eq_u32 s6, 46
	s_mov_b32 s4, -1
	s_cbranch_scc0 .LBB134_458
; %bb.452:
	v_cvt_f32_f64_e32 v2, v[0:1]
	s_mov_b32 s4, 0
	s_mov_b32 s7, 0
	v_bfe_u32 v3, v2, 16, 1
	v_cmp_o_f32_e32 vcc_lo, v2, v2
	v_add3_u32 v2, v2, v3, 0x7fff
	v_mov_b32_e32 v3, 0x7fc0
	v_cndmask_b32_sdwa v2, v3, v2, vcc_lo dst_sel:DWORD dst_unused:UNUSED_PAD src0_sel:DWORD src1_sel:WORD_1
	global_store_dword v[4:5], v2, off
	s_branch .LBB134_459
.LBB134_453:
	s_mov_b32 s8, 0
	s_mov_b32 s7, -1
	s_mov_b32 s4, s56
	s_branch .LBB134_526
.LBB134_454:
	s_andn2_saveexec_b32 s9, s9
	s_cbranch_execz .LBB134_338
.LBB134_455:
	v_add_f32_e64 v3, 0x46000000, |v2|
	s_andn2_b32 s8, s8, exec_lo
	v_and_b32_e32 v3, 0xff, v3
	v_cmp_ne_u32_e32 vcc_lo, 0, v3
	s_and_b32 s10, vcc_lo, exec_lo
	s_or_b32 s8, s8, s10
	s_or_b32 exec_lo, exec_lo, s9
	v_mov_b32_e32 v6, 0
	s_and_saveexec_b32 s9, s8
	s_cbranch_execnz .LBB134_339
	s_branch .LBB134_340
.LBB134_456:
	s_andn2_saveexec_b32 s9, s9
	s_cbranch_execz .LBB134_351
.LBB134_457:
	v_add_f32_e64 v3, 0x42800000, |v2|
	s_andn2_b32 s8, s8, exec_lo
	v_and_b32_e32 v3, 0xff, v3
	v_cmp_ne_u32_e32 vcc_lo, 0, v3
	s_and_b32 s10, vcc_lo, exec_lo
	s_or_b32 s8, s8, s10
	s_or_b32 exec_lo, exec_lo, s9
	v_mov_b32_e32 v6, 0
	s_and_saveexec_b32 s9, s8
	s_cbranch_execnz .LBB134_352
	s_branch .LBB134_353
.LBB134_458:
	s_mov_b32 s7, 0
.LBB134_459:
	s_and_b32 vcc_lo, exec_lo, s7
	s_cbranch_vccz .LBB134_464
; %bb.460:
	s_cmp_eq_u32 s6, 44
	s_mov_b32 s4, -1
	s_cbranch_scc0 .LBB134_464
; %bb.461:
	v_cvt_f32_f64_e32 v2, v[0:1]
	v_mov_b32_e32 v3, 0xff
	s_mov_b32 s7, exec_lo
	v_bfe_u32 v6, v2, 23, 8
	v_cmpx_ne_u32_e32 0xff, v6
	s_cbranch_execz .LBB134_463
; %bb.462:
	v_and_b32_e32 v3, 0x400000, v2
	v_and_or_b32 v6, 0x3fffff, v2, v6
	v_lshrrev_b32_e32 v2, 23, v2
	v_cmp_ne_u32_e32 vcc_lo, 0, v3
	v_cmp_ne_u32_e64 s4, 0, v6
	s_and_b32 s4, vcc_lo, s4
	v_cndmask_b32_e64 v3, 0, 1, s4
	v_add_nc_u32_e32 v3, v2, v3
.LBB134_463:
	s_or_b32 exec_lo, exec_lo, s7
	s_mov_b32 s4, 0
	global_store_byte v[4:5], v3, off
.LBB134_464:
	s_mov_b32 s7, 0
.LBB134_465:
	s_and_b32 vcc_lo, exec_lo, s7
	s_cbranch_vccz .LBB134_468
; %bb.466:
	s_cmp_eq_u32 s6, 29
	s_mov_b32 s4, -1
	s_cbranch_scc0 .LBB134_468
; %bb.467:
	v_trunc_f64_e32 v[2:3], v[0:1]
	s_mov_b32 s4, 0
	s_mov_b32 s7, 0
	v_ldexp_f64 v[6:7], v[2:3], 0xffffffe0
	v_floor_f64_e32 v[6:7], v[6:7]
	v_fma_f64 v[2:3], 0xc1f00000, v[6:7], v[2:3]
	v_cvt_u32_f64_e32 v7, v[6:7]
	v_cvt_u32_f64_e32 v6, v[2:3]
	global_store_dwordx2 v[4:5], v[6:7], off
	s_branch .LBB134_469
.LBB134_468:
	s_mov_b32 s7, 0
.LBB134_469:
	s_and_b32 vcc_lo, exec_lo, s7
	s_cbranch_vccz .LBB134_484
; %bb.470:
	s_cmp_lt_i32 s6, 27
	s_mov_b32 s7, -1
	s_cbranch_scc1 .LBB134_476
; %bb.471:
	v_cvt_u32_f64_e32 v2, v[0:1]
	s_cmp_gt_i32 s6, 27
	s_cbranch_scc0 .LBB134_473
; %bb.472:
	s_mov_b32 s7, 0
	global_store_dword v[4:5], v2, off
.LBB134_473:
	s_andn2_b32 vcc_lo, exec_lo, s7
	s_cbranch_vccnz .LBB134_475
; %bb.474:
	global_store_short v[4:5], v2, off
.LBB134_475:
	s_mov_b32 s7, 0
.LBB134_476:
	s_andn2_b32 vcc_lo, exec_lo, s7
	s_cbranch_vccnz .LBB134_484
; %bb.477:
	v_cvt_f32_f64_e32 v2, v[0:1]
	v_mov_b32_e32 v6, 0x80
	s_mov_b32 s7, exec_lo
	v_and_b32_e32 v3, 0x7fffffff, v2
	v_cmpx_gt_u32_e32 0x43800000, v3
	s_cbranch_execz .LBB134_483
; %bb.478:
	v_cmp_lt_u32_e32 vcc_lo, 0x3bffffff, v3
	s_mov_b32 s8, 0
                                        ; implicit-def: $vgpr3
	s_and_saveexec_b32 s9, vcc_lo
	s_xor_b32 s9, exec_lo, s9
	s_cbranch_execz .LBB134_1121
; %bb.479:
	v_bfe_u32 v3, v2, 20, 1
	s_mov_b32 s8, exec_lo
	v_add3_u32 v3, v2, v3, 0x487ffff
	v_lshrrev_b32_e32 v3, 20, v3
	s_andn2_saveexec_b32 s9, s9
	s_cbranch_execnz .LBB134_1122
.LBB134_480:
	s_or_b32 exec_lo, exec_lo, s9
	v_mov_b32_e32 v6, 0
	s_and_saveexec_b32 s9, s8
.LBB134_481:
	v_lshrrev_b32_e32 v2, 24, v2
	v_and_or_b32 v6, 0x80, v2, v3
.LBB134_482:
	s_or_b32 exec_lo, exec_lo, s9
.LBB134_483:
	s_or_b32 exec_lo, exec_lo, s7
	global_store_byte v[4:5], v6, off
.LBB134_484:
	s_mov_b32 s7, 0
.LBB134_485:
	s_and_b32 vcc_lo, exec_lo, s7
	s_mov_b32 s7, 0
	s_cbranch_vccz .LBB134_525
; %bb.486:
	s_cmp_gt_i32 s6, 22
	s_mov_b32 s8, -1
	s_cbranch_scc0 .LBB134_518
; %bb.487:
	s_cmp_lt_i32 s6, 24
	s_cbranch_scc1 .LBB134_507
; %bb.488:
	s_cmp_gt_i32 s6, 24
	s_cbranch_scc0 .LBB134_496
; %bb.489:
	v_cvt_f32_f64_e32 v2, v[0:1]
	v_mov_b32_e32 v6, 0x80
	s_mov_b32 s8, exec_lo
	v_and_b32_e32 v3, 0x7fffffff, v2
	v_cmpx_gt_u32_e32 0x47800000, v3
	s_cbranch_execz .LBB134_495
; %bb.490:
	v_cmp_lt_u32_e32 vcc_lo, 0x37ffffff, v3
	s_mov_b32 s9, 0
                                        ; implicit-def: $vgpr3
	s_and_saveexec_b32 s10, vcc_lo
	s_xor_b32 s10, exec_lo, s10
	s_cbranch_execz .LBB134_1125
; %bb.491:
	v_bfe_u32 v3, v2, 21, 1
	s_mov_b32 s9, exec_lo
	v_add3_u32 v3, v2, v3, 0x88fffff
	v_lshrrev_b32_e32 v3, 21, v3
	s_andn2_saveexec_b32 s10, s10
	s_cbranch_execnz .LBB134_1126
.LBB134_492:
	s_or_b32 exec_lo, exec_lo, s10
	v_mov_b32_e32 v6, 0
	s_and_saveexec_b32 s10, s9
.LBB134_493:
	v_lshrrev_b32_e32 v2, 24, v2
	v_and_or_b32 v6, 0x80, v2, v3
.LBB134_494:
	s_or_b32 exec_lo, exec_lo, s10
.LBB134_495:
	s_or_b32 exec_lo, exec_lo, s8
	s_mov_b32 s8, 0
	global_store_byte v[4:5], v6, off
.LBB134_496:
	s_and_b32 vcc_lo, exec_lo, s8
	s_cbranch_vccz .LBB134_506
; %bb.497:
	v_cvt_f32_f64_e32 v2, v[0:1]
	s_mov_b32 s8, exec_lo
                                        ; implicit-def: $vgpr3
	v_and_b32_e32 v6, 0x7fffffff, v2
	v_cmpx_gt_u32_e32 0x43f00000, v6
	s_xor_b32 s8, exec_lo, s8
	s_cbranch_execz .LBB134_503
; %bb.498:
	s_mov_b32 s9, exec_lo
                                        ; implicit-def: $vgpr3
	v_cmpx_lt_u32_e32 0x3c7fffff, v6
	s_xor_b32 s9, exec_lo, s9
; %bb.499:
	v_bfe_u32 v3, v2, 20, 1
	v_add3_u32 v3, v2, v3, 0x407ffff
	v_and_b32_e32 v6, 0xff00000, v3
	v_lshrrev_b32_e32 v3, 20, v3
	v_cmp_ne_u32_e32 vcc_lo, 0x7f00000, v6
	v_cndmask_b32_e32 v3, 0x7e, v3, vcc_lo
; %bb.500:
	s_andn2_saveexec_b32 s9, s9
; %bb.501:
	v_add_f32_e64 v3, 0x46800000, |v2|
; %bb.502:
	s_or_b32 exec_lo, exec_lo, s9
                                        ; implicit-def: $vgpr6
.LBB134_503:
	s_andn2_saveexec_b32 s8, s8
; %bb.504:
	v_mov_b32_e32 v3, 0x7f
	v_cmp_lt_u32_e32 vcc_lo, 0x7f800000, v6
	v_cndmask_b32_e32 v3, 0x7e, v3, vcc_lo
; %bb.505:
	s_or_b32 exec_lo, exec_lo, s8
	v_lshrrev_b32_e32 v2, 24, v2
	v_and_or_b32 v2, 0x80, v2, v3
	global_store_byte v[4:5], v2, off
.LBB134_506:
	s_mov_b32 s8, 0
.LBB134_507:
	s_andn2_b32 vcc_lo, exec_lo, s8
	s_cbranch_vccnz .LBB134_517
; %bb.508:
	v_cvt_f32_f64_e32 v2, v[0:1]
	s_mov_b32 s8, exec_lo
                                        ; implicit-def: $vgpr3
	v_and_b32_e32 v6, 0x7fffffff, v2
	v_cmpx_gt_u32_e32 0x47800000, v6
	s_xor_b32 s8, exec_lo, s8
	s_cbranch_execz .LBB134_514
; %bb.509:
	s_mov_b32 s9, exec_lo
                                        ; implicit-def: $vgpr3
	v_cmpx_lt_u32_e32 0x387fffff, v6
	s_xor_b32 s9, exec_lo, s9
; %bb.510:
	v_bfe_u32 v3, v2, 21, 1
	v_add3_u32 v3, v2, v3, 0x80fffff
	v_lshrrev_b32_e32 v3, 21, v3
; %bb.511:
	s_andn2_saveexec_b32 s9, s9
; %bb.512:
	v_add_f32_e64 v3, 0x43000000, |v2|
; %bb.513:
	s_or_b32 exec_lo, exec_lo, s9
                                        ; implicit-def: $vgpr6
.LBB134_514:
	s_andn2_saveexec_b32 s8, s8
; %bb.515:
	v_mov_b32_e32 v3, 0x7f
	v_cmp_lt_u32_e32 vcc_lo, 0x7f800000, v6
	v_cndmask_b32_e32 v3, 0x7c, v3, vcc_lo
; %bb.516:
	s_or_b32 exec_lo, exec_lo, s8
	v_lshrrev_b32_e32 v2, 24, v2
	v_and_or_b32 v2, 0x80, v2, v3
	global_store_byte v[4:5], v2, off
.LBB134_517:
	s_mov_b32 s8, 0
.LBB134_518:
	s_andn2_b32 vcc_lo, exec_lo, s8
	s_mov_b32 s8, 0
	s_cbranch_vccnz .LBB134_526
; %bb.519:
	s_cmp_gt_i32 s6, 14
	s_mov_b32 s8, -1
	s_cbranch_scc0 .LBB134_523
; %bb.520:
	s_cmp_eq_u32 s6, 15
	s_mov_b32 s4, -1
	s_cbranch_scc0 .LBB134_522
; %bb.521:
	v_cvt_f32_f64_e32 v2, v[0:1]
	s_mov_b32 s4, 0
	v_bfe_u32 v3, v2, 16, 1
	v_cmp_o_f32_e32 vcc_lo, v2, v2
	v_add3_u32 v2, v2, v3, 0x7fff
	v_mov_b32_e32 v3, 0x7fc0
	v_cndmask_b32_sdwa v2, v3, v2, vcc_lo dst_sel:DWORD dst_unused:UNUSED_PAD src0_sel:DWORD src1_sel:WORD_1
	global_store_short v[4:5], v2, off
.LBB134_522:
	s_mov_b32 s8, 0
.LBB134_523:
	s_and_b32 vcc_lo, exec_lo, s8
	s_mov_b32 s8, 0
	s_cbranch_vccz .LBB134_526
; %bb.524:
	s_cmp_lg_u32 s6, 11
	s_mov_b32 s8, -1
	s_cselect_b32 s6, -1, 0
	s_andn2_b32 s4, s4, exec_lo
	s_and_b32 s6, s6, exec_lo
	s_or_b32 s4, s4, s6
	s_branch .LBB134_526
.LBB134_525:
	s_mov_b32 s8, 0
.LBB134_526:
	s_and_b32 s6, s7, exec_lo
	s_andn2_b32 s7, s56, exec_lo
	s_and_b32 s9, s4, exec_lo
	s_and_b32 s4, s8, exec_lo
	s_or_b32 s7, s7, s9
.LBB134_527:
	s_or_b32 exec_lo, exec_lo, s48
	s_andn2_b32 s8, s56, exec_lo
	s_and_b32 s7, s7, exec_lo
	s_and_b32 s6, s6, exec_lo
	;; [unrolled: 1-line block ×3, first 2 shown]
	s_or_b32 s56, s8, s7
.LBB134_528:
	s_or_b32 exec_lo, exec_lo, s55
	s_andn2_b32 s7, s53, exec_lo
	s_and_b32 s8, s56, exec_lo
	s_and_b32 s6, s6, exec_lo
	;; [unrolled: 1-line block ×3, first 2 shown]
	s_or_b32 s53, s7, s8
.LBB134_529:
	s_or_b32 exec_lo, exec_lo, s54
	s_andn2_b32 s7, s51, exec_lo
	s_and_b32 s8, s53, exec_lo
	s_and_b32 s6, s6, exec_lo
	;; [unrolled: 1-line block ×3, first 2 shown]
	s_or_b32 s51, s7, s8
	s_or_b32 exec_lo, exec_lo, s52
	s_mov_b32 s4, 0
	s_and_saveexec_b32 s7, s51
	s_cbranch_execz .LBB134_146
.LBB134_530:
	s_mov_b32 s4, exec_lo
	s_andn2_b32 s53, s53, exec_lo
	s_trap 2
	s_or_b32 exec_lo, exec_lo, s7
	s_and_saveexec_b32 s7, s53
	s_xor_b32 s7, exec_lo, s7
	s_cbranch_execnz .LBB134_147
.LBB134_531:
	s_or_b32 exec_lo, exec_lo, s7
	s_and_saveexec_b32 s7, s6
	s_xor_b32 s6, exec_lo, s7
	s_cbranch_execz .LBB134_569
.LBB134_532:
	s_sext_i32_i16 s8, s5
	s_mov_b32 s7, -1
	s_cmp_lt_i32 s8, 5
	s_cbranch_scc1 .LBB134_553
; %bb.533:
	s_cmp_lt_i32 s8, 8
	s_cbranch_scc1 .LBB134_543
; %bb.534:
	;; [unrolled: 3-line block ×3, first 2 shown]
	s_cmp_gt_i32 s8, 9
	s_cbranch_scc0 .LBB134_537
; %bb.536:
	v_mov_b32_e32 v2, 0
	s_mov_b32 s7, 0
	v_mov_b32_e32 v3, v2
	global_store_dwordx4 v[4:5], v[0:3], off
.LBB134_537:
	s_andn2_b32 vcc_lo, exec_lo, s7
	s_cbranch_vccnz .LBB134_539
; %bb.538:
	v_cvt_f32_f64_e32 v2, v[0:1]
	v_mov_b32_e32 v3, 0
	global_store_dwordx2 v[4:5], v[2:3], off
.LBB134_539:
	s_mov_b32 s7, 0
.LBB134_540:
	s_andn2_b32 vcc_lo, exec_lo, s7
	s_cbranch_vccnz .LBB134_542
; %bb.541:
	v_and_or_b32 v2, 0x1ff, v1, v0
	v_lshrrev_b32_e32 v3, 8, v1
	v_bfe_u32 v6, v1, 20, 11
	v_cmp_ne_u32_e32 vcc_lo, 0, v2
	v_sub_nc_u32_e32 v7, 0x3f1, v6
	v_add_nc_u32_e32 v6, 0xfffffc10, v6
	v_cndmask_b32_e64 v2, 0, 1, vcc_lo
	v_and_or_b32 v2, 0xffe, v3, v2
	v_med3_i32 v3, v7, 0, 13
	v_or_b32_e32 v7, 0x1000, v2
	v_lshrrev_b32_e32 v8, v3, v7
	v_lshlrev_b32_e32 v3, v3, v8
	v_cmp_ne_u32_e32 vcc_lo, v3, v7
	v_lshl_or_b32 v7, v6, 12, v2
	v_cndmask_b32_e64 v3, 0, 1, vcc_lo
	v_cmp_gt_i32_e32 vcc_lo, 1, v6
	v_or_b32_e32 v3, v8, v3
	v_cndmask_b32_e32 v3, v7, v3, vcc_lo
	v_and_b32_e32 v7, 7, v3
	v_lshrrev_b32_e32 v3, 2, v3
	v_cmp_lt_i32_e32 vcc_lo, 5, v7
	v_cndmask_b32_e64 v8, 0, 1, vcc_lo
	v_cmp_eq_u32_e32 vcc_lo, 3, v7
	v_cndmask_b32_e64 v7, 0, 1, vcc_lo
	v_cmp_ne_u32_e32 vcc_lo, 0, v2
	v_or_b32_e32 v7, v7, v8
	v_mov_b32_e32 v8, 0x7e00
	v_add_nc_u32_e32 v3, v3, v7
	v_cndmask_b32_e32 v2, 0x7c00, v8, vcc_lo
	v_cmp_gt_i32_e32 vcc_lo, 31, v6
	v_cndmask_b32_e32 v3, 0x7c00, v3, vcc_lo
	v_cmp_eq_u32_e32 vcc_lo, 0x40f, v6
	v_cndmask_b32_e32 v2, v3, v2, vcc_lo
	v_lshrrev_b32_e32 v3, 16, v1
	v_and_or_b32 v2, 0x8000, v3, v2
	v_and_b32_e32 v2, 0xffff, v2
	global_store_dword v[4:5], v2, off
.LBB134_542:
	s_mov_b32 s7, 0
.LBB134_543:
	s_andn2_b32 vcc_lo, exec_lo, s7
	s_cbranch_vccnz .LBB134_552
; %bb.544:
	s_sext_i32_i16 s8, s5
	s_mov_b32 s7, -1
	s_cmp_lt_i32 s8, 6
	s_cbranch_scc1 .LBB134_550
; %bb.545:
	s_cmp_gt_i32 s8, 6
	s_cbranch_scc0 .LBB134_547
; %bb.546:
	s_mov_b32 s7, 0
	global_store_dwordx2 v[4:5], v[0:1], off
.LBB134_547:
	s_andn2_b32 vcc_lo, exec_lo, s7
	s_cbranch_vccnz .LBB134_549
; %bb.548:
	v_cvt_f32_f64_e32 v2, v[0:1]
	global_store_dword v[4:5], v2, off
.LBB134_549:
	s_mov_b32 s7, 0
.LBB134_550:
	s_andn2_b32 vcc_lo, exec_lo, s7
	s_cbranch_vccnz .LBB134_552
; %bb.551:
	v_and_or_b32 v2, 0x1ff, v1, v0
	v_lshrrev_b32_e32 v3, 8, v1
	v_bfe_u32 v6, v1, 20, 11
	v_cmp_ne_u32_e32 vcc_lo, 0, v2
	v_sub_nc_u32_e32 v7, 0x3f1, v6
	v_add_nc_u32_e32 v6, 0xfffffc10, v6
	v_cndmask_b32_e64 v2, 0, 1, vcc_lo
	v_and_or_b32 v2, 0xffe, v3, v2
	v_med3_i32 v3, v7, 0, 13
	v_or_b32_e32 v7, 0x1000, v2
	v_lshrrev_b32_e32 v8, v3, v7
	v_lshlrev_b32_e32 v3, v3, v8
	v_cmp_ne_u32_e32 vcc_lo, v3, v7
	v_lshl_or_b32 v7, v6, 12, v2
	v_cndmask_b32_e64 v3, 0, 1, vcc_lo
	v_cmp_gt_i32_e32 vcc_lo, 1, v6
	v_or_b32_e32 v3, v8, v3
	v_cndmask_b32_e32 v3, v7, v3, vcc_lo
	v_and_b32_e32 v7, 7, v3
	v_lshrrev_b32_e32 v3, 2, v3
	v_cmp_lt_i32_e32 vcc_lo, 5, v7
	v_cndmask_b32_e64 v8, 0, 1, vcc_lo
	v_cmp_eq_u32_e32 vcc_lo, 3, v7
	v_cndmask_b32_e64 v7, 0, 1, vcc_lo
	v_cmp_ne_u32_e32 vcc_lo, 0, v2
	v_or_b32_e32 v7, v7, v8
	v_mov_b32_e32 v8, 0x7e00
	v_add_nc_u32_e32 v3, v3, v7
	v_cndmask_b32_e32 v2, 0x7c00, v8, vcc_lo
	v_cmp_gt_i32_e32 vcc_lo, 31, v6
	v_cndmask_b32_e32 v3, 0x7c00, v3, vcc_lo
	v_cmp_eq_u32_e32 vcc_lo, 0x40f, v6
	v_cndmask_b32_e32 v2, v3, v2, vcc_lo
	v_lshrrev_b32_e32 v3, 16, v1
	v_and_or_b32 v2, 0x8000, v3, v2
	global_store_short v[4:5], v2, off
.LBB134_552:
	s_mov_b32 s7, 0
.LBB134_553:
	s_andn2_b32 vcc_lo, exec_lo, s7
	s_cbranch_vccnz .LBB134_569
; %bb.554:
	s_sext_i32_i16 s8, s5
	s_mov_b32 s7, -1
	s_cmp_lt_i32 s8, 2
	s_cbranch_scc1 .LBB134_564
; %bb.555:
	s_cmp_lt_i32 s8, 3
	s_cbranch_scc1 .LBB134_561
; %bb.556:
	s_cmp_gt_i32 s8, 3
	s_cbranch_scc0 .LBB134_558
; %bb.557:
	v_trunc_f64_e32 v[2:3], v[0:1]
	s_mov_b32 s7, 0
	v_ldexp_f64 v[6:7], v[2:3], 0xffffffe0
	v_floor_f64_e32 v[6:7], v[6:7]
	v_fma_f64 v[2:3], 0xc1f00000, v[6:7], v[2:3]
	v_cvt_i32_f64_e32 v7, v[6:7]
	v_cvt_u32_f64_e32 v6, v[2:3]
	global_store_dwordx2 v[4:5], v[6:7], off
.LBB134_558:
	s_andn2_b32 vcc_lo, exec_lo, s7
	s_cbranch_vccnz .LBB134_560
; %bb.559:
	v_cvt_i32_f64_e32 v2, v[0:1]
	global_store_dword v[4:5], v2, off
.LBB134_560:
	s_mov_b32 s7, 0
.LBB134_561:
	s_andn2_b32 vcc_lo, exec_lo, s7
	s_cbranch_vccnz .LBB134_563
; %bb.562:
	v_cvt_i32_f64_e32 v2, v[0:1]
	global_store_short v[4:5], v2, off
.LBB134_563:
	s_mov_b32 s7, 0
.LBB134_564:
	s_andn2_b32 vcc_lo, exec_lo, s7
	s_cbranch_vccnz .LBB134_569
; %bb.565:
	s_sext_i32_i16 s5, s5
	s_cmp_gt_i32 s5, 0
	s_mov_b32 s5, -1
	s_cbranch_scc0 .LBB134_567
; %bb.566:
	v_cvt_i32_f64_e32 v2, v[0:1]
	s_mov_b32 s5, 0
	global_store_byte v[4:5], v2, off
.LBB134_567:
	s_andn2_b32 vcc_lo, exec_lo, s5
	s_cbranch_vccnz .LBB134_569
; %bb.568:
	v_trunc_f64_e32 v[0:1], v[0:1]
	v_ldexp_f64 v[2:3], v[0:1], 0xffffffe0
	v_floor_f64_e32 v[2:3], v[2:3]
	v_fma_f64 v[0:1], 0xc1f00000, v[2:3], v[0:1]
	v_cvt_u32_f64_e32 v0, v[0:1]
	global_store_byte v[4:5], v0, off
.LBB134_569:
	s_or_b32 exec_lo, exec_lo, s6
	s_waitcnt lgkmcnt(0)
	s_and_b32 s24, s4, exec_lo
                                        ; implicit-def: $vgpr6
                                        ; implicit-def: $vgpr39
.LBB134_570:
	s_or_saveexec_b32 s25, s45
	s_mov_b32 s4, 0
                                        ; implicit-def: $sgpr5
                                        ; implicit-def: $vgpr4_vgpr5
                                        ; implicit-def: $vgpr0_vgpr1
	s_xor_b32 exec_lo, exec_lo, s25
	s_cbranch_execz .LBB134_1059
; %bb.571:
	v_cndmask_b32_e64 v0, 0, 1, s44
	s_andn2_b32 vcc_lo, exec_lo, s44
	s_cbranch_vccnz .LBB134_577
; %bb.572:
	s_cmp_lg_u32 s33, 0
	s_mov_b32 s8, 0
	s_cbranch_scc0 .LBB134_578
; %bb.573:
	s_min_u32 s10, s42, 15
	s_add_i32 s10, s10, 1
	s_cmp_eq_u32 s42, 2
	s_cbranch_scc1 .LBB134_579
; %bb.574:
	v_mov_b32_e32 v2, 0
	v_mov_b32_e32 v50, 0
	;; [unrolled: 1-line block ×3, first 2 shown]
	s_and_b32 s9, s10, 28
	s_add_u32 s4, s28, 0xc4
	s_addc_u32 s5, s29, 0
	s_mov_b32 s11, 0
	s_mov_b64 s[6:7], s[28:29]
.LBB134_575:                            ; =>This Inner Loop Header: Depth=1
	s_clause 0x1
	s_load_dwordx8 s[44:51], s[6:7], 0x4
	s_load_dwordx4 s[12:15], s[6:7], 0x24
	s_load_dwordx8 s[52:59], s[4:5], 0x0
	s_add_u32 s6, s6, 48
	s_addc_u32 s7, s7, 0
	s_add_i32 s11, s11, 4
	s_add_u32 s4, s4, 32
	s_addc_u32 s5, s5, 0
	s_cmp_lg_u32 s9, s11
	s_waitcnt lgkmcnt(0)
	v_mul_hi_u32 v3, s45, v1
	v_add_nc_u32_e32 v3, v1, v3
	v_lshrrev_b32_e32 v3, s46, v3
	v_mul_hi_u32 v4, s48, v3
	v_mul_lo_u32 v7, v3, s44
	v_add_nc_u32_e32 v4, v3, v4
	v_sub_nc_u32_e32 v1, v1, v7
	v_lshrrev_b32_e32 v4, s49, v4
	v_mul_lo_u32 v7, v1, s52
	v_mul_lo_u32 v9, v1, s53
	v_mul_hi_u32 v5, s51, v4
	v_add_nc_u32_e32 v5, v4, v5
	v_lshrrev_b32_e32 v5, s12, v5
	v_mul_hi_u32 v8, s14, v5
	v_mul_lo_u32 v10, v5, s50
	v_add_nc_u32_e32 v1, v5, v8
	v_mul_lo_u32 v8, v4, s47
	v_sub_nc_u32_e32 v4, v4, v10
	v_lshrrev_b32_e32 v1, s15, v1
	v_mul_lo_u32 v10, v4, s56
	v_mul_lo_u32 v4, v4, s57
	v_sub_nc_u32_e32 v3, v3, v8
	v_mul_lo_u32 v11, v1, s13
	v_mul_lo_u32 v8, v3, s54
	v_mul_lo_u32 v3, v3, s55
	v_sub_nc_u32_e32 v5, v5, v11
	v_add3_u32 v7, v7, v50, v8
	v_mul_lo_u32 v11, v5, s58
	v_mul_lo_u32 v5, v5, s59
	v_add3_u32 v2, v9, v2, v3
	v_add3_u32 v50, v10, v7, v11
	;; [unrolled: 1-line block ×3, first 2 shown]
	s_cbranch_scc1 .LBB134_575
; %bb.576:
	s_and_b32 s10, s10, 3
	s_cmp_eq_u32 s10, 0
	s_cbranch_scc0 .LBB134_580
	s_branch .LBB134_582
.LBB134_577:
	s_mov_b32 s8, -1
                                        ; implicit-def: $vgpr50
                                        ; implicit-def: $vgpr2
	s_branch .LBB134_582
.LBB134_578:
	v_mov_b32_e32 v50, 0
	v_mov_b32_e32 v2, 0
	s_branch .LBB134_582
.LBB134_579:
	v_mov_b32_e32 v50, 0
	v_mov_b32_e32 v2, 0
	;; [unrolled: 1-line block ×3, first 2 shown]
	s_mov_b32 s9, 0
	s_and_b32 s10, s10, 3
	s_cmp_eq_u32 s10, 0
	s_cbranch_scc1 .LBB134_582
.LBB134_580:
	s_lshl_b32 s4, s9, 3
	s_mul_i32 s6, s9, 12
	s_add_u32 s4, s28, s4
	s_addc_u32 s5, s29, 0
	s_add_u32 s4, s4, 0xc4
	s_addc_u32 s5, s5, 0
	;; [unrolled: 2-line block ×3, first 2 shown]
	.p2align	6
.LBB134_581:                            ; =>This Inner Loop Header: Depth=1
	s_clause 0x1
	s_load_dwordx2 s[12:13], s[6:7], 0x4
	s_load_dword s9, s[6:7], 0xc
	s_load_dwordx2 s[14:15], s[4:5], 0x0
	s_add_u32 s6, s6, 12
	s_addc_u32 s7, s7, 0
	s_add_u32 s4, s4, 8
	s_addc_u32 s5, s5, 0
	s_add_i32 s10, s10, -1
	s_cmp_lg_u32 s10, 0
	s_waitcnt lgkmcnt(0)
	v_mul_hi_u32 v3, s13, v1
	v_add_nc_u32_e32 v3, v1, v3
	v_lshrrev_b32_e32 v4, s9, v3
	v_mul_lo_u32 v3, v4, s12
	v_sub_nc_u32_e32 v1, v1, v3
	v_mad_u64_u32 v[50:51], null, v1, s14, v[50:51]
	v_mad_u64_u32 v[2:3], null, v1, s15, v[2:3]
	v_mov_b32_e32 v1, v4
	s_cbranch_scc1 .LBB134_581
.LBB134_582:
	s_andn2_b32 vcc_lo, exec_lo, s8
	s_cbranch_vccnz .LBB134_585
; %bb.583:
	s_clause 0x1
	s_load_dwordx4 s[4:7], s[28:29], 0x4
	s_load_dwordx2 s[8:9], s[28:29], 0xc4
	s_cmp_lt_u32 s33, 2
	s_waitcnt lgkmcnt(0)
	v_mul_hi_u32 v1, s5, v39
	v_add_nc_u32_e32 v1, v39, v1
	v_lshrrev_b32_e32 v1, s6, v1
	v_mul_lo_u32 v2, v1, s4
	v_sub_nc_u32_e32 v2, v39, v2
	v_mul_lo_u32 v50, v2, s8
	v_mul_lo_u32 v2, v2, s9
	s_cbranch_scc1 .LBB134_585
; %bb.584:
	s_clause 0x1
	s_load_dwordx4 s[4:7], s[28:29], 0x10
	s_load_dwordx2 s[8:9], s[28:29], 0xcc
	s_waitcnt lgkmcnt(0)
	v_mul_hi_u32 v3, s5, v1
	v_add_nc_u32_e32 v3, v1, v3
	v_lshrrev_b32_e32 v3, s6, v3
	v_mul_lo_u32 v3, v3, s4
	v_sub_nc_u32_e32 v1, v1, v3
	v_mad_u64_u32 v[50:51], null, v1, s8, v[50:51]
	v_mad_u64_u32 v[2:3], null, v1, s9, v[2:3]
.LBB134_585:
	v_cmp_ne_u32_e32 vcc_lo, 1, v0
	v_add_nc_u32_e32 v1, 0x80, v39
	s_cbranch_vccnz .LBB134_591
; %bb.586:
	s_cmp_lg_u32 s33, 0
	s_mov_b32 s8, 0
	s_cbranch_scc0 .LBB134_592
; %bb.587:
	s_min_u32 s10, s42, 15
	s_add_i32 s10, s10, 1
	s_cmp_eq_u32 s42, 2
	s_cbranch_scc1 .LBB134_593
; %bb.588:
	v_mov_b32_e32 v36, 0
	v_mov_b32_e32 v48, 0
	;; [unrolled: 1-line block ×3, first 2 shown]
	s_and_b32 s9, s10, 28
	s_add_u32 s4, s28, 0xc4
	s_addc_u32 s5, s29, 0
	s_mov_b32 s11, 0
	s_mov_b64 s[6:7], s[28:29]
.LBB134_589:                            ; =>This Inner Loop Header: Depth=1
	s_clause 0x1
	s_load_dwordx8 s[44:51], s[6:7], 0x4
	s_load_dwordx4 s[12:15], s[6:7], 0x24
	s_load_dwordx8 s[52:59], s[4:5], 0x0
	s_add_u32 s6, s6, 48
	s_addc_u32 s7, s7, 0
	s_add_i32 s11, s11, 4
	s_add_u32 s4, s4, 32
	s_addc_u32 s5, s5, 0
	s_cmp_lg_u32 s9, s11
	s_waitcnt lgkmcnt(0)
	v_mul_hi_u32 v4, s45, v3
	v_add_nc_u32_e32 v4, v3, v4
	v_lshrrev_b32_e32 v4, s46, v4
	v_mul_hi_u32 v5, s48, v4
	v_mul_lo_u32 v8, v4, s44
	v_add_nc_u32_e32 v5, v4, v5
	v_sub_nc_u32_e32 v3, v3, v8
	v_lshrrev_b32_e32 v5, s49, v5
	v_mul_lo_u32 v8, v3, s52
	v_mul_lo_u32 v10, v3, s53
	v_mul_hi_u32 v7, s51, v5
	v_add_nc_u32_e32 v7, v5, v7
	v_lshrrev_b32_e32 v7, s12, v7
	v_mul_hi_u32 v9, s14, v7
	v_mul_lo_u32 v11, v7, s50
	v_add_nc_u32_e32 v3, v7, v9
	v_mul_lo_u32 v9, v5, s47
	v_sub_nc_u32_e32 v5, v5, v11
	v_lshrrev_b32_e32 v3, s15, v3
	v_mul_lo_u32 v11, v5, s56
	v_mul_lo_u32 v5, v5, s57
	v_sub_nc_u32_e32 v4, v4, v9
	v_mul_lo_u32 v12, v3, s13
	v_mul_lo_u32 v9, v4, s54
	;; [unrolled: 1-line block ×3, first 2 shown]
	v_sub_nc_u32_e32 v7, v7, v12
	v_add3_u32 v8, v8, v48, v9
	v_mul_lo_u32 v12, v7, s58
	v_mul_lo_u32 v7, v7, s59
	v_add3_u32 v4, v10, v36, v4
	v_add3_u32 v48, v11, v8, v12
	;; [unrolled: 1-line block ×3, first 2 shown]
	s_cbranch_scc1 .LBB134_589
; %bb.590:
	s_and_b32 s10, s10, 3
	s_cmp_eq_u32 s10, 0
	s_cbranch_scc0 .LBB134_594
	s_branch .LBB134_596
.LBB134_591:
	s_mov_b32 s8, -1
                                        ; implicit-def: $vgpr48
                                        ; implicit-def: $vgpr36
	s_branch .LBB134_596
.LBB134_592:
	v_mov_b32_e32 v48, 0
	v_mov_b32_e32 v36, 0
	s_branch .LBB134_596
.LBB134_593:
	v_mov_b32_e32 v48, 0
	v_mov_b32_e32 v36, 0
	v_mov_b32_e32 v3, v1
	s_mov_b32 s9, 0
	s_and_b32 s10, s10, 3
	s_cmp_eq_u32 s10, 0
	s_cbranch_scc1 .LBB134_596
.LBB134_594:
	s_lshl_b32 s4, s9, 3
	s_mul_i32 s6, s9, 12
	s_add_u32 s4, s28, s4
	s_addc_u32 s5, s29, 0
	s_add_u32 s4, s4, 0xc4
	s_addc_u32 s5, s5, 0
	;; [unrolled: 2-line block ×3, first 2 shown]
	.p2align	6
.LBB134_595:                            ; =>This Inner Loop Header: Depth=1
	s_clause 0x1
	s_load_dwordx2 s[12:13], s[6:7], 0x4
	s_load_dword s9, s[6:7], 0xc
	s_load_dwordx2 s[14:15], s[4:5], 0x0
	s_add_u32 s6, s6, 12
	s_addc_u32 s7, s7, 0
	s_add_u32 s4, s4, 8
	s_addc_u32 s5, s5, 0
	s_add_i32 s10, s10, -1
	s_cmp_lg_u32 s10, 0
	s_waitcnt lgkmcnt(0)
	v_mul_hi_u32 v4, s13, v3
	v_add_nc_u32_e32 v4, v3, v4
	v_lshrrev_b32_e32 v4, s9, v4
	v_mul_lo_u32 v5, v4, s12
	v_sub_nc_u32_e32 v3, v3, v5
	v_mad_u64_u32 v[48:49], null, v3, s14, v[48:49]
	v_mad_u64_u32 v[36:37], null, v3, s15, v[36:37]
	v_mov_b32_e32 v3, v4
	s_cbranch_scc1 .LBB134_595
.LBB134_596:
	s_andn2_b32 vcc_lo, exec_lo, s8
	s_cbranch_vccnz .LBB134_599
; %bb.597:
	s_clause 0x1
	s_load_dwordx4 s[4:7], s[28:29], 0x4
	s_load_dwordx2 s[8:9], s[28:29], 0xc4
	s_cmp_lt_u32 s33, 2
	s_waitcnt lgkmcnt(0)
	v_mul_hi_u32 v3, s5, v1
	v_add_nc_u32_e32 v3, v1, v3
	v_lshrrev_b32_e32 v3, s6, v3
	v_mul_lo_u32 v4, v3, s4
	v_sub_nc_u32_e32 v1, v1, v4
	v_mul_lo_u32 v48, v1, s8
	v_mul_lo_u32 v36, v1, s9
	s_cbranch_scc1 .LBB134_599
; %bb.598:
	s_clause 0x1
	s_load_dwordx4 s[4:7], s[28:29], 0x10
	s_load_dwordx2 s[8:9], s[28:29], 0xcc
	s_waitcnt lgkmcnt(0)
	v_mul_hi_u32 v1, s5, v3
	v_add_nc_u32_e32 v1, v3, v1
	v_lshrrev_b32_e32 v1, s6, v1
	v_mul_lo_u32 v1, v1, s4
	v_sub_nc_u32_e32 v1, v3, v1
	v_mad_u64_u32 v[48:49], null, v1, s8, v[48:49]
	v_mad_u64_u32 v[36:37], null, v1, s9, v[36:37]
.LBB134_599:
	v_cmp_ne_u32_e32 vcc_lo, 1, v0
	v_add_nc_u32_e32 v1, 0x100, v39
	s_cbranch_vccnz .LBB134_605
; %bb.600:
	s_cmp_lg_u32 s33, 0
	s_mov_b32 s8, 0
	s_cbranch_scc0 .LBB134_606
; %bb.601:
	s_min_u32 s10, s42, 15
	s_add_i32 s10, s10, 1
	s_cmp_eq_u32 s42, 2
	s_cbranch_scc1 .LBB134_607
; %bb.602:
	v_mov_b32_e32 v37, 0
	v_mov_b32_e32 v46, 0
	;; [unrolled: 1-line block ×3, first 2 shown]
	s_and_b32 s9, s10, 28
	s_add_u32 s4, s28, 0xc4
	s_addc_u32 s5, s29, 0
	s_mov_b32 s11, 0
	s_mov_b64 s[6:7], s[28:29]
.LBB134_603:                            ; =>This Inner Loop Header: Depth=1
	s_clause 0x1
	s_load_dwordx8 s[44:51], s[6:7], 0x4
	s_load_dwordx4 s[12:15], s[6:7], 0x24
	s_load_dwordx8 s[52:59], s[4:5], 0x0
	s_add_u32 s6, s6, 48
	s_addc_u32 s7, s7, 0
	s_add_i32 s11, s11, 4
	s_add_u32 s4, s4, 32
	s_addc_u32 s5, s5, 0
	s_cmp_lg_u32 s9, s11
	s_waitcnt lgkmcnt(0)
	v_mul_hi_u32 v4, s45, v3
	v_add_nc_u32_e32 v4, v3, v4
	v_lshrrev_b32_e32 v4, s46, v4
	v_mul_hi_u32 v5, s48, v4
	v_mul_lo_u32 v8, v4, s44
	v_add_nc_u32_e32 v5, v4, v5
	v_sub_nc_u32_e32 v3, v3, v8
	v_lshrrev_b32_e32 v5, s49, v5
	v_mul_lo_u32 v8, v3, s52
	v_mul_lo_u32 v10, v3, s53
	v_mul_hi_u32 v7, s51, v5
	v_add_nc_u32_e32 v7, v5, v7
	v_lshrrev_b32_e32 v7, s12, v7
	v_mul_hi_u32 v9, s14, v7
	v_mul_lo_u32 v11, v7, s50
	v_add_nc_u32_e32 v3, v7, v9
	v_mul_lo_u32 v9, v5, s47
	v_sub_nc_u32_e32 v5, v5, v11
	v_lshrrev_b32_e32 v3, s15, v3
	v_mul_lo_u32 v11, v5, s56
	v_mul_lo_u32 v5, v5, s57
	v_sub_nc_u32_e32 v4, v4, v9
	v_mul_lo_u32 v12, v3, s13
	v_mul_lo_u32 v9, v4, s54
	;; [unrolled: 1-line block ×3, first 2 shown]
	v_sub_nc_u32_e32 v7, v7, v12
	v_add3_u32 v8, v8, v46, v9
	v_mul_lo_u32 v12, v7, s58
	v_mul_lo_u32 v7, v7, s59
	v_add3_u32 v4, v10, v37, v4
	v_add3_u32 v46, v11, v8, v12
	;; [unrolled: 1-line block ×3, first 2 shown]
	s_cbranch_scc1 .LBB134_603
; %bb.604:
	s_and_b32 s10, s10, 3
	s_cmp_eq_u32 s10, 0
	s_cbranch_scc0 .LBB134_608
	s_branch .LBB134_610
.LBB134_605:
	s_mov_b32 s8, -1
                                        ; implicit-def: $vgpr46
                                        ; implicit-def: $vgpr37
	s_branch .LBB134_610
.LBB134_606:
	v_mov_b32_e32 v46, 0
	v_mov_b32_e32 v37, 0
	s_branch .LBB134_610
.LBB134_607:
	v_mov_b32_e32 v46, 0
	v_mov_b32_e32 v37, 0
	v_mov_b32_e32 v3, v1
	s_mov_b32 s9, 0
	s_and_b32 s10, s10, 3
	s_cmp_eq_u32 s10, 0
	s_cbranch_scc1 .LBB134_610
.LBB134_608:
	s_lshl_b32 s4, s9, 3
	s_mul_i32 s6, s9, 12
	s_add_u32 s4, s28, s4
	s_addc_u32 s5, s29, 0
	s_add_u32 s4, s4, 0xc4
	s_addc_u32 s5, s5, 0
	s_add_u32 s6, s28, s6
	s_addc_u32 s7, s29, 0
	.p2align	6
.LBB134_609:                            ; =>This Inner Loop Header: Depth=1
	s_clause 0x1
	s_load_dwordx2 s[12:13], s[6:7], 0x4
	s_load_dword s9, s[6:7], 0xc
	s_load_dwordx2 s[14:15], s[4:5], 0x0
	s_add_u32 s6, s6, 12
	s_addc_u32 s7, s7, 0
	s_add_u32 s4, s4, 8
	s_addc_u32 s5, s5, 0
	s_add_i32 s10, s10, -1
	s_cmp_lg_u32 s10, 0
	s_waitcnt lgkmcnt(0)
	v_mul_hi_u32 v4, s13, v3
	v_add_nc_u32_e32 v4, v3, v4
	v_lshrrev_b32_e32 v4, s9, v4
	v_mul_lo_u32 v5, v4, s12
	v_sub_nc_u32_e32 v3, v3, v5
	v_mad_u64_u32 v[46:47], null, v3, s14, v[46:47]
	v_mad_u64_u32 v[37:38], null, v3, s15, v[37:38]
	v_mov_b32_e32 v3, v4
	s_cbranch_scc1 .LBB134_609
.LBB134_610:
	s_andn2_b32 vcc_lo, exec_lo, s8
	s_cbranch_vccnz .LBB134_613
; %bb.611:
	s_clause 0x1
	s_load_dwordx4 s[4:7], s[28:29], 0x4
	s_load_dwordx2 s[8:9], s[28:29], 0xc4
	s_cmp_lt_u32 s33, 2
	s_waitcnt lgkmcnt(0)
	v_mul_hi_u32 v3, s5, v1
	v_add_nc_u32_e32 v3, v1, v3
	v_lshrrev_b32_e32 v3, s6, v3
	v_mul_lo_u32 v4, v3, s4
	v_sub_nc_u32_e32 v1, v1, v4
	v_mul_lo_u32 v46, v1, s8
	v_mul_lo_u32 v37, v1, s9
	s_cbranch_scc1 .LBB134_613
; %bb.612:
	s_clause 0x1
	s_load_dwordx4 s[4:7], s[28:29], 0x10
	s_load_dwordx2 s[8:9], s[28:29], 0xcc
	s_waitcnt lgkmcnt(0)
	v_mul_hi_u32 v1, s5, v3
	v_add_nc_u32_e32 v1, v3, v1
	v_lshrrev_b32_e32 v1, s6, v1
	v_mul_lo_u32 v1, v1, s4
	v_sub_nc_u32_e32 v1, v3, v1
	v_mad_u64_u32 v[46:47], null, v1, s8, v[46:47]
	v_mad_u64_u32 v[37:38], null, v1, s9, v[37:38]
.LBB134_613:
	v_cmp_ne_u32_e32 vcc_lo, 1, v0
	s_cbranch_vccnz .LBB134_619
; %bb.614:
	s_cmp_lg_u32 s33, 0
	s_mov_b32 s8, 0
	s_cbranch_scc0 .LBB134_620
; %bb.615:
	s_min_u32 s10, s42, 15
	s_add_i32 s10, s10, 1
	s_cmp_eq_u32 s42, 2
	s_cbranch_scc1 .LBB134_621
; %bb.616:
	v_mov_b32_e32 v42, 0
	v_mov_b32_e32 v44, 0
	;; [unrolled: 1-line block ×3, first 2 shown]
	s_and_b32 s9, s10, 28
	s_add_u32 s4, s28, 0xc4
	s_addc_u32 s5, s29, 0
	s_mov_b32 s11, 0
	s_mov_b64 s[6:7], s[28:29]
.LBB134_617:                            ; =>This Inner Loop Header: Depth=1
	s_clause 0x1
	s_load_dwordx8 s[36:43], s[6:7], 0x4
	s_load_dwordx4 s[12:15], s[6:7], 0x24
	s_load_dwordx8 s[44:51], s[4:5], 0x0
	s_add_u32 s6, s6, 48
	s_addc_u32 s7, s7, 0
	s_add_i32 s11, s11, 4
	s_add_u32 s4, s4, 32
	s_addc_u32 s5, s5, 0
	s_cmp_lg_u32 s9, s11
	s_waitcnt lgkmcnt(0)
	v_mul_hi_u32 v1, s37, v0
	v_add_nc_u32_e32 v1, v0, v1
	v_lshrrev_b32_e32 v1, s38, v1
	v_mul_hi_u32 v3, s40, v1
	v_mul_lo_u32 v5, v1, s36
	v_add_nc_u32_e32 v3, v1, v3
	v_sub_nc_u32_e32 v0, v0, v5
	v_lshrrev_b32_e32 v3, s41, v3
	v_mul_lo_u32 v5, v0, s44
	v_mul_lo_u32 v8, v0, s45
	v_mul_hi_u32 v4, s43, v3
	v_add_nc_u32_e32 v4, v3, v4
	v_lshrrev_b32_e32 v4, s12, v4
	v_mul_hi_u32 v7, s14, v4
	v_mul_lo_u32 v9, v4, s42
	v_add_nc_u32_e32 v0, v4, v7
	v_mul_lo_u32 v7, v3, s39
	v_sub_nc_u32_e32 v3, v3, v9
	v_lshrrev_b32_e32 v0, s15, v0
	v_mul_lo_u32 v9, v3, s48
	v_mul_lo_u32 v3, v3, s49
	v_sub_nc_u32_e32 v1, v1, v7
	v_mul_lo_u32 v10, v0, s13
	v_mul_lo_u32 v7, v1, s46
	;; [unrolled: 1-line block ×3, first 2 shown]
	v_sub_nc_u32_e32 v4, v4, v10
	v_add3_u32 v5, v5, v44, v7
	v_mul_lo_u32 v10, v4, s50
	v_mul_lo_u32 v4, v4, s51
	v_add3_u32 v1, v8, v42, v1
	v_add3_u32 v44, v9, v5, v10
	;; [unrolled: 1-line block ×3, first 2 shown]
	s_cbranch_scc1 .LBB134_617
; %bb.618:
	s_and_b32 s10, s10, 3
	s_cmp_eq_u32 s10, 0
	s_cbranch_scc0 .LBB134_622
	s_branch .LBB134_624
.LBB134_619:
	s_mov_b32 s8, -1
                                        ; implicit-def: $vgpr44
                                        ; implicit-def: $vgpr42
	s_branch .LBB134_624
.LBB134_620:
	v_mov_b32_e32 v44, 0
	v_mov_b32_e32 v42, 0
	s_branch .LBB134_624
.LBB134_621:
	v_mov_b32_e32 v44, 0
	v_mov_b32_e32 v42, 0
	;; [unrolled: 1-line block ×3, first 2 shown]
	s_mov_b32 s9, 0
	s_and_b32 s10, s10, 3
	s_cmp_eq_u32 s10, 0
	s_cbranch_scc1 .LBB134_624
.LBB134_622:
	s_lshl_b32 s4, s9, 3
	s_mul_i32 s6, s9, 12
	s_add_u32 s4, s28, s4
	s_addc_u32 s5, s29, 0
	s_add_u32 s4, s4, 0xc4
	s_addc_u32 s5, s5, 0
	;; [unrolled: 2-line block ×3, first 2 shown]
	.p2align	6
.LBB134_623:                            ; =>This Inner Loop Header: Depth=1
	s_clause 0x1
	s_load_dwordx2 s[12:13], s[6:7], 0x4
	s_load_dword s9, s[6:7], 0xc
	s_load_dwordx2 s[14:15], s[4:5], 0x0
	s_add_u32 s6, s6, 12
	s_addc_u32 s7, s7, 0
	s_add_u32 s4, s4, 8
	s_addc_u32 s5, s5, 0
	s_add_i32 s10, s10, -1
	s_cmp_lg_u32 s10, 0
	s_waitcnt lgkmcnt(0)
	v_mul_hi_u32 v1, s13, v0
	v_add_nc_u32_e32 v1, v0, v1
	v_lshrrev_b32_e32 v1, s9, v1
	v_mul_lo_u32 v3, v1, s12
	v_sub_nc_u32_e32 v0, v0, v3
	v_mad_u64_u32 v[44:45], null, v0, s14, v[44:45]
	v_mad_u64_u32 v[42:43], null, v0, s15, v[42:43]
	v_mov_b32_e32 v0, v1
	s_cbranch_scc1 .LBB134_623
.LBB134_624:
	s_andn2_b32 vcc_lo, exec_lo, s8
	s_cbranch_vccnz .LBB134_627
; %bb.625:
	s_clause 0x1
	s_load_dwordx4 s[4:7], s[28:29], 0x4
	s_load_dwordx2 s[8:9], s[28:29], 0xc4
	s_cmp_lt_u32 s33, 2
	s_waitcnt lgkmcnt(0)
	v_mul_hi_u32 v0, s5, v6
	v_add_nc_u32_e32 v0, v6, v0
	v_lshrrev_b32_e32 v0, s6, v0
	v_mul_lo_u32 v1, v0, s4
	v_sub_nc_u32_e32 v1, v6, v1
	v_mul_lo_u32 v44, v1, s8
	v_mul_lo_u32 v42, v1, s9
	s_cbranch_scc1 .LBB134_627
; %bb.626:
	s_clause 0x1
	s_load_dwordx4 s[4:7], s[28:29], 0x10
	s_load_dwordx2 s[8:9], s[28:29], 0xcc
	s_waitcnt lgkmcnt(0)
	v_mul_hi_u32 v1, s5, v0
	v_add_nc_u32_e32 v1, v0, v1
	v_lshrrev_b32_e32 v1, s6, v1
	v_mul_lo_u32 v1, v1, s4
	v_sub_nc_u32_e32 v0, v0, v1
	v_mad_u64_u32 v[44:45], null, v0, s8, v[44:45]
	v_mad_u64_u32 v[42:43], null, v0, s9, v[42:43]
.LBB134_627:
	s_clause 0x1
	s_load_dword s18, s[18:19], 0x160
	s_load_dwordx4 s[20:23], s[28:29], 0x148
	s_getpc_b64 s[26:27]
	s_add_u32 s26, s26, _ZN2at6native6invokeIZZZNS0_18lgamma_kernel_cudaERNS_18TensorIteratorBaseEENKUlvE_clEvENKUlvE_clEvEUldE_j15function_traitsIS6_EEENT1_11result_typeERKT_PrKPcPKT0_PKN3c1010ScalarTypeEi@rel32@lo+4
	s_addc_u32 s27, s27, _ZN2at6native6invokeIZZZNS0_18lgamma_kernel_cudaERNS_18TensorIteratorBaseEENKUlvE_clEvENKUlvE_clEvEUldE_j15function_traitsIS6_EEENT1_11result_typeERKT_PrKPcPKT0_PKN3c1010ScalarTypeEi@rel32@hi+12
	s_waitcnt lgkmcnt(0)
	s_lshr_b32 s19, s18, 16
	v_mov_b32_e32 v0, s22
	v_mov_b32_e32 v1, s23
	v_mov_b32_e32 v3, s19
	s_swappc_b64 s[30:31], s[26:27]
	v_mov_b32_e32 v40, v0
	v_mov_b32_e32 v41, v1
	v_mov_b32_e32 v0, s22
	v_mov_b32_e32 v1, s23
	v_mov_b32_e32 v2, v36
	v_mov_b32_e32 v3, s19
	s_swappc_b64 s[30:31], s[26:27]
	v_mov_b32_e32 v38, v0
	v_mov_b32_e32 v39, v1
	v_mov_b32_e32 v0, s22
	;; [unrolled: 7-line block ×3, first 2 shown]
	v_mov_b32_e32 v1, s23
	v_mov_b32_e32 v2, v42
	;; [unrolled: 1-line block ×3, first 2 shown]
	s_swappc_b64 s[30:31], s[26:27]
	v_add_co_u32 v2, s4, s20, v50
	v_add_co_ci_u32_e64 v3, null, s21, 0, s4
	s_bfe_u32 s5, s18, 0x80008
	s_cmp_lt_i32 s5, 11
	s_cbranch_scc1 .LBB134_706
; %bb.628:
	s_and_b32 s6, 0xffff, s5
	s_mov_b32 s9, -1
	s_mov_b32 s7, 0
	s_cmp_gt_i32 s6, 25
	s_mov_b32 s8, 0
	s_mov_b32 s4, 0
	s_cbranch_scc0 .LBB134_661
; %bb.629:
	s_cmp_gt_i32 s6, 28
	s_cbranch_scc0 .LBB134_644
; %bb.630:
	s_cmp_gt_i32 s6, 43
	;; [unrolled: 3-line block ×3, first 2 shown]
	s_cbranch_scc0 .LBB134_634
; %bb.632:
	s_mov_b32 s4, -1
	s_mov_b32 s9, 0
	s_cmp_eq_u32 s6, 46
	s_cbranch_scc0 .LBB134_634
; %bb.633:
	v_cvt_f32_f64_e32 v4, v[40:41]
	s_mov_b32 s4, 0
	s_mov_b32 s8, -1
	v_bfe_u32 v5, v4, 16, 1
	v_cmp_o_f32_e32 vcc_lo, v4, v4
	v_add3_u32 v4, v4, v5, 0x7fff
	v_mov_b32_e32 v5, 0x7fc0
	v_cndmask_b32_sdwa v4, v5, v4, vcc_lo dst_sel:DWORD dst_unused:UNUSED_PAD src0_sel:DWORD src1_sel:WORD_1
	global_store_dword v[2:3], v4, off
.LBB134_634:
	s_and_b32 vcc_lo, exec_lo, s9
	s_cbranch_vccz .LBB134_639
; %bb.635:
	s_cmp_eq_u32 s6, 44
	s_mov_b32 s4, -1
	s_cbranch_scc0 .LBB134_639
; %bb.636:
	v_cvt_f32_f64_e32 v4, v[40:41]
	v_mov_b32_e32 v5, 0xff
	s_mov_b32 s8, exec_lo
	v_bfe_u32 v6, v4, 23, 8
	v_cmpx_ne_u32_e32 0xff, v6
	s_cbranch_execz .LBB134_638
; %bb.637:
	v_and_b32_e32 v5, 0x400000, v4
	v_and_or_b32 v6, 0x3fffff, v4, v6
	v_lshrrev_b32_e32 v4, 23, v4
	v_cmp_ne_u32_e32 vcc_lo, 0, v5
	v_cmp_ne_u32_e64 s4, 0, v6
	s_and_b32 s4, vcc_lo, s4
	v_cndmask_b32_e64 v5, 0, 1, s4
	v_add_nc_u32_e32 v5, v4, v5
.LBB134_638:
	s_or_b32 exec_lo, exec_lo, s8
	s_mov_b32 s4, 0
	s_mov_b32 s8, -1
	global_store_byte v[2:3], v5, off
.LBB134_639:
	s_mov_b32 s9, 0
.LBB134_640:
	s_and_b32 vcc_lo, exec_lo, s9
	s_cbranch_vccz .LBB134_643
; %bb.641:
	s_cmp_eq_u32 s6, 29
	s_mov_b32 s4, -1
	s_cbranch_scc0 .LBB134_643
; %bb.642:
	v_trunc_f64_e32 v[4:5], v[40:41]
	s_mov_b32 s4, 0
	s_mov_b32 s8, -1
	v_ldexp_f64 v[6:7], v[4:5], 0xffffffe0
	v_floor_f64_e32 v[6:7], v[6:7]
	v_fma_f64 v[4:5], 0xc1f00000, v[6:7], v[4:5]
	v_cvt_u32_f64_e32 v6, v[6:7]
	v_cvt_u32_f64_e32 v5, v[4:5]
	global_store_dwordx2 v[2:3], v[5:6], off
.LBB134_643:
	s_mov_b32 s9, 0
.LBB134_644:
	s_and_b32 vcc_lo, exec_lo, s9
	s_cbranch_vccz .LBB134_660
; %bb.645:
	s_cmp_lt_i32 s6, 27
	s_mov_b32 s8, -1
	s_cbranch_scc1 .LBB134_651
; %bb.646:
	s_cmp_gt_i32 s6, 27
	s_cbranch_scc0 .LBB134_648
; %bb.647:
	v_cvt_u32_f64_e32 v4, v[40:41]
	s_mov_b32 s8, 0
	global_store_dword v[2:3], v4, off
.LBB134_648:
	s_andn2_b32 vcc_lo, exec_lo, s8
	s_cbranch_vccnz .LBB134_650
; %bb.649:
	v_cvt_u32_f64_e32 v4, v[40:41]
	global_store_short v[2:3], v4, off
.LBB134_650:
	s_mov_b32 s8, 0
.LBB134_651:
	s_andn2_b32 vcc_lo, exec_lo, s8
	s_cbranch_vccnz .LBB134_659
; %bb.652:
	v_cvt_f32_f64_e32 v4, v[40:41]
	v_mov_b32_e32 v6, 0x80
	s_mov_b32 s8, exec_lo
	v_and_b32_e32 v5, 0x7fffffff, v4
	v_cmpx_gt_u32_e32 0x43800000, v5
	s_cbranch_execz .LBB134_658
; %bb.653:
	v_cmp_lt_u32_e32 vcc_lo, 0x3bffffff, v5
	s_mov_b32 s9, 0
                                        ; implicit-def: $vgpr5
	s_and_saveexec_b32 s10, vcc_lo
	s_xor_b32 s10, exec_lo, s10
	s_cbranch_execz .LBB134_1103
; %bb.654:
	v_bfe_u32 v5, v4, 20, 1
	s_mov_b32 s9, exec_lo
	v_add3_u32 v5, v4, v5, 0x487ffff
	v_lshrrev_b32_e32 v5, 20, v5
	s_andn2_saveexec_b32 s10, s10
	s_cbranch_execnz .LBB134_1104
.LBB134_655:
	s_or_b32 exec_lo, exec_lo, s10
	v_mov_b32_e32 v6, 0
	s_and_saveexec_b32 s10, s9
.LBB134_656:
	v_lshrrev_b32_e32 v4, 24, v4
	v_and_or_b32 v6, 0x80, v4, v5
.LBB134_657:
	s_or_b32 exec_lo, exec_lo, s10
.LBB134_658:
	s_or_b32 exec_lo, exec_lo, s8
	global_store_byte v[2:3], v6, off
.LBB134_659:
	s_mov_b32 s8, -1
.LBB134_660:
	s_mov_b32 s9, 0
.LBB134_661:
	s_and_b32 vcc_lo, exec_lo, s9
	s_cbranch_vccz .LBB134_701
; %bb.662:
	s_cmp_gt_i32 s6, 22
	s_mov_b32 s7, -1
	s_cbranch_scc0 .LBB134_694
; %bb.663:
	s_cmp_lt_i32 s6, 24
	s_cbranch_scc1 .LBB134_683
; %bb.664:
	s_cmp_gt_i32 s6, 24
	s_cbranch_scc0 .LBB134_672
; %bb.665:
	v_cvt_f32_f64_e32 v4, v[40:41]
	v_mov_b32_e32 v6, 0x80
	s_mov_b32 s7, exec_lo
	v_and_b32_e32 v5, 0x7fffffff, v4
	v_cmpx_gt_u32_e32 0x47800000, v5
	s_cbranch_execz .LBB134_671
; %bb.666:
	v_cmp_lt_u32_e32 vcc_lo, 0x37ffffff, v5
	s_mov_b32 s8, 0
                                        ; implicit-def: $vgpr5
	s_and_saveexec_b32 s9, vcc_lo
	s_xor_b32 s9, exec_lo, s9
	s_cbranch_execz .LBB134_1106
; %bb.667:
	v_bfe_u32 v5, v4, 21, 1
	s_mov_b32 s8, exec_lo
	v_add3_u32 v5, v4, v5, 0x88fffff
	v_lshrrev_b32_e32 v5, 21, v5
	s_andn2_saveexec_b32 s9, s9
	s_cbranch_execnz .LBB134_1107
.LBB134_668:
	s_or_b32 exec_lo, exec_lo, s9
	v_mov_b32_e32 v6, 0
	s_and_saveexec_b32 s9, s8
.LBB134_669:
	v_lshrrev_b32_e32 v4, 24, v4
	v_and_or_b32 v6, 0x80, v4, v5
.LBB134_670:
	s_or_b32 exec_lo, exec_lo, s9
.LBB134_671:
	s_or_b32 exec_lo, exec_lo, s7
	s_mov_b32 s7, 0
	global_store_byte v[2:3], v6, off
.LBB134_672:
	s_and_b32 vcc_lo, exec_lo, s7
	s_cbranch_vccz .LBB134_682
; %bb.673:
	v_cvt_f32_f64_e32 v4, v[40:41]
	s_mov_b32 s7, exec_lo
                                        ; implicit-def: $vgpr5
	v_and_b32_e32 v6, 0x7fffffff, v4
	v_cmpx_gt_u32_e32 0x43f00000, v6
	s_xor_b32 s7, exec_lo, s7
	s_cbranch_execz .LBB134_679
; %bb.674:
	s_mov_b32 s8, exec_lo
                                        ; implicit-def: $vgpr5
	v_cmpx_lt_u32_e32 0x3c7fffff, v6
	s_xor_b32 s8, exec_lo, s8
; %bb.675:
	v_bfe_u32 v5, v4, 20, 1
	v_add3_u32 v5, v4, v5, 0x407ffff
	v_and_b32_e32 v6, 0xff00000, v5
	v_lshrrev_b32_e32 v5, 20, v5
	v_cmp_ne_u32_e32 vcc_lo, 0x7f00000, v6
	v_cndmask_b32_e32 v5, 0x7e, v5, vcc_lo
; %bb.676:
	s_andn2_saveexec_b32 s8, s8
; %bb.677:
	v_add_f32_e64 v5, 0x46800000, |v4|
; %bb.678:
	s_or_b32 exec_lo, exec_lo, s8
                                        ; implicit-def: $vgpr6
.LBB134_679:
	s_andn2_saveexec_b32 s7, s7
; %bb.680:
	v_mov_b32_e32 v5, 0x7f
	v_cmp_lt_u32_e32 vcc_lo, 0x7f800000, v6
	v_cndmask_b32_e32 v5, 0x7e, v5, vcc_lo
; %bb.681:
	s_or_b32 exec_lo, exec_lo, s7
	v_lshrrev_b32_e32 v4, 24, v4
	v_and_or_b32 v4, 0x80, v4, v5
	global_store_byte v[2:3], v4, off
.LBB134_682:
	s_mov_b32 s7, 0
.LBB134_683:
	s_andn2_b32 vcc_lo, exec_lo, s7
	s_cbranch_vccnz .LBB134_693
; %bb.684:
	v_cvt_f32_f64_e32 v4, v[40:41]
	s_mov_b32 s7, exec_lo
                                        ; implicit-def: $vgpr5
	v_and_b32_e32 v6, 0x7fffffff, v4
	v_cmpx_gt_u32_e32 0x47800000, v6
	s_xor_b32 s7, exec_lo, s7
	s_cbranch_execz .LBB134_690
; %bb.685:
	s_mov_b32 s8, exec_lo
                                        ; implicit-def: $vgpr5
	v_cmpx_lt_u32_e32 0x387fffff, v6
	s_xor_b32 s8, exec_lo, s8
; %bb.686:
	v_bfe_u32 v5, v4, 21, 1
	v_add3_u32 v5, v4, v5, 0x80fffff
	v_lshrrev_b32_e32 v5, 21, v5
; %bb.687:
	s_andn2_saveexec_b32 s8, s8
; %bb.688:
	v_add_f32_e64 v5, 0x43000000, |v4|
; %bb.689:
	s_or_b32 exec_lo, exec_lo, s8
                                        ; implicit-def: $vgpr6
.LBB134_690:
	s_andn2_saveexec_b32 s7, s7
; %bb.691:
	v_mov_b32_e32 v5, 0x7f
	v_cmp_lt_u32_e32 vcc_lo, 0x7f800000, v6
	v_cndmask_b32_e32 v5, 0x7c, v5, vcc_lo
; %bb.692:
	s_or_b32 exec_lo, exec_lo, s7
	v_lshrrev_b32_e32 v4, 24, v4
	v_and_or_b32 v4, 0x80, v4, v5
	global_store_byte v[2:3], v4, off
.LBB134_693:
	s_mov_b32 s7, 0
	s_mov_b32 s8, -1
.LBB134_694:
	s_andn2_b32 vcc_lo, exec_lo, s7
	s_mov_b32 s7, 0
	s_cbranch_vccnz .LBB134_701
; %bb.695:
	s_cmp_gt_i32 s6, 14
	s_mov_b32 s7, -1
	s_cbranch_scc0 .LBB134_699
; %bb.696:
	s_cmp_eq_u32 s6, 15
	s_mov_b32 s4, -1
	s_cbranch_scc0 .LBB134_698
; %bb.697:
	v_cvt_f32_f64_e32 v4, v[40:41]
	s_mov_b32 s4, 0
	s_mov_b32 s8, -1
	v_bfe_u32 v5, v4, 16, 1
	v_cmp_o_f32_e32 vcc_lo, v4, v4
	v_add3_u32 v4, v4, v5, 0x7fff
	v_mov_b32_e32 v5, 0x7fc0
	v_cndmask_b32_sdwa v4, v5, v4, vcc_lo dst_sel:DWORD dst_unused:UNUSED_PAD src0_sel:DWORD src1_sel:WORD_1
	global_store_short v[2:3], v4, off
.LBB134_698:
	s_mov_b32 s7, 0
.LBB134_699:
	s_and_b32 vcc_lo, exec_lo, s7
	s_mov_b32 s7, 0
	s_cbranch_vccz .LBB134_701
; %bb.700:
	s_cmp_lg_u32 s6, 11
	s_mov_b32 s7, -1
	s_cselect_b32 s4, -1, 0
.LBB134_701:
	s_and_b32 vcc_lo, exec_lo, s4
	s_mov_b32 s6, s24
	s_cbranch_vccnz .LBB134_1105
; %bb.702:
	s_andn2_b32 vcc_lo, exec_lo, s7
	s_cbranch_vccnz .LBB134_704
.LBB134_703:
	v_cmp_neq_f64_e32 vcc_lo, 0, v[40:41]
	s_mov_b32 s8, -1
	v_cndmask_b32_e64 v4, 0, 1, vcc_lo
	global_store_byte v[2:3], v4, off
.LBB134_704:
.LBB134_705:
	s_andn2_b32 vcc_lo, exec_lo, s8
	s_cbranch_vccz .LBB134_745
	s_branch .LBB134_1057
.LBB134_706:
	s_mov_b32 s8, 0
	s_mov_b32 s6, s24
	s_cbranch_execz .LBB134_705
; %bb.707:
	s_and_b32 s4, 0xffff, s5
	s_mov_b32 s5, -1
	s_cmp_lt_i32 s4, 5
	s_cbranch_scc1 .LBB134_728
; %bb.708:
	s_cmp_lt_i32 s4, 8
	s_cbranch_scc1 .LBB134_718
; %bb.709:
	;; [unrolled: 3-line block ×3, first 2 shown]
	s_cmp_gt_i32 s4, 9
	s_cbranch_scc0 .LBB134_712
; %bb.711:
	v_mov_b32_e32 v42, 0
	s_mov_b32 s5, 0
	v_mov_b32_e32 v43, v42
	global_store_dwordx4 v[2:3], v[40:43], off
.LBB134_712:
	s_andn2_b32 vcc_lo, exec_lo, s5
	s_cbranch_vccnz .LBB134_714
; %bb.713:
	v_cvt_f32_f64_e32 v4, v[40:41]
	v_mov_b32_e32 v5, 0
	global_store_dwordx2 v[2:3], v[4:5], off
.LBB134_714:
	s_mov_b32 s5, 0
.LBB134_715:
	s_andn2_b32 vcc_lo, exec_lo, s5
	s_cbranch_vccnz .LBB134_717
; %bb.716:
	v_and_or_b32 v4, 0x1ff, v41, v40
	v_lshrrev_b32_e32 v5, 8, v41
	v_bfe_u32 v6, v41, 20, 11
	v_cmp_ne_u32_e32 vcc_lo, 0, v4
	v_sub_nc_u32_e32 v7, 0x3f1, v6
	v_add_nc_u32_e32 v6, 0xfffffc10, v6
	v_cndmask_b32_e64 v4, 0, 1, vcc_lo
	v_and_or_b32 v4, 0xffe, v5, v4
	v_med3_i32 v5, v7, 0, 13
	v_or_b32_e32 v7, 0x1000, v4
	v_lshrrev_b32_e32 v8, v5, v7
	v_lshlrev_b32_e32 v5, v5, v8
	v_cmp_ne_u32_e32 vcc_lo, v5, v7
	v_lshl_or_b32 v7, v6, 12, v4
	v_cndmask_b32_e64 v5, 0, 1, vcc_lo
	v_cmp_gt_i32_e32 vcc_lo, 1, v6
	v_or_b32_e32 v5, v8, v5
	v_cndmask_b32_e32 v5, v7, v5, vcc_lo
	v_and_b32_e32 v7, 7, v5
	v_lshrrev_b32_e32 v5, 2, v5
	v_cmp_lt_i32_e32 vcc_lo, 5, v7
	v_cndmask_b32_e64 v8, 0, 1, vcc_lo
	v_cmp_eq_u32_e32 vcc_lo, 3, v7
	v_cndmask_b32_e64 v7, 0, 1, vcc_lo
	v_cmp_ne_u32_e32 vcc_lo, 0, v4
	v_or_b32_e32 v7, v7, v8
	v_mov_b32_e32 v8, 0x7e00
	v_add_nc_u32_e32 v5, v5, v7
	v_cndmask_b32_e32 v4, 0x7c00, v8, vcc_lo
	v_cmp_gt_i32_e32 vcc_lo, 31, v6
	v_cndmask_b32_e32 v5, 0x7c00, v5, vcc_lo
	v_cmp_eq_u32_e32 vcc_lo, 0x40f, v6
	v_cndmask_b32_e32 v4, v5, v4, vcc_lo
	v_lshrrev_b32_e32 v5, 16, v41
	v_and_or_b32 v4, 0x8000, v5, v4
	v_and_b32_e32 v4, 0xffff, v4
	global_store_dword v[2:3], v4, off
.LBB134_717:
	s_mov_b32 s5, 0
.LBB134_718:
	s_andn2_b32 vcc_lo, exec_lo, s5
	s_cbranch_vccnz .LBB134_727
; %bb.719:
	s_cmp_lt_i32 s4, 6
	s_mov_b32 s5, -1
	s_cbranch_scc1 .LBB134_725
; %bb.720:
	s_cmp_gt_i32 s4, 6
	s_cbranch_scc0 .LBB134_722
; %bb.721:
	s_mov_b32 s5, 0
	global_store_dwordx2 v[2:3], v[40:41], off
.LBB134_722:
	s_andn2_b32 vcc_lo, exec_lo, s5
	s_cbranch_vccnz .LBB134_724
; %bb.723:
	v_cvt_f32_f64_e32 v4, v[40:41]
	global_store_dword v[2:3], v4, off
.LBB134_724:
	s_mov_b32 s5, 0
.LBB134_725:
	s_andn2_b32 vcc_lo, exec_lo, s5
	s_cbranch_vccnz .LBB134_727
; %bb.726:
	v_and_or_b32 v4, 0x1ff, v41, v40
	v_lshrrev_b32_e32 v5, 8, v41
	v_bfe_u32 v6, v41, 20, 11
	v_cmp_ne_u32_e32 vcc_lo, 0, v4
	v_sub_nc_u32_e32 v7, 0x3f1, v6
	v_add_nc_u32_e32 v6, 0xfffffc10, v6
	v_cndmask_b32_e64 v4, 0, 1, vcc_lo
	v_and_or_b32 v4, 0xffe, v5, v4
	v_med3_i32 v5, v7, 0, 13
	v_or_b32_e32 v7, 0x1000, v4
	v_lshrrev_b32_e32 v8, v5, v7
	v_lshlrev_b32_e32 v5, v5, v8
	v_cmp_ne_u32_e32 vcc_lo, v5, v7
	v_lshl_or_b32 v7, v6, 12, v4
	v_cndmask_b32_e64 v5, 0, 1, vcc_lo
	v_cmp_gt_i32_e32 vcc_lo, 1, v6
	v_or_b32_e32 v5, v8, v5
	v_cndmask_b32_e32 v5, v7, v5, vcc_lo
	v_and_b32_e32 v7, 7, v5
	v_lshrrev_b32_e32 v5, 2, v5
	v_cmp_lt_i32_e32 vcc_lo, 5, v7
	v_cndmask_b32_e64 v8, 0, 1, vcc_lo
	v_cmp_eq_u32_e32 vcc_lo, 3, v7
	v_cndmask_b32_e64 v7, 0, 1, vcc_lo
	v_cmp_ne_u32_e32 vcc_lo, 0, v4
	v_or_b32_e32 v7, v7, v8
	v_mov_b32_e32 v8, 0x7e00
	v_add_nc_u32_e32 v5, v5, v7
	v_cndmask_b32_e32 v4, 0x7c00, v8, vcc_lo
	v_cmp_gt_i32_e32 vcc_lo, 31, v6
	v_cndmask_b32_e32 v5, 0x7c00, v5, vcc_lo
	v_cmp_eq_u32_e32 vcc_lo, 0x40f, v6
	v_cndmask_b32_e32 v4, v5, v4, vcc_lo
	v_lshrrev_b32_e32 v5, 16, v41
	v_and_or_b32 v4, 0x8000, v5, v4
	global_store_short v[2:3], v4, off
.LBB134_727:
	s_mov_b32 s5, 0
.LBB134_728:
	s_andn2_b32 vcc_lo, exec_lo, s5
	s_cbranch_vccnz .LBB134_744
; %bb.729:
	s_cmp_lt_i32 s4, 2
	s_mov_b32 s5, -1
	s_cbranch_scc1 .LBB134_739
; %bb.730:
	s_cmp_lt_i32 s4, 3
	s_cbranch_scc1 .LBB134_736
; %bb.731:
	s_cmp_gt_i32 s4, 3
	s_cbranch_scc0 .LBB134_733
; %bb.732:
	v_trunc_f64_e32 v[4:5], v[40:41]
	s_mov_b32 s5, 0
	v_ldexp_f64 v[6:7], v[4:5], 0xffffffe0
	v_floor_f64_e32 v[6:7], v[6:7]
	v_fma_f64 v[4:5], 0xc1f00000, v[6:7], v[4:5]
	v_cvt_i32_f64_e32 v6, v[6:7]
	v_cvt_u32_f64_e32 v5, v[4:5]
	global_store_dwordx2 v[2:3], v[5:6], off
.LBB134_733:
	s_andn2_b32 vcc_lo, exec_lo, s5
	s_cbranch_vccnz .LBB134_735
; %bb.734:
	v_cvt_i32_f64_e32 v4, v[40:41]
	global_store_dword v[2:3], v4, off
.LBB134_735:
	s_mov_b32 s5, 0
.LBB134_736:
	s_andn2_b32 vcc_lo, exec_lo, s5
	s_cbranch_vccnz .LBB134_738
; %bb.737:
	v_cvt_i32_f64_e32 v4, v[40:41]
	global_store_short v[2:3], v4, off
.LBB134_738:
	s_mov_b32 s5, 0
.LBB134_739:
	s_andn2_b32 vcc_lo, exec_lo, s5
	s_cbranch_vccnz .LBB134_744
; %bb.740:
	s_cmp_gt_i32 s4, 0
	s_mov_b32 s4, -1
	s_cbranch_scc0 .LBB134_742
; %bb.741:
	v_cvt_i32_f64_e32 v4, v[40:41]
	s_mov_b32 s4, 0
	global_store_byte v[2:3], v4, off
.LBB134_742:
	s_andn2_b32 vcc_lo, exec_lo, s4
	s_cbranch_vccnz .LBB134_744
; %bb.743:
	v_trunc_f64_e32 v[4:5], v[40:41]
	v_ldexp_f64 v[6:7], v[4:5], 0xffffffe0
	v_floor_f64_e32 v[6:7], v[6:7]
	v_fma_f64 v[4:5], 0xc1f00000, v[6:7], v[4:5]
	v_cvt_u32_f64_e32 v4, v[4:5]
	global_store_byte v[2:3], v4, off
.LBB134_744:
.LBB134_745:
	v_add_co_u32 v2, s5, s20, v48
	s_lshr_b32 s4, s18, 8
	v_add_co_ci_u32_e64 v3, null, s21, 0, s5
	s_and_b32 s5, s4, 0xff
	s_cmp_lt_i32 s5, 11
	s_cbranch_scc1 .LBB134_824
; %bb.746:
	s_and_b32 s7, 0xffff, s5
	s_mov_b32 s10, -1
	s_mov_b32 s8, 0
	s_cmp_gt_i32 s7, 25
	s_mov_b32 s9, 0
	s_mov_b32 s4, 0
	s_cbranch_scc0 .LBB134_779
; %bb.747:
	s_cmp_gt_i32 s7, 28
	s_cbranch_scc0 .LBB134_762
; %bb.748:
	s_cmp_gt_i32 s7, 43
	;; [unrolled: 3-line block ×3, first 2 shown]
	s_cbranch_scc0 .LBB134_752
; %bb.750:
	s_mov_b32 s4, -1
	s_mov_b32 s10, 0
	s_cmp_eq_u32 s7, 46
	s_cbranch_scc0 .LBB134_752
; %bb.751:
	v_cvt_f32_f64_e32 v4, v[38:39]
	s_mov_b32 s4, 0
	s_mov_b32 s9, -1
	v_bfe_u32 v5, v4, 16, 1
	v_cmp_o_f32_e32 vcc_lo, v4, v4
	v_add3_u32 v4, v4, v5, 0x7fff
	v_mov_b32_e32 v5, 0x7fc0
	v_cndmask_b32_sdwa v4, v5, v4, vcc_lo dst_sel:DWORD dst_unused:UNUSED_PAD src0_sel:DWORD src1_sel:WORD_1
	global_store_dword v[2:3], v4, off
.LBB134_752:
	s_and_b32 vcc_lo, exec_lo, s10
	s_cbranch_vccz .LBB134_757
; %bb.753:
	s_cmp_eq_u32 s7, 44
	s_mov_b32 s4, -1
	s_cbranch_scc0 .LBB134_757
; %bb.754:
	v_cvt_f32_f64_e32 v4, v[38:39]
	v_mov_b32_e32 v5, 0xff
	s_mov_b32 s9, exec_lo
	v_bfe_u32 v6, v4, 23, 8
	v_cmpx_ne_u32_e32 0xff, v6
	s_cbranch_execz .LBB134_756
; %bb.755:
	v_and_b32_e32 v5, 0x400000, v4
	v_and_or_b32 v6, 0x3fffff, v4, v6
	v_lshrrev_b32_e32 v4, 23, v4
	v_cmp_ne_u32_e32 vcc_lo, 0, v5
	v_cmp_ne_u32_e64 s4, 0, v6
	s_and_b32 s4, vcc_lo, s4
	v_cndmask_b32_e64 v5, 0, 1, s4
	v_add_nc_u32_e32 v5, v4, v5
.LBB134_756:
	s_or_b32 exec_lo, exec_lo, s9
	s_mov_b32 s4, 0
	s_mov_b32 s9, -1
	global_store_byte v[2:3], v5, off
.LBB134_757:
	s_mov_b32 s10, 0
.LBB134_758:
	s_and_b32 vcc_lo, exec_lo, s10
	s_cbranch_vccz .LBB134_761
; %bb.759:
	s_cmp_eq_u32 s7, 29
	s_mov_b32 s4, -1
	s_cbranch_scc0 .LBB134_761
; %bb.760:
	v_trunc_f64_e32 v[4:5], v[38:39]
	s_mov_b32 s4, 0
	s_mov_b32 s9, -1
	v_ldexp_f64 v[6:7], v[4:5], 0xffffffe0
	v_floor_f64_e32 v[6:7], v[6:7]
	v_fma_f64 v[4:5], 0xc1f00000, v[6:7], v[4:5]
	v_cvt_u32_f64_e32 v6, v[6:7]
	v_cvt_u32_f64_e32 v5, v[4:5]
	global_store_dwordx2 v[2:3], v[5:6], off
.LBB134_761:
	s_mov_b32 s10, 0
.LBB134_762:
	s_and_b32 vcc_lo, exec_lo, s10
	s_cbranch_vccz .LBB134_778
; %bb.763:
	s_cmp_lt_i32 s7, 27
	s_mov_b32 s9, -1
	s_cbranch_scc1 .LBB134_769
; %bb.764:
	s_cmp_gt_i32 s7, 27
	s_cbranch_scc0 .LBB134_766
; %bb.765:
	v_cvt_u32_f64_e32 v4, v[38:39]
	s_mov_b32 s9, 0
	global_store_dword v[2:3], v4, off
.LBB134_766:
	s_andn2_b32 vcc_lo, exec_lo, s9
	s_cbranch_vccnz .LBB134_768
; %bb.767:
	v_cvt_u32_f64_e32 v4, v[38:39]
	global_store_short v[2:3], v4, off
.LBB134_768:
	s_mov_b32 s9, 0
.LBB134_769:
	s_andn2_b32 vcc_lo, exec_lo, s9
	s_cbranch_vccnz .LBB134_777
; %bb.770:
	v_cvt_f32_f64_e32 v4, v[38:39]
	v_mov_b32_e32 v6, 0x80
	s_mov_b32 s9, exec_lo
	v_and_b32_e32 v5, 0x7fffffff, v4
	v_cmpx_gt_u32_e32 0x43800000, v5
	s_cbranch_execz .LBB134_776
; %bb.771:
	v_cmp_lt_u32_e32 vcc_lo, 0x3bffffff, v5
	s_mov_b32 s10, 0
                                        ; implicit-def: $vgpr5
	s_and_saveexec_b32 s11, vcc_lo
	s_xor_b32 s11, exec_lo, s11
	s_cbranch_execz .LBB134_1108
; %bb.772:
	v_bfe_u32 v5, v4, 20, 1
	s_mov_b32 s10, exec_lo
	v_add3_u32 v5, v4, v5, 0x487ffff
	v_lshrrev_b32_e32 v5, 20, v5
	s_andn2_saveexec_b32 s11, s11
	s_cbranch_execnz .LBB134_1109
.LBB134_773:
	s_or_b32 exec_lo, exec_lo, s11
	v_mov_b32_e32 v6, 0
	s_and_saveexec_b32 s11, s10
.LBB134_774:
	v_lshrrev_b32_e32 v4, 24, v4
	v_and_or_b32 v6, 0x80, v4, v5
.LBB134_775:
	s_or_b32 exec_lo, exec_lo, s11
.LBB134_776:
	s_or_b32 exec_lo, exec_lo, s9
	global_store_byte v[2:3], v6, off
.LBB134_777:
	s_mov_b32 s9, -1
.LBB134_778:
	s_mov_b32 s10, 0
.LBB134_779:
	s_and_b32 vcc_lo, exec_lo, s10
	s_cbranch_vccz .LBB134_819
; %bb.780:
	s_cmp_gt_i32 s7, 22
	s_mov_b32 s8, -1
	s_cbranch_scc0 .LBB134_812
; %bb.781:
	s_cmp_lt_i32 s7, 24
	s_cbranch_scc1 .LBB134_801
; %bb.782:
	s_cmp_gt_i32 s7, 24
	s_cbranch_scc0 .LBB134_790
; %bb.783:
	v_cvt_f32_f64_e32 v4, v[38:39]
	v_mov_b32_e32 v6, 0x80
	s_mov_b32 s8, exec_lo
	v_and_b32_e32 v5, 0x7fffffff, v4
	v_cmpx_gt_u32_e32 0x47800000, v5
	s_cbranch_execz .LBB134_789
; %bb.784:
	v_cmp_lt_u32_e32 vcc_lo, 0x37ffffff, v5
	s_mov_b32 s9, 0
                                        ; implicit-def: $vgpr5
	s_and_saveexec_b32 s10, vcc_lo
	s_xor_b32 s10, exec_lo, s10
	s_cbranch_execz .LBB134_1111
; %bb.785:
	v_bfe_u32 v5, v4, 21, 1
	s_mov_b32 s9, exec_lo
	v_add3_u32 v5, v4, v5, 0x88fffff
	v_lshrrev_b32_e32 v5, 21, v5
	s_andn2_saveexec_b32 s10, s10
	s_cbranch_execnz .LBB134_1112
.LBB134_786:
	s_or_b32 exec_lo, exec_lo, s10
	v_mov_b32_e32 v6, 0
	s_and_saveexec_b32 s10, s9
.LBB134_787:
	v_lshrrev_b32_e32 v4, 24, v4
	v_and_or_b32 v6, 0x80, v4, v5
.LBB134_788:
	s_or_b32 exec_lo, exec_lo, s10
.LBB134_789:
	s_or_b32 exec_lo, exec_lo, s8
	s_mov_b32 s8, 0
	global_store_byte v[2:3], v6, off
.LBB134_790:
	s_and_b32 vcc_lo, exec_lo, s8
	s_cbranch_vccz .LBB134_800
; %bb.791:
	v_cvt_f32_f64_e32 v4, v[38:39]
	s_mov_b32 s8, exec_lo
                                        ; implicit-def: $vgpr5
	v_and_b32_e32 v6, 0x7fffffff, v4
	v_cmpx_gt_u32_e32 0x43f00000, v6
	s_xor_b32 s8, exec_lo, s8
	s_cbranch_execz .LBB134_797
; %bb.792:
	s_mov_b32 s9, exec_lo
                                        ; implicit-def: $vgpr5
	v_cmpx_lt_u32_e32 0x3c7fffff, v6
	s_xor_b32 s9, exec_lo, s9
; %bb.793:
	v_bfe_u32 v5, v4, 20, 1
	v_add3_u32 v5, v4, v5, 0x407ffff
	v_and_b32_e32 v6, 0xff00000, v5
	v_lshrrev_b32_e32 v5, 20, v5
	v_cmp_ne_u32_e32 vcc_lo, 0x7f00000, v6
	v_cndmask_b32_e32 v5, 0x7e, v5, vcc_lo
; %bb.794:
	s_andn2_saveexec_b32 s9, s9
; %bb.795:
	v_add_f32_e64 v5, 0x46800000, |v4|
; %bb.796:
	s_or_b32 exec_lo, exec_lo, s9
                                        ; implicit-def: $vgpr6
.LBB134_797:
	s_andn2_saveexec_b32 s8, s8
; %bb.798:
	v_mov_b32_e32 v5, 0x7f
	v_cmp_lt_u32_e32 vcc_lo, 0x7f800000, v6
	v_cndmask_b32_e32 v5, 0x7e, v5, vcc_lo
; %bb.799:
	s_or_b32 exec_lo, exec_lo, s8
	v_lshrrev_b32_e32 v4, 24, v4
	v_and_or_b32 v4, 0x80, v4, v5
	global_store_byte v[2:3], v4, off
.LBB134_800:
	s_mov_b32 s8, 0
.LBB134_801:
	s_andn2_b32 vcc_lo, exec_lo, s8
	s_cbranch_vccnz .LBB134_811
; %bb.802:
	v_cvt_f32_f64_e32 v4, v[38:39]
	s_mov_b32 s8, exec_lo
                                        ; implicit-def: $vgpr5
	v_and_b32_e32 v6, 0x7fffffff, v4
	v_cmpx_gt_u32_e32 0x47800000, v6
	s_xor_b32 s8, exec_lo, s8
	s_cbranch_execz .LBB134_808
; %bb.803:
	s_mov_b32 s9, exec_lo
                                        ; implicit-def: $vgpr5
	v_cmpx_lt_u32_e32 0x387fffff, v6
	s_xor_b32 s9, exec_lo, s9
; %bb.804:
	v_bfe_u32 v5, v4, 21, 1
	v_add3_u32 v5, v4, v5, 0x80fffff
	v_lshrrev_b32_e32 v5, 21, v5
; %bb.805:
	s_andn2_saveexec_b32 s9, s9
; %bb.806:
	v_add_f32_e64 v5, 0x43000000, |v4|
; %bb.807:
	s_or_b32 exec_lo, exec_lo, s9
                                        ; implicit-def: $vgpr6
.LBB134_808:
	s_andn2_saveexec_b32 s8, s8
; %bb.809:
	v_mov_b32_e32 v5, 0x7f
	v_cmp_lt_u32_e32 vcc_lo, 0x7f800000, v6
	v_cndmask_b32_e32 v5, 0x7c, v5, vcc_lo
; %bb.810:
	s_or_b32 exec_lo, exec_lo, s8
	v_lshrrev_b32_e32 v4, 24, v4
	v_and_or_b32 v4, 0x80, v4, v5
	global_store_byte v[2:3], v4, off
.LBB134_811:
	s_mov_b32 s8, 0
	s_mov_b32 s9, -1
.LBB134_812:
	s_andn2_b32 vcc_lo, exec_lo, s8
	s_mov_b32 s8, 0
	s_cbranch_vccnz .LBB134_819
; %bb.813:
	s_cmp_gt_i32 s7, 14
	s_mov_b32 s8, -1
	s_cbranch_scc0 .LBB134_817
; %bb.814:
	s_cmp_eq_u32 s7, 15
	s_mov_b32 s4, -1
	s_cbranch_scc0 .LBB134_816
; %bb.815:
	v_cvt_f32_f64_e32 v4, v[38:39]
	s_mov_b32 s4, 0
	s_mov_b32 s9, -1
	v_bfe_u32 v5, v4, 16, 1
	v_cmp_o_f32_e32 vcc_lo, v4, v4
	v_add3_u32 v4, v4, v5, 0x7fff
	v_mov_b32_e32 v5, 0x7fc0
	v_cndmask_b32_sdwa v4, v5, v4, vcc_lo dst_sel:DWORD dst_unused:UNUSED_PAD src0_sel:DWORD src1_sel:WORD_1
	global_store_short v[2:3], v4, off
.LBB134_816:
	s_mov_b32 s8, 0
.LBB134_817:
	s_and_b32 vcc_lo, exec_lo, s8
	s_mov_b32 s8, 0
	s_cbranch_vccz .LBB134_819
; %bb.818:
	s_cmp_lg_u32 s7, 11
	s_mov_b32 s8, -1
	s_cselect_b32 s4, -1, 0
.LBB134_819:
	s_and_b32 vcc_lo, exec_lo, s4
	s_cbranch_vccnz .LBB134_1110
; %bb.820:
	s_andn2_b32 vcc_lo, exec_lo, s8
	s_cbranch_vccnz .LBB134_822
.LBB134_821:
	v_cmp_neq_f64_e32 vcc_lo, 0, v[38:39]
	s_mov_b32 s9, -1
	v_cndmask_b32_e64 v4, 0, 1, vcc_lo
	global_store_byte v[2:3], v4, off
.LBB134_822:
.LBB134_823:
	s_andn2_b32 vcc_lo, exec_lo, s9
	s_cbranch_vccz .LBB134_863
	s_branch .LBB134_1057
.LBB134_824:
	s_mov_b32 s9, 0
	s_cbranch_execz .LBB134_823
; %bb.825:
	s_and_b32 s4, 0xffff, s5
	s_mov_b32 s7, -1
	s_cmp_lt_i32 s4, 5
	s_cbranch_scc1 .LBB134_846
; %bb.826:
	s_cmp_lt_i32 s4, 8
	s_cbranch_scc1 .LBB134_836
; %bb.827:
	;; [unrolled: 3-line block ×3, first 2 shown]
	s_cmp_gt_i32 s4, 9
	s_cbranch_scc0 .LBB134_830
; %bb.829:
	v_mov_b32_e32 v40, 0
	s_mov_b32 s7, 0
	v_mov_b32_e32 v41, v40
	global_store_dwordx4 v[2:3], v[38:41], off
.LBB134_830:
	s_andn2_b32 vcc_lo, exec_lo, s7
	s_cbranch_vccnz .LBB134_832
; %bb.831:
	v_cvt_f32_f64_e32 v4, v[38:39]
	v_mov_b32_e32 v5, 0
	global_store_dwordx2 v[2:3], v[4:5], off
.LBB134_832:
	s_mov_b32 s7, 0
.LBB134_833:
	s_andn2_b32 vcc_lo, exec_lo, s7
	s_cbranch_vccnz .LBB134_835
; %bb.834:
	v_and_or_b32 v4, 0x1ff, v39, v38
	v_lshrrev_b32_e32 v5, 8, v39
	v_bfe_u32 v6, v39, 20, 11
	v_cmp_ne_u32_e32 vcc_lo, 0, v4
	v_sub_nc_u32_e32 v7, 0x3f1, v6
	v_add_nc_u32_e32 v6, 0xfffffc10, v6
	v_cndmask_b32_e64 v4, 0, 1, vcc_lo
	v_and_or_b32 v4, 0xffe, v5, v4
	v_med3_i32 v5, v7, 0, 13
	v_or_b32_e32 v7, 0x1000, v4
	v_lshrrev_b32_e32 v8, v5, v7
	v_lshlrev_b32_e32 v5, v5, v8
	v_cmp_ne_u32_e32 vcc_lo, v5, v7
	v_lshl_or_b32 v7, v6, 12, v4
	v_cndmask_b32_e64 v5, 0, 1, vcc_lo
	v_cmp_gt_i32_e32 vcc_lo, 1, v6
	v_or_b32_e32 v5, v8, v5
	v_cndmask_b32_e32 v5, v7, v5, vcc_lo
	v_and_b32_e32 v7, 7, v5
	v_lshrrev_b32_e32 v5, 2, v5
	v_cmp_lt_i32_e32 vcc_lo, 5, v7
	v_cndmask_b32_e64 v8, 0, 1, vcc_lo
	v_cmp_eq_u32_e32 vcc_lo, 3, v7
	v_cndmask_b32_e64 v7, 0, 1, vcc_lo
	v_cmp_ne_u32_e32 vcc_lo, 0, v4
	v_or_b32_e32 v7, v7, v8
	v_mov_b32_e32 v8, 0x7e00
	v_add_nc_u32_e32 v5, v5, v7
	v_cndmask_b32_e32 v4, 0x7c00, v8, vcc_lo
	v_cmp_gt_i32_e32 vcc_lo, 31, v6
	v_cndmask_b32_e32 v5, 0x7c00, v5, vcc_lo
	v_cmp_eq_u32_e32 vcc_lo, 0x40f, v6
	v_cndmask_b32_e32 v4, v5, v4, vcc_lo
	v_lshrrev_b32_e32 v5, 16, v39
	v_and_or_b32 v4, 0x8000, v5, v4
	v_and_b32_e32 v4, 0xffff, v4
	global_store_dword v[2:3], v4, off
.LBB134_835:
	s_mov_b32 s7, 0
.LBB134_836:
	s_andn2_b32 vcc_lo, exec_lo, s7
	s_cbranch_vccnz .LBB134_845
; %bb.837:
	s_cmp_lt_i32 s4, 6
	s_mov_b32 s7, -1
	s_cbranch_scc1 .LBB134_843
; %bb.838:
	s_cmp_gt_i32 s4, 6
	s_cbranch_scc0 .LBB134_840
; %bb.839:
	s_mov_b32 s7, 0
	global_store_dwordx2 v[2:3], v[38:39], off
.LBB134_840:
	s_andn2_b32 vcc_lo, exec_lo, s7
	s_cbranch_vccnz .LBB134_842
; %bb.841:
	v_cvt_f32_f64_e32 v4, v[38:39]
	global_store_dword v[2:3], v4, off
.LBB134_842:
	s_mov_b32 s7, 0
.LBB134_843:
	s_andn2_b32 vcc_lo, exec_lo, s7
	s_cbranch_vccnz .LBB134_845
; %bb.844:
	v_and_or_b32 v4, 0x1ff, v39, v38
	v_lshrrev_b32_e32 v5, 8, v39
	v_bfe_u32 v6, v39, 20, 11
	v_cmp_ne_u32_e32 vcc_lo, 0, v4
	v_sub_nc_u32_e32 v7, 0x3f1, v6
	v_add_nc_u32_e32 v6, 0xfffffc10, v6
	v_cndmask_b32_e64 v4, 0, 1, vcc_lo
	v_and_or_b32 v4, 0xffe, v5, v4
	v_med3_i32 v5, v7, 0, 13
	v_or_b32_e32 v7, 0x1000, v4
	v_lshrrev_b32_e32 v8, v5, v7
	v_lshlrev_b32_e32 v5, v5, v8
	v_cmp_ne_u32_e32 vcc_lo, v5, v7
	v_lshl_or_b32 v7, v6, 12, v4
	v_cndmask_b32_e64 v5, 0, 1, vcc_lo
	v_cmp_gt_i32_e32 vcc_lo, 1, v6
	v_or_b32_e32 v5, v8, v5
	v_cndmask_b32_e32 v5, v7, v5, vcc_lo
	v_and_b32_e32 v7, 7, v5
	v_lshrrev_b32_e32 v5, 2, v5
	v_cmp_lt_i32_e32 vcc_lo, 5, v7
	v_cndmask_b32_e64 v8, 0, 1, vcc_lo
	v_cmp_eq_u32_e32 vcc_lo, 3, v7
	v_cndmask_b32_e64 v7, 0, 1, vcc_lo
	v_cmp_ne_u32_e32 vcc_lo, 0, v4
	v_or_b32_e32 v7, v7, v8
	v_mov_b32_e32 v8, 0x7e00
	v_add_nc_u32_e32 v5, v5, v7
	v_cndmask_b32_e32 v4, 0x7c00, v8, vcc_lo
	v_cmp_gt_i32_e32 vcc_lo, 31, v6
	v_cndmask_b32_e32 v5, 0x7c00, v5, vcc_lo
	v_cmp_eq_u32_e32 vcc_lo, 0x40f, v6
	v_cndmask_b32_e32 v4, v5, v4, vcc_lo
	v_lshrrev_b32_e32 v5, 16, v39
	v_and_or_b32 v4, 0x8000, v5, v4
	global_store_short v[2:3], v4, off
.LBB134_845:
	s_mov_b32 s7, 0
.LBB134_846:
	s_andn2_b32 vcc_lo, exec_lo, s7
	s_cbranch_vccnz .LBB134_862
; %bb.847:
	s_cmp_lt_i32 s4, 2
	s_mov_b32 s7, -1
	s_cbranch_scc1 .LBB134_857
; %bb.848:
	s_cmp_lt_i32 s4, 3
	s_cbranch_scc1 .LBB134_854
; %bb.849:
	s_cmp_gt_i32 s4, 3
	s_cbranch_scc0 .LBB134_851
; %bb.850:
	v_trunc_f64_e32 v[4:5], v[38:39]
	s_mov_b32 s7, 0
	v_ldexp_f64 v[6:7], v[4:5], 0xffffffe0
	v_floor_f64_e32 v[6:7], v[6:7]
	v_fma_f64 v[4:5], 0xc1f00000, v[6:7], v[4:5]
	v_cvt_i32_f64_e32 v6, v[6:7]
	v_cvt_u32_f64_e32 v5, v[4:5]
	global_store_dwordx2 v[2:3], v[5:6], off
.LBB134_851:
	s_andn2_b32 vcc_lo, exec_lo, s7
	s_cbranch_vccnz .LBB134_853
; %bb.852:
	v_cvt_i32_f64_e32 v4, v[38:39]
	global_store_dword v[2:3], v4, off
.LBB134_853:
	s_mov_b32 s7, 0
.LBB134_854:
	s_andn2_b32 vcc_lo, exec_lo, s7
	s_cbranch_vccnz .LBB134_856
; %bb.855:
	v_cvt_i32_f64_e32 v4, v[38:39]
	global_store_short v[2:3], v4, off
.LBB134_856:
	s_mov_b32 s7, 0
.LBB134_857:
	s_andn2_b32 vcc_lo, exec_lo, s7
	s_cbranch_vccnz .LBB134_862
; %bb.858:
	s_cmp_gt_i32 s4, 0
	s_mov_b32 s4, -1
	s_cbranch_scc0 .LBB134_860
; %bb.859:
	v_cvt_i32_f64_e32 v4, v[38:39]
	s_mov_b32 s4, 0
	global_store_byte v[2:3], v4, off
.LBB134_860:
	s_andn2_b32 vcc_lo, exec_lo, s4
	s_cbranch_vccnz .LBB134_862
; %bb.861:
	v_trunc_f64_e32 v[4:5], v[38:39]
	v_ldexp_f64 v[6:7], v[4:5], 0xffffffe0
	v_floor_f64_e32 v[6:7], v[6:7]
	v_fma_f64 v[4:5], 0xc1f00000, v[6:7], v[4:5]
	v_cvt_u32_f64_e32 v4, v[4:5]
	global_store_byte v[2:3], v4, off
.LBB134_862:
.LBB134_863:
	v_add_co_u32 v2, s4, s20, v46
	v_add_co_ci_u32_e64 v3, null, s21, 0, s4
	s_cmp_lt_i32 s5, 11
	s_cbranch_scc1 .LBB134_1018
; %bb.864:
	s_and_b32 s7, 0xffff, s5
	s_mov_b32 s10, -1
	s_mov_b32 s8, 0
	s_cmp_gt_i32 s7, 25
	s_mov_b32 s9, 0
	s_mov_b32 s4, 0
	s_cbranch_scc0 .LBB134_897
; %bb.865:
	s_cmp_gt_i32 s7, 28
	s_cbranch_scc0 .LBB134_880
; %bb.866:
	s_cmp_gt_i32 s7, 43
	;; [unrolled: 3-line block ×3, first 2 shown]
	s_cbranch_scc0 .LBB134_870
; %bb.868:
	s_mov_b32 s4, -1
	s_mov_b32 s10, 0
	s_cmp_eq_u32 s7, 46
	s_cbranch_scc0 .LBB134_870
; %bb.869:
	v_cvt_f32_f64_e32 v4, v[36:37]
	s_mov_b32 s4, 0
	s_mov_b32 s9, -1
	v_bfe_u32 v5, v4, 16, 1
	v_cmp_o_f32_e32 vcc_lo, v4, v4
	v_add3_u32 v4, v4, v5, 0x7fff
	v_mov_b32_e32 v5, 0x7fc0
	v_cndmask_b32_sdwa v4, v5, v4, vcc_lo dst_sel:DWORD dst_unused:UNUSED_PAD src0_sel:DWORD src1_sel:WORD_1
	global_store_dword v[2:3], v4, off
.LBB134_870:
	s_and_b32 vcc_lo, exec_lo, s10
	s_cbranch_vccz .LBB134_875
; %bb.871:
	s_cmp_eq_u32 s7, 44
	s_mov_b32 s4, -1
	s_cbranch_scc0 .LBB134_875
; %bb.872:
	v_cvt_f32_f64_e32 v4, v[36:37]
	v_mov_b32_e32 v5, 0xff
	s_mov_b32 s9, exec_lo
	v_bfe_u32 v6, v4, 23, 8
	v_cmpx_ne_u32_e32 0xff, v6
	s_cbranch_execz .LBB134_874
; %bb.873:
	v_and_b32_e32 v5, 0x400000, v4
	v_and_or_b32 v6, 0x3fffff, v4, v6
	v_lshrrev_b32_e32 v4, 23, v4
	v_cmp_ne_u32_e32 vcc_lo, 0, v5
	v_cmp_ne_u32_e64 s4, 0, v6
	s_and_b32 s4, vcc_lo, s4
	v_cndmask_b32_e64 v5, 0, 1, s4
	v_add_nc_u32_e32 v5, v4, v5
.LBB134_874:
	s_or_b32 exec_lo, exec_lo, s9
	s_mov_b32 s4, 0
	s_mov_b32 s9, -1
	global_store_byte v[2:3], v5, off
.LBB134_875:
	s_mov_b32 s10, 0
.LBB134_876:
	s_and_b32 vcc_lo, exec_lo, s10
	s_cbranch_vccz .LBB134_879
; %bb.877:
	s_cmp_eq_u32 s7, 29
	s_mov_b32 s4, -1
	s_cbranch_scc0 .LBB134_879
; %bb.878:
	v_trunc_f64_e32 v[4:5], v[36:37]
	s_mov_b32 s4, 0
	s_mov_b32 s9, -1
	v_ldexp_f64 v[6:7], v[4:5], 0xffffffe0
	v_floor_f64_e32 v[6:7], v[6:7]
	v_fma_f64 v[4:5], 0xc1f00000, v[6:7], v[4:5]
	v_cvt_u32_f64_e32 v6, v[6:7]
	v_cvt_u32_f64_e32 v5, v[4:5]
	global_store_dwordx2 v[2:3], v[5:6], off
.LBB134_879:
	s_mov_b32 s10, 0
.LBB134_880:
	s_and_b32 vcc_lo, exec_lo, s10
	s_cbranch_vccz .LBB134_896
; %bb.881:
	s_cmp_lt_i32 s7, 27
	s_mov_b32 s9, -1
	s_cbranch_scc1 .LBB134_887
; %bb.882:
	v_cvt_u32_f64_e32 v4, v[36:37]
	s_cmp_gt_i32 s7, 27
	s_cbranch_scc0 .LBB134_884
; %bb.883:
	s_mov_b32 s9, 0
	global_store_dword v[2:3], v4, off
.LBB134_884:
	s_andn2_b32 vcc_lo, exec_lo, s9
	s_cbranch_vccnz .LBB134_886
; %bb.885:
	global_store_short v[2:3], v4, off
.LBB134_886:
	s_mov_b32 s9, 0
.LBB134_887:
	s_andn2_b32 vcc_lo, exec_lo, s9
	s_cbranch_vccnz .LBB134_895
; %bb.888:
	v_cvt_f32_f64_e32 v4, v[36:37]
	v_mov_b32_e32 v6, 0x80
	s_mov_b32 s9, exec_lo
	v_and_b32_e32 v5, 0x7fffffff, v4
	v_cmpx_gt_u32_e32 0x43800000, v5
	s_cbranch_execz .LBB134_894
; %bb.889:
	v_cmp_lt_u32_e32 vcc_lo, 0x3bffffff, v5
	s_mov_b32 s10, 0
                                        ; implicit-def: $vgpr5
	s_and_saveexec_b32 s11, vcc_lo
	s_xor_b32 s11, exec_lo, s11
	s_cbranch_execz .LBB134_1113
; %bb.890:
	v_bfe_u32 v5, v4, 20, 1
	s_mov_b32 s10, exec_lo
	v_add3_u32 v5, v4, v5, 0x487ffff
	v_lshrrev_b32_e32 v5, 20, v5
	s_andn2_saveexec_b32 s11, s11
	s_cbranch_execnz .LBB134_1114
.LBB134_891:
	s_or_b32 exec_lo, exec_lo, s11
	v_mov_b32_e32 v6, 0
	s_and_saveexec_b32 s11, s10
.LBB134_892:
	v_lshrrev_b32_e32 v4, 24, v4
	v_and_or_b32 v6, 0x80, v4, v5
.LBB134_893:
	s_or_b32 exec_lo, exec_lo, s11
.LBB134_894:
	s_or_b32 exec_lo, exec_lo, s9
	global_store_byte v[2:3], v6, off
.LBB134_895:
	s_mov_b32 s9, -1
.LBB134_896:
	s_mov_b32 s10, 0
.LBB134_897:
	s_and_b32 vcc_lo, exec_lo, s10
	s_cbranch_vccz .LBB134_937
; %bb.898:
	s_cmp_gt_i32 s7, 22
	s_mov_b32 s8, -1
	s_cbranch_scc0 .LBB134_930
; %bb.899:
	s_cmp_lt_i32 s7, 24
	s_cbranch_scc1 .LBB134_919
; %bb.900:
	s_cmp_gt_i32 s7, 24
	s_cbranch_scc0 .LBB134_908
; %bb.901:
	v_cvt_f32_f64_e32 v4, v[36:37]
	v_mov_b32_e32 v6, 0x80
	s_mov_b32 s8, exec_lo
	v_and_b32_e32 v5, 0x7fffffff, v4
	v_cmpx_gt_u32_e32 0x47800000, v5
	s_cbranch_execz .LBB134_907
; %bb.902:
	v_cmp_lt_u32_e32 vcc_lo, 0x37ffffff, v5
	s_mov_b32 s9, 0
                                        ; implicit-def: $vgpr5
	s_and_saveexec_b32 s10, vcc_lo
	s_xor_b32 s10, exec_lo, s10
	s_cbranch_execz .LBB134_1116
; %bb.903:
	v_bfe_u32 v5, v4, 21, 1
	s_mov_b32 s9, exec_lo
	v_add3_u32 v5, v4, v5, 0x88fffff
	v_lshrrev_b32_e32 v5, 21, v5
	s_andn2_saveexec_b32 s10, s10
	s_cbranch_execnz .LBB134_1117
.LBB134_904:
	s_or_b32 exec_lo, exec_lo, s10
	v_mov_b32_e32 v6, 0
	s_and_saveexec_b32 s10, s9
.LBB134_905:
	v_lshrrev_b32_e32 v4, 24, v4
	v_and_or_b32 v6, 0x80, v4, v5
.LBB134_906:
	s_or_b32 exec_lo, exec_lo, s10
.LBB134_907:
	s_or_b32 exec_lo, exec_lo, s8
	s_mov_b32 s8, 0
	global_store_byte v[2:3], v6, off
.LBB134_908:
	s_and_b32 vcc_lo, exec_lo, s8
	s_cbranch_vccz .LBB134_918
; %bb.909:
	v_cvt_f32_f64_e32 v4, v[36:37]
	s_mov_b32 s8, exec_lo
                                        ; implicit-def: $vgpr5
	v_and_b32_e32 v6, 0x7fffffff, v4
	v_cmpx_gt_u32_e32 0x43f00000, v6
	s_xor_b32 s8, exec_lo, s8
	s_cbranch_execz .LBB134_915
; %bb.910:
	s_mov_b32 s9, exec_lo
                                        ; implicit-def: $vgpr5
	v_cmpx_lt_u32_e32 0x3c7fffff, v6
	s_xor_b32 s9, exec_lo, s9
; %bb.911:
	v_bfe_u32 v5, v4, 20, 1
	v_add3_u32 v5, v4, v5, 0x407ffff
	v_and_b32_e32 v6, 0xff00000, v5
	v_lshrrev_b32_e32 v5, 20, v5
	v_cmp_ne_u32_e32 vcc_lo, 0x7f00000, v6
	v_cndmask_b32_e32 v5, 0x7e, v5, vcc_lo
; %bb.912:
	s_andn2_saveexec_b32 s9, s9
; %bb.913:
	v_add_f32_e64 v5, 0x46800000, |v4|
; %bb.914:
	s_or_b32 exec_lo, exec_lo, s9
                                        ; implicit-def: $vgpr6
.LBB134_915:
	s_andn2_saveexec_b32 s8, s8
; %bb.916:
	v_mov_b32_e32 v5, 0x7f
	v_cmp_lt_u32_e32 vcc_lo, 0x7f800000, v6
	v_cndmask_b32_e32 v5, 0x7e, v5, vcc_lo
; %bb.917:
	s_or_b32 exec_lo, exec_lo, s8
	v_lshrrev_b32_e32 v4, 24, v4
	v_and_or_b32 v4, 0x80, v4, v5
	global_store_byte v[2:3], v4, off
.LBB134_918:
	s_mov_b32 s8, 0
.LBB134_919:
	s_andn2_b32 vcc_lo, exec_lo, s8
	s_cbranch_vccnz .LBB134_929
; %bb.920:
	v_cvt_f32_f64_e32 v4, v[36:37]
	s_mov_b32 s8, exec_lo
                                        ; implicit-def: $vgpr5
	v_and_b32_e32 v6, 0x7fffffff, v4
	v_cmpx_gt_u32_e32 0x47800000, v6
	s_xor_b32 s8, exec_lo, s8
	s_cbranch_execz .LBB134_926
; %bb.921:
	s_mov_b32 s9, exec_lo
                                        ; implicit-def: $vgpr5
	v_cmpx_lt_u32_e32 0x387fffff, v6
	s_xor_b32 s9, exec_lo, s9
; %bb.922:
	v_bfe_u32 v5, v4, 21, 1
	v_add3_u32 v5, v4, v5, 0x80fffff
	v_lshrrev_b32_e32 v5, 21, v5
; %bb.923:
	s_andn2_saveexec_b32 s9, s9
; %bb.924:
	v_add_f32_e64 v5, 0x43000000, |v4|
; %bb.925:
	s_or_b32 exec_lo, exec_lo, s9
                                        ; implicit-def: $vgpr6
.LBB134_926:
	s_andn2_saveexec_b32 s8, s8
; %bb.927:
	v_mov_b32_e32 v5, 0x7f
	v_cmp_lt_u32_e32 vcc_lo, 0x7f800000, v6
	v_cndmask_b32_e32 v5, 0x7c, v5, vcc_lo
; %bb.928:
	s_or_b32 exec_lo, exec_lo, s8
	v_lshrrev_b32_e32 v4, 24, v4
	v_and_or_b32 v4, 0x80, v4, v5
	global_store_byte v[2:3], v4, off
.LBB134_929:
	s_mov_b32 s8, 0
	s_mov_b32 s9, -1
.LBB134_930:
	s_andn2_b32 vcc_lo, exec_lo, s8
	s_mov_b32 s8, 0
	s_cbranch_vccnz .LBB134_937
; %bb.931:
	s_cmp_gt_i32 s7, 14
	s_mov_b32 s8, -1
	s_cbranch_scc0 .LBB134_935
; %bb.932:
	s_cmp_eq_u32 s7, 15
	s_mov_b32 s4, -1
	s_cbranch_scc0 .LBB134_934
; %bb.933:
	v_cvt_f32_f64_e32 v4, v[36:37]
	s_mov_b32 s4, 0
	s_mov_b32 s9, -1
	v_bfe_u32 v5, v4, 16, 1
	v_cmp_o_f32_e32 vcc_lo, v4, v4
	v_add3_u32 v4, v4, v5, 0x7fff
	v_mov_b32_e32 v5, 0x7fc0
	v_cndmask_b32_sdwa v4, v5, v4, vcc_lo dst_sel:DWORD dst_unused:UNUSED_PAD src0_sel:DWORD src1_sel:WORD_1
	global_store_short v[2:3], v4, off
.LBB134_934:
	s_mov_b32 s8, 0
.LBB134_935:
	s_and_b32 vcc_lo, exec_lo, s8
	s_mov_b32 s8, 0
	s_cbranch_vccz .LBB134_937
; %bb.936:
	s_cmp_lg_u32 s7, 11
	s_mov_b32 s8, -1
	s_cselect_b32 s4, -1, 0
.LBB134_937:
	s_and_b32 vcc_lo, exec_lo, s4
	s_cbranch_vccnz .LBB134_1115
; %bb.938:
	s_andn2_b32 vcc_lo, exec_lo, s8
	s_cbranch_vccnz .LBB134_940
.LBB134_939:
	v_cmp_neq_f64_e32 vcc_lo, 0, v[36:37]
	s_mov_b32 s9, -1
	v_cndmask_b32_e64 v4, 0, 1, vcc_lo
	global_store_byte v[2:3], v4, off
.LBB134_940:
.LBB134_941:
	s_andn2_b32 vcc_lo, exec_lo, s9
	s_cbranch_vccnz .LBB134_1057
.LBB134_942:
	v_add_co_u32 v4, s4, s20, v44
	v_add_co_ci_u32_e64 v5, null, s21, 0, s4
	s_cmp_lt_i32 s5, 11
	s_cbranch_scc1 .LBB134_1102
; %bb.943:
	s_and_b32 s7, 0xffff, s5
	s_mov_b32 s9, -1
	s_mov_b32 s8, 0
	s_cmp_gt_i32 s7, 25
	s_mov_b32 s4, 0
	s_cbranch_scc0 .LBB134_976
; %bb.944:
	s_cmp_gt_i32 s7, 28
	s_cbranch_scc0 .LBB134_960
; %bb.945:
	s_cmp_gt_i32 s7, 43
	s_cbranch_scc0 .LBB134_956
; %bb.946:
	s_cmp_gt_i32 s7, 45
	s_cbranch_scc0 .LBB134_950
; %bb.947:
	s_cmp_eq_u32 s7, 46
	s_mov_b32 s4, -1
	s_cbranch_scc0 .LBB134_949
; %bb.948:
	v_cvt_f32_f64_e32 v2, v[0:1]
	s_mov_b32 s4, 0
	v_bfe_u32 v3, v2, 16, 1
	v_cmp_o_f32_e32 vcc_lo, v2, v2
	v_add3_u32 v2, v2, v3, 0x7fff
	v_mov_b32_e32 v3, 0x7fc0
	v_cndmask_b32_sdwa v2, v3, v2, vcc_lo dst_sel:DWORD dst_unused:UNUSED_PAD src0_sel:DWORD src1_sel:WORD_1
	global_store_dword v[4:5], v2, off
.LBB134_949:
	s_mov_b32 s9, 0
.LBB134_950:
	s_and_b32 vcc_lo, exec_lo, s9
	s_cbranch_vccz .LBB134_955
; %bb.951:
	s_cmp_eq_u32 s7, 44
	s_mov_b32 s4, -1
	s_cbranch_scc0 .LBB134_955
; %bb.952:
	v_cvt_f32_f64_e32 v2, v[0:1]
	v_mov_b32_e32 v3, 0xff
	s_mov_b32 s9, exec_lo
	v_bfe_u32 v6, v2, 23, 8
	v_cmpx_ne_u32_e32 0xff, v6
	s_cbranch_execz .LBB134_954
; %bb.953:
	v_and_b32_e32 v3, 0x400000, v2
	v_and_or_b32 v6, 0x3fffff, v2, v6
	v_lshrrev_b32_e32 v2, 23, v2
	v_cmp_ne_u32_e32 vcc_lo, 0, v3
	v_cmp_ne_u32_e64 s4, 0, v6
	s_and_b32 s4, vcc_lo, s4
	v_cndmask_b32_e64 v3, 0, 1, s4
	v_add_nc_u32_e32 v3, v2, v3
.LBB134_954:
	s_or_b32 exec_lo, exec_lo, s9
	s_mov_b32 s4, 0
	global_store_byte v[4:5], v3, off
.LBB134_955:
	s_mov_b32 s9, 0
.LBB134_956:
	s_and_b32 vcc_lo, exec_lo, s9
	s_cbranch_vccz .LBB134_959
; %bb.957:
	s_cmp_eq_u32 s7, 29
	s_mov_b32 s4, -1
	s_cbranch_scc0 .LBB134_959
; %bb.958:
	v_trunc_f64_e32 v[2:3], v[0:1]
	s_mov_b32 s4, 0
	v_ldexp_f64 v[6:7], v[2:3], 0xffffffe0
	v_floor_f64_e32 v[6:7], v[6:7]
	v_fma_f64 v[2:3], 0xc1f00000, v[6:7], v[2:3]
	v_cvt_u32_f64_e32 v7, v[6:7]
	v_cvt_u32_f64_e32 v6, v[2:3]
	global_store_dwordx2 v[4:5], v[6:7], off
.LBB134_959:
	s_mov_b32 s9, 0
.LBB134_960:
	s_and_b32 vcc_lo, exec_lo, s9
	s_cbranch_vccz .LBB134_975
; %bb.961:
	s_cmp_lt_i32 s7, 27
	s_mov_b32 s9, -1
	s_cbranch_scc1 .LBB134_967
; %bb.962:
	v_cvt_u32_f64_e32 v2, v[0:1]
	s_cmp_gt_i32 s7, 27
	s_cbranch_scc0 .LBB134_964
; %bb.963:
	s_mov_b32 s9, 0
	global_store_dword v[4:5], v2, off
.LBB134_964:
	s_andn2_b32 vcc_lo, exec_lo, s9
	s_cbranch_vccnz .LBB134_966
; %bb.965:
	global_store_short v[4:5], v2, off
.LBB134_966:
	s_mov_b32 s9, 0
.LBB134_967:
	s_andn2_b32 vcc_lo, exec_lo, s9
	s_cbranch_vccnz .LBB134_975
; %bb.968:
	v_cvt_f32_f64_e32 v2, v[0:1]
	v_mov_b32_e32 v6, 0x80
	s_mov_b32 s9, exec_lo
	v_and_b32_e32 v3, 0x7fffffff, v2
	v_cmpx_gt_u32_e32 0x43800000, v3
	s_cbranch_execz .LBB134_974
; %bb.969:
	v_cmp_lt_u32_e32 vcc_lo, 0x3bffffff, v3
	s_mov_b32 s10, 0
                                        ; implicit-def: $vgpr3
	s_and_saveexec_b32 s11, vcc_lo
	s_xor_b32 s11, exec_lo, s11
	s_cbranch_execz .LBB134_1118
; %bb.970:
	v_bfe_u32 v3, v2, 20, 1
	s_mov_b32 s10, exec_lo
	v_add3_u32 v3, v2, v3, 0x487ffff
	v_lshrrev_b32_e32 v3, 20, v3
	s_andn2_saveexec_b32 s11, s11
	s_cbranch_execnz .LBB134_1119
.LBB134_971:
	s_or_b32 exec_lo, exec_lo, s11
	v_mov_b32_e32 v6, 0
	s_and_saveexec_b32 s11, s10
.LBB134_972:
	v_lshrrev_b32_e32 v2, 24, v2
	v_and_or_b32 v6, 0x80, v2, v3
.LBB134_973:
	s_or_b32 exec_lo, exec_lo, s11
.LBB134_974:
	s_or_b32 exec_lo, exec_lo, s9
	global_store_byte v[4:5], v6, off
.LBB134_975:
	s_mov_b32 s9, 0
.LBB134_976:
	s_and_b32 vcc_lo, exec_lo, s9
	s_cbranch_vccz .LBB134_1016
; %bb.977:
	s_cmp_gt_i32 s7, 22
	s_mov_b32 s8, -1
	s_cbranch_scc0 .LBB134_1009
; %bb.978:
	s_cmp_lt_i32 s7, 24
	s_cbranch_scc1 .LBB134_998
; %bb.979:
	s_cmp_gt_i32 s7, 24
	s_cbranch_scc0 .LBB134_987
; %bb.980:
	v_cvt_f32_f64_e32 v2, v[0:1]
	v_mov_b32_e32 v6, 0x80
	s_mov_b32 s8, exec_lo
	v_and_b32_e32 v3, 0x7fffffff, v2
	v_cmpx_gt_u32_e32 0x47800000, v3
	s_cbranch_execz .LBB134_986
; %bb.981:
	v_cmp_lt_u32_e32 vcc_lo, 0x37ffffff, v3
	s_mov_b32 s9, 0
                                        ; implicit-def: $vgpr3
	s_and_saveexec_b32 s10, vcc_lo
	s_xor_b32 s10, exec_lo, s10
	s_cbranch_execz .LBB134_1123
; %bb.982:
	v_bfe_u32 v3, v2, 21, 1
	s_mov_b32 s9, exec_lo
	v_add3_u32 v3, v2, v3, 0x88fffff
	v_lshrrev_b32_e32 v3, 21, v3
	s_andn2_saveexec_b32 s10, s10
	s_cbranch_execnz .LBB134_1124
.LBB134_983:
	s_or_b32 exec_lo, exec_lo, s10
	v_mov_b32_e32 v6, 0
	s_and_saveexec_b32 s10, s9
.LBB134_984:
	v_lshrrev_b32_e32 v2, 24, v2
	v_and_or_b32 v6, 0x80, v2, v3
.LBB134_985:
	s_or_b32 exec_lo, exec_lo, s10
.LBB134_986:
	s_or_b32 exec_lo, exec_lo, s8
	s_mov_b32 s8, 0
	global_store_byte v[4:5], v6, off
.LBB134_987:
	s_and_b32 vcc_lo, exec_lo, s8
	s_cbranch_vccz .LBB134_997
; %bb.988:
	v_cvt_f32_f64_e32 v2, v[0:1]
	s_mov_b32 s8, exec_lo
                                        ; implicit-def: $vgpr3
	v_and_b32_e32 v6, 0x7fffffff, v2
	v_cmpx_gt_u32_e32 0x43f00000, v6
	s_xor_b32 s8, exec_lo, s8
	s_cbranch_execz .LBB134_994
; %bb.989:
	s_mov_b32 s9, exec_lo
                                        ; implicit-def: $vgpr3
	v_cmpx_lt_u32_e32 0x3c7fffff, v6
	s_xor_b32 s9, exec_lo, s9
; %bb.990:
	v_bfe_u32 v3, v2, 20, 1
	v_add3_u32 v3, v2, v3, 0x407ffff
	v_and_b32_e32 v6, 0xff00000, v3
	v_lshrrev_b32_e32 v3, 20, v3
	v_cmp_ne_u32_e32 vcc_lo, 0x7f00000, v6
	v_cndmask_b32_e32 v3, 0x7e, v3, vcc_lo
; %bb.991:
	s_andn2_saveexec_b32 s9, s9
; %bb.992:
	v_add_f32_e64 v3, 0x46800000, |v2|
; %bb.993:
	s_or_b32 exec_lo, exec_lo, s9
                                        ; implicit-def: $vgpr6
.LBB134_994:
	s_andn2_saveexec_b32 s8, s8
; %bb.995:
	v_mov_b32_e32 v3, 0x7f
	v_cmp_lt_u32_e32 vcc_lo, 0x7f800000, v6
	v_cndmask_b32_e32 v3, 0x7e, v3, vcc_lo
; %bb.996:
	s_or_b32 exec_lo, exec_lo, s8
	v_lshrrev_b32_e32 v2, 24, v2
	v_and_or_b32 v2, 0x80, v2, v3
	global_store_byte v[4:5], v2, off
.LBB134_997:
	s_mov_b32 s8, 0
.LBB134_998:
	s_andn2_b32 vcc_lo, exec_lo, s8
	s_cbranch_vccnz .LBB134_1008
; %bb.999:
	v_cvt_f32_f64_e32 v2, v[0:1]
	s_mov_b32 s8, exec_lo
                                        ; implicit-def: $vgpr3
	v_and_b32_e32 v6, 0x7fffffff, v2
	v_cmpx_gt_u32_e32 0x47800000, v6
	s_xor_b32 s8, exec_lo, s8
	s_cbranch_execz .LBB134_1005
; %bb.1000:
	s_mov_b32 s9, exec_lo
                                        ; implicit-def: $vgpr3
	v_cmpx_lt_u32_e32 0x387fffff, v6
	s_xor_b32 s9, exec_lo, s9
; %bb.1001:
	v_bfe_u32 v3, v2, 21, 1
	v_add3_u32 v3, v2, v3, 0x80fffff
	v_lshrrev_b32_e32 v3, 21, v3
; %bb.1002:
	s_andn2_saveexec_b32 s9, s9
; %bb.1003:
	v_add_f32_e64 v3, 0x43000000, |v2|
; %bb.1004:
	s_or_b32 exec_lo, exec_lo, s9
                                        ; implicit-def: $vgpr6
.LBB134_1005:
	s_andn2_saveexec_b32 s8, s8
; %bb.1006:
	v_mov_b32_e32 v3, 0x7f
	v_cmp_lt_u32_e32 vcc_lo, 0x7f800000, v6
	v_cndmask_b32_e32 v3, 0x7c, v3, vcc_lo
; %bb.1007:
	s_or_b32 exec_lo, exec_lo, s8
	v_lshrrev_b32_e32 v2, 24, v2
	v_and_or_b32 v2, 0x80, v2, v3
	global_store_byte v[4:5], v2, off
.LBB134_1008:
	s_mov_b32 s8, 0
.LBB134_1009:
	s_andn2_b32 vcc_lo, exec_lo, s8
	s_mov_b32 s8, 0
	s_cbranch_vccnz .LBB134_1016
; %bb.1010:
	s_cmp_gt_i32 s7, 14
	s_mov_b32 s8, -1
	s_cbranch_scc0 .LBB134_1014
; %bb.1011:
	s_cmp_eq_u32 s7, 15
	s_mov_b32 s4, -1
	s_cbranch_scc0 .LBB134_1013
; %bb.1012:
	v_cvt_f32_f64_e32 v2, v[0:1]
	s_mov_b32 s4, 0
	v_bfe_u32 v3, v2, 16, 1
	v_cmp_o_f32_e32 vcc_lo, v2, v2
	v_add3_u32 v2, v2, v3, 0x7fff
	v_mov_b32_e32 v3, 0x7fc0
	v_cndmask_b32_sdwa v2, v3, v2, vcc_lo dst_sel:DWORD dst_unused:UNUSED_PAD src0_sel:DWORD src1_sel:WORD_1
	global_store_short v[4:5], v2, off
.LBB134_1013:
	s_mov_b32 s8, 0
.LBB134_1014:
	s_and_b32 vcc_lo, exec_lo, s8
	s_mov_b32 s8, 0
	s_cbranch_vccz .LBB134_1016
; %bb.1015:
	s_cmp_lg_u32 s7, 11
	s_mov_b32 s8, -1
	s_cselect_b32 s4, -1, 0
.LBB134_1016:
	s_and_b32 vcc_lo, exec_lo, s4
	s_cbranch_vccnz .LBB134_1120
.LBB134_1017:
	s_mov_b32 s4, 0
	s_branch .LBB134_1058
.LBB134_1018:
	s_mov_b32 s9, 0
	s_cbranch_execz .LBB134_941
; %bb.1019:
	s_and_b32 s4, 0xffff, s5
	s_mov_b32 s7, -1
	s_cmp_lt_i32 s4, 5
	s_cbranch_scc1 .LBB134_1040
; %bb.1020:
	s_cmp_lt_i32 s4, 8
	s_cbranch_scc1 .LBB134_1030
; %bb.1021:
	;; [unrolled: 3-line block ×3, first 2 shown]
	s_cmp_gt_i32 s4, 9
	s_cbranch_scc0 .LBB134_1024
; %bb.1023:
	v_mov_b32_e32 v38, 0
	s_mov_b32 s7, 0
	v_mov_b32_e32 v39, v38
	global_store_dwordx4 v[2:3], v[36:39], off
.LBB134_1024:
	s_andn2_b32 vcc_lo, exec_lo, s7
	s_cbranch_vccnz .LBB134_1026
; %bb.1025:
	v_cvt_f32_f64_e32 v4, v[36:37]
	v_mov_b32_e32 v5, 0
	global_store_dwordx2 v[2:3], v[4:5], off
.LBB134_1026:
	s_mov_b32 s7, 0
.LBB134_1027:
	s_andn2_b32 vcc_lo, exec_lo, s7
	s_cbranch_vccnz .LBB134_1029
; %bb.1028:
	v_and_or_b32 v4, 0x1ff, v37, v36
	v_lshrrev_b32_e32 v5, 8, v37
	v_bfe_u32 v6, v37, 20, 11
	v_cmp_ne_u32_e32 vcc_lo, 0, v4
	v_sub_nc_u32_e32 v7, 0x3f1, v6
	v_add_nc_u32_e32 v6, 0xfffffc10, v6
	v_cndmask_b32_e64 v4, 0, 1, vcc_lo
	v_and_or_b32 v4, 0xffe, v5, v4
	v_med3_i32 v5, v7, 0, 13
	v_or_b32_e32 v7, 0x1000, v4
	v_lshrrev_b32_e32 v8, v5, v7
	v_lshlrev_b32_e32 v5, v5, v8
	v_cmp_ne_u32_e32 vcc_lo, v5, v7
	v_lshl_or_b32 v7, v6, 12, v4
	v_cndmask_b32_e64 v5, 0, 1, vcc_lo
	v_cmp_gt_i32_e32 vcc_lo, 1, v6
	v_or_b32_e32 v5, v8, v5
	v_cndmask_b32_e32 v5, v7, v5, vcc_lo
	v_and_b32_e32 v7, 7, v5
	v_lshrrev_b32_e32 v5, 2, v5
	v_cmp_lt_i32_e32 vcc_lo, 5, v7
	v_cndmask_b32_e64 v8, 0, 1, vcc_lo
	v_cmp_eq_u32_e32 vcc_lo, 3, v7
	v_cndmask_b32_e64 v7, 0, 1, vcc_lo
	v_cmp_ne_u32_e32 vcc_lo, 0, v4
	v_or_b32_e32 v7, v7, v8
	v_mov_b32_e32 v8, 0x7e00
	v_add_nc_u32_e32 v5, v5, v7
	v_cndmask_b32_e32 v4, 0x7c00, v8, vcc_lo
	v_cmp_gt_i32_e32 vcc_lo, 31, v6
	v_cndmask_b32_e32 v5, 0x7c00, v5, vcc_lo
	v_cmp_eq_u32_e32 vcc_lo, 0x40f, v6
	v_cndmask_b32_e32 v4, v5, v4, vcc_lo
	v_lshrrev_b32_e32 v5, 16, v37
	v_and_or_b32 v4, 0x8000, v5, v4
	v_and_b32_e32 v4, 0xffff, v4
	global_store_dword v[2:3], v4, off
.LBB134_1029:
	s_mov_b32 s7, 0
.LBB134_1030:
	s_andn2_b32 vcc_lo, exec_lo, s7
	s_cbranch_vccnz .LBB134_1039
; %bb.1031:
	s_cmp_lt_i32 s4, 6
	s_mov_b32 s7, -1
	s_cbranch_scc1 .LBB134_1037
; %bb.1032:
	s_cmp_gt_i32 s4, 6
	s_cbranch_scc0 .LBB134_1034
; %bb.1033:
	s_mov_b32 s7, 0
	global_store_dwordx2 v[2:3], v[36:37], off
.LBB134_1034:
	s_andn2_b32 vcc_lo, exec_lo, s7
	s_cbranch_vccnz .LBB134_1036
; %bb.1035:
	v_cvt_f32_f64_e32 v4, v[36:37]
	global_store_dword v[2:3], v4, off
.LBB134_1036:
	s_mov_b32 s7, 0
.LBB134_1037:
	s_andn2_b32 vcc_lo, exec_lo, s7
	s_cbranch_vccnz .LBB134_1039
; %bb.1038:
	v_and_or_b32 v4, 0x1ff, v37, v36
	v_lshrrev_b32_e32 v5, 8, v37
	v_bfe_u32 v6, v37, 20, 11
	v_cmp_ne_u32_e32 vcc_lo, 0, v4
	v_sub_nc_u32_e32 v7, 0x3f1, v6
	v_add_nc_u32_e32 v6, 0xfffffc10, v6
	v_cndmask_b32_e64 v4, 0, 1, vcc_lo
	v_and_or_b32 v4, 0xffe, v5, v4
	v_med3_i32 v5, v7, 0, 13
	v_or_b32_e32 v7, 0x1000, v4
	v_lshrrev_b32_e32 v8, v5, v7
	v_lshlrev_b32_e32 v5, v5, v8
	v_cmp_ne_u32_e32 vcc_lo, v5, v7
	v_lshl_or_b32 v7, v6, 12, v4
	v_cndmask_b32_e64 v5, 0, 1, vcc_lo
	v_cmp_gt_i32_e32 vcc_lo, 1, v6
	v_or_b32_e32 v5, v8, v5
	v_cndmask_b32_e32 v5, v7, v5, vcc_lo
	v_and_b32_e32 v7, 7, v5
	v_lshrrev_b32_e32 v5, 2, v5
	v_cmp_lt_i32_e32 vcc_lo, 5, v7
	v_cndmask_b32_e64 v8, 0, 1, vcc_lo
	v_cmp_eq_u32_e32 vcc_lo, 3, v7
	v_cndmask_b32_e64 v7, 0, 1, vcc_lo
	v_cmp_ne_u32_e32 vcc_lo, 0, v4
	v_or_b32_e32 v7, v7, v8
	v_mov_b32_e32 v8, 0x7e00
	v_add_nc_u32_e32 v5, v5, v7
	v_cndmask_b32_e32 v4, 0x7c00, v8, vcc_lo
	v_cmp_gt_i32_e32 vcc_lo, 31, v6
	v_cndmask_b32_e32 v5, 0x7c00, v5, vcc_lo
	v_cmp_eq_u32_e32 vcc_lo, 0x40f, v6
	v_cndmask_b32_e32 v4, v5, v4, vcc_lo
	v_lshrrev_b32_e32 v5, 16, v37
	v_and_or_b32 v4, 0x8000, v5, v4
	global_store_short v[2:3], v4, off
.LBB134_1039:
	s_mov_b32 s7, 0
.LBB134_1040:
	s_andn2_b32 vcc_lo, exec_lo, s7
	s_cbranch_vccnz .LBB134_1056
; %bb.1041:
	s_cmp_lt_i32 s4, 2
	s_mov_b32 s7, -1
	s_cbranch_scc1 .LBB134_1051
; %bb.1042:
	s_cmp_lt_i32 s4, 3
	s_cbranch_scc1 .LBB134_1048
; %bb.1043:
	s_cmp_gt_i32 s4, 3
	s_cbranch_scc0 .LBB134_1045
; %bb.1044:
	v_trunc_f64_e32 v[4:5], v[36:37]
	s_mov_b32 s7, 0
	v_ldexp_f64 v[6:7], v[4:5], 0xffffffe0
	v_floor_f64_e32 v[6:7], v[6:7]
	v_fma_f64 v[4:5], 0xc1f00000, v[6:7], v[4:5]
	v_cvt_i32_f64_e32 v6, v[6:7]
	v_cvt_u32_f64_e32 v5, v[4:5]
	global_store_dwordx2 v[2:3], v[5:6], off
.LBB134_1045:
	s_andn2_b32 vcc_lo, exec_lo, s7
	s_cbranch_vccnz .LBB134_1047
; %bb.1046:
	v_cvt_i32_f64_e32 v4, v[36:37]
	global_store_dword v[2:3], v4, off
.LBB134_1047:
	s_mov_b32 s7, 0
.LBB134_1048:
	s_andn2_b32 vcc_lo, exec_lo, s7
	s_cbranch_vccnz .LBB134_1050
; %bb.1049:
	v_cvt_i32_f64_e32 v4, v[36:37]
	global_store_short v[2:3], v4, off
.LBB134_1050:
	s_mov_b32 s7, 0
.LBB134_1051:
	s_andn2_b32 vcc_lo, exec_lo, s7
	s_cbranch_vccnz .LBB134_1056
; %bb.1052:
	s_cmp_gt_i32 s4, 0
	s_mov_b32 s4, -1
	s_cbranch_scc0 .LBB134_1054
; %bb.1053:
	v_cvt_i32_f64_e32 v4, v[36:37]
	s_mov_b32 s4, 0
	global_store_byte v[2:3], v4, off
.LBB134_1054:
	s_andn2_b32 vcc_lo, exec_lo, s4
	s_cbranch_vccnz .LBB134_1056
; %bb.1055:
	v_trunc_f64_e32 v[4:5], v[36:37]
	v_ldexp_f64 v[6:7], v[4:5], 0xffffffe0
	v_floor_f64_e32 v[6:7], v[6:7]
	v_fma_f64 v[4:5], 0xc1f00000, v[6:7], v[4:5]
	v_cvt_u32_f64_e32 v4, v[4:5]
	global_store_byte v[2:3], v4, off
.LBB134_1056:
	s_branch .LBB134_942
.LBB134_1057:
	s_mov_b32 s4, 0
	s_mov_b32 s8, 0
                                        ; implicit-def: $sgpr5
                                        ; implicit-def: $vgpr4_vgpr5
.LBB134_1058:
	s_andn2_b32 s7, s24, exec_lo
	s_and_b32 s6, s6, exec_lo
	s_and_b32 s4, s4, exec_lo
	;; [unrolled: 1-line block ×3, first 2 shown]
	s_or_b32 s24, s7, s6
.LBB134_1059:
	s_or_b32 exec_lo, exec_lo, s25
	s_and_saveexec_b32 s6, s24
	s_cbranch_execz .LBB134_1062
; %bb.1060:
	; divergent unreachable
	s_or_b32 exec_lo, exec_lo, s6
	s_and_saveexec_b32 s6, s43
	s_xor_b32 s6, exec_lo, s6
	s_cbranch_execnz .LBB134_1063
.LBB134_1061:
	s_or_b32 exec_lo, exec_lo, s6
	s_and_saveexec_b32 s6, s4
	s_cbranch_execnz .LBB134_1064
	s_branch .LBB134_1101
.LBB134_1062:
	s_or_b32 exec_lo, exec_lo, s6
	s_and_saveexec_b32 s6, s43
	s_xor_b32 s6, exec_lo, s6
	s_cbranch_execz .LBB134_1061
.LBB134_1063:
	v_cmp_neq_f64_e32 vcc_lo, 0, v[0:1]
	v_cndmask_b32_e64 v2, 0, 1, vcc_lo
	global_store_byte v[4:5], v2, off
	s_or_b32 exec_lo, exec_lo, s6
	s_and_saveexec_b32 s6, s4
	s_cbranch_execz .LBB134_1101
.LBB134_1064:
	s_sext_i32_i16 s6, s5
	s_mov_b32 s4, -1
	s_cmp_lt_i32 s6, 5
	s_cbranch_scc1 .LBB134_1085
; %bb.1065:
	s_cmp_lt_i32 s6, 8
	s_cbranch_scc1 .LBB134_1075
; %bb.1066:
	s_cmp_lt_i32 s6, 9
	s_cbranch_scc1 .LBB134_1072
; %bb.1067:
	s_cmp_gt_i32 s6, 9
	s_cbranch_scc0 .LBB134_1069
; %bb.1068:
	v_mov_b32_e32 v2, 0
	s_mov_b32 s4, 0
	v_mov_b32_e32 v3, v2
	global_store_dwordx4 v[4:5], v[0:3], off
.LBB134_1069:
	s_andn2_b32 vcc_lo, exec_lo, s4
	s_cbranch_vccnz .LBB134_1071
; %bb.1070:
	v_cvt_f32_f64_e32 v2, v[0:1]
	v_mov_b32_e32 v3, 0
	global_store_dwordx2 v[4:5], v[2:3], off
.LBB134_1071:
	s_mov_b32 s4, 0
.LBB134_1072:
	s_andn2_b32 vcc_lo, exec_lo, s4
	s_cbranch_vccnz .LBB134_1074
; %bb.1073:
	v_and_or_b32 v2, 0x1ff, v1, v0
	v_lshrrev_b32_e32 v3, 8, v1
	v_bfe_u32 v6, v1, 20, 11
	v_cmp_ne_u32_e32 vcc_lo, 0, v2
	v_sub_nc_u32_e32 v7, 0x3f1, v6
	v_add_nc_u32_e32 v6, 0xfffffc10, v6
	v_cndmask_b32_e64 v2, 0, 1, vcc_lo
	v_and_or_b32 v2, 0xffe, v3, v2
	v_med3_i32 v3, v7, 0, 13
	v_or_b32_e32 v7, 0x1000, v2
	v_lshrrev_b32_e32 v8, v3, v7
	v_lshlrev_b32_e32 v3, v3, v8
	v_cmp_ne_u32_e32 vcc_lo, v3, v7
	v_lshl_or_b32 v7, v6, 12, v2
	v_cndmask_b32_e64 v3, 0, 1, vcc_lo
	v_cmp_gt_i32_e32 vcc_lo, 1, v6
	v_or_b32_e32 v3, v8, v3
	v_cndmask_b32_e32 v3, v7, v3, vcc_lo
	v_and_b32_e32 v7, 7, v3
	v_lshrrev_b32_e32 v3, 2, v3
	v_cmp_lt_i32_e32 vcc_lo, 5, v7
	v_cndmask_b32_e64 v8, 0, 1, vcc_lo
	v_cmp_eq_u32_e32 vcc_lo, 3, v7
	v_cndmask_b32_e64 v7, 0, 1, vcc_lo
	v_cmp_ne_u32_e32 vcc_lo, 0, v2
	v_or_b32_e32 v7, v7, v8
	v_mov_b32_e32 v8, 0x7e00
	v_add_nc_u32_e32 v3, v3, v7
	v_cndmask_b32_e32 v2, 0x7c00, v8, vcc_lo
	v_cmp_gt_i32_e32 vcc_lo, 31, v6
	v_cndmask_b32_e32 v3, 0x7c00, v3, vcc_lo
	v_cmp_eq_u32_e32 vcc_lo, 0x40f, v6
	v_cndmask_b32_e32 v2, v3, v2, vcc_lo
	v_lshrrev_b32_e32 v3, 16, v1
	v_and_or_b32 v2, 0x8000, v3, v2
	v_and_b32_e32 v2, 0xffff, v2
	global_store_dword v[4:5], v2, off
.LBB134_1074:
	s_mov_b32 s4, 0
.LBB134_1075:
	s_andn2_b32 vcc_lo, exec_lo, s4
	s_cbranch_vccnz .LBB134_1084
; %bb.1076:
	s_sext_i32_i16 s6, s5
	s_mov_b32 s4, -1
	s_cmp_lt_i32 s6, 6
	s_cbranch_scc1 .LBB134_1082
; %bb.1077:
	s_cmp_gt_i32 s6, 6
	s_cbranch_scc0 .LBB134_1079
; %bb.1078:
	s_mov_b32 s4, 0
	global_store_dwordx2 v[4:5], v[0:1], off
.LBB134_1079:
	s_andn2_b32 vcc_lo, exec_lo, s4
	s_cbranch_vccnz .LBB134_1081
; %bb.1080:
	v_cvt_f32_f64_e32 v2, v[0:1]
	global_store_dword v[4:5], v2, off
.LBB134_1081:
	s_mov_b32 s4, 0
.LBB134_1082:
	s_andn2_b32 vcc_lo, exec_lo, s4
	s_cbranch_vccnz .LBB134_1084
; %bb.1083:
	v_and_or_b32 v2, 0x1ff, v1, v0
	v_lshrrev_b32_e32 v3, 8, v1
	v_bfe_u32 v6, v1, 20, 11
	v_cmp_ne_u32_e32 vcc_lo, 0, v2
	v_sub_nc_u32_e32 v7, 0x3f1, v6
	v_add_nc_u32_e32 v6, 0xfffffc10, v6
	v_cndmask_b32_e64 v2, 0, 1, vcc_lo
	v_and_or_b32 v2, 0xffe, v3, v2
	v_med3_i32 v3, v7, 0, 13
	v_or_b32_e32 v7, 0x1000, v2
	v_lshrrev_b32_e32 v8, v3, v7
	v_lshlrev_b32_e32 v3, v3, v8
	v_cmp_ne_u32_e32 vcc_lo, v3, v7
	v_lshl_or_b32 v7, v6, 12, v2
	v_cndmask_b32_e64 v3, 0, 1, vcc_lo
	v_cmp_gt_i32_e32 vcc_lo, 1, v6
	v_or_b32_e32 v3, v8, v3
	v_cndmask_b32_e32 v3, v7, v3, vcc_lo
	v_and_b32_e32 v7, 7, v3
	v_lshrrev_b32_e32 v3, 2, v3
	v_cmp_lt_i32_e32 vcc_lo, 5, v7
	v_cndmask_b32_e64 v8, 0, 1, vcc_lo
	v_cmp_eq_u32_e32 vcc_lo, 3, v7
	v_cndmask_b32_e64 v7, 0, 1, vcc_lo
	v_cmp_ne_u32_e32 vcc_lo, 0, v2
	v_or_b32_e32 v7, v7, v8
	v_mov_b32_e32 v8, 0x7e00
	v_add_nc_u32_e32 v3, v3, v7
	v_cndmask_b32_e32 v2, 0x7c00, v8, vcc_lo
	v_cmp_gt_i32_e32 vcc_lo, 31, v6
	v_cndmask_b32_e32 v3, 0x7c00, v3, vcc_lo
	v_cmp_eq_u32_e32 vcc_lo, 0x40f, v6
	v_cndmask_b32_e32 v2, v3, v2, vcc_lo
	v_lshrrev_b32_e32 v3, 16, v1
	v_and_or_b32 v2, 0x8000, v3, v2
	global_store_short v[4:5], v2, off
.LBB134_1084:
	s_mov_b32 s4, 0
.LBB134_1085:
	s_andn2_b32 vcc_lo, exec_lo, s4
	s_cbranch_vccnz .LBB134_1101
; %bb.1086:
	s_sext_i32_i16 s6, s5
	s_mov_b32 s4, -1
	s_cmp_lt_i32 s6, 2
	s_cbranch_scc1 .LBB134_1096
; %bb.1087:
	s_cmp_lt_i32 s6, 3
	s_cbranch_scc1 .LBB134_1093
; %bb.1088:
	s_cmp_gt_i32 s6, 3
	s_cbranch_scc0 .LBB134_1090
; %bb.1089:
	v_trunc_f64_e32 v[2:3], v[0:1]
	s_mov_b32 s4, 0
	v_ldexp_f64 v[6:7], v[2:3], 0xffffffe0
	v_floor_f64_e32 v[6:7], v[6:7]
	v_fma_f64 v[2:3], 0xc1f00000, v[6:7], v[2:3]
	v_cvt_i32_f64_e32 v7, v[6:7]
	v_cvt_u32_f64_e32 v6, v[2:3]
	global_store_dwordx2 v[4:5], v[6:7], off
.LBB134_1090:
	s_andn2_b32 vcc_lo, exec_lo, s4
	s_cbranch_vccnz .LBB134_1092
; %bb.1091:
	v_cvt_i32_f64_e32 v2, v[0:1]
	global_store_dword v[4:5], v2, off
.LBB134_1092:
	s_mov_b32 s4, 0
.LBB134_1093:
	s_andn2_b32 vcc_lo, exec_lo, s4
	s_cbranch_vccnz .LBB134_1095
; %bb.1094:
	v_cvt_i32_f64_e32 v2, v[0:1]
	global_store_short v[4:5], v2, off
.LBB134_1095:
	s_mov_b32 s4, 0
.LBB134_1096:
	s_andn2_b32 vcc_lo, exec_lo, s4
	s_cbranch_vccnz .LBB134_1101
; %bb.1097:
	s_sext_i32_i16 s4, s5
	s_cmp_gt_i32 s4, 0
	s_mov_b32 s4, -1
	s_cbranch_scc0 .LBB134_1099
; %bb.1098:
	v_cvt_i32_f64_e32 v2, v[0:1]
	s_mov_b32 s4, 0
	global_store_byte v[4:5], v2, off
.LBB134_1099:
	s_andn2_b32 vcc_lo, exec_lo, s4
	s_cbranch_vccnz .LBB134_1101
; %bb.1100:
	v_trunc_f64_e32 v[0:1], v[0:1]
	v_ldexp_f64 v[2:3], v[0:1], 0xffffffe0
	v_floor_f64_e32 v[2:3], v[2:3]
	v_fma_f64 v[0:1], 0xc1f00000, v[2:3], v[0:1]
	v_cvt_u32_f64_e32 v0, v[0:1]
	global_store_byte v[4:5], v0, off
	s_endpgm
.LBB134_1101:
	s_endpgm
.LBB134_1102:
	s_mov_b32 s8, 0
	s_mov_b32 s4, -1
	s_branch .LBB134_1058
.LBB134_1103:
	s_andn2_saveexec_b32 s10, s10
	s_cbranch_execz .LBB134_655
.LBB134_1104:
	v_add_f32_e64 v5, 0x46000000, |v4|
	s_andn2_b32 s9, s9, exec_lo
	v_and_b32_e32 v5, 0xff, v5
	v_cmp_ne_u32_e32 vcc_lo, 0, v5
	s_and_b32 s11, vcc_lo, exec_lo
	s_or_b32 s9, s9, s11
	s_or_b32 exec_lo, exec_lo, s10
	v_mov_b32_e32 v6, 0
	s_and_saveexec_b32 s10, s9
	s_cbranch_execnz .LBB134_656
	s_branch .LBB134_657
.LBB134_1105:
	s_or_b32 s6, s24, exec_lo
	s_trap 2
	s_cbranch_execz .LBB134_703
	s_branch .LBB134_704
.LBB134_1106:
	s_andn2_saveexec_b32 s9, s9
	s_cbranch_execz .LBB134_668
.LBB134_1107:
	v_add_f32_e64 v5, 0x42800000, |v4|
	s_andn2_b32 s8, s8, exec_lo
	v_and_b32_e32 v5, 0xff, v5
	v_cmp_ne_u32_e32 vcc_lo, 0, v5
	s_and_b32 s10, vcc_lo, exec_lo
	s_or_b32 s8, s8, s10
	s_or_b32 exec_lo, exec_lo, s9
	v_mov_b32_e32 v6, 0
	s_and_saveexec_b32 s9, s8
	s_cbranch_execnz .LBB134_669
	s_branch .LBB134_670
.LBB134_1108:
	s_andn2_saveexec_b32 s11, s11
	s_cbranch_execz .LBB134_773
.LBB134_1109:
	v_add_f32_e64 v5, 0x46000000, |v4|
	s_andn2_b32 s10, s10, exec_lo
	v_and_b32_e32 v5, 0xff, v5
	v_cmp_ne_u32_e32 vcc_lo, 0, v5
	s_and_b32 s12, vcc_lo, exec_lo
	s_or_b32 s10, s10, s12
	s_or_b32 exec_lo, exec_lo, s11
	v_mov_b32_e32 v6, 0
	s_and_saveexec_b32 s11, s10
	s_cbranch_execnz .LBB134_774
	s_branch .LBB134_775
.LBB134_1110:
	s_or_b32 s6, s6, exec_lo
	s_trap 2
	s_cbranch_execz .LBB134_821
	s_branch .LBB134_822
.LBB134_1111:
	s_andn2_saveexec_b32 s10, s10
	s_cbranch_execz .LBB134_786
.LBB134_1112:
	v_add_f32_e64 v5, 0x42800000, |v4|
	s_andn2_b32 s9, s9, exec_lo
	v_and_b32_e32 v5, 0xff, v5
	v_cmp_ne_u32_e32 vcc_lo, 0, v5
	s_and_b32 s11, vcc_lo, exec_lo
	s_or_b32 s9, s9, s11
	s_or_b32 exec_lo, exec_lo, s10
	v_mov_b32_e32 v6, 0
	s_and_saveexec_b32 s10, s9
	s_cbranch_execnz .LBB134_787
	s_branch .LBB134_788
.LBB134_1113:
	s_andn2_saveexec_b32 s11, s11
	s_cbranch_execz .LBB134_891
.LBB134_1114:
	v_add_f32_e64 v5, 0x46000000, |v4|
	s_andn2_b32 s10, s10, exec_lo
	v_and_b32_e32 v5, 0xff, v5
	v_cmp_ne_u32_e32 vcc_lo, 0, v5
	s_and_b32 s12, vcc_lo, exec_lo
	s_or_b32 s10, s10, s12
	s_or_b32 exec_lo, exec_lo, s11
	v_mov_b32_e32 v6, 0
	s_and_saveexec_b32 s11, s10
	s_cbranch_execnz .LBB134_892
	s_branch .LBB134_893
.LBB134_1115:
	s_or_b32 s6, s6, exec_lo
	s_trap 2
	s_cbranch_execz .LBB134_939
	s_branch .LBB134_940
.LBB134_1116:
	s_andn2_saveexec_b32 s10, s10
	s_cbranch_execz .LBB134_904
.LBB134_1117:
	v_add_f32_e64 v5, 0x42800000, |v4|
	s_andn2_b32 s9, s9, exec_lo
	v_and_b32_e32 v5, 0xff, v5
	v_cmp_ne_u32_e32 vcc_lo, 0, v5
	s_and_b32 s11, vcc_lo, exec_lo
	s_or_b32 s9, s9, s11
	s_or_b32 exec_lo, exec_lo, s10
	v_mov_b32_e32 v6, 0
	s_and_saveexec_b32 s10, s9
	s_cbranch_execnz .LBB134_905
	s_branch .LBB134_906
.LBB134_1118:
	s_andn2_saveexec_b32 s11, s11
	s_cbranch_execz .LBB134_971
.LBB134_1119:
	v_add_f32_e64 v3, 0x46000000, |v2|
	s_andn2_b32 s10, s10, exec_lo
	v_and_b32_e32 v3, 0xff, v3
	v_cmp_ne_u32_e32 vcc_lo, 0, v3
	s_and_b32 s12, vcc_lo, exec_lo
	s_or_b32 s10, s10, s12
	s_or_b32 exec_lo, exec_lo, s11
	v_mov_b32_e32 v6, 0
	s_and_saveexec_b32 s11, s10
	s_cbranch_execnz .LBB134_972
	s_branch .LBB134_973
.LBB134_1120:
	s_mov_b32 s8, 0
	s_or_b32 s6, s6, exec_lo
	s_trap 2
	s_branch .LBB134_1017
.LBB134_1121:
	s_andn2_saveexec_b32 s9, s9
	s_cbranch_execz .LBB134_480
.LBB134_1122:
	v_add_f32_e64 v3, 0x46000000, |v2|
	s_andn2_b32 s8, s8, exec_lo
	v_and_b32_e32 v3, 0xff, v3
	v_cmp_ne_u32_e32 vcc_lo, 0, v3
	s_and_b32 s10, vcc_lo, exec_lo
	s_or_b32 s8, s8, s10
	s_or_b32 exec_lo, exec_lo, s9
	v_mov_b32_e32 v6, 0
	s_and_saveexec_b32 s9, s8
	s_cbranch_execnz .LBB134_481
	s_branch .LBB134_482
.LBB134_1123:
	s_andn2_saveexec_b32 s10, s10
	s_cbranch_execz .LBB134_983
.LBB134_1124:
	v_add_f32_e64 v3, 0x42800000, |v2|
	s_andn2_b32 s9, s9, exec_lo
	v_and_b32_e32 v3, 0xff, v3
	v_cmp_ne_u32_e32 vcc_lo, 0, v3
	s_and_b32 s11, vcc_lo, exec_lo
	s_or_b32 s9, s9, s11
	s_or_b32 exec_lo, exec_lo, s10
	v_mov_b32_e32 v6, 0
	s_and_saveexec_b32 s10, s9
	s_cbranch_execnz .LBB134_984
	s_branch .LBB134_985
.LBB134_1125:
	s_andn2_saveexec_b32 s10, s10
	s_cbranch_execz .LBB134_492
.LBB134_1126:
	v_add_f32_e64 v3, 0x42800000, |v2|
	s_andn2_b32 s9, s9, exec_lo
	v_and_b32_e32 v3, 0xff, v3
	v_cmp_ne_u32_e32 vcc_lo, 0, v3
	s_and_b32 s11, vcc_lo, exec_lo
	s_or_b32 s9, s9, s11
	s_or_b32 exec_lo, exec_lo, s10
	v_mov_b32_e32 v6, 0
	s_and_saveexec_b32 s10, s9
	s_cbranch_execnz .LBB134_493
	s_branch .LBB134_494
	.section	.rodata,"a",@progbits
	.p2align	6, 0x0
	.amdhsa_kernel _ZN2at6native32elementwise_kernel_manual_unrollILi128ELi4EZNS0_15gpu_kernel_implIZZZNS0_18lgamma_kernel_cudaERNS_18TensorIteratorBaseEENKUlvE_clEvENKUlvE_clEvEUldE_EEvS4_RKT_EUlibE0_EEviT1_
		.amdhsa_group_segment_fixed_size 0
		.amdhsa_private_segment_fixed_size 0
		.amdhsa_kernarg_size 360
		.amdhsa_user_sgpr_count 6
		.amdhsa_user_sgpr_private_segment_buffer 1
		.amdhsa_user_sgpr_dispatch_ptr 0
		.amdhsa_user_sgpr_queue_ptr 0
		.amdhsa_user_sgpr_kernarg_segment_ptr 1
		.amdhsa_user_sgpr_dispatch_id 0
		.amdhsa_user_sgpr_flat_scratch_init 0
		.amdhsa_user_sgpr_private_segment_size 0
		.amdhsa_wavefront_size32 1
		.amdhsa_uses_dynamic_stack 0
		.amdhsa_system_sgpr_private_segment_wavefront_offset 0
		.amdhsa_system_sgpr_workgroup_id_x 1
		.amdhsa_system_sgpr_workgroup_id_y 0
		.amdhsa_system_sgpr_workgroup_id_z 0
		.amdhsa_system_sgpr_workgroup_info 0
		.amdhsa_system_vgpr_workitem_id 0
		.amdhsa_next_free_vgpr 52
		.amdhsa_next_free_sgpr 72
		.amdhsa_reserve_vcc 1
		.amdhsa_reserve_flat_scratch 0
		.amdhsa_float_round_mode_32 0
		.amdhsa_float_round_mode_16_64 0
		.amdhsa_float_denorm_mode_32 3
		.amdhsa_float_denorm_mode_16_64 3
		.amdhsa_dx10_clamp 1
		.amdhsa_ieee_mode 1
		.amdhsa_fp16_overflow 0
		.amdhsa_workgroup_processor_mode 1
		.amdhsa_memory_ordered 1
		.amdhsa_forward_progress 1
		.amdhsa_shared_vgpr_count 0
		.amdhsa_exception_fp_ieee_invalid_op 0
		.amdhsa_exception_fp_denorm_src 0
		.amdhsa_exception_fp_ieee_div_zero 0
		.amdhsa_exception_fp_ieee_overflow 0
		.amdhsa_exception_fp_ieee_underflow 0
		.amdhsa_exception_fp_ieee_inexact 0
		.amdhsa_exception_int_div_zero 0
	.end_amdhsa_kernel
	.section	.text._ZN2at6native32elementwise_kernel_manual_unrollILi128ELi4EZNS0_15gpu_kernel_implIZZZNS0_18lgamma_kernel_cudaERNS_18TensorIteratorBaseEENKUlvE_clEvENKUlvE_clEvEUldE_EEvS4_RKT_EUlibE0_EEviT1_,"axG",@progbits,_ZN2at6native32elementwise_kernel_manual_unrollILi128ELi4EZNS0_15gpu_kernel_implIZZZNS0_18lgamma_kernel_cudaERNS_18TensorIteratorBaseEENKUlvE_clEvENKUlvE_clEvEUldE_EEvS4_RKT_EUlibE0_EEviT1_,comdat
.Lfunc_end134:
	.size	_ZN2at6native32elementwise_kernel_manual_unrollILi128ELi4EZNS0_15gpu_kernel_implIZZZNS0_18lgamma_kernel_cudaERNS_18TensorIteratorBaseEENKUlvE_clEvENKUlvE_clEvEUldE_EEvS4_RKT_EUlibE0_EEviT1_, .Lfunc_end134-_ZN2at6native32elementwise_kernel_manual_unrollILi128ELi4EZNS0_15gpu_kernel_implIZZZNS0_18lgamma_kernel_cudaERNS_18TensorIteratorBaseEENKUlvE_clEvENKUlvE_clEvEUldE_EEvS4_RKT_EUlibE0_EEviT1_
                                        ; -- End function
	.set _ZN2at6native32elementwise_kernel_manual_unrollILi128ELi4EZNS0_15gpu_kernel_implIZZZNS0_18lgamma_kernel_cudaERNS_18TensorIteratorBaseEENKUlvE_clEvENKUlvE_clEvEUldE_EEvS4_RKT_EUlibE0_EEviT1_.num_vgpr, max(52, .L_ZN2at6native6invokeIZZZNS0_18lgamma_kernel_cudaERNS_18TensorIteratorBaseEENKUlvE_clEvENKUlvE_clEvEUldE_j15function_traitsIS6_EEENT1_11result_typeERKT_PrKPcPKT0_PKN3c1010ScalarTypeEi.num_vgpr)
	.set _ZN2at6native32elementwise_kernel_manual_unrollILi128ELi4EZNS0_15gpu_kernel_implIZZZNS0_18lgamma_kernel_cudaERNS_18TensorIteratorBaseEENKUlvE_clEvENKUlvE_clEvEUldE_EEvS4_RKT_EUlibE0_EEviT1_.num_agpr, max(0, .L_ZN2at6native6invokeIZZZNS0_18lgamma_kernel_cudaERNS_18TensorIteratorBaseEENKUlvE_clEvENKUlvE_clEvEUldE_j15function_traitsIS6_EEENT1_11result_typeERKT_PrKPcPKT0_PKN3c1010ScalarTypeEi.num_agpr)
	.set _ZN2at6native32elementwise_kernel_manual_unrollILi128ELi4EZNS0_15gpu_kernel_implIZZZNS0_18lgamma_kernel_cudaERNS_18TensorIteratorBaseEENKUlvE_clEvENKUlvE_clEvEUldE_EEvS4_RKT_EUlibE0_EEviT1_.numbered_sgpr, max(72, .L_ZN2at6native6invokeIZZZNS0_18lgamma_kernel_cudaERNS_18TensorIteratorBaseEENKUlvE_clEvENKUlvE_clEvEUldE_j15function_traitsIS6_EEENT1_11result_typeERKT_PrKPcPKT0_PKN3c1010ScalarTypeEi.numbered_sgpr)
	.set _ZN2at6native32elementwise_kernel_manual_unrollILi128ELi4EZNS0_15gpu_kernel_implIZZZNS0_18lgamma_kernel_cudaERNS_18TensorIteratorBaseEENKUlvE_clEvENKUlvE_clEvEUldE_EEvS4_RKT_EUlibE0_EEviT1_.num_named_barrier, max(0, .L_ZN2at6native6invokeIZZZNS0_18lgamma_kernel_cudaERNS_18TensorIteratorBaseEENKUlvE_clEvENKUlvE_clEvEUldE_j15function_traitsIS6_EEENT1_11result_typeERKT_PrKPcPKT0_PKN3c1010ScalarTypeEi.num_named_barrier)
	.set _ZN2at6native32elementwise_kernel_manual_unrollILi128ELi4EZNS0_15gpu_kernel_implIZZZNS0_18lgamma_kernel_cudaERNS_18TensorIteratorBaseEENKUlvE_clEvENKUlvE_clEvEUldE_EEvS4_RKT_EUlibE0_EEviT1_.private_seg_size, 0+max(.L_ZN2at6native6invokeIZZZNS0_18lgamma_kernel_cudaERNS_18TensorIteratorBaseEENKUlvE_clEvENKUlvE_clEvEUldE_j15function_traitsIS6_EEENT1_11result_typeERKT_PrKPcPKT0_PKN3c1010ScalarTypeEi.private_seg_size)
	.set _ZN2at6native32elementwise_kernel_manual_unrollILi128ELi4EZNS0_15gpu_kernel_implIZZZNS0_18lgamma_kernel_cudaERNS_18TensorIteratorBaseEENKUlvE_clEvENKUlvE_clEvEUldE_EEvS4_RKT_EUlibE0_EEviT1_.uses_vcc, or(1, .L_ZN2at6native6invokeIZZZNS0_18lgamma_kernel_cudaERNS_18TensorIteratorBaseEENKUlvE_clEvENKUlvE_clEvEUldE_j15function_traitsIS6_EEENT1_11result_typeERKT_PrKPcPKT0_PKN3c1010ScalarTypeEi.uses_vcc)
	.set _ZN2at6native32elementwise_kernel_manual_unrollILi128ELi4EZNS0_15gpu_kernel_implIZZZNS0_18lgamma_kernel_cudaERNS_18TensorIteratorBaseEENKUlvE_clEvENKUlvE_clEvEUldE_EEvS4_RKT_EUlibE0_EEviT1_.uses_flat_scratch, or(0, .L_ZN2at6native6invokeIZZZNS0_18lgamma_kernel_cudaERNS_18TensorIteratorBaseEENKUlvE_clEvENKUlvE_clEvEUldE_j15function_traitsIS6_EEENT1_11result_typeERKT_PrKPcPKT0_PKN3c1010ScalarTypeEi.uses_flat_scratch)
	.set _ZN2at6native32elementwise_kernel_manual_unrollILi128ELi4EZNS0_15gpu_kernel_implIZZZNS0_18lgamma_kernel_cudaERNS_18TensorIteratorBaseEENKUlvE_clEvENKUlvE_clEvEUldE_EEvS4_RKT_EUlibE0_EEviT1_.has_dyn_sized_stack, or(0, .L_ZN2at6native6invokeIZZZNS0_18lgamma_kernel_cudaERNS_18TensorIteratorBaseEENKUlvE_clEvENKUlvE_clEvEUldE_j15function_traitsIS6_EEENT1_11result_typeERKT_PrKPcPKT0_PKN3c1010ScalarTypeEi.has_dyn_sized_stack)
	.set _ZN2at6native32elementwise_kernel_manual_unrollILi128ELi4EZNS0_15gpu_kernel_implIZZZNS0_18lgamma_kernel_cudaERNS_18TensorIteratorBaseEENKUlvE_clEvENKUlvE_clEvEUldE_EEvS4_RKT_EUlibE0_EEviT1_.has_recursion, or(0, .L_ZN2at6native6invokeIZZZNS0_18lgamma_kernel_cudaERNS_18TensorIteratorBaseEENKUlvE_clEvENKUlvE_clEvEUldE_j15function_traitsIS6_EEENT1_11result_typeERKT_PrKPcPKT0_PKN3c1010ScalarTypeEi.has_recursion)
	.set _ZN2at6native32elementwise_kernel_manual_unrollILi128ELi4EZNS0_15gpu_kernel_implIZZZNS0_18lgamma_kernel_cudaERNS_18TensorIteratorBaseEENKUlvE_clEvENKUlvE_clEvEUldE_EEvS4_RKT_EUlibE0_EEviT1_.has_indirect_call, or(0, .L_ZN2at6native6invokeIZZZNS0_18lgamma_kernel_cudaERNS_18TensorIteratorBaseEENKUlvE_clEvENKUlvE_clEvEUldE_j15function_traitsIS6_EEENT1_11result_typeERKT_PrKPcPKT0_PKN3c1010ScalarTypeEi.has_indirect_call)
	.section	.AMDGPU.csdata,"",@progbits
; Kernel info:
; codeLenInByte = 25384
; TotalNumSgprs: 74
; NumVgprs: 52
; ScratchSize: 0
; MemoryBound: 0
; FloatMode: 240
; IeeeMode: 1
; LDSByteSize: 0 bytes/workgroup (compile time only)
; SGPRBlocks: 0
; VGPRBlocks: 6
; NumSGPRsForWavesPerEU: 74
; NumVGPRsForWavesPerEU: 52
; Occupancy: 16
; WaveLimiterHint : 1
; COMPUTE_PGM_RSRC2:SCRATCH_EN: 0
; COMPUTE_PGM_RSRC2:USER_SGPR: 6
; COMPUTE_PGM_RSRC2:TRAP_HANDLER: 0
; COMPUTE_PGM_RSRC2:TGID_X_EN: 1
; COMPUTE_PGM_RSRC2:TGID_Y_EN: 0
; COMPUTE_PGM_RSRC2:TGID_Z_EN: 0
; COMPUTE_PGM_RSRC2:TIDIG_COMP_CNT: 0
	.text
	.p2align	2                               ; -- Begin function _ZN2at6native25elementwise_kernel_helperILb0EZZZNS0_18lgamma_kernel_cudaERNS_18TensorIteratorBaseEENKUlvE_clEvENKUlvE0_clEvEUlfE_NS0_6memory8policies11unroll_baseILi256ESt5arrayIPcLm2EE23TrivialOffsetCalculatorILi1EjESE_NS7_15LoadWithoutCastENS7_16StoreWithoutCastELi4ELi1EEEEEvT0_T1_
	.type	_ZN2at6native25elementwise_kernel_helperILb0EZZZNS0_18lgamma_kernel_cudaERNS_18TensorIteratorBaseEENKUlvE_clEvENKUlvE0_clEvEUlfE_NS0_6memory8policies11unroll_baseILi256ESt5arrayIPcLm2EE23TrivialOffsetCalculatorILi1EjESE_NS7_15LoadWithoutCastENS7_16StoreWithoutCastELi4ELi1EEEEEvT0_T1_,@function
_ZN2at6native25elementwise_kernel_helperILb0EZZZNS0_18lgamma_kernel_cudaERNS_18TensorIteratorBaseEENKUlvE_clEvENKUlvE0_clEvEUlfE_NS0_6memory8policies11unroll_baseILi256ESt5arrayIPcLm2EE23TrivialOffsetCalculatorILi1EjESE_NS7_15LoadWithoutCastENS7_16StoreWithoutCastELi4ELi1EEEEEvT0_T1_: ; @_ZN2at6native25elementwise_kernel_helperILb0EZZZNS0_18lgamma_kernel_cudaERNS_18TensorIteratorBaseEENKUlvE_clEvENKUlvE0_clEvEUlfE_NS0_6memory8policies11unroll_baseILi256ESt5arrayIPcLm2EE23TrivialOffsetCalculatorILi1EjESE_NS7_15LoadWithoutCastENS7_16StoreWithoutCastELi4ELi1EEEEEvT0_T1_
; %bb.0:
	s_waitcnt vmcnt(0) expcnt(0) lgkmcnt(0)
	v_and_b32_e32 v7, 0x3ff, v31
	s_lshl_b32 s7, s12, 10
	v_mov_b32_e32 v11, 0
	v_mov_b32_e32 v13, 0
	v_cmp_lt_i32_e32 vcc_lo, v7, v4
	v_or_b32_e32 v5, s7, v7
	v_add_nc_u32_e32 v8, 0x100, v7
	v_mov_b32_e32 v10, v7
	s_and_saveexec_b32 s5, vcc_lo
	s_cbranch_execz .LBB135_2
; %bb.1:
	v_mov_b32_e32 v6, 0
	v_lshlrev_b64 v[9:10], 2, v[5:6]
	v_add_co_u32 v9, s4, v2, v9
	v_add_co_ci_u32_e64 v10, null, v3, v10, s4
	flat_load_dword v13, v[9:10]
	v_add_nc_u32_e32 v10, 0x100, v7
.LBB135_2:
	s_or_b32 exec_lo, exec_lo, s5
	s_mov_b32 s5, exec_lo
	v_cmpx_lt_i32_e64 v10, v4
	s_cbranch_execz .LBB135_4
; %bb.3:
	v_add_nc_u32_e32 v11, s7, v10
	v_mov_b32_e32 v12, 0
	v_add_nc_u32_e32 v10, 0x100, v10
	v_lshlrev_b64 v[11:12], 2, v[11:12]
	v_add_co_u32 v11, s4, v2, v11
	v_add_co_ci_u32_e64 v12, null, v3, v12, s4
	flat_load_dword v11, v[11:12]
.LBB135_4:
	s_or_b32 exec_lo, exec_lo, s5
	v_mov_b32_e32 v6, 0
	v_mov_b32_e32 v9, 0
	s_mov_b32 s5, exec_lo
	v_cmpx_lt_i32_e64 v10, v4
	s_cbranch_execz .LBB135_6
; %bb.5:
	v_add_nc_u32_e32 v14, s7, v10
	v_mov_b32_e32 v15, 0
	v_add_nc_u32_e32 v10, 0x100, v10
	v_lshlrev_b64 v[14:15], 2, v[14:15]
	v_add_co_u32 v14, s4, v2, v14
	v_add_co_ci_u32_e64 v15, null, v3, v15, s4
	flat_load_dword v9, v[14:15]
.LBB135_6:
	s_or_b32 exec_lo, exec_lo, s5
	s_mov_b32 s5, exec_lo
	v_cmpx_lt_i32_e64 v10, v4
	s_cbranch_execz .LBB135_8
; %bb.7:
	v_add_nc_u32_e32 v14, s7, v10
	v_mov_b32_e32 v15, 0
	v_lshlrev_b64 v[14:15], 2, v[14:15]
	v_add_co_u32 v2, s4, v2, v14
	v_add_co_ci_u32_e64 v3, null, v3, v15, s4
	flat_load_dword v6, v[2:3]
.LBB135_8:
	s_or_b32 exec_lo, exec_lo, s5
	v_mov_b32_e32 v2, 0
	v_mov_b32_e32 v12, v2
	v_mov_b32_e32 v10, v2
	v_mov_b32_e32 v3, v2
	s_and_saveexec_b32 s8, vcc_lo
	s_cbranch_execz .LBB135_48
; %bb.9:
	s_waitcnt vmcnt(0) lgkmcnt(0)
	v_and_b32_e32 v2, 0x7fffffff, v13
                                        ; implicit-def: $vgpr3
	s_mov_b32 s5, exec_lo
	v_cmpx_ngt_f32_e64 0x3c800000, |v13|
	s_xor_b32 s6, exec_lo, s5
	s_cbranch_execz .LBB135_39
; %bb.10:
                                        ; implicit-def: $vgpr3
	s_mov_b32 s5, exec_lo
	v_cmpx_nlt_f32_e64 |v13|, 2.0
	s_xor_b32 s9, exec_lo, s5
	s_cbranch_execz .LBB135_20
; %bb.11:
	s_mov_b32 s5, exec_lo
                                        ; implicit-def: $vgpr3
	v_cmpx_ngt_f32_e64 0x41000000, |v13|
	s_xor_b32 s5, exec_lo, s5
	s_cbranch_execz .LBB135_17
; %bb.12:
	s_mov_b32 s10, exec_lo
                                        ; implicit-def: $vgpr3
	v_cmpx_ngt_f32_e64 0x5c800000, |v13|
	s_xor_b32 s10, exec_lo, s10
	s_cbranch_execz .LBB135_14
; %bb.13:
	v_cmp_gt_f32_e64 s11, 0x800000, |v13|
	v_cndmask_b32_e64 v3, 0, 32, s11
	v_ldexp_f32 v3, |v13|, v3
	v_log_f32_e32 v3, v3
	v_mul_f32_e32 v10, 0x3f317217, v3
	v_cmp_gt_f32_e64 s4, 0x7f800000, |v3|
	v_fma_f32 v12, 0x3f317217, v3, -v10
	v_fmamk_f32 v12, v3, 0x3377d1cf, v12
	v_add_f32_e32 v10, v10, v12
	v_cndmask_b32_e64 v3, v3, v10, s4
	v_cndmask_b32_e64 v10, 0, 0x41b17218, s11
	v_sub_f32_e32 v3, v3, v10
	v_fma_f32 v3, |v13|, v3, -|v13|
.LBB135_14:
	s_andn2_saveexec_b32 s10, s10
	s_cbranch_execz .LBB135_16
; %bb.15:
	v_cmp_gt_f32_e64 s11, 0x800000, |v13|
	v_rcp_f32_e64 v10, |v13|
	s_mov_b32 s4, 0xbad5c4e8
	v_cndmask_b32_e64 v3, 0, 32, s11
	v_ldexp_f32 v3, |v13|, v3
	v_mul_f32_e32 v12, v10, v10
	v_log_f32_e32 v3, v3
	v_fmaak_f32 v15, s4, v12, 0x3a5b3dd2
	v_fmaak_f32 v15, v12, v15, 0xba1c065c
	v_mul_f32_e32 v14, 0x3f317217, v3
	v_fmaak_f32 v15, v12, v15, 0x3a500cfd
	v_cmp_gt_f32_e64 s4, 0x7f800000, |v3|
	v_fma_f32 v16, 0x3f317217, v3, -v14
	v_fmaak_f32 v15, v12, v15, 0xbb360b61
	v_fmamk_f32 v16, v3, 0x3377d1cf, v16
	v_fmaak_f32 v12, v12, v15, 0x3daaaaab
	v_add_f32_e32 v14, v14, v16
	v_cndmask_b32_e64 v3, v3, v14, s4
	v_cndmask_b32_e64 v14, 0, 0x41b17218, s11
	v_sub_f32_e32 v14, v3, v14
	v_fmaak_f32 v3, v10, v12, 0x3ed67f1d
	v_add_f32_e64 v10, |v13|, -0.5
	v_add_f32_e32 v12, -1.0, v14
	v_fmac_f32_e32 v3, v10, v12
.LBB135_16:
	s_or_b32 exec_lo, exec_lo, s10
.LBB135_17:
	s_andn2_saveexec_b32 s10, s5
	s_cbranch_execz .LBB135_19
; %bb.18:
	v_cvt_i32_f32_e32 v3, v2
	s_mov_b32 s5, 0x3805ff67
	v_cvt_f32_i32_e32 v10, v3
	v_cmp_lt_i32_e64 s4, 2, v3
	v_sub_f32_e64 v10, |v13|, v10
	v_add_f32_e32 v12, 2.0, v10
	v_add_f32_e32 v14, 0x40400000, v10
	v_add_f32_e32 v15, 4.0, v10
	v_add_f32_e32 v16, 0x40a00000, v10
	v_cndmask_b32_e64 v12, 1.0, v12, s4
	v_cmp_lt_i32_e64 s4, 3, v3
	v_cndmask_b32_e64 v14, 1.0, v14, s4
	v_cmp_lt_i32_e64 s4, 4, v3
	v_mul_f32_e32 v12, v12, v14
	v_cndmask_b32_e64 v15, 1.0, v15, s4
	v_cmp_lt_i32_e64 s4, 5, v3
	v_add_f32_e32 v14, 0x40c00000, v10
	v_mul_f32_e32 v12, v15, v12
	v_cndmask_b32_e64 v16, 1.0, v16, s4
	v_cmp_lt_i32_e64 s4, 6, v3
	v_fmaak_f32 v15, s5, v10, 0x3af135b4
	v_mul_f32_e32 v12, v16, v12
	v_cndmask_b32_e64 v3, 1.0, v14, s4
	s_mov_b32 s4, 0x36f5d7bd
	v_mul_f32_e32 v3, v3, v12
	v_fmaak_f32 v12, s4, v10, 0x3a4beed6
	v_cmp_gt_f32_e64 s4, 0x800000, v3
	v_fmaak_f32 v12, v10, v12, 0x3c98bf54
	v_cndmask_b32_e64 v14, 0, 32, s4
	v_fmaak_f32 v12, v10, v12, 0x3e300f6e
	v_ldexp_f32 v3, v3, v14
	v_fmaak_f32 v14, v10, v15, 0x3cda40e4
	v_fmaak_f32 v12, v10, v12, 0x3f38d0c5
	v_log_f32_e32 v3, v3
	v_fmaak_f32 v14, v10, v14, 0x3e15dce6
	v_fmaak_f32 v12, v10, v12, 0x3fb22d3b
	;; [unrolled: 1-line block ×3, first 2 shown]
	v_fma_f32 v12, v10, v12, 1.0
	v_mul_f32_e32 v15, 0x3f317217, v3
	v_fmaak_f32 v14, v10, v14, 0x3e5c245a
	v_rcp_f32_e32 v12, v12
	v_cmp_gt_f32_e64 s5, 0x7f800000, |v3|
	v_fma_f32 v16, 0x3f317217, v3, -v15
	v_fmaak_f32 v14, v10, v14, 0xbd9e233f
	v_fmamk_f32 v16, v3, 0x3377d1cf, v16
	v_mul_f32_e32 v14, v10, v14
	v_add_f32_e32 v15, v15, v16
	v_mul_f32_e32 v12, v14, v12
	v_cndmask_b32_e64 v14, 0, 0x41b17218, s4
	v_cndmask_b32_e64 v3, v3, v15, s5
	v_fmac_f32_e32 v12, 0.5, v10
	v_sub_f32_e32 v3, v3, v14
	v_add_f32_e32 v3, v3, v12
.LBB135_19:
	s_or_b32 exec_lo, exec_lo, s10
.LBB135_20:
	s_andn2_saveexec_b32 s9, s9
	s_cbranch_execz .LBB135_38
; %bb.21:
                                        ; implicit-def: $vgpr3
                                        ; implicit-def: $vgpr12
                                        ; implicit-def: $vgpr10
	s_mov_b32 s5, exec_lo
	v_cmpx_ge_f32_e64 0x3f666666, |v13|
	s_xor_b32 s10, exec_lo, s5
	s_cbranch_execz .LBB135_23
; %bb.22:
	v_cmp_gt_f32_e64 s5, 0x800000, |v13|
	v_sub_f32_e64 v14, 1.0, |v13|
	v_cmp_gt_f32_e64 s4, 0x3f3b4a23, |v13|
	v_cndmask_b32_e64 v3, 0, 32, s5
	v_cndmask_b32_e64 v15, 0, 0x41b17218, s5
	v_ldexp_f32 v3, |v13|, v3
	v_log_f32_e32 v3, v3
	v_mul_f32_e32 v10, 0x3f317217, v3
	v_cmp_gt_f32_e64 s5, 0x7f800000, |v3|
	v_fma_f32 v12, 0x3f317217, v3, -v10
	v_fmamk_f32 v12, v3, 0x3377d1cf, v12
	v_add_f32_e32 v10, v10, v12
	v_add_f32_e64 v12, 0xbeec5b0c, |v13|
	v_cndmask_b32_e64 v3, v3, v10, s5
	v_cndmask_b32_e64 v10, v14, v12, s4
	;; [unrolled: 1-line block ×3, first 2 shown]
	v_cmp_gt_f32_e64 s4, 0x3e6d3309, |v13|
	v_sub_f32_e32 v3, v3, v15
	v_cndmask_b32_e64 v10, v10, |v13|, s4
	v_cndmask_b32_e64 v12, v12, 2, s4
	v_xor_b32_e32 v3, 0x80000000, v3
.LBB135_23:
	s_andn2_saveexec_b32 s5, s10
	s_cbranch_execz .LBB135_25
; %bb.24:
	v_sub_f32_e64 v3, 2.0, |v13|
	v_add_f32_e64 v10, 0xbfbb16c3, |v13|
	v_cmp_gt_f32_e64 s4, 0x3fdda512, |v13|
	v_add_f32_e64 v12, |v13|, -1.0
	v_cndmask_b32_e64 v10, v3, v10, s4
	v_cndmask_b32_e64 v3, v3, 1.0, s4
	v_cmp_gt_f32_e64 s4, 0x3f9d70a4, |v13|
	v_cvt_i32_f32_e32 v3, v3
	v_cndmask_b32_e64 v10, v10, v12, s4
	v_cndmask_b32_e64 v12, v3, 2, s4
	v_mov_b32_e32 v3, 0
.LBB135_25:
	s_or_b32 exec_lo, exec_lo, s5
	s_mov_b32 s5, exec_lo
	v_cmpx_lt_i32_e32 0, v12
	s_xor_b32 s5, exec_lo, s5
	s_cbranch_execz .LBB135_33
; %bb.26:
	s_mov_b32 s10, exec_lo
	v_cmpx_lt_i32_e32 1, v12
	s_xor_b32 s10, exec_lo, s10
	s_cbranch_execz .LBB135_30
; %bb.27:
	s_mov_b32 s11, exec_lo
	v_cmpx_eq_u32_e32 2, v12
	s_cbranch_execz .LBB135_29
; %bb.28:
	s_mov_b32 s4, 0x3b52d5db
	v_fmaak_f32 v12, s4, v10, 0x3dd572af
	s_mov_b32 s4, 0x3c5b3c5e
	v_fmaak_f32 v14, s4, v10, 0x3e6a7578
	v_fmaak_f32 v12, v10, v12, 0x3f44efdf
	v_fmaak_f32 v14, v10, v14, 0x3f7a4bb2
	v_fmaak_f32 v12, v10, v12, 0x4008392d
	v_fmaak_f32 v14, v10, v14, 0x3fba3ae7
	v_fmaak_f32 v12, v10, v12, 0x401d2ebe
	v_fmaak_f32 v14, v10, v14, 0x3f2200f4
	v_fma_f32 v12, v10, v12, 1.0
	v_fmaak_f32 v14, v10, v14, 0xbd9e233f
	v_rcp_f32_e32 v12, v12
	v_mul_f32_e32 v14, v10, v14
	v_mul_f32_e32 v12, v14, v12
	v_fmac_f32_e32 v12, -0.5, v10
	v_add_f32_e32 v3, v3, v12
.LBB135_29:
	s_or_b32 exec_lo, exec_lo, s11
                                        ; implicit-def: $vgpr10
.LBB135_30:
	s_andn2_saveexec_b32 s4, s10
	s_cbranch_execz .LBB135_32
; %bb.31:
	v_mul_f32_e32 v12, v10, v10
	s_mov_b32 s10, 0xb9a3f927
	s_mov_b32 s11, 0x39afe9f7
	v_mul_f32_e32 v14, v10, v12
	v_fmaak_f32 v15, s10, v14, 0x3a66f867
	v_fmaak_f32 v16, s11, v14, 0xba0d3085
	s_mov_b32 s10, 0x39a57b6b
	v_fmaak_f32 v17, s10, v14, 0xbab7f476
	v_fmaak_f32 v15, v14, v15, 0xbb7177fe
	;; [unrolled: 1-line block ×9, first 2 shown]
	v_fmac_f32_e32 v15, v10, v16
	v_fmaak_f32 v10, v14, v17, 0x3ef7b95e
	v_fma_f32 v14, v14, -v15, 0xa2863e55
	v_fma_f32 v10, v12, v10, -v14
	v_add_f32_e32 v10, 0xbdf8cdce, v10
	v_add_f32_e32 v3, v3, v10
.LBB135_32:
	s_or_b32 exec_lo, exec_lo, s4
                                        ; implicit-def: $vgpr12
                                        ; implicit-def: $vgpr10
.LBB135_33:
	s_andn2_saveexec_b32 s5, s5
	s_cbranch_execz .LBB135_37
; %bb.34:
	s_mov_b32 s10, exec_lo
	v_cmpx_eq_u32_e32 0, v12
	s_cbranch_execz .LBB135_36
; %bb.35:
	v_mul_f32_e32 v12, v10, v10
	s_mov_b32 s4, 0x383c2c75
	v_fmaak_f32 v14, s4, v12, 0x38e28445
	s_mov_b32 s4, 0x37d383a2
	v_fmaak_f32 v15, s4, v12, 0x39679767
	v_fmaak_f32 v14, v12, v14, 0x3a05b634
	;; [unrolled: 1-line block ×9, first 2 shown]
	v_mul_f32_e32 v12, v12, v14
	v_fmac_f32_e32 v12, v10, v15
	v_fmac_f32_e32 v12, -0.5, v10
	v_add_f32_e32 v3, v3, v12
.LBB135_36:
	s_or_b32 exec_lo, exec_lo, s10
.LBB135_37:
	s_or_b32 exec_lo, exec_lo, s5
.LBB135_38:
	s_or_b32 exec_lo, exec_lo, s9
.LBB135_39:
	s_andn2_saveexec_b32 s5, s6
	s_cbranch_execz .LBB135_41
; %bb.40:
	v_cmp_gt_f32_e64 s6, 0x800000, |v13|
	s_mov_b32 s4, 0x3e8a8991
	v_fma_f32 v14, |v13|, s4, 0xbecd26ab
	v_cndmask_b32_e64 v3, 0, 32, s6
	v_ldexp_f32 v3, |v13|, v3
	v_log_f32_e32 v3, v3
	v_mul_f32_e32 v10, 0x3f317217, v3
	v_cmp_gt_f32_e64 s4, 0x7f800000, |v3|
	v_fma_f32 v12, 0x3f317217, v3, -v10
	v_fmamk_f32 v12, v3, 0x3377d1cf, v12
	v_add_f32_e32 v10, v10, v12
	v_fma_f32 v12, |v13|, v14, 0x3f528d33
	v_cndmask_b32_e64 v3, v3, v10, s4
	v_cndmask_b32_e64 v10, 0, 0x41b17218, s6
	v_fma_f32 v12, |v13|, v12, 0xbf13c468
	v_sub_f32_e32 v3, v3, v10
	v_fma_f32 v3, |v13|, v12, -v3
.LBB135_41:
	s_or_b32 exec_lo, exec_lo, s5
	v_cmp_le_f32_e64 s4, 0, v13
	s_mov_b32 s6, exec_lo
	v_cmpx_nle_f32_e32 0, v13
	s_xor_b32 s9, exec_lo, s6
	s_cbranch_execz .LBB135_45
; %bb.42:
	v_cmp_gt_f32_e64 s5, 0x4b000000, |v13|
	v_cmp_lt_f32_e64 s6, 0x35000000, |v13|
	s_and_b32 s5, s5, s6
	s_and_saveexec_b32 s10, s5
	s_cbranch_execz .LBB135_44
; %bb.43:
	v_mul_f32_e64 v10, |v13|, 0.5
	s_mov_b32 s6, 0x3d4be544
	v_xor_b32_e32 v2, v2, v13
	v_floor_f32_e32 v12, v10
	v_cmp_neq_f32_e64 s5, 0x7f800000, v10
	v_sub_f32_e32 v12, v10, v12
	v_min_f32_e32 v12, 0x3f7fffff, v12
	v_add_f32_e32 v12, v12, v12
	v_cndmask_b32_e64 v10, 0, v12, s5
	v_cmp_gt_f32_e64 s5, |v13|, 1.0
	v_cndmask_b32_e64 v10, |v13|, v10, s5
	s_mov_b32 s5, 0x3e75aa41
	v_add_f32_e32 v12, v10, v10
	v_rndne_f32_e32 v12, v12
	v_fmac_f32_e32 v10, -0.5, v12
	v_cvt_i32_f32_e32 v12, v12
	v_mul_f32_e32 v14, v10, v10
	v_fmaak_f32 v15, s5, v14, 0xbf1f24be
	v_fmaak_f32 v16, s6, v14, 0x3e642e9d
	v_mul_f32_e32 v17, v10, v14
	v_fmaak_f32 v15, v14, v15, 0x40234736
	v_fmaak_f32 v16, v14, v16, 0xbfaad1da
	;; [unrolled: 1-line block ×4, first 2 shown]
	v_mul_f32_e32 v15, v17, v15
	v_fmaak_f32 v16, v14, v16, 0xc09de9e6
	v_and_b32_e32 v17, 1, v12
	v_lshlrev_b32_e32 v12, 30, v12
	v_fmamk_f32 v10, v10, 0x40490fdb, v15
	v_fma_f32 v14, v14, v16, 1.0
	v_cmp_eq_u32_e64 s5, 0, v17
	v_and_b32_e32 v12, 0x80000000, v12
	v_cndmask_b32_e64 v10, v14, v10, s5
	v_xor3_b32 v2, v2, v12, v10
	v_mul_f32_e32 v2, v13, v2
	v_frexp_mant_f32_e64 v10, |v2|
	v_frexp_exp_i32_f32_e32 v2, v2
	v_rcp_f32_e32 v10, v10
	v_sub_nc_u32_e32 v2, 2, v2
	v_mul_f32_e32 v10, 0x3f490fdb, v10
	v_ldexp_f32 v2, v10, v2
	v_cmp_gt_f32_e64 s5, 0x800000, v2
	v_cndmask_b32_e64 v10, 0, 32, s5
	v_ldexp_f32 v2, v2, v10
	v_log_f32_e32 v2, v2
	v_mul_f32_e32 v10, 0x3f317217, v2
	v_cmp_gt_f32_e64 s6, 0x7f800000, |v2|
	v_fma_f32 v12, 0x3f317217, v2, -v10
	v_fmamk_f32 v12, v2, 0x3377d1cf, v12
	v_add_f32_e32 v10, v10, v12
	v_floor_f32_e32 v12, v13
	v_cndmask_b32_e64 v2, v2, v10, s6
	v_cndmask_b32_e64 v10, 0, 0x41b17218, s5
	v_sub_f32_e32 v12, v13, v12
	v_sub_f32_e32 v2, v2, v10
	v_min_f32_e32 v10, 0x3f7fffff, v12
	v_sub_f32_e32 v2, v2, v3
	v_cmp_neq_f32_e64 s5, 0, v10
	v_cndmask_b32_e64 v3, 0x7f800000, v2, s5
.LBB135_44:
	s_or_b32 exec_lo, exec_lo, s10
.LBB135_45:
	s_andn2_saveexec_b32 s9, s9
; %bb.46:
	v_cmp_eq_f32_e64 s5, 1.0, v13
	v_cmp_eq_f32_e64 s6, 2.0, v13
	s_or_b32 s5, s5, s6
	v_cndmask_b32_e64 v3, v3, 0, s5
; %bb.47:
	s_or_b32 exec_lo, exec_lo, s9
	v_cmp_gt_f32_e64 s5, 0x4b000000, |v13|
	v_mov_b32_e32 v12, 0
	s_or_b32 s4, s4, s5
	v_mov_b32_e32 v10, v12
	v_cndmask_b32_e64 v2, 0x7f800000, v3, s4
	v_cmp_class_f32_e64 s4, v13, 0x264
	v_mov_b32_e32 v3, v12
	v_cndmask_b32_e64 v2, v2, 0x7f800000, s4
	v_cmp_u_f32_e64 s4, v13, v13
	v_cndmask_b32_e64 v2, v2, v13, s4
.LBB135_48:
	s_or_b32 exec_lo, exec_lo, s8
	s_mov_b32 s8, exec_lo
	v_cmpx_lt_i32_e64 v8, v4
	s_cbranch_execz .LBB135_88
; %bb.49:
	s_waitcnt vmcnt(0) lgkmcnt(0)
	v_and_b32_e32 v12, 0x7fffffff, v11
                                        ; implicit-def: $vgpr13
	s_mov_b32 s5, exec_lo
	v_cmpx_ngt_f32_e64 0x3c800000, |v11|
	s_xor_b32 s6, exec_lo, s5
	s_cbranch_execz .LBB135_79
; %bb.50:
                                        ; implicit-def: $vgpr13
	s_mov_b32 s5, exec_lo
	v_cmpx_nlt_f32_e64 |v11|, 2.0
	s_xor_b32 s9, exec_lo, s5
	s_cbranch_execz .LBB135_60
; %bb.51:
	s_mov_b32 s5, exec_lo
                                        ; implicit-def: $vgpr13
	v_cmpx_ngt_f32_e64 0x41000000, |v11|
	s_xor_b32 s5, exec_lo, s5
	s_cbranch_execz .LBB135_57
; %bb.52:
	s_mov_b32 s10, exec_lo
                                        ; implicit-def: $vgpr13
	v_cmpx_ngt_f32_e64 0x5c800000, |v11|
	s_xor_b32 s10, exec_lo, s10
	s_cbranch_execz .LBB135_54
; %bb.53:
	v_cmp_gt_f32_e64 s11, 0x800000, |v11|
	v_cndmask_b32_e64 v13, 0, 32, s11
	v_ldexp_f32 v13, |v11|, v13
	v_log_f32_e32 v13, v13
	v_mul_f32_e32 v14, 0x3f317217, v13
	v_cmp_gt_f32_e64 s4, 0x7f800000, |v13|
	v_fma_f32 v15, 0x3f317217, v13, -v14
	v_fmamk_f32 v15, v13, 0x3377d1cf, v15
	v_add_f32_e32 v14, v14, v15
	v_cndmask_b32_e64 v13, v13, v14, s4
	v_cndmask_b32_e64 v14, 0, 0x41b17218, s11
	v_sub_f32_e32 v13, v13, v14
	v_fma_f32 v13, |v11|, v13, -|v11|
.LBB135_54:
	s_andn2_saveexec_b32 s10, s10
	s_cbranch_execz .LBB135_56
; %bb.55:
	v_cmp_gt_f32_e64 s11, 0x800000, |v11|
	v_rcp_f32_e64 v14, |v11|
	s_mov_b32 s4, 0xbad5c4e8
	v_cndmask_b32_e64 v13, 0, 32, s11
	v_ldexp_f32 v13, |v11|, v13
	v_mul_f32_e32 v15, v14, v14
	v_log_f32_e32 v13, v13
	v_fmaak_f32 v17, s4, v15, 0x3a5b3dd2
	v_fmaak_f32 v17, v15, v17, 0xba1c065c
	v_mul_f32_e32 v16, 0x3f317217, v13
	v_fmaak_f32 v17, v15, v17, 0x3a500cfd
	v_cmp_gt_f32_e64 s4, 0x7f800000, |v13|
	v_fma_f32 v18, 0x3f317217, v13, -v16
	v_fmaak_f32 v17, v15, v17, 0xbb360b61
	v_fmamk_f32 v18, v13, 0x3377d1cf, v18
	v_fmaak_f32 v15, v15, v17, 0x3daaaaab
	v_add_f32_e32 v16, v16, v18
	v_cndmask_b32_e64 v13, v13, v16, s4
	v_cndmask_b32_e64 v16, 0, 0x41b17218, s11
	v_sub_f32_e32 v16, v13, v16
	v_fmaak_f32 v13, v14, v15, 0x3ed67f1d
	v_add_f32_e64 v14, |v11|, -0.5
	v_add_f32_e32 v15, -1.0, v16
	v_fmac_f32_e32 v13, v14, v15
.LBB135_56:
	s_or_b32 exec_lo, exec_lo, s10
.LBB135_57:
	s_andn2_saveexec_b32 s10, s5
	s_cbranch_execz .LBB135_59
; %bb.58:
	v_cvt_i32_f32_e32 v13, v12
	s_mov_b32 s5, 0x3805ff67
	v_cvt_f32_i32_e32 v14, v13
	v_cmp_lt_i32_e64 s4, 2, v13
	v_sub_f32_e64 v14, |v11|, v14
	v_add_f32_e32 v15, 2.0, v14
	v_add_f32_e32 v16, 0x40400000, v14
	v_add_f32_e32 v17, 4.0, v14
	v_add_f32_e32 v18, 0x40a00000, v14
	v_cndmask_b32_e64 v15, 1.0, v15, s4
	v_cmp_lt_i32_e64 s4, 3, v13
	v_cndmask_b32_e64 v16, 1.0, v16, s4
	v_cmp_lt_i32_e64 s4, 4, v13
	v_mul_f32_e32 v15, v15, v16
	v_cndmask_b32_e64 v17, 1.0, v17, s4
	v_cmp_lt_i32_e64 s4, 5, v13
	v_add_f32_e32 v16, 0x40c00000, v14
	v_mul_f32_e32 v15, v17, v15
	v_cndmask_b32_e64 v18, 1.0, v18, s4
	v_cmp_lt_i32_e64 s4, 6, v13
	v_fmaak_f32 v17, s5, v14, 0x3af135b4
	v_mul_f32_e32 v15, v18, v15
	v_cndmask_b32_e64 v13, 1.0, v16, s4
	s_mov_b32 s4, 0x36f5d7bd
	v_mul_f32_e32 v13, v13, v15
	v_fmaak_f32 v15, s4, v14, 0x3a4beed6
	v_cmp_gt_f32_e64 s4, 0x800000, v13
	v_fmaak_f32 v15, v14, v15, 0x3c98bf54
	v_cndmask_b32_e64 v16, 0, 32, s4
	v_fmaak_f32 v15, v14, v15, 0x3e300f6e
	v_ldexp_f32 v13, v13, v16
	v_fmaak_f32 v16, v14, v17, 0x3cda40e4
	v_fmaak_f32 v15, v14, v15, 0x3f38d0c5
	v_log_f32_e32 v13, v13
	v_fmaak_f32 v16, v14, v16, 0x3e15dce6
	v_fmaak_f32 v15, v14, v15, 0x3fb22d3b
	;; [unrolled: 1-line block ×3, first 2 shown]
	v_fma_f32 v15, v14, v15, 1.0
	v_mul_f32_e32 v17, 0x3f317217, v13
	v_fmaak_f32 v16, v14, v16, 0x3e5c245a
	v_rcp_f32_e32 v15, v15
	v_cmp_gt_f32_e64 s5, 0x7f800000, |v13|
	v_fma_f32 v18, 0x3f317217, v13, -v17
	v_fmaak_f32 v16, v14, v16, 0xbd9e233f
	v_fmamk_f32 v18, v13, 0x3377d1cf, v18
	v_mul_f32_e32 v16, v14, v16
	v_add_f32_e32 v17, v17, v18
	v_mul_f32_e32 v15, v16, v15
	v_cndmask_b32_e64 v16, 0, 0x41b17218, s4
	v_cndmask_b32_e64 v13, v13, v17, s5
	v_fmac_f32_e32 v15, 0.5, v14
	v_sub_f32_e32 v13, v13, v16
	v_add_f32_e32 v13, v13, v15
.LBB135_59:
	s_or_b32 exec_lo, exec_lo, s10
.LBB135_60:
	s_andn2_saveexec_b32 s9, s9
	s_cbranch_execz .LBB135_78
; %bb.61:
                                        ; implicit-def: $vgpr13
                                        ; implicit-def: $vgpr15
                                        ; implicit-def: $vgpr14
	s_mov_b32 s5, exec_lo
	v_cmpx_ge_f32_e64 0x3f666666, |v11|
	s_xor_b32 s10, exec_lo, s5
	s_cbranch_execz .LBB135_63
; %bb.62:
	v_cmp_gt_f32_e64 s5, 0x800000, |v11|
	v_sub_f32_e64 v16, 1.0, |v11|
	v_cmp_gt_f32_e64 s4, 0x3f3b4a23, |v11|
	v_cndmask_b32_e64 v13, 0, 32, s5
	v_cndmask_b32_e64 v17, 0, 0x41b17218, s5
	v_ldexp_f32 v13, |v11|, v13
	v_log_f32_e32 v13, v13
	v_mul_f32_e32 v14, 0x3f317217, v13
	v_cmp_gt_f32_e64 s5, 0x7f800000, |v13|
	v_fma_f32 v15, 0x3f317217, v13, -v14
	v_fmamk_f32 v15, v13, 0x3377d1cf, v15
	v_add_f32_e32 v14, v14, v15
	v_add_f32_e64 v15, 0xbeec5b0c, |v11|
	v_cndmask_b32_e64 v13, v13, v14, s5
	v_cndmask_b32_e64 v14, v16, v15, s4
	;; [unrolled: 1-line block ×3, first 2 shown]
	v_cmp_gt_f32_e64 s4, 0x3e6d3309, |v11|
	v_sub_f32_e32 v13, v13, v17
	v_cndmask_b32_e64 v14, v14, |v11|, s4
	v_cndmask_b32_e64 v15, v15, 2, s4
	v_xor_b32_e32 v13, 0x80000000, v13
.LBB135_63:
	s_andn2_saveexec_b32 s5, s10
	s_cbranch_execz .LBB135_65
; %bb.64:
	v_sub_f32_e64 v13, 2.0, |v11|
	v_add_f32_e64 v14, 0xbfbb16c3, |v11|
	v_cmp_gt_f32_e64 s4, 0x3fdda512, |v11|
	v_add_f32_e64 v15, |v11|, -1.0
	v_cndmask_b32_e64 v14, v13, v14, s4
	v_cndmask_b32_e64 v13, v13, 1.0, s4
	v_cmp_gt_f32_e64 s4, 0x3f9d70a4, |v11|
	v_cvt_i32_f32_e32 v13, v13
	v_cndmask_b32_e64 v14, v14, v15, s4
	v_cndmask_b32_e64 v15, v13, 2, s4
	v_mov_b32_e32 v13, 0
.LBB135_65:
	s_or_b32 exec_lo, exec_lo, s5
	s_mov_b32 s5, exec_lo
	v_cmpx_lt_i32_e32 0, v15
	s_xor_b32 s5, exec_lo, s5
	s_cbranch_execz .LBB135_73
; %bb.66:
	s_mov_b32 s10, exec_lo
	v_cmpx_lt_i32_e32 1, v15
	s_xor_b32 s10, exec_lo, s10
	s_cbranch_execz .LBB135_70
; %bb.67:
	s_mov_b32 s11, exec_lo
	v_cmpx_eq_u32_e32 2, v15
	s_cbranch_execz .LBB135_69
; %bb.68:
	s_mov_b32 s4, 0x3b52d5db
	v_fmaak_f32 v15, s4, v14, 0x3dd572af
	s_mov_b32 s4, 0x3c5b3c5e
	v_fmaak_f32 v16, s4, v14, 0x3e6a7578
	v_fmaak_f32 v15, v14, v15, 0x3f44efdf
	;; [unrolled: 1-line block ×7, first 2 shown]
	v_fma_f32 v15, v14, v15, 1.0
	v_fmaak_f32 v16, v14, v16, 0xbd9e233f
	v_rcp_f32_e32 v15, v15
	v_mul_f32_e32 v16, v14, v16
	v_mul_f32_e32 v15, v16, v15
	v_fmac_f32_e32 v15, -0.5, v14
	v_add_f32_e32 v13, v13, v15
.LBB135_69:
	s_or_b32 exec_lo, exec_lo, s11
                                        ; implicit-def: $vgpr14
.LBB135_70:
	s_andn2_saveexec_b32 s4, s10
	s_cbranch_execz .LBB135_72
; %bb.71:
	v_mul_f32_e32 v15, v14, v14
	s_mov_b32 s10, 0xb9a3f927
	s_mov_b32 s11, 0x39afe9f7
	v_mul_f32_e32 v16, v14, v15
	v_fmaak_f32 v17, s10, v16, 0x3a66f867
	v_fmaak_f32 v18, s11, v16, 0xba0d3085
	s_mov_b32 s10, 0x39a57b6b
	v_fmaak_f32 v19, s10, v16, 0xbab7f476
	v_fmaak_f32 v17, v16, v17, 0xbb7177fe
	;; [unrolled: 1-line block ×9, first 2 shown]
	v_fmac_f32_e32 v17, v14, v18
	v_fmaak_f32 v14, v16, v19, 0x3ef7b95e
	v_fma_f32 v16, v16, -v17, 0xa2863e55
	v_fma_f32 v14, v15, v14, -v16
	v_add_f32_e32 v14, 0xbdf8cdce, v14
	v_add_f32_e32 v13, v13, v14
.LBB135_72:
	s_or_b32 exec_lo, exec_lo, s4
                                        ; implicit-def: $vgpr15
                                        ; implicit-def: $vgpr14
.LBB135_73:
	s_andn2_saveexec_b32 s5, s5
	s_cbranch_execz .LBB135_77
; %bb.74:
	s_mov_b32 s10, exec_lo
	v_cmpx_eq_u32_e32 0, v15
	s_cbranch_execz .LBB135_76
; %bb.75:
	v_mul_f32_e32 v15, v14, v14
	s_mov_b32 s4, 0x383c2c75
	v_fmaak_f32 v16, s4, v15, 0x38e28445
	s_mov_b32 s4, 0x37d383a2
	v_fmaak_f32 v17, s4, v15, 0x39679767
	v_fmaak_f32 v16, v15, v16, 0x3a05b634
	;; [unrolled: 1-line block ×9, first 2 shown]
	v_mul_f32_e32 v15, v15, v16
	v_fmac_f32_e32 v15, v14, v17
	v_fmac_f32_e32 v15, -0.5, v14
	v_add_f32_e32 v13, v13, v15
.LBB135_76:
	s_or_b32 exec_lo, exec_lo, s10
.LBB135_77:
	s_or_b32 exec_lo, exec_lo, s5
.LBB135_78:
	s_or_b32 exec_lo, exec_lo, s9
.LBB135_79:
	s_andn2_saveexec_b32 s5, s6
	s_cbranch_execz .LBB135_81
; %bb.80:
	v_cmp_gt_f32_e64 s6, 0x800000, |v11|
	s_mov_b32 s4, 0x3e8a8991
	v_fma_f32 v16, |v11|, s4, 0xbecd26ab
	v_cndmask_b32_e64 v13, 0, 32, s6
	v_ldexp_f32 v13, |v11|, v13
	v_log_f32_e32 v13, v13
	v_mul_f32_e32 v14, 0x3f317217, v13
	v_cmp_gt_f32_e64 s4, 0x7f800000, |v13|
	v_fma_f32 v15, 0x3f317217, v13, -v14
	v_fmamk_f32 v15, v13, 0x3377d1cf, v15
	v_add_f32_e32 v14, v14, v15
	v_fma_f32 v15, |v11|, v16, 0x3f528d33
	v_cndmask_b32_e64 v13, v13, v14, s4
	v_cndmask_b32_e64 v14, 0, 0x41b17218, s6
	v_fma_f32 v15, |v11|, v15, 0xbf13c468
	v_sub_f32_e32 v13, v13, v14
	v_fma_f32 v13, |v11|, v15, -v13
.LBB135_81:
	s_or_b32 exec_lo, exec_lo, s5
	v_cmp_le_f32_e64 s4, 0, v11
	s_mov_b32 s6, exec_lo
	v_cmpx_nle_f32_e32 0, v11
	s_xor_b32 s9, exec_lo, s6
	s_cbranch_execz .LBB135_85
; %bb.82:
	v_cmp_gt_f32_e64 s5, 0x4b000000, |v11|
	v_cmp_lt_f32_e64 s6, 0x35000000, |v11|
	s_and_b32 s5, s5, s6
	s_and_saveexec_b32 s10, s5
	s_cbranch_execz .LBB135_84
; %bb.83:
	v_mul_f32_e64 v14, |v11|, 0.5
	s_mov_b32 s6, 0x3d4be544
	v_xor_b32_e32 v12, v12, v11
	v_floor_f32_e32 v15, v14
	v_cmp_neq_f32_e64 s5, 0x7f800000, v14
	v_sub_f32_e32 v15, v14, v15
	v_min_f32_e32 v15, 0x3f7fffff, v15
	v_add_f32_e32 v15, v15, v15
	v_cndmask_b32_e64 v14, 0, v15, s5
	v_cmp_gt_f32_e64 s5, |v11|, 1.0
	v_cndmask_b32_e64 v14, |v11|, v14, s5
	s_mov_b32 s5, 0x3e75aa41
	v_add_f32_e32 v15, v14, v14
	v_rndne_f32_e32 v15, v15
	v_fmac_f32_e32 v14, -0.5, v15
	v_cvt_i32_f32_e32 v15, v15
	v_mul_f32_e32 v16, v14, v14
	v_fmaak_f32 v17, s5, v16, 0xbf1f24be
	v_fmaak_f32 v18, s6, v16, 0x3e642e9d
	v_mul_f32_e32 v19, v14, v16
	v_fmaak_f32 v17, v16, v17, 0x40234736
	v_fmaak_f32 v18, v16, v18, 0xbfaad1da
	;; [unrolled: 1-line block ×4, first 2 shown]
	v_mul_f32_e32 v17, v19, v17
	v_fmaak_f32 v18, v16, v18, 0xc09de9e6
	v_and_b32_e32 v19, 1, v15
	v_lshlrev_b32_e32 v15, 30, v15
	v_fmamk_f32 v14, v14, 0x40490fdb, v17
	v_fma_f32 v16, v16, v18, 1.0
	v_cmp_eq_u32_e64 s5, 0, v19
	v_and_b32_e32 v15, 0x80000000, v15
	v_cndmask_b32_e64 v14, v16, v14, s5
	v_xor3_b32 v12, v12, v15, v14
	v_mul_f32_e32 v12, v11, v12
	v_frexp_mant_f32_e64 v14, |v12|
	v_frexp_exp_i32_f32_e32 v12, v12
	v_rcp_f32_e32 v14, v14
	v_sub_nc_u32_e32 v12, 2, v12
	v_mul_f32_e32 v14, 0x3f490fdb, v14
	v_ldexp_f32 v12, v14, v12
	v_cmp_gt_f32_e64 s5, 0x800000, v12
	v_cndmask_b32_e64 v14, 0, 32, s5
	v_ldexp_f32 v12, v12, v14
	v_log_f32_e32 v12, v12
	v_mul_f32_e32 v14, 0x3f317217, v12
	v_cmp_gt_f32_e64 s6, 0x7f800000, |v12|
	v_fma_f32 v15, 0x3f317217, v12, -v14
	v_fmamk_f32 v15, v12, 0x3377d1cf, v15
	v_add_f32_e32 v14, v14, v15
	v_floor_f32_e32 v15, v11
	v_cndmask_b32_e64 v12, v12, v14, s6
	v_cndmask_b32_e64 v14, 0, 0x41b17218, s5
	v_sub_f32_e32 v15, v11, v15
	v_sub_f32_e32 v12, v12, v14
	v_min_f32_e32 v14, 0x3f7fffff, v15
	v_sub_f32_e32 v12, v12, v13
	v_cmp_neq_f32_e64 s5, 0, v14
	v_cndmask_b32_e64 v13, 0x7f800000, v12, s5
.LBB135_84:
	s_or_b32 exec_lo, exec_lo, s10
.LBB135_85:
	s_andn2_saveexec_b32 s9, s9
; %bb.86:
	v_cmp_eq_f32_e64 s5, 1.0, v11
	v_cmp_eq_f32_e64 s6, 2.0, v11
	s_or_b32 s5, s5, s6
	v_cndmask_b32_e64 v13, v13, 0, s5
; %bb.87:
	s_or_b32 exec_lo, exec_lo, s9
	v_cmp_gt_f32_e64 s5, 0x4b000000, |v11|
	s_or_b32 s4, s4, s5
	v_cndmask_b32_e64 v12, 0x7f800000, v13, s4
	v_cmp_class_f32_e64 s4, v11, 0x264
	v_cndmask_b32_e64 v12, v12, 0x7f800000, s4
	v_cmp_u_f32_e64 s4, v11, v11
	v_cndmask_b32_e64 v12, v12, v11, s4
.LBB135_88:
	s_or_b32 exec_lo, exec_lo, s8
	s_waitcnt vmcnt(0) lgkmcnt(0)
	v_add_nc_u32_e32 v11, 0x200, v7
	s_mov_b32 s8, exec_lo
	v_cmpx_lt_i32_e64 v11, v4
	s_cbranch_execz .LBB135_128
; %bb.89:
	v_and_b32_e32 v10, 0x7fffffff, v9
                                        ; implicit-def: $vgpr11
	s_mov_b32 s5, exec_lo
	v_cmpx_ngt_f32_e64 0x3c800000, |v9|
	s_xor_b32 s6, exec_lo, s5
	s_cbranch_execz .LBB135_119
; %bb.90:
                                        ; implicit-def: $vgpr11
	s_mov_b32 s5, exec_lo
	v_cmpx_nlt_f32_e64 |v9|, 2.0
	s_xor_b32 s9, exec_lo, s5
	s_cbranch_execz .LBB135_100
; %bb.91:
	s_mov_b32 s5, exec_lo
                                        ; implicit-def: $vgpr11
	v_cmpx_ngt_f32_e64 0x41000000, |v9|
	s_xor_b32 s5, exec_lo, s5
	s_cbranch_execz .LBB135_97
; %bb.92:
	s_mov_b32 s10, exec_lo
                                        ; implicit-def: $vgpr11
	v_cmpx_ngt_f32_e64 0x5c800000, |v9|
	s_xor_b32 s10, exec_lo, s10
	s_cbranch_execz .LBB135_94
; %bb.93:
	v_cmp_gt_f32_e64 s11, 0x800000, |v9|
	v_cndmask_b32_e64 v11, 0, 32, s11
	v_ldexp_f32 v11, |v9|, v11
	v_log_f32_e32 v11, v11
	v_mul_f32_e32 v13, 0x3f317217, v11
	v_cmp_gt_f32_e64 s4, 0x7f800000, |v11|
	v_fma_f32 v14, 0x3f317217, v11, -v13
	v_fmamk_f32 v14, v11, 0x3377d1cf, v14
	v_add_f32_e32 v13, v13, v14
	v_cndmask_b32_e64 v11, v11, v13, s4
	v_cndmask_b32_e64 v13, 0, 0x41b17218, s11
	v_sub_f32_e32 v11, v11, v13
	v_fma_f32 v11, |v9|, v11, -|v9|
.LBB135_94:
	s_andn2_saveexec_b32 s10, s10
	s_cbranch_execz .LBB135_96
; %bb.95:
	v_cmp_gt_f32_e64 s11, 0x800000, |v9|
	v_rcp_f32_e64 v13, |v9|
	s_mov_b32 s4, 0xbad5c4e8
	v_cndmask_b32_e64 v11, 0, 32, s11
	v_ldexp_f32 v11, |v9|, v11
	v_mul_f32_e32 v14, v13, v13
	v_log_f32_e32 v11, v11
	v_fmaak_f32 v16, s4, v14, 0x3a5b3dd2
	v_fmaak_f32 v16, v14, v16, 0xba1c065c
	v_mul_f32_e32 v15, 0x3f317217, v11
	v_fmaak_f32 v16, v14, v16, 0x3a500cfd
	v_cmp_gt_f32_e64 s4, 0x7f800000, |v11|
	v_fma_f32 v17, 0x3f317217, v11, -v15
	v_fmaak_f32 v16, v14, v16, 0xbb360b61
	v_fmamk_f32 v17, v11, 0x3377d1cf, v17
	v_fmaak_f32 v14, v14, v16, 0x3daaaaab
	v_add_f32_e32 v15, v15, v17
	v_cndmask_b32_e64 v11, v11, v15, s4
	v_cndmask_b32_e64 v15, 0, 0x41b17218, s11
	v_sub_f32_e32 v15, v11, v15
	v_fmaak_f32 v11, v13, v14, 0x3ed67f1d
	v_add_f32_e64 v13, |v9|, -0.5
	v_add_f32_e32 v14, -1.0, v15
	v_fmac_f32_e32 v11, v13, v14
.LBB135_96:
	s_or_b32 exec_lo, exec_lo, s10
.LBB135_97:
	s_andn2_saveexec_b32 s10, s5
	s_cbranch_execz .LBB135_99
; %bb.98:
	v_cvt_i32_f32_e32 v11, v10
	s_mov_b32 s5, 0x3805ff67
	v_cvt_f32_i32_e32 v13, v11
	v_cmp_lt_i32_e64 s4, 2, v11
	v_sub_f32_e64 v13, |v9|, v13
	v_add_f32_e32 v14, 2.0, v13
	v_add_f32_e32 v15, 0x40400000, v13
	v_add_f32_e32 v16, 4.0, v13
	v_add_f32_e32 v17, 0x40a00000, v13
	v_cndmask_b32_e64 v14, 1.0, v14, s4
	v_cmp_lt_i32_e64 s4, 3, v11
	v_cndmask_b32_e64 v15, 1.0, v15, s4
	v_cmp_lt_i32_e64 s4, 4, v11
	v_mul_f32_e32 v14, v14, v15
	v_cndmask_b32_e64 v16, 1.0, v16, s4
	v_cmp_lt_i32_e64 s4, 5, v11
	v_add_f32_e32 v15, 0x40c00000, v13
	v_mul_f32_e32 v14, v16, v14
	v_cndmask_b32_e64 v17, 1.0, v17, s4
	v_cmp_lt_i32_e64 s4, 6, v11
	v_fmaak_f32 v16, s5, v13, 0x3af135b4
	v_mul_f32_e32 v14, v17, v14
	v_cndmask_b32_e64 v11, 1.0, v15, s4
	s_mov_b32 s4, 0x36f5d7bd
	v_mul_f32_e32 v11, v11, v14
	v_fmaak_f32 v14, s4, v13, 0x3a4beed6
	v_cmp_gt_f32_e64 s4, 0x800000, v11
	v_fmaak_f32 v14, v13, v14, 0x3c98bf54
	v_cndmask_b32_e64 v15, 0, 32, s4
	v_fmaak_f32 v14, v13, v14, 0x3e300f6e
	v_ldexp_f32 v11, v11, v15
	v_fmaak_f32 v15, v13, v16, 0x3cda40e4
	v_fmaak_f32 v14, v13, v14, 0x3f38d0c5
	v_log_f32_e32 v11, v11
	v_fmaak_f32 v15, v13, v15, 0x3e15dce6
	v_fmaak_f32 v14, v13, v14, 0x3fb22d3b
	v_fmaak_f32 v15, v13, v15, 0x3ea6cc7a
	v_fma_f32 v14, v13, v14, 1.0
	v_mul_f32_e32 v16, 0x3f317217, v11
	v_fmaak_f32 v15, v13, v15, 0x3e5c245a
	v_rcp_f32_e32 v14, v14
	v_cmp_gt_f32_e64 s5, 0x7f800000, |v11|
	v_fma_f32 v17, 0x3f317217, v11, -v16
	v_fmaak_f32 v15, v13, v15, 0xbd9e233f
	v_fmamk_f32 v17, v11, 0x3377d1cf, v17
	v_mul_f32_e32 v15, v13, v15
	v_add_f32_e32 v16, v16, v17
	v_mul_f32_e32 v14, v15, v14
	v_cndmask_b32_e64 v15, 0, 0x41b17218, s4
	v_cndmask_b32_e64 v11, v11, v16, s5
	v_fmac_f32_e32 v14, 0.5, v13
	v_sub_f32_e32 v11, v11, v15
	v_add_f32_e32 v11, v11, v14
.LBB135_99:
	s_or_b32 exec_lo, exec_lo, s10
.LBB135_100:
	s_andn2_saveexec_b32 s9, s9
	s_cbranch_execz .LBB135_118
; %bb.101:
                                        ; implicit-def: $vgpr11
                                        ; implicit-def: $vgpr14
                                        ; implicit-def: $vgpr13
	s_mov_b32 s5, exec_lo
	v_cmpx_ge_f32_e64 0x3f666666, |v9|
	s_xor_b32 s10, exec_lo, s5
	s_cbranch_execz .LBB135_103
; %bb.102:
	v_cmp_gt_f32_e64 s5, 0x800000, |v9|
	v_sub_f32_e64 v15, 1.0, |v9|
	v_cmp_gt_f32_e64 s4, 0x3f3b4a23, |v9|
	v_cndmask_b32_e64 v11, 0, 32, s5
	v_cndmask_b32_e64 v16, 0, 0x41b17218, s5
	v_ldexp_f32 v11, |v9|, v11
	v_log_f32_e32 v11, v11
	v_mul_f32_e32 v13, 0x3f317217, v11
	v_cmp_gt_f32_e64 s5, 0x7f800000, |v11|
	v_fma_f32 v14, 0x3f317217, v11, -v13
	v_fmamk_f32 v14, v11, 0x3377d1cf, v14
	v_add_f32_e32 v13, v13, v14
	v_add_f32_e64 v14, 0xbeec5b0c, |v9|
	v_cndmask_b32_e64 v11, v11, v13, s5
	v_cndmask_b32_e64 v13, v15, v14, s4
	;; [unrolled: 1-line block ×3, first 2 shown]
	v_cmp_gt_f32_e64 s4, 0x3e6d3309, |v9|
	v_sub_f32_e32 v11, v11, v16
	v_cndmask_b32_e64 v13, v13, |v9|, s4
	v_cndmask_b32_e64 v14, v14, 2, s4
	v_xor_b32_e32 v11, 0x80000000, v11
.LBB135_103:
	s_andn2_saveexec_b32 s5, s10
	s_cbranch_execz .LBB135_105
; %bb.104:
	v_sub_f32_e64 v11, 2.0, |v9|
	v_add_f32_e64 v13, 0xbfbb16c3, |v9|
	v_cmp_gt_f32_e64 s4, 0x3fdda512, |v9|
	v_add_f32_e64 v14, |v9|, -1.0
	v_cndmask_b32_e64 v13, v11, v13, s4
	v_cndmask_b32_e64 v11, v11, 1.0, s4
	v_cmp_gt_f32_e64 s4, 0x3f9d70a4, |v9|
	v_cvt_i32_f32_e32 v11, v11
	v_cndmask_b32_e64 v13, v13, v14, s4
	v_cndmask_b32_e64 v14, v11, 2, s4
	v_mov_b32_e32 v11, 0
.LBB135_105:
	s_or_b32 exec_lo, exec_lo, s5
	s_mov_b32 s5, exec_lo
	v_cmpx_lt_i32_e32 0, v14
	s_xor_b32 s5, exec_lo, s5
	s_cbranch_execz .LBB135_113
; %bb.106:
	s_mov_b32 s10, exec_lo
	v_cmpx_lt_i32_e32 1, v14
	s_xor_b32 s10, exec_lo, s10
	s_cbranch_execz .LBB135_110
; %bb.107:
	s_mov_b32 s11, exec_lo
	v_cmpx_eq_u32_e32 2, v14
	s_cbranch_execz .LBB135_109
; %bb.108:
	s_mov_b32 s4, 0x3b52d5db
	v_fmaak_f32 v14, s4, v13, 0x3dd572af
	s_mov_b32 s4, 0x3c5b3c5e
	v_fmaak_f32 v15, s4, v13, 0x3e6a7578
	v_fmaak_f32 v14, v13, v14, 0x3f44efdf
	;; [unrolled: 1-line block ×7, first 2 shown]
	v_fma_f32 v14, v13, v14, 1.0
	v_fmaak_f32 v15, v13, v15, 0xbd9e233f
	v_rcp_f32_e32 v14, v14
	v_mul_f32_e32 v15, v13, v15
	v_mul_f32_e32 v14, v15, v14
	v_fmac_f32_e32 v14, -0.5, v13
	v_add_f32_e32 v11, v11, v14
.LBB135_109:
	s_or_b32 exec_lo, exec_lo, s11
                                        ; implicit-def: $vgpr13
.LBB135_110:
	s_andn2_saveexec_b32 s4, s10
	s_cbranch_execz .LBB135_112
; %bb.111:
	v_mul_f32_e32 v14, v13, v13
	s_mov_b32 s10, 0xb9a3f927
	s_mov_b32 s11, 0x39afe9f7
	v_mul_f32_e32 v15, v13, v14
	v_fmaak_f32 v16, s10, v15, 0x3a66f867
	v_fmaak_f32 v17, s11, v15, 0xba0d3085
	s_mov_b32 s10, 0x39a57b6b
	v_fmaak_f32 v18, s10, v15, 0xbab7f476
	v_fmaak_f32 v16, v15, v16, 0xbb7177fe
	;; [unrolled: 1-line block ×9, first 2 shown]
	v_fmac_f32_e32 v16, v13, v17
	v_fmaak_f32 v13, v15, v18, 0x3ef7b95e
	v_fma_f32 v15, v15, -v16, 0xa2863e55
	v_fma_f32 v13, v14, v13, -v15
	v_add_f32_e32 v13, 0xbdf8cdce, v13
	v_add_f32_e32 v11, v11, v13
.LBB135_112:
	s_or_b32 exec_lo, exec_lo, s4
                                        ; implicit-def: $vgpr14
                                        ; implicit-def: $vgpr13
.LBB135_113:
	s_andn2_saveexec_b32 s5, s5
	s_cbranch_execz .LBB135_117
; %bb.114:
	s_mov_b32 s10, exec_lo
	v_cmpx_eq_u32_e32 0, v14
	s_cbranch_execz .LBB135_116
; %bb.115:
	v_mul_f32_e32 v14, v13, v13
	s_mov_b32 s4, 0x383c2c75
	v_fmaak_f32 v15, s4, v14, 0x38e28445
	s_mov_b32 s4, 0x37d383a2
	v_fmaak_f32 v16, s4, v14, 0x39679767
	v_fmaak_f32 v15, v14, v15, 0x3a05b634
	;; [unrolled: 1-line block ×9, first 2 shown]
	v_mul_f32_e32 v14, v14, v15
	v_fmac_f32_e32 v14, v13, v16
	v_fmac_f32_e32 v14, -0.5, v13
	v_add_f32_e32 v11, v11, v14
.LBB135_116:
	s_or_b32 exec_lo, exec_lo, s10
.LBB135_117:
	s_or_b32 exec_lo, exec_lo, s5
.LBB135_118:
	s_or_b32 exec_lo, exec_lo, s9
.LBB135_119:
	s_andn2_saveexec_b32 s5, s6
	s_cbranch_execz .LBB135_121
; %bb.120:
	v_cmp_gt_f32_e64 s6, 0x800000, |v9|
	s_mov_b32 s4, 0x3e8a8991
	v_fma_f32 v15, |v9|, s4, 0xbecd26ab
	v_cndmask_b32_e64 v11, 0, 32, s6
	v_ldexp_f32 v11, |v9|, v11
	v_log_f32_e32 v11, v11
	v_mul_f32_e32 v13, 0x3f317217, v11
	v_cmp_gt_f32_e64 s4, 0x7f800000, |v11|
	v_fma_f32 v14, 0x3f317217, v11, -v13
	v_fmamk_f32 v14, v11, 0x3377d1cf, v14
	v_add_f32_e32 v13, v13, v14
	v_fma_f32 v14, |v9|, v15, 0x3f528d33
	v_cndmask_b32_e64 v11, v11, v13, s4
	v_cndmask_b32_e64 v13, 0, 0x41b17218, s6
	v_fma_f32 v14, |v9|, v14, 0xbf13c468
	v_sub_f32_e32 v11, v11, v13
	v_fma_f32 v11, |v9|, v14, -v11
.LBB135_121:
	s_or_b32 exec_lo, exec_lo, s5
	v_cmp_le_f32_e64 s4, 0, v9
	s_mov_b32 s6, exec_lo
	v_cmpx_nle_f32_e32 0, v9
	s_xor_b32 s9, exec_lo, s6
	s_cbranch_execz .LBB135_125
; %bb.122:
	v_cmp_gt_f32_e64 s5, 0x4b000000, |v9|
	v_cmp_lt_f32_e64 s6, 0x35000000, |v9|
	s_and_b32 s5, s5, s6
	s_and_saveexec_b32 s10, s5
	s_cbranch_execz .LBB135_124
; %bb.123:
	v_mul_f32_e64 v13, |v9|, 0.5
	s_mov_b32 s6, 0x3d4be544
	v_xor_b32_e32 v10, v10, v9
	v_floor_f32_e32 v14, v13
	v_cmp_neq_f32_e64 s5, 0x7f800000, v13
	v_sub_f32_e32 v14, v13, v14
	v_min_f32_e32 v14, 0x3f7fffff, v14
	v_add_f32_e32 v14, v14, v14
	v_cndmask_b32_e64 v13, 0, v14, s5
	v_cmp_gt_f32_e64 s5, |v9|, 1.0
	v_cndmask_b32_e64 v13, |v9|, v13, s5
	s_mov_b32 s5, 0x3e75aa41
	v_add_f32_e32 v14, v13, v13
	v_rndne_f32_e32 v14, v14
	v_fmac_f32_e32 v13, -0.5, v14
	v_cvt_i32_f32_e32 v14, v14
	v_mul_f32_e32 v15, v13, v13
	v_fmaak_f32 v16, s5, v15, 0xbf1f24be
	v_fmaak_f32 v17, s6, v15, 0x3e642e9d
	v_mul_f32_e32 v18, v13, v15
	v_fmaak_f32 v16, v15, v16, 0x40234736
	v_fmaak_f32 v17, v15, v17, 0xbfaad1da
	;; [unrolled: 1-line block ×4, first 2 shown]
	v_mul_f32_e32 v16, v18, v16
	v_fmaak_f32 v17, v15, v17, 0xc09de9e6
	v_and_b32_e32 v18, 1, v14
	v_lshlrev_b32_e32 v14, 30, v14
	v_fmamk_f32 v13, v13, 0x40490fdb, v16
	v_fma_f32 v15, v15, v17, 1.0
	v_cmp_eq_u32_e64 s5, 0, v18
	v_and_b32_e32 v14, 0x80000000, v14
	v_cndmask_b32_e64 v13, v15, v13, s5
	v_xor3_b32 v10, v10, v14, v13
	v_mul_f32_e32 v10, v9, v10
	v_frexp_mant_f32_e64 v13, |v10|
	v_frexp_exp_i32_f32_e32 v10, v10
	v_rcp_f32_e32 v13, v13
	v_sub_nc_u32_e32 v10, 2, v10
	v_mul_f32_e32 v13, 0x3f490fdb, v13
	v_ldexp_f32 v10, v13, v10
	v_cmp_gt_f32_e64 s5, 0x800000, v10
	v_cndmask_b32_e64 v13, 0, 32, s5
	v_ldexp_f32 v10, v10, v13
	v_log_f32_e32 v10, v10
	v_mul_f32_e32 v13, 0x3f317217, v10
	v_cmp_gt_f32_e64 s6, 0x7f800000, |v10|
	v_fma_f32 v14, 0x3f317217, v10, -v13
	v_fmamk_f32 v14, v10, 0x3377d1cf, v14
	v_add_f32_e32 v13, v13, v14
	v_floor_f32_e32 v14, v9
	v_cndmask_b32_e64 v10, v10, v13, s6
	v_cndmask_b32_e64 v13, 0, 0x41b17218, s5
	v_sub_f32_e32 v14, v9, v14
	v_sub_f32_e32 v10, v10, v13
	v_min_f32_e32 v13, 0x3f7fffff, v14
	v_sub_f32_e32 v10, v10, v11
	v_cmp_neq_f32_e64 s5, 0, v13
	v_cndmask_b32_e64 v11, 0x7f800000, v10, s5
.LBB135_124:
	s_or_b32 exec_lo, exec_lo, s10
.LBB135_125:
	s_andn2_saveexec_b32 s9, s9
; %bb.126:
	v_cmp_eq_f32_e64 s5, 1.0, v9
	v_cmp_eq_f32_e64 s6, 2.0, v9
	s_or_b32 s5, s5, s6
	v_cndmask_b32_e64 v11, v11, 0, s5
; %bb.127:
	s_or_b32 exec_lo, exec_lo, s9
	v_cmp_gt_f32_e64 s5, 0x4b000000, |v9|
	s_or_b32 s4, s4, s5
	v_cndmask_b32_e64 v10, 0x7f800000, v11, s4
	v_cmp_class_f32_e64 s4, v9, 0x264
	v_cndmask_b32_e64 v10, v10, 0x7f800000, s4
	v_cmp_u_f32_e64 s4, v9, v9
	v_cndmask_b32_e64 v10, v10, v9, s4
.LBB135_128:
	s_or_b32 exec_lo, exec_lo, s8
	v_add_nc_u32_e32 v9, 0x300, v7
	s_mov_b32 s8, exec_lo
	v_cmpx_lt_i32_e64 v9, v4
	s_cbranch_execnz .LBB135_134
; %bb.129:
	s_or_b32 exec_lo, exec_lo, s8
	s_and_saveexec_b32 s4, vcc_lo
	s_xor_b32 s4, exec_lo, s4
	s_cbranch_execnz .LBB135_173
.LBB135_130:
	s_or_b32 exec_lo, exec_lo, s4
	s_mov_b32 s4, exec_lo
	v_cmpx_lt_i32_e64 v7, v4
	s_cbranch_execnz .LBB135_174
.LBB135_131:
	s_or_b32 exec_lo, exec_lo, s4
	s_mov_b32 s4, exec_lo
	v_cmpx_lt_i32_e64 v7, v4
	s_cbranch_execnz .LBB135_175
.LBB135_132:
	s_or_b32 exec_lo, exec_lo, s4
	s_mov_b32 s4, exec_lo
	v_cmpx_lt_i32_e64 v7, v4
	s_cbranch_execnz .LBB135_176
.LBB135_133:
	s_or_b32 exec_lo, exec_lo, s4
	s_waitcnt lgkmcnt(0)
	s_setpc_b64 s[30:31]
.LBB135_134:
	v_and_b32_e32 v3, 0x7fffffff, v6
                                        ; implicit-def: $vgpr9
	s_mov_b32 s5, exec_lo
	v_cmpx_ngt_f32_e64 0x3c800000, |v6|
	s_xor_b32 s6, exec_lo, s5
	s_cbranch_execz .LBB135_164
; %bb.135:
                                        ; implicit-def: $vgpr9
	s_mov_b32 s5, exec_lo
	v_cmpx_nlt_f32_e64 |v6|, 2.0
	s_xor_b32 s9, exec_lo, s5
	s_cbranch_execz .LBB135_145
; %bb.136:
	s_mov_b32 s5, exec_lo
                                        ; implicit-def: $vgpr9
	v_cmpx_ngt_f32_e64 0x41000000, |v6|
	s_xor_b32 s5, exec_lo, s5
	s_cbranch_execz .LBB135_142
; %bb.137:
	s_mov_b32 s10, exec_lo
                                        ; implicit-def: $vgpr9
	v_cmpx_ngt_f32_e64 0x5c800000, |v6|
	s_xor_b32 s10, exec_lo, s10
	s_cbranch_execz .LBB135_139
; %bb.138:
	v_cmp_gt_f32_e64 s11, 0x800000, |v6|
	v_cndmask_b32_e64 v9, 0, 32, s11
	v_ldexp_f32 v9, |v6|, v9
	v_log_f32_e32 v9, v9
	v_mul_f32_e32 v11, 0x3f317217, v9
	v_cmp_gt_f32_e64 s4, 0x7f800000, |v9|
	v_fma_f32 v13, 0x3f317217, v9, -v11
	v_fmamk_f32 v13, v9, 0x3377d1cf, v13
	v_add_f32_e32 v11, v11, v13
	v_cndmask_b32_e64 v9, v9, v11, s4
	v_cndmask_b32_e64 v11, 0, 0x41b17218, s11
	v_sub_f32_e32 v9, v9, v11
	v_fma_f32 v9, |v6|, v9, -|v6|
.LBB135_139:
	s_andn2_saveexec_b32 s10, s10
	s_cbranch_execz .LBB135_141
; %bb.140:
	v_cmp_gt_f32_e64 s11, 0x800000, |v6|
	v_rcp_f32_e64 v11, |v6|
	s_mov_b32 s4, 0xbad5c4e8
	v_cndmask_b32_e64 v9, 0, 32, s11
	v_ldexp_f32 v9, |v6|, v9
	v_mul_f32_e32 v13, v11, v11
	v_log_f32_e32 v9, v9
	v_fmaak_f32 v15, s4, v13, 0x3a5b3dd2
	v_fmaak_f32 v15, v13, v15, 0xba1c065c
	v_mul_f32_e32 v14, 0x3f317217, v9
	v_fmaak_f32 v15, v13, v15, 0x3a500cfd
	v_cmp_gt_f32_e64 s4, 0x7f800000, |v9|
	v_fma_f32 v16, 0x3f317217, v9, -v14
	v_fmaak_f32 v15, v13, v15, 0xbb360b61
	v_fmamk_f32 v16, v9, 0x3377d1cf, v16
	v_fmaak_f32 v13, v13, v15, 0x3daaaaab
	v_add_f32_e32 v14, v14, v16
	v_cndmask_b32_e64 v9, v9, v14, s4
	v_cndmask_b32_e64 v14, 0, 0x41b17218, s11
	v_sub_f32_e32 v14, v9, v14
	v_fmaak_f32 v9, v11, v13, 0x3ed67f1d
	v_add_f32_e64 v11, |v6|, -0.5
	v_add_f32_e32 v13, -1.0, v14
	v_fmac_f32_e32 v9, v11, v13
.LBB135_141:
	s_or_b32 exec_lo, exec_lo, s10
.LBB135_142:
	s_andn2_saveexec_b32 s10, s5
	s_cbranch_execz .LBB135_144
; %bb.143:
	v_cvt_i32_f32_e32 v9, v3
	s_mov_b32 s5, 0x3805ff67
	v_cvt_f32_i32_e32 v11, v9
	v_cmp_lt_i32_e64 s4, 2, v9
	v_sub_f32_e64 v11, |v6|, v11
	v_add_f32_e32 v13, 2.0, v11
	v_add_f32_e32 v14, 0x40400000, v11
	v_add_f32_e32 v15, 4.0, v11
	v_add_f32_e32 v16, 0x40a00000, v11
	v_cndmask_b32_e64 v13, 1.0, v13, s4
	v_cmp_lt_i32_e64 s4, 3, v9
	v_cndmask_b32_e64 v14, 1.0, v14, s4
	v_cmp_lt_i32_e64 s4, 4, v9
	v_mul_f32_e32 v13, v13, v14
	v_cndmask_b32_e64 v15, 1.0, v15, s4
	v_cmp_lt_i32_e64 s4, 5, v9
	v_add_f32_e32 v14, 0x40c00000, v11
	v_mul_f32_e32 v13, v15, v13
	v_cndmask_b32_e64 v16, 1.0, v16, s4
	v_cmp_lt_i32_e64 s4, 6, v9
	v_fmaak_f32 v15, s5, v11, 0x3af135b4
	v_mul_f32_e32 v13, v16, v13
	v_cndmask_b32_e64 v9, 1.0, v14, s4
	s_mov_b32 s4, 0x36f5d7bd
	v_mul_f32_e32 v9, v9, v13
	v_fmaak_f32 v13, s4, v11, 0x3a4beed6
	v_cmp_gt_f32_e64 s4, 0x800000, v9
	v_fmaak_f32 v13, v11, v13, 0x3c98bf54
	v_cndmask_b32_e64 v14, 0, 32, s4
	v_fmaak_f32 v13, v11, v13, 0x3e300f6e
	v_ldexp_f32 v9, v9, v14
	v_fmaak_f32 v14, v11, v15, 0x3cda40e4
	v_fmaak_f32 v13, v11, v13, 0x3f38d0c5
	v_log_f32_e32 v9, v9
	v_fmaak_f32 v14, v11, v14, 0x3e15dce6
	v_fmaak_f32 v13, v11, v13, 0x3fb22d3b
	;; [unrolled: 1-line block ×3, first 2 shown]
	v_fma_f32 v13, v11, v13, 1.0
	v_mul_f32_e32 v15, 0x3f317217, v9
	v_fmaak_f32 v14, v11, v14, 0x3e5c245a
	v_rcp_f32_e32 v13, v13
	v_cmp_gt_f32_e64 s5, 0x7f800000, |v9|
	v_fma_f32 v16, 0x3f317217, v9, -v15
	v_fmaak_f32 v14, v11, v14, 0xbd9e233f
	v_fmamk_f32 v16, v9, 0x3377d1cf, v16
	v_mul_f32_e32 v14, v11, v14
	v_add_f32_e32 v15, v15, v16
	v_mul_f32_e32 v13, v14, v13
	v_cndmask_b32_e64 v14, 0, 0x41b17218, s4
	v_cndmask_b32_e64 v9, v9, v15, s5
	v_fmac_f32_e32 v13, 0.5, v11
	v_sub_f32_e32 v9, v9, v14
	v_add_f32_e32 v9, v9, v13
.LBB135_144:
	s_or_b32 exec_lo, exec_lo, s10
.LBB135_145:
	s_andn2_saveexec_b32 s9, s9
	s_cbranch_execz .LBB135_163
; %bb.146:
                                        ; implicit-def: $vgpr9
                                        ; implicit-def: $vgpr13
                                        ; implicit-def: $vgpr11
	s_mov_b32 s5, exec_lo
	v_cmpx_ge_f32_e64 0x3f666666, |v6|
	s_xor_b32 s10, exec_lo, s5
	s_cbranch_execz .LBB135_148
; %bb.147:
	v_cmp_gt_f32_e64 s5, 0x800000, |v6|
	v_sub_f32_e64 v14, 1.0, |v6|
	v_cmp_gt_f32_e64 s4, 0x3f3b4a23, |v6|
	v_cndmask_b32_e64 v9, 0, 32, s5
	v_cndmask_b32_e64 v15, 0, 0x41b17218, s5
	v_ldexp_f32 v9, |v6|, v9
	v_log_f32_e32 v9, v9
	v_mul_f32_e32 v11, 0x3f317217, v9
	v_cmp_gt_f32_e64 s5, 0x7f800000, |v9|
	v_fma_f32 v13, 0x3f317217, v9, -v11
	v_fmamk_f32 v13, v9, 0x3377d1cf, v13
	v_add_f32_e32 v11, v11, v13
	v_add_f32_e64 v13, 0xbeec5b0c, |v6|
	v_cndmask_b32_e64 v9, v9, v11, s5
	v_cndmask_b32_e64 v11, v14, v13, s4
	;; [unrolled: 1-line block ×3, first 2 shown]
	v_cmp_gt_f32_e64 s4, 0x3e6d3309, |v6|
	v_sub_f32_e32 v9, v9, v15
	v_cndmask_b32_e64 v11, v11, |v6|, s4
	v_cndmask_b32_e64 v13, v13, 2, s4
	v_xor_b32_e32 v9, 0x80000000, v9
.LBB135_148:
	s_andn2_saveexec_b32 s5, s10
	s_cbranch_execz .LBB135_150
; %bb.149:
	v_sub_f32_e64 v9, 2.0, |v6|
	v_add_f32_e64 v11, 0xbfbb16c3, |v6|
	v_cmp_gt_f32_e64 s4, 0x3fdda512, |v6|
	v_add_f32_e64 v13, |v6|, -1.0
	v_cndmask_b32_e64 v11, v9, v11, s4
	v_cndmask_b32_e64 v9, v9, 1.0, s4
	v_cmp_gt_f32_e64 s4, 0x3f9d70a4, |v6|
	v_cvt_i32_f32_e32 v9, v9
	v_cndmask_b32_e64 v11, v11, v13, s4
	v_cndmask_b32_e64 v13, v9, 2, s4
	v_mov_b32_e32 v9, 0
.LBB135_150:
	s_or_b32 exec_lo, exec_lo, s5
	s_mov_b32 s5, exec_lo
	v_cmpx_lt_i32_e32 0, v13
	s_xor_b32 s5, exec_lo, s5
	s_cbranch_execz .LBB135_158
; %bb.151:
	s_mov_b32 s10, exec_lo
	v_cmpx_lt_i32_e32 1, v13
	s_xor_b32 s10, exec_lo, s10
	s_cbranch_execz .LBB135_155
; %bb.152:
	s_mov_b32 s11, exec_lo
	v_cmpx_eq_u32_e32 2, v13
	s_cbranch_execz .LBB135_154
; %bb.153:
	s_mov_b32 s4, 0x3b52d5db
	v_fmaak_f32 v13, s4, v11, 0x3dd572af
	s_mov_b32 s4, 0x3c5b3c5e
	v_fmaak_f32 v14, s4, v11, 0x3e6a7578
	v_fmaak_f32 v13, v11, v13, 0x3f44efdf
	;; [unrolled: 1-line block ×7, first 2 shown]
	v_fma_f32 v13, v11, v13, 1.0
	v_fmaak_f32 v14, v11, v14, 0xbd9e233f
	v_rcp_f32_e32 v13, v13
	v_mul_f32_e32 v14, v11, v14
	v_mul_f32_e32 v13, v14, v13
	v_fmac_f32_e32 v13, -0.5, v11
	v_add_f32_e32 v9, v9, v13
.LBB135_154:
	s_or_b32 exec_lo, exec_lo, s11
                                        ; implicit-def: $vgpr11
.LBB135_155:
	s_andn2_saveexec_b32 s4, s10
	s_cbranch_execz .LBB135_157
; %bb.156:
	v_mul_f32_e32 v13, v11, v11
	s_mov_b32 s10, 0xb9a3f927
	s_mov_b32 s11, 0x39afe9f7
	v_mul_f32_e32 v14, v11, v13
	v_fmaak_f32 v15, s10, v14, 0x3a66f867
	v_fmaak_f32 v16, s11, v14, 0xba0d3085
	s_mov_b32 s10, 0x39a57b6b
	v_fmaak_f32 v17, s10, v14, 0xbab7f476
	v_fmaak_f32 v15, v14, v15, 0xbb7177fe
	;; [unrolled: 1-line block ×9, first 2 shown]
	v_fmac_f32_e32 v15, v11, v16
	v_fmaak_f32 v11, v14, v17, 0x3ef7b95e
	v_fma_f32 v14, v14, -v15, 0xa2863e55
	v_fma_f32 v11, v13, v11, -v14
	v_add_f32_e32 v11, 0xbdf8cdce, v11
	v_add_f32_e32 v9, v9, v11
.LBB135_157:
	s_or_b32 exec_lo, exec_lo, s4
                                        ; implicit-def: $vgpr13
                                        ; implicit-def: $vgpr11
.LBB135_158:
	s_andn2_saveexec_b32 s5, s5
	s_cbranch_execz .LBB135_162
; %bb.159:
	s_mov_b32 s10, exec_lo
	v_cmpx_eq_u32_e32 0, v13
	s_cbranch_execz .LBB135_161
; %bb.160:
	v_mul_f32_e32 v13, v11, v11
	s_mov_b32 s4, 0x383c2c75
	v_fmaak_f32 v14, s4, v13, 0x38e28445
	s_mov_b32 s4, 0x37d383a2
	v_fmaak_f32 v15, s4, v13, 0x39679767
	v_fmaak_f32 v14, v13, v14, 0x3a05b634
	;; [unrolled: 1-line block ×9, first 2 shown]
	v_mul_f32_e32 v13, v13, v14
	v_fmac_f32_e32 v13, v11, v15
	v_fmac_f32_e32 v13, -0.5, v11
	v_add_f32_e32 v9, v9, v13
.LBB135_161:
	s_or_b32 exec_lo, exec_lo, s10
.LBB135_162:
	s_or_b32 exec_lo, exec_lo, s5
.LBB135_163:
	s_or_b32 exec_lo, exec_lo, s9
.LBB135_164:
	s_andn2_saveexec_b32 s5, s6
	s_cbranch_execz .LBB135_166
; %bb.165:
	v_cmp_gt_f32_e64 s6, 0x800000, |v6|
	s_mov_b32 s4, 0x3e8a8991
	v_fma_f32 v14, |v6|, s4, 0xbecd26ab
	v_cndmask_b32_e64 v9, 0, 32, s6
	v_ldexp_f32 v9, |v6|, v9
	v_log_f32_e32 v9, v9
	v_mul_f32_e32 v11, 0x3f317217, v9
	v_cmp_gt_f32_e64 s4, 0x7f800000, |v9|
	v_fma_f32 v13, 0x3f317217, v9, -v11
	v_fmamk_f32 v13, v9, 0x3377d1cf, v13
	v_add_f32_e32 v11, v11, v13
	v_fma_f32 v13, |v6|, v14, 0x3f528d33
	v_cndmask_b32_e64 v9, v9, v11, s4
	v_cndmask_b32_e64 v11, 0, 0x41b17218, s6
	v_fma_f32 v13, |v6|, v13, 0xbf13c468
	v_sub_f32_e32 v9, v9, v11
	v_fma_f32 v9, |v6|, v13, -v9
.LBB135_166:
	s_or_b32 exec_lo, exec_lo, s5
	v_cmp_le_f32_e64 s4, 0, v6
	s_mov_b32 s6, exec_lo
	v_cmpx_nle_f32_e32 0, v6
	s_xor_b32 s9, exec_lo, s6
	s_cbranch_execz .LBB135_170
; %bb.167:
	v_cmp_gt_f32_e64 s5, 0x4b000000, |v6|
	v_cmp_lt_f32_e64 s6, 0x35000000, |v6|
	s_and_b32 s5, s5, s6
	s_and_saveexec_b32 s10, s5
	s_cbranch_execz .LBB135_169
; %bb.168:
	v_mul_f32_e64 v11, |v6|, 0.5
	s_mov_b32 s6, 0x3d4be544
	v_xor_b32_e32 v3, v3, v6
	v_floor_f32_e32 v13, v11
	v_cmp_neq_f32_e64 s5, 0x7f800000, v11
	v_sub_f32_e32 v13, v11, v13
	v_min_f32_e32 v13, 0x3f7fffff, v13
	v_add_f32_e32 v13, v13, v13
	v_cndmask_b32_e64 v11, 0, v13, s5
	v_cmp_gt_f32_e64 s5, |v6|, 1.0
	v_cndmask_b32_e64 v11, |v6|, v11, s5
	s_mov_b32 s5, 0x3e75aa41
	v_add_f32_e32 v13, v11, v11
	v_rndne_f32_e32 v13, v13
	v_fmac_f32_e32 v11, -0.5, v13
	v_cvt_i32_f32_e32 v13, v13
	v_mul_f32_e32 v14, v11, v11
	v_fmaak_f32 v15, s5, v14, 0xbf1f24be
	v_fmaak_f32 v16, s6, v14, 0x3e642e9d
	v_mul_f32_e32 v17, v11, v14
	v_fmaak_f32 v15, v14, v15, 0x40234736
	v_fmaak_f32 v16, v14, v16, 0xbfaad1da
	v_fmaak_f32 v15, v14, v15, 0xc0a55e0e
	v_fmaak_f32 v16, v14, v16, 0x4081e0d3
	v_mul_f32_e32 v15, v17, v15
	v_fmaak_f32 v16, v14, v16, 0xc09de9e6
	v_and_b32_e32 v17, 1, v13
	v_lshlrev_b32_e32 v13, 30, v13
	v_fmamk_f32 v11, v11, 0x40490fdb, v15
	v_fma_f32 v14, v14, v16, 1.0
	v_cmp_eq_u32_e64 s5, 0, v17
	v_and_b32_e32 v13, 0x80000000, v13
	v_cndmask_b32_e64 v11, v14, v11, s5
	v_xor3_b32 v3, v3, v13, v11
	v_mul_f32_e32 v3, v6, v3
	v_frexp_mant_f32_e64 v11, |v3|
	v_frexp_exp_i32_f32_e32 v3, v3
	v_rcp_f32_e32 v11, v11
	v_sub_nc_u32_e32 v3, 2, v3
	v_mul_f32_e32 v11, 0x3f490fdb, v11
	v_ldexp_f32 v3, v11, v3
	v_cmp_gt_f32_e64 s5, 0x800000, v3
	v_cndmask_b32_e64 v11, 0, 32, s5
	v_ldexp_f32 v3, v3, v11
	v_log_f32_e32 v3, v3
	v_mul_f32_e32 v11, 0x3f317217, v3
	v_cmp_gt_f32_e64 s6, 0x7f800000, |v3|
	v_fma_f32 v13, 0x3f317217, v3, -v11
	v_fmamk_f32 v13, v3, 0x3377d1cf, v13
	v_add_f32_e32 v11, v11, v13
	v_floor_f32_e32 v13, v6
	v_cndmask_b32_e64 v3, v3, v11, s6
	v_cndmask_b32_e64 v11, 0, 0x41b17218, s5
	v_sub_f32_e32 v13, v6, v13
	v_sub_f32_e32 v3, v3, v11
	v_min_f32_e32 v11, 0x3f7fffff, v13
	v_sub_f32_e32 v3, v3, v9
	v_cmp_neq_f32_e64 s5, 0, v11
	v_cndmask_b32_e64 v9, 0x7f800000, v3, s5
.LBB135_169:
	s_or_b32 exec_lo, exec_lo, s10
.LBB135_170:
	s_andn2_saveexec_b32 s9, s9
; %bb.171:
	v_cmp_eq_f32_e64 s5, 1.0, v6
	v_cmp_eq_f32_e64 s6, 2.0, v6
	s_or_b32 s5, s5, s6
	v_cndmask_b32_e64 v9, v9, 0, s5
; %bb.172:
	s_or_b32 exec_lo, exec_lo, s9
	v_cmp_gt_f32_e64 s5, 0x4b000000, |v6|
	s_or_b32 s4, s4, s5
	v_cndmask_b32_e64 v3, 0x7f800000, v9, s4
	v_cmp_class_f32_e64 s4, v6, 0x264
	v_cndmask_b32_e64 v3, v3, 0x7f800000, s4
	v_cmp_u_f32_e64 s4, v6, v6
	v_cndmask_b32_e64 v3, v3, v6, s4
	s_or_b32 exec_lo, exec_lo, s8
	s_and_saveexec_b32 s4, vcc_lo
	s_xor_b32 s4, exec_lo, s4
	s_cbranch_execz .LBB135_130
.LBB135_173:
	v_mov_b32_e32 v6, 0
	v_mov_b32_e32 v7, v8
	v_lshlrev_b64 v[5:6], 2, v[5:6]
	v_add_co_u32 v5, vcc_lo, v0, v5
	v_add_co_ci_u32_e64 v6, null, v1, v6, vcc_lo
	flat_store_dword v[5:6], v2
	s_or_b32 exec_lo, exec_lo, s4
	s_mov_b32 s4, exec_lo
	v_cmpx_lt_i32_e64 v7, v4
	s_cbranch_execz .LBB135_131
.LBB135_174:
	v_add_nc_u32_e32 v5, s7, v7
	v_mov_b32_e32 v6, 0
	v_add_nc_u32_e32 v7, 0x100, v7
	v_lshlrev_b64 v[5:6], 2, v[5:6]
	v_add_co_u32 v5, vcc_lo, v0, v5
	v_add_co_ci_u32_e64 v6, null, v1, v6, vcc_lo
	flat_store_dword v[5:6], v12
	s_or_b32 exec_lo, exec_lo, s4
	s_mov_b32 s4, exec_lo
	v_cmpx_lt_i32_e64 v7, v4
	s_cbranch_execz .LBB135_132
.LBB135_175:
	v_add_nc_u32_e32 v5, s7, v7
	v_mov_b32_e32 v6, 0
	v_add_nc_u32_e32 v7, 0x100, v7
	v_lshlrev_b64 v[5:6], 2, v[5:6]
	v_add_co_u32 v5, vcc_lo, v0, v5
	v_add_co_ci_u32_e64 v6, null, v1, v6, vcc_lo
	flat_store_dword v[5:6], v10
	s_or_b32 exec_lo, exec_lo, s4
	s_mov_b32 s4, exec_lo
	v_cmpx_lt_i32_e64 v7, v4
	s_cbranch_execz .LBB135_133
.LBB135_176:
	v_add_nc_u32_e32 v4, s7, v7
	v_mov_b32_e32 v5, 0
	v_lshlrev_b64 v[4:5], 2, v[4:5]
	v_add_co_u32 v0, vcc_lo, v0, v4
	v_add_co_ci_u32_e64 v1, null, v1, v5, vcc_lo
	flat_store_dword v[0:1], v3
	s_or_b32 exec_lo, exec_lo, s4
	s_waitcnt lgkmcnt(0)
	s_setpc_b64 s[30:31]
.Lfunc_end135:
	.size	_ZN2at6native25elementwise_kernel_helperILb0EZZZNS0_18lgamma_kernel_cudaERNS_18TensorIteratorBaseEENKUlvE_clEvENKUlvE0_clEvEUlfE_NS0_6memory8policies11unroll_baseILi256ESt5arrayIPcLm2EE23TrivialOffsetCalculatorILi1EjESE_NS7_15LoadWithoutCastENS7_16StoreWithoutCastELi4ELi1EEEEEvT0_T1_, .Lfunc_end135-_ZN2at6native25elementwise_kernel_helperILb0EZZZNS0_18lgamma_kernel_cudaERNS_18TensorIteratorBaseEENKUlvE_clEvENKUlvE0_clEvEUlfE_NS0_6memory8policies11unroll_baseILi256ESt5arrayIPcLm2EE23TrivialOffsetCalculatorILi1EjESE_NS7_15LoadWithoutCastENS7_16StoreWithoutCastELi4ELi1EEEEEvT0_T1_
                                        ; -- End function
	.set .L_ZN2at6native25elementwise_kernel_helperILb0EZZZNS0_18lgamma_kernel_cudaERNS_18TensorIteratorBaseEENKUlvE_clEvENKUlvE0_clEvEUlfE_NS0_6memory8policies11unroll_baseILi256ESt5arrayIPcLm2EE23TrivialOffsetCalculatorILi1EjESE_NS7_15LoadWithoutCastENS7_16StoreWithoutCastELi4ELi1EEEEEvT0_T1_.num_vgpr, 32
	.set .L_ZN2at6native25elementwise_kernel_helperILb0EZZZNS0_18lgamma_kernel_cudaERNS_18TensorIteratorBaseEENKUlvE_clEvENKUlvE0_clEvEUlfE_NS0_6memory8policies11unroll_baseILi256ESt5arrayIPcLm2EE23TrivialOffsetCalculatorILi1EjESE_NS7_15LoadWithoutCastENS7_16StoreWithoutCastELi4ELi1EEEEEvT0_T1_.num_agpr, 0
	.set .L_ZN2at6native25elementwise_kernel_helperILb0EZZZNS0_18lgamma_kernel_cudaERNS_18TensorIteratorBaseEENKUlvE_clEvENKUlvE0_clEvEUlfE_NS0_6memory8policies11unroll_baseILi256ESt5arrayIPcLm2EE23TrivialOffsetCalculatorILi1EjESE_NS7_15LoadWithoutCastENS7_16StoreWithoutCastELi4ELi1EEEEEvT0_T1_.numbered_sgpr, 32
	.set .L_ZN2at6native25elementwise_kernel_helperILb0EZZZNS0_18lgamma_kernel_cudaERNS_18TensorIteratorBaseEENKUlvE_clEvENKUlvE0_clEvEUlfE_NS0_6memory8policies11unroll_baseILi256ESt5arrayIPcLm2EE23TrivialOffsetCalculatorILi1EjESE_NS7_15LoadWithoutCastENS7_16StoreWithoutCastELi4ELi1EEEEEvT0_T1_.num_named_barrier, 0
	.set .L_ZN2at6native25elementwise_kernel_helperILb0EZZZNS0_18lgamma_kernel_cudaERNS_18TensorIteratorBaseEENKUlvE_clEvENKUlvE0_clEvEUlfE_NS0_6memory8policies11unroll_baseILi256ESt5arrayIPcLm2EE23TrivialOffsetCalculatorILi1EjESE_NS7_15LoadWithoutCastENS7_16StoreWithoutCastELi4ELi1EEEEEvT0_T1_.private_seg_size, 0
	.set .L_ZN2at6native25elementwise_kernel_helperILb0EZZZNS0_18lgamma_kernel_cudaERNS_18TensorIteratorBaseEENKUlvE_clEvENKUlvE0_clEvEUlfE_NS0_6memory8policies11unroll_baseILi256ESt5arrayIPcLm2EE23TrivialOffsetCalculatorILi1EjESE_NS7_15LoadWithoutCastENS7_16StoreWithoutCastELi4ELi1EEEEEvT0_T1_.uses_vcc, 1
	.set .L_ZN2at6native25elementwise_kernel_helperILb0EZZZNS0_18lgamma_kernel_cudaERNS_18TensorIteratorBaseEENKUlvE_clEvENKUlvE0_clEvEUlfE_NS0_6memory8policies11unroll_baseILi256ESt5arrayIPcLm2EE23TrivialOffsetCalculatorILi1EjESE_NS7_15LoadWithoutCastENS7_16StoreWithoutCastELi4ELi1EEEEEvT0_T1_.uses_flat_scratch, 0
	.set .L_ZN2at6native25elementwise_kernel_helperILb0EZZZNS0_18lgamma_kernel_cudaERNS_18TensorIteratorBaseEENKUlvE_clEvENKUlvE0_clEvEUlfE_NS0_6memory8policies11unroll_baseILi256ESt5arrayIPcLm2EE23TrivialOffsetCalculatorILi1EjESE_NS7_15LoadWithoutCastENS7_16StoreWithoutCastELi4ELi1EEEEEvT0_T1_.has_dyn_sized_stack, 0
	.set .L_ZN2at6native25elementwise_kernel_helperILb0EZZZNS0_18lgamma_kernel_cudaERNS_18TensorIteratorBaseEENKUlvE_clEvENKUlvE0_clEvEUlfE_NS0_6memory8policies11unroll_baseILi256ESt5arrayIPcLm2EE23TrivialOffsetCalculatorILi1EjESE_NS7_15LoadWithoutCastENS7_16StoreWithoutCastELi4ELi1EEEEEvT0_T1_.has_recursion, 0
	.set .L_ZN2at6native25elementwise_kernel_helperILb0EZZZNS0_18lgamma_kernel_cudaERNS_18TensorIteratorBaseEENKUlvE_clEvENKUlvE0_clEvEUlfE_NS0_6memory8policies11unroll_baseILi256ESt5arrayIPcLm2EE23TrivialOffsetCalculatorILi1EjESE_NS7_15LoadWithoutCastENS7_16StoreWithoutCastELi4ELi1EEEEEvT0_T1_.has_indirect_call, 0
	.section	.AMDGPU.csdata,"",@progbits
; Function info:
; codeLenInByte = 10124
; TotalNumSgprs: 34
; NumVgprs: 32
; ScratchSize: 0
; MemoryBound: 0
	.text
	.p2align	2                               ; -- Begin function _ZN2at6native25elementwise_kernel_helperILb0EZZZNS0_18lgamma_kernel_cudaERNS_18TensorIteratorBaseEENKUlvE_clEvENKUlvE0_clEvEUlfE_NS0_6memory8policies10vectorizedILi4ESt5arrayIPcLm2EELi4EEEEEvT0_T1_
	.type	_ZN2at6native25elementwise_kernel_helperILb0EZZZNS0_18lgamma_kernel_cudaERNS_18TensorIteratorBaseEENKUlvE_clEvENKUlvE0_clEvEUlfE_NS0_6memory8policies10vectorizedILi4ESt5arrayIPcLm2EELi4EEEEEvT0_T1_,@function
_ZN2at6native25elementwise_kernel_helperILb0EZZZNS0_18lgamma_kernel_cudaERNS_18TensorIteratorBaseEENKUlvE_clEvENKUlvE0_clEvEUlfE_NS0_6memory8policies10vectorizedILi4ESt5arrayIPcLm2EELi4EEEEEvT0_T1_: ; @_ZN2at6native25elementwise_kernel_helperILb0EZZZNS0_18lgamma_kernel_cudaERNS_18TensorIteratorBaseEENKUlvE_clEvENKUlvE0_clEvEUlfE_NS0_6memory8policies10vectorizedILi4ESt5arrayIPcLm2EELi4EEEEEvT0_T1_
; %bb.0:
	s_waitcnt vmcnt(0) expcnt(0) lgkmcnt(0)
	s_lshl_b32 s4, s12, 10
	v_and_b32_e32 v4, 0x3ff, v31
	s_ashr_i32 s5, s4, 31
                                        ; implicit-def: $vgpr7
	s_lshl_b64 s[10:11], s[4:5], 2
	s_mov_b32 s5, exec_lo
	v_lshlrev_b32_e32 v6, 4, v4
	v_add_co_u32 v2, vcc_lo, v2, s10
	v_add_co_ci_u32_e64 v3, null, s11, v3, vcc_lo
	v_add_co_u32 v2, vcc_lo, v2, v6
	v_add_co_ci_u32_e64 v3, null, 0, v3, vcc_lo
	flat_load_dwordx4 v[2:5], v[2:3]
	s_waitcnt vmcnt(0) lgkmcnt(0)
	v_and_b32_e32 v8, 0x7fffffff, v2
	v_cmpx_ngt_f32_e64 0x3c800000, |v2|
	s_xor_b32 s5, exec_lo, s5
	s_cbranch_execz .LBB136_30
; %bb.1:
	s_mov_b32 s6, exec_lo
                                        ; implicit-def: $vgpr7
	v_cmpx_nlt_f32_e64 |v2|, 2.0
	s_xor_b32 s6, exec_lo, s6
	s_cbranch_execz .LBB136_11
; %bb.2:
	v_cmp_ngt_f32_e64 s4, 0x41000000, |v2|
                                        ; implicit-def: $vgpr7
	s_and_saveexec_b32 s7, s4
	s_xor_b32 s4, exec_lo, s7
	s_cbranch_execz .LBB136_8
; %bb.3:
	v_cmp_ngt_f32_e64 s7, 0x5c800000, |v2|
                                        ; implicit-def: $vgpr7
	s_and_saveexec_b32 s8, s7
	s_xor_b32 s7, exec_lo, s8
	s_cbranch_execz .LBB136_5
; %bb.4:
	v_cmp_gt_f32_e64 s8, 0x800000, |v2|
	v_cndmask_b32_e64 v7, 0, 32, s8
	v_ldexp_f32 v7, |v2|, v7
	v_log_f32_e32 v7, v7
	v_mul_f32_e32 v9, 0x3f317217, v7
	v_cmp_gt_f32_e64 vcc_lo, 0x7f800000, |v7|
	v_fma_f32 v10, 0x3f317217, v7, -v9
	v_fmamk_f32 v10, v7, 0x3377d1cf, v10
	v_add_f32_e32 v9, v9, v10
	v_cndmask_b32_e32 v7, v7, v9, vcc_lo
	v_cndmask_b32_e64 v9, 0, 0x41b17218, s8
	v_sub_f32_e32 v7, v7, v9
	v_fma_f32 v7, |v2|, v7, -|v2|
.LBB136_5:
	s_andn2_saveexec_b32 s7, s7
	s_cbranch_execz .LBB136_7
; %bb.6:
	v_cmp_gt_f32_e64 s8, 0x800000, |v2|
	v_rcp_f32_e64 v9, |v2|
	s_mov_b32 s9, 0xbad5c4e8
	v_cndmask_b32_e64 v7, 0, 32, s8
	v_ldexp_f32 v7, |v2|, v7
	v_mul_f32_e32 v10, v9, v9
	v_log_f32_e32 v7, v7
	v_fmaak_f32 v12, s9, v10, 0x3a5b3dd2
	v_fmaak_f32 v12, v10, v12, 0xba1c065c
	v_mul_f32_e32 v11, 0x3f317217, v7
	v_fmaak_f32 v12, v10, v12, 0x3a500cfd
	v_cmp_gt_f32_e64 vcc_lo, 0x7f800000, |v7|
	v_fma_f32 v13, 0x3f317217, v7, -v11
	v_fmaak_f32 v12, v10, v12, 0xbb360b61
	v_fmamk_f32 v13, v7, 0x3377d1cf, v13
	v_fmaak_f32 v10, v10, v12, 0x3daaaaab
	v_add_f32_e32 v11, v11, v13
	v_cndmask_b32_e32 v7, v7, v11, vcc_lo
	v_cndmask_b32_e64 v11, 0, 0x41b17218, s8
	v_sub_f32_e32 v11, v7, v11
	v_fmaak_f32 v7, v9, v10, 0x3ed67f1d
	v_add_f32_e64 v9, |v2|, -0.5
	v_add_f32_e32 v10, -1.0, v11
	v_fmac_f32_e32 v7, v9, v10
.LBB136_7:
	s_or_b32 exec_lo, exec_lo, s7
.LBB136_8:
	s_andn2_saveexec_b32 s7, s4
	s_cbranch_execz .LBB136_10
; %bb.9:
	v_cvt_i32_f32_e32 v7, v8
	s_mov_b32 s4, 0x36f5d7bd
	s_mov_b32 s8, 0x3805ff67
	v_cvt_f32_i32_e32 v9, v7
	v_cmp_lt_i32_e32 vcc_lo, 2, v7
	v_sub_f32_e64 v9, |v2|, v9
	v_add_f32_e32 v10, 2.0, v9
	v_add_f32_e32 v11, 0x40400000, v9
	v_add_f32_e32 v12, 4.0, v9
	v_add_f32_e32 v13, 0x40a00000, v9
	v_cndmask_b32_e32 v10, 1.0, v10, vcc_lo
	v_cmp_lt_i32_e32 vcc_lo, 3, v7
	v_cndmask_b32_e32 v11, 1.0, v11, vcc_lo
	v_cmp_lt_i32_e32 vcc_lo, 4, v7
	v_mul_f32_e32 v10, v10, v11
	v_cndmask_b32_e32 v12, 1.0, v12, vcc_lo
	v_cmp_lt_i32_e32 vcc_lo, 5, v7
	v_add_f32_e32 v11, 0x40c00000, v9
	v_mul_f32_e32 v10, v12, v10
	v_cndmask_b32_e32 v13, 1.0, v13, vcc_lo
	v_cmp_lt_i32_e32 vcc_lo, 6, v7
	v_fmaak_f32 v12, s8, v9, 0x3af135b4
	v_mul_f32_e32 v10, v13, v10
	v_cndmask_b32_e32 v7, 1.0, v11, vcc_lo
	v_mul_f32_e32 v7, v7, v10
	v_fmaak_f32 v10, s4, v9, 0x3a4beed6
	v_cmp_gt_f32_e32 vcc_lo, 0x800000, v7
	v_fmaak_f32 v10, v9, v10, 0x3c98bf54
	v_cndmask_b32_e64 v11, 0, 32, vcc_lo
	v_fmaak_f32 v10, v9, v10, 0x3e300f6e
	v_ldexp_f32 v7, v7, v11
	v_fmaak_f32 v11, v9, v12, 0x3cda40e4
	v_fmaak_f32 v10, v9, v10, 0x3f38d0c5
	v_log_f32_e32 v7, v7
	v_fmaak_f32 v11, v9, v11, 0x3e15dce6
	v_fmaak_f32 v10, v9, v10, 0x3fb22d3b
	;; [unrolled: 1-line block ×3, first 2 shown]
	v_fma_f32 v10, v9, v10, 1.0
	v_mul_f32_e32 v12, 0x3f317217, v7
	v_fmaak_f32 v11, v9, v11, 0x3e5c245a
	v_rcp_f32_e32 v10, v10
	v_cmp_gt_f32_e64 s4, 0x7f800000, |v7|
	v_fma_f32 v13, 0x3f317217, v7, -v12
	v_fmaak_f32 v11, v9, v11, 0xbd9e233f
	v_fmamk_f32 v13, v7, 0x3377d1cf, v13
	v_mul_f32_e32 v11, v9, v11
	v_add_f32_e32 v12, v12, v13
	v_mul_f32_e32 v10, v11, v10
	v_cndmask_b32_e64 v11, 0, 0x41b17218, vcc_lo
	v_cndmask_b32_e64 v7, v7, v12, s4
	v_fmac_f32_e32 v10, 0.5, v9
	v_sub_f32_e32 v7, v7, v11
	v_add_f32_e32 v7, v7, v10
.LBB136_10:
	s_or_b32 exec_lo, exec_lo, s7
.LBB136_11:
	s_andn2_saveexec_b32 s6, s6
	s_cbranch_execz .LBB136_29
; %bb.12:
	s_mov_b32 s7, exec_lo
                                        ; implicit-def: $vgpr7
                                        ; implicit-def: $vgpr10
                                        ; implicit-def: $vgpr9
	v_cmpx_ge_f32_e64 0x3f666666, |v2|
	s_xor_b32 s7, exec_lo, s7
	s_cbranch_execz .LBB136_14
; %bb.13:
	v_cmp_gt_f32_e64 s4, 0x800000, |v2|
	v_sub_f32_e64 v11, 1.0, |v2|
	v_cmp_gt_f32_e64 vcc_lo, 0x3f3b4a23, |v2|
	v_cndmask_b32_e64 v7, 0, 32, s4
	v_cndmask_b32_e64 v12, 0, 0x41b17218, s4
	v_ldexp_f32 v7, |v2|, v7
	v_log_f32_e32 v7, v7
	v_mul_f32_e32 v9, 0x3f317217, v7
	v_cmp_gt_f32_e64 s4, 0x7f800000, |v7|
	v_fma_f32 v10, 0x3f317217, v7, -v9
	v_fmamk_f32 v10, v7, 0x3377d1cf, v10
	v_add_f32_e32 v9, v9, v10
	v_add_f32_e64 v10, 0xbeec5b0c, |v2|
	v_cndmask_b32_e64 v7, v7, v9, s4
	v_cndmask_b32_e32 v9, v11, v10, vcc_lo
	v_cndmask_b32_e64 v10, 0, 1, vcc_lo
	v_cmp_gt_f32_e64 s4, 0x3e6d3309, |v2|
	v_sub_f32_e32 v7, v7, v12
	v_cndmask_b32_e64 v9, v9, |v2|, s4
	v_cndmask_b32_e64 v10, v10, 2, s4
	v_xor_b32_e32 v7, 0x80000000, v7
.LBB136_14:
	s_andn2_saveexec_b32 s4, s7
	s_cbranch_execz .LBB136_16
; %bb.15:
	v_sub_f32_e64 v7, 2.0, |v2|
	v_add_f32_e64 v9, 0xbfbb16c3, |v2|
	v_cmp_gt_f32_e64 vcc_lo, 0x3fdda512, |v2|
	v_add_f32_e64 v10, |v2|, -1.0
	v_cndmask_b32_e32 v9, v7, v9, vcc_lo
	v_cndmask_b32_e64 v7, v7, 1.0, vcc_lo
	v_cmp_gt_f32_e64 vcc_lo, 0x3f9d70a4, |v2|
	v_cvt_i32_f32_e32 v7, v7
	v_cndmask_b32_e32 v9, v9, v10, vcc_lo
	v_cndmask_b32_e64 v10, v7, 2, vcc_lo
	v_mov_b32_e32 v7, 0
.LBB136_16:
	s_or_b32 exec_lo, exec_lo, s4
	s_mov_b32 s4, exec_lo
	v_cmpx_lt_i32_e32 0, v10
	s_xor_b32 s4, exec_lo, s4
	s_cbranch_execz .LBB136_24
; %bb.17:
	s_mov_b32 s7, exec_lo
	v_cmpx_lt_i32_e32 1, v10
	s_xor_b32 s7, exec_lo, s7
	s_cbranch_execz .LBB136_21
; %bb.18:
	s_mov_b32 s8, exec_lo
	v_cmpx_eq_u32_e32 2, v10
	s_cbranch_execz .LBB136_20
; %bb.19:
	s_mov_b32 s9, 0x3b52d5db
	v_fmaak_f32 v10, s9, v9, 0x3dd572af
	s_mov_b32 s9, 0x3c5b3c5e
	v_fmaak_f32 v11, s9, v9, 0x3e6a7578
	v_fmaak_f32 v10, v9, v10, 0x3f44efdf
	;; [unrolled: 1-line block ×7, first 2 shown]
	v_fma_f32 v10, v9, v10, 1.0
	v_fmaak_f32 v11, v9, v11, 0xbd9e233f
	v_rcp_f32_e32 v10, v10
	v_mul_f32_e32 v11, v9, v11
	v_mul_f32_e32 v10, v11, v10
	v_fmac_f32_e32 v10, -0.5, v9
	v_add_f32_e32 v7, v7, v10
.LBB136_20:
	s_or_b32 exec_lo, exec_lo, s8
                                        ; implicit-def: $vgpr9
.LBB136_21:
	s_andn2_saveexec_b32 s7, s7
	s_cbranch_execz .LBB136_23
; %bb.22:
	v_mul_f32_e32 v10, v9, v9
	s_mov_b32 s8, 0xb9a3f927
	s_mov_b32 s9, 0x39afe9f7
	v_mul_f32_e32 v11, v9, v10
	v_fmaak_f32 v12, s8, v11, 0x3a66f867
	v_fmaak_f32 v13, s9, v11, 0xba0d3085
	s_mov_b32 s8, 0x39a57b6b
	v_fmaak_f32 v14, s8, v11, 0xbab7f476
	v_fmaak_f32 v12, v11, v12, 0xbb7177fe
	;; [unrolled: 1-line block ×9, first 2 shown]
	v_fmac_f32_e32 v12, v9, v13
	v_fmaak_f32 v9, v11, v14, 0x3ef7b95e
	v_fma_f32 v11, v11, -v12, 0xa2863e55
	v_fma_f32 v9, v10, v9, -v11
	v_add_f32_e32 v9, 0xbdf8cdce, v9
	v_add_f32_e32 v7, v7, v9
.LBB136_23:
	s_or_b32 exec_lo, exec_lo, s7
                                        ; implicit-def: $vgpr10
                                        ; implicit-def: $vgpr9
.LBB136_24:
	s_andn2_saveexec_b32 s4, s4
	s_cbranch_execz .LBB136_28
; %bb.25:
	s_mov_b32 s7, exec_lo
	v_cmpx_eq_u32_e32 0, v10
	s_cbranch_execz .LBB136_27
; %bb.26:
	v_mul_f32_e32 v10, v9, v9
	s_mov_b32 s8, 0x383c2c75
	v_fmaak_f32 v11, s8, v10, 0x38e28445
	s_mov_b32 s8, 0x37d383a2
	v_fmaak_f32 v12, s8, v10, 0x39679767
	v_fmaak_f32 v11, v10, v11, 0x3a05b634
	;; [unrolled: 1-line block ×9, first 2 shown]
	v_mul_f32_e32 v10, v10, v11
	v_fmac_f32_e32 v10, v9, v12
	v_fmac_f32_e32 v10, -0.5, v9
	v_add_f32_e32 v7, v7, v10
.LBB136_27:
	s_or_b32 exec_lo, exec_lo, s7
.LBB136_28:
	s_or_b32 exec_lo, exec_lo, s4
.LBB136_29:
	s_or_b32 exec_lo, exec_lo, s6
.LBB136_30:
	s_andn2_saveexec_b32 s4, s5
	s_cbranch_execz .LBB136_32
; %bb.31:
	v_cmp_gt_f32_e64 s5, 0x800000, |v2|
	s_mov_b32 s6, 0x3e8a8991
	v_fma_f32 v11, |v2|, s6, 0xbecd26ab
	v_cndmask_b32_e64 v7, 0, 32, s5
	v_ldexp_f32 v7, |v2|, v7
	v_log_f32_e32 v7, v7
	v_mul_f32_e32 v9, 0x3f317217, v7
	v_cmp_gt_f32_e64 vcc_lo, 0x7f800000, |v7|
	v_fma_f32 v10, 0x3f317217, v7, -v9
	v_fmamk_f32 v10, v7, 0x3377d1cf, v10
	v_add_f32_e32 v9, v9, v10
	v_fma_f32 v10, |v2|, v11, 0x3f528d33
	v_cndmask_b32_e32 v7, v7, v9, vcc_lo
	v_cndmask_b32_e64 v9, 0, 0x41b17218, s5
	v_fma_f32 v10, |v2|, v10, 0xbf13c468
	v_sub_f32_e32 v7, v7, v9
	v_fma_f32 v7, |v2|, v10, -v7
.LBB136_32:
	s_or_b32 exec_lo, exec_lo, s4
	v_cmp_le_f32_e32 vcc_lo, 0, v2
	s_mov_b32 s5, exec_lo
	v_cmpx_nle_f32_e32 0, v2
	s_xor_b32 s6, exec_lo, s5
	s_cbranch_execz .LBB136_36
; %bb.33:
	v_cmp_gt_f32_e64 s4, 0x4b000000, |v2|
	v_cmp_lt_f32_e64 s5, 0x35000000, |v2|
	s_and_b32 s4, s4, s5
	s_and_saveexec_b32 s7, s4
	s_cbranch_execz .LBB136_35
; %bb.34:
	v_mul_f32_e64 v9, |v2|, 0.5
	s_mov_b32 s5, 0x3d4be544
	v_xor_b32_e32 v8, v8, v2
	v_floor_f32_e32 v10, v9
	v_cmp_neq_f32_e64 s4, 0x7f800000, v9
	v_sub_f32_e32 v10, v9, v10
	v_min_f32_e32 v10, 0x3f7fffff, v10
	v_add_f32_e32 v10, v10, v10
	v_cndmask_b32_e64 v9, 0, v10, s4
	v_cmp_gt_f32_e64 s4, |v2|, 1.0
	v_cndmask_b32_e64 v9, |v2|, v9, s4
	s_mov_b32 s4, 0x3e75aa41
	v_add_f32_e32 v10, v9, v9
	v_rndne_f32_e32 v10, v10
	v_fmac_f32_e32 v9, -0.5, v10
	v_cvt_i32_f32_e32 v10, v10
	v_mul_f32_e32 v11, v9, v9
	v_fmaak_f32 v12, s4, v11, 0xbf1f24be
	v_fmaak_f32 v13, s5, v11, 0x3e642e9d
	v_mul_f32_e32 v14, v9, v11
	v_fmaak_f32 v12, v11, v12, 0x40234736
	v_fmaak_f32 v13, v11, v13, 0xbfaad1da
	;; [unrolled: 1-line block ×4, first 2 shown]
	v_mul_f32_e32 v12, v14, v12
	v_fmaak_f32 v13, v11, v13, 0xc09de9e6
	v_and_b32_e32 v14, 1, v10
	v_lshlrev_b32_e32 v10, 30, v10
	v_fmamk_f32 v9, v9, 0x40490fdb, v12
	v_fma_f32 v11, v11, v13, 1.0
	v_cmp_eq_u32_e64 s4, 0, v14
	v_and_b32_e32 v10, 0x80000000, v10
	v_cndmask_b32_e64 v9, v11, v9, s4
	v_xor3_b32 v8, v8, v10, v9
	v_mul_f32_e32 v8, v2, v8
	v_frexp_mant_f32_e64 v9, |v8|
	v_frexp_exp_i32_f32_e32 v8, v8
	v_rcp_f32_e32 v9, v9
	v_sub_nc_u32_e32 v8, 2, v8
	v_mul_f32_e32 v9, 0x3f490fdb, v9
	v_ldexp_f32 v8, v9, v8
	v_cmp_gt_f32_e64 s4, 0x800000, v8
	v_cndmask_b32_e64 v9, 0, 32, s4
	v_ldexp_f32 v8, v8, v9
	v_log_f32_e32 v8, v8
	v_mul_f32_e32 v9, 0x3f317217, v8
	v_cmp_gt_f32_e64 s5, 0x7f800000, |v8|
	v_fma_f32 v10, 0x3f317217, v8, -v9
	v_fmamk_f32 v10, v8, 0x3377d1cf, v10
	v_add_f32_e32 v9, v9, v10
	v_floor_f32_e32 v10, v2
	v_cndmask_b32_e64 v8, v8, v9, s5
	v_cndmask_b32_e64 v9, 0, 0x41b17218, s4
	v_sub_f32_e32 v10, v2, v10
	v_sub_f32_e32 v8, v8, v9
	v_min_f32_e32 v9, 0x3f7fffff, v10
	v_sub_f32_e32 v7, v8, v7
	v_cmp_neq_f32_e64 s4, 0, v9
	v_cndmask_b32_e64 v7, 0x7f800000, v7, s4
.LBB136_35:
	s_or_b32 exec_lo, exec_lo, s7
.LBB136_36:
	s_andn2_saveexec_b32 s6, s6
; %bb.37:
	v_cmp_eq_f32_e64 s4, 1.0, v2
	v_cmp_eq_f32_e64 s5, 2.0, v2
	s_or_b32 s4, s4, s5
	v_cndmask_b32_e64 v7, v7, 0, s4
; %bb.38:
	s_or_b32 exec_lo, exec_lo, s6
	v_and_b32_e32 v9, 0x7fffffff, v3
                                        ; implicit-def: $vgpr8
	s_mov_b32 s5, exec_lo
	v_cmpx_ngt_f32_e64 0x3c800000, |v3|
	s_xor_b32 s6, exec_lo, s5
	s_cbranch_execz .LBB136_68
; %bb.39:
                                        ; implicit-def: $vgpr8
	s_mov_b32 s5, exec_lo
	v_cmpx_nlt_f32_e64 |v3|, 2.0
	s_xor_b32 s7, exec_lo, s5
	s_cbranch_execz .LBB136_49
; %bb.40:
	s_mov_b32 s5, exec_lo
                                        ; implicit-def: $vgpr8
	v_cmpx_ngt_f32_e64 0x41000000, |v3|
	s_xor_b32 s5, exec_lo, s5
	s_cbranch_execz .LBB136_46
; %bb.41:
	s_mov_b32 s8, exec_lo
                                        ; implicit-def: $vgpr8
	v_cmpx_ngt_f32_e64 0x5c800000, |v3|
	s_xor_b32 s8, exec_lo, s8
	s_cbranch_execz .LBB136_43
; %bb.42:
	v_cmp_gt_f32_e64 s9, 0x800000, |v3|
	v_cndmask_b32_e64 v8, 0, 32, s9
	v_ldexp_f32 v8, |v3|, v8
	v_log_f32_e32 v8, v8
	v_mul_f32_e32 v10, 0x3f317217, v8
	v_cmp_gt_f32_e64 s4, 0x7f800000, |v8|
	v_fma_f32 v11, 0x3f317217, v8, -v10
	v_fmamk_f32 v11, v8, 0x3377d1cf, v11
	v_add_f32_e32 v10, v10, v11
	v_cndmask_b32_e64 v8, v8, v10, s4
	v_cndmask_b32_e64 v10, 0, 0x41b17218, s9
	v_sub_f32_e32 v8, v8, v10
	v_fma_f32 v8, |v3|, v8, -|v3|
.LBB136_43:
	s_andn2_saveexec_b32 s8, s8
	s_cbranch_execz .LBB136_45
; %bb.44:
	v_cmp_gt_f32_e64 s9, 0x800000, |v3|
	v_rcp_f32_e64 v10, |v3|
	s_mov_b32 s4, 0xbad5c4e8
	v_cndmask_b32_e64 v8, 0, 32, s9
	v_ldexp_f32 v8, |v3|, v8
	v_mul_f32_e32 v11, v10, v10
	v_log_f32_e32 v8, v8
	v_fmaak_f32 v13, s4, v11, 0x3a5b3dd2
	v_fmaak_f32 v13, v11, v13, 0xba1c065c
	v_mul_f32_e32 v12, 0x3f317217, v8
	v_fmaak_f32 v13, v11, v13, 0x3a500cfd
	v_cmp_gt_f32_e64 s4, 0x7f800000, |v8|
	v_fma_f32 v14, 0x3f317217, v8, -v12
	v_fmaak_f32 v13, v11, v13, 0xbb360b61
	v_fmamk_f32 v14, v8, 0x3377d1cf, v14
	v_fmaak_f32 v11, v11, v13, 0x3daaaaab
	v_add_f32_e32 v12, v12, v14
	v_cndmask_b32_e64 v8, v8, v12, s4
	v_cndmask_b32_e64 v12, 0, 0x41b17218, s9
	v_sub_f32_e32 v12, v8, v12
	v_fmaak_f32 v8, v10, v11, 0x3ed67f1d
	v_add_f32_e64 v10, |v3|, -0.5
	v_add_f32_e32 v11, -1.0, v12
	v_fmac_f32_e32 v8, v10, v11
.LBB136_45:
	s_or_b32 exec_lo, exec_lo, s8
.LBB136_46:
	s_andn2_saveexec_b32 s8, s5
	s_cbranch_execz .LBB136_48
; %bb.47:
	v_cvt_i32_f32_e32 v8, v9
	s_mov_b32 s5, 0x3805ff67
	v_cvt_f32_i32_e32 v10, v8
	v_cmp_lt_i32_e64 s4, 2, v8
	v_sub_f32_e64 v10, |v3|, v10
	v_add_f32_e32 v11, 2.0, v10
	v_add_f32_e32 v12, 0x40400000, v10
	v_add_f32_e32 v13, 4.0, v10
	v_add_f32_e32 v14, 0x40a00000, v10
	v_cndmask_b32_e64 v11, 1.0, v11, s4
	v_cmp_lt_i32_e64 s4, 3, v8
	v_cndmask_b32_e64 v12, 1.0, v12, s4
	v_cmp_lt_i32_e64 s4, 4, v8
	v_mul_f32_e32 v11, v11, v12
	v_cndmask_b32_e64 v13, 1.0, v13, s4
	v_cmp_lt_i32_e64 s4, 5, v8
	v_add_f32_e32 v12, 0x40c00000, v10
	v_mul_f32_e32 v11, v13, v11
	v_cndmask_b32_e64 v14, 1.0, v14, s4
	v_cmp_lt_i32_e64 s4, 6, v8
	v_fmaak_f32 v13, s5, v10, 0x3af135b4
	v_mul_f32_e32 v11, v14, v11
	v_cndmask_b32_e64 v8, 1.0, v12, s4
	s_mov_b32 s4, 0x36f5d7bd
	v_mul_f32_e32 v8, v8, v11
	v_fmaak_f32 v11, s4, v10, 0x3a4beed6
	v_cmp_gt_f32_e64 s4, 0x800000, v8
	v_fmaak_f32 v11, v10, v11, 0x3c98bf54
	v_cndmask_b32_e64 v12, 0, 32, s4
	v_fmaak_f32 v11, v10, v11, 0x3e300f6e
	v_ldexp_f32 v8, v8, v12
	v_fmaak_f32 v12, v10, v13, 0x3cda40e4
	v_fmaak_f32 v11, v10, v11, 0x3f38d0c5
	v_log_f32_e32 v8, v8
	v_fmaak_f32 v12, v10, v12, 0x3e15dce6
	v_fmaak_f32 v11, v10, v11, 0x3fb22d3b
	;; [unrolled: 1-line block ×3, first 2 shown]
	v_fma_f32 v11, v10, v11, 1.0
	v_mul_f32_e32 v13, 0x3f317217, v8
	v_fmaak_f32 v12, v10, v12, 0x3e5c245a
	v_rcp_f32_e32 v11, v11
	v_cmp_gt_f32_e64 s5, 0x7f800000, |v8|
	v_fma_f32 v14, 0x3f317217, v8, -v13
	v_fmaak_f32 v12, v10, v12, 0xbd9e233f
	v_fmamk_f32 v14, v8, 0x3377d1cf, v14
	v_mul_f32_e32 v12, v10, v12
	v_add_f32_e32 v13, v13, v14
	v_mul_f32_e32 v11, v12, v11
	v_cndmask_b32_e64 v12, 0, 0x41b17218, s4
	v_cndmask_b32_e64 v8, v8, v13, s5
	v_fmac_f32_e32 v11, 0.5, v10
	v_sub_f32_e32 v8, v8, v12
	v_add_f32_e32 v8, v8, v11
.LBB136_48:
	s_or_b32 exec_lo, exec_lo, s8
.LBB136_49:
	s_andn2_saveexec_b32 s7, s7
	s_cbranch_execz .LBB136_67
; %bb.50:
                                        ; implicit-def: $vgpr8
                                        ; implicit-def: $vgpr11
                                        ; implicit-def: $vgpr10
	s_mov_b32 s5, exec_lo
	v_cmpx_ge_f32_e64 0x3f666666, |v3|
	s_xor_b32 s8, exec_lo, s5
	s_cbranch_execz .LBB136_52
; %bb.51:
	v_cmp_gt_f32_e64 s5, 0x800000, |v3|
	v_sub_f32_e64 v12, 1.0, |v3|
	v_cmp_gt_f32_e64 s4, 0x3f3b4a23, |v3|
	v_cndmask_b32_e64 v8, 0, 32, s5
	v_cndmask_b32_e64 v13, 0, 0x41b17218, s5
	v_ldexp_f32 v8, |v3|, v8
	v_log_f32_e32 v8, v8
	v_mul_f32_e32 v10, 0x3f317217, v8
	v_cmp_gt_f32_e64 s5, 0x7f800000, |v8|
	v_fma_f32 v11, 0x3f317217, v8, -v10
	v_fmamk_f32 v11, v8, 0x3377d1cf, v11
	v_add_f32_e32 v10, v10, v11
	v_add_f32_e64 v11, 0xbeec5b0c, |v3|
	v_cndmask_b32_e64 v8, v8, v10, s5
	v_cndmask_b32_e64 v10, v12, v11, s4
	;; [unrolled: 1-line block ×3, first 2 shown]
	v_cmp_gt_f32_e64 s4, 0x3e6d3309, |v3|
	v_sub_f32_e32 v8, v8, v13
	v_cndmask_b32_e64 v10, v10, |v3|, s4
	v_cndmask_b32_e64 v11, v11, 2, s4
	v_xor_b32_e32 v8, 0x80000000, v8
.LBB136_52:
	s_andn2_saveexec_b32 s5, s8
	s_cbranch_execz .LBB136_54
; %bb.53:
	v_sub_f32_e64 v8, 2.0, |v3|
	v_add_f32_e64 v10, 0xbfbb16c3, |v3|
	v_cmp_gt_f32_e64 s4, 0x3fdda512, |v3|
	v_add_f32_e64 v11, |v3|, -1.0
	v_cndmask_b32_e64 v10, v8, v10, s4
	v_cndmask_b32_e64 v8, v8, 1.0, s4
	v_cmp_gt_f32_e64 s4, 0x3f9d70a4, |v3|
	v_cvt_i32_f32_e32 v8, v8
	v_cndmask_b32_e64 v10, v10, v11, s4
	v_cndmask_b32_e64 v11, v8, 2, s4
	v_mov_b32_e32 v8, 0
.LBB136_54:
	s_or_b32 exec_lo, exec_lo, s5
	s_mov_b32 s5, exec_lo
	v_cmpx_lt_i32_e32 0, v11
	s_xor_b32 s5, exec_lo, s5
	s_cbranch_execz .LBB136_62
; %bb.55:
	s_mov_b32 s8, exec_lo
	v_cmpx_lt_i32_e32 1, v11
	s_xor_b32 s8, exec_lo, s8
	s_cbranch_execz .LBB136_59
; %bb.56:
	s_mov_b32 s9, exec_lo
	v_cmpx_eq_u32_e32 2, v11
	s_cbranch_execz .LBB136_58
; %bb.57:
	s_mov_b32 s4, 0x3b52d5db
	v_fmaak_f32 v11, s4, v10, 0x3dd572af
	s_mov_b32 s4, 0x3c5b3c5e
	v_fmaak_f32 v12, s4, v10, 0x3e6a7578
	v_fmaak_f32 v11, v10, v11, 0x3f44efdf
	;; [unrolled: 1-line block ×7, first 2 shown]
	v_fma_f32 v11, v10, v11, 1.0
	v_fmaak_f32 v12, v10, v12, 0xbd9e233f
	v_rcp_f32_e32 v11, v11
	v_mul_f32_e32 v12, v10, v12
	v_mul_f32_e32 v11, v12, v11
	v_fmac_f32_e32 v11, -0.5, v10
	v_add_f32_e32 v8, v8, v11
.LBB136_58:
	s_or_b32 exec_lo, exec_lo, s9
                                        ; implicit-def: $vgpr10
.LBB136_59:
	s_andn2_saveexec_b32 s4, s8
	s_cbranch_execz .LBB136_61
; %bb.60:
	v_mul_f32_e32 v11, v10, v10
	s_mov_b32 s8, 0xb9a3f927
	s_mov_b32 s9, 0x39afe9f7
	v_mul_f32_e32 v12, v10, v11
	v_fmaak_f32 v13, s8, v12, 0x3a66f867
	v_fmaak_f32 v14, s9, v12, 0xba0d3085
	s_mov_b32 s8, 0x39a57b6b
	v_fmaak_f32 v15, s8, v12, 0xbab7f476
	v_fmaak_f32 v13, v12, v13, 0xbb7177fe
	;; [unrolled: 1-line block ×9, first 2 shown]
	v_fmac_f32_e32 v13, v10, v14
	v_fmaak_f32 v10, v12, v15, 0x3ef7b95e
	v_fma_f32 v12, v12, -v13, 0xa2863e55
	v_fma_f32 v10, v11, v10, -v12
	v_add_f32_e32 v10, 0xbdf8cdce, v10
	v_add_f32_e32 v8, v8, v10
.LBB136_61:
	s_or_b32 exec_lo, exec_lo, s4
                                        ; implicit-def: $vgpr11
                                        ; implicit-def: $vgpr10
.LBB136_62:
	s_andn2_saveexec_b32 s5, s5
	s_cbranch_execz .LBB136_66
; %bb.63:
	s_mov_b32 s8, exec_lo
	v_cmpx_eq_u32_e32 0, v11
	s_cbranch_execz .LBB136_65
; %bb.64:
	v_mul_f32_e32 v11, v10, v10
	s_mov_b32 s4, 0x383c2c75
	v_fmaak_f32 v12, s4, v11, 0x38e28445
	s_mov_b32 s4, 0x37d383a2
	v_fmaak_f32 v13, s4, v11, 0x39679767
	v_fmaak_f32 v12, v11, v12, 0x3a05b634
	v_fmaak_f32 v13, v11, v13, 0x3a9c54a1
	v_fmaak_f32 v12, v11, v12, 0x3b3d6ec6
	v_fmaak_f32 v13, v11, v13, 0x3bf2027e
	v_fmaak_f32 v12, v11, v12, 0x3ca89915
	v_fmaak_f32 v13, v11, v13, 0x3d89f001
	v_fmaak_f32 v12, v11, v12, 0x3ea51a66
	v_fmaak_f32 v13, v11, v13, 0x3d9e233f
	v_mul_f32_e32 v11, v11, v12
	v_fmac_f32_e32 v11, v10, v13
	v_fmac_f32_e32 v11, -0.5, v10
	v_add_f32_e32 v8, v8, v11
.LBB136_65:
	s_or_b32 exec_lo, exec_lo, s8
.LBB136_66:
	s_or_b32 exec_lo, exec_lo, s5
.LBB136_67:
	s_or_b32 exec_lo, exec_lo, s7
.LBB136_68:
	s_andn2_saveexec_b32 s5, s6
	s_cbranch_execz .LBB136_70
; %bb.69:
	v_cmp_gt_f32_e64 s6, 0x800000, |v3|
	s_mov_b32 s4, 0x3e8a8991
	v_fma_f32 v12, |v3|, s4, 0xbecd26ab
	v_cndmask_b32_e64 v8, 0, 32, s6
	v_ldexp_f32 v8, |v3|, v8
	v_log_f32_e32 v8, v8
	v_mul_f32_e32 v10, 0x3f317217, v8
	v_cmp_gt_f32_e64 s4, 0x7f800000, |v8|
	v_fma_f32 v11, 0x3f317217, v8, -v10
	v_fmamk_f32 v11, v8, 0x3377d1cf, v11
	v_add_f32_e32 v10, v10, v11
	v_fma_f32 v11, |v3|, v12, 0x3f528d33
	v_cndmask_b32_e64 v8, v8, v10, s4
	v_cndmask_b32_e64 v10, 0, 0x41b17218, s6
	v_fma_f32 v11, |v3|, v11, 0xbf13c468
	v_sub_f32_e32 v8, v8, v10
	v_fma_f32 v8, |v3|, v11, -v8
.LBB136_70:
	s_or_b32 exec_lo, exec_lo, s5
	v_cmp_le_f32_e64 s4, 0, v3
	s_mov_b32 s6, exec_lo
	v_cmpx_nle_f32_e32 0, v3
	s_xor_b32 s7, exec_lo, s6
	s_cbranch_execz .LBB136_74
; %bb.71:
	v_cmp_gt_f32_e64 s5, 0x4b000000, |v3|
	v_cmp_lt_f32_e64 s6, 0x35000000, |v3|
	s_and_b32 s5, s5, s6
	s_and_saveexec_b32 s8, s5
	s_cbranch_execz .LBB136_73
; %bb.72:
	v_mul_f32_e64 v10, |v3|, 0.5
	s_mov_b32 s6, 0x3d4be544
	v_xor_b32_e32 v9, v9, v3
	v_floor_f32_e32 v11, v10
	v_cmp_neq_f32_e64 s5, 0x7f800000, v10
	v_sub_f32_e32 v11, v10, v11
	v_min_f32_e32 v11, 0x3f7fffff, v11
	v_add_f32_e32 v11, v11, v11
	v_cndmask_b32_e64 v10, 0, v11, s5
	v_cmp_gt_f32_e64 s5, |v3|, 1.0
	v_cndmask_b32_e64 v10, |v3|, v10, s5
	s_mov_b32 s5, 0x3e75aa41
	v_add_f32_e32 v11, v10, v10
	v_rndne_f32_e32 v11, v11
	v_fmac_f32_e32 v10, -0.5, v11
	v_cvt_i32_f32_e32 v11, v11
	v_mul_f32_e32 v12, v10, v10
	v_fmaak_f32 v13, s5, v12, 0xbf1f24be
	v_fmaak_f32 v14, s6, v12, 0x3e642e9d
	v_mul_f32_e32 v15, v10, v12
	v_fmaak_f32 v13, v12, v13, 0x40234736
	v_fmaak_f32 v14, v12, v14, 0xbfaad1da
	;; [unrolled: 1-line block ×4, first 2 shown]
	v_mul_f32_e32 v13, v15, v13
	v_fmaak_f32 v14, v12, v14, 0xc09de9e6
	v_and_b32_e32 v15, 1, v11
	v_lshlrev_b32_e32 v11, 30, v11
	v_fmamk_f32 v10, v10, 0x40490fdb, v13
	v_fma_f32 v12, v12, v14, 1.0
	v_cmp_eq_u32_e64 s5, 0, v15
	v_and_b32_e32 v11, 0x80000000, v11
	v_cndmask_b32_e64 v10, v12, v10, s5
	v_xor3_b32 v9, v9, v11, v10
	v_mul_f32_e32 v9, v3, v9
	v_frexp_mant_f32_e64 v10, |v9|
	v_frexp_exp_i32_f32_e32 v9, v9
	v_rcp_f32_e32 v10, v10
	v_sub_nc_u32_e32 v9, 2, v9
	v_mul_f32_e32 v10, 0x3f490fdb, v10
	v_ldexp_f32 v9, v10, v9
	v_cmp_gt_f32_e64 s5, 0x800000, v9
	v_cndmask_b32_e64 v10, 0, 32, s5
	v_ldexp_f32 v9, v9, v10
	v_log_f32_e32 v9, v9
	v_mul_f32_e32 v10, 0x3f317217, v9
	v_cmp_gt_f32_e64 s6, 0x7f800000, |v9|
	v_fma_f32 v11, 0x3f317217, v9, -v10
	v_fmamk_f32 v11, v9, 0x3377d1cf, v11
	v_add_f32_e32 v10, v10, v11
	v_floor_f32_e32 v11, v3
	v_cndmask_b32_e64 v9, v9, v10, s6
	v_cndmask_b32_e64 v10, 0, 0x41b17218, s5
	v_sub_f32_e32 v11, v3, v11
	v_sub_f32_e32 v9, v9, v10
	v_min_f32_e32 v10, 0x3f7fffff, v11
	v_sub_f32_e32 v8, v9, v8
	v_cmp_neq_f32_e64 s5, 0, v10
	v_cndmask_b32_e64 v8, 0x7f800000, v8, s5
.LBB136_73:
	s_or_b32 exec_lo, exec_lo, s8
.LBB136_74:
	s_andn2_saveexec_b32 s7, s7
; %bb.75:
	v_cmp_eq_f32_e64 s5, 1.0, v3
	v_cmp_eq_f32_e64 s6, 2.0, v3
	s_or_b32 s5, s5, s6
	v_cndmask_b32_e64 v8, v8, 0, s5
; %bb.76:
	s_or_b32 exec_lo, exec_lo, s7
	v_and_b32_e32 v10, 0x7fffffff, v4
                                        ; implicit-def: $vgpr9
	s_mov_b32 s6, exec_lo
	v_cmpx_ngt_f32_e64 0x3c800000, |v4|
	s_xor_b32 s7, exec_lo, s6
	s_cbranch_execz .LBB136_106
; %bb.77:
                                        ; implicit-def: $vgpr9
	s_mov_b32 s6, exec_lo
	v_cmpx_nlt_f32_e64 |v4|, 2.0
	s_xor_b32 s8, exec_lo, s6
	s_cbranch_execz .LBB136_87
; %bb.78:
	s_mov_b32 s6, exec_lo
                                        ; implicit-def: $vgpr9
	v_cmpx_ngt_f32_e64 0x41000000, |v4|
	s_xor_b32 s6, exec_lo, s6
	s_cbranch_execz .LBB136_84
; %bb.79:
	s_mov_b32 s9, exec_lo
                                        ; implicit-def: $vgpr9
	v_cmpx_ngt_f32_e64 0x5c800000, |v4|
	s_xor_b32 s9, exec_lo, s9
	s_cbranch_execz .LBB136_81
; %bb.80:
	v_cmp_gt_f32_e64 s12, 0x800000, |v4|
	v_cndmask_b32_e64 v9, 0, 32, s12
	v_ldexp_f32 v9, |v4|, v9
	v_log_f32_e32 v9, v9
	v_mul_f32_e32 v11, 0x3f317217, v9
	v_cmp_gt_f32_e64 s5, 0x7f800000, |v9|
	v_fma_f32 v12, 0x3f317217, v9, -v11
	v_fmamk_f32 v12, v9, 0x3377d1cf, v12
	v_add_f32_e32 v11, v11, v12
	v_cndmask_b32_e64 v9, v9, v11, s5
	v_cndmask_b32_e64 v11, 0, 0x41b17218, s12
	v_sub_f32_e32 v9, v9, v11
	v_fma_f32 v9, |v4|, v9, -|v4|
.LBB136_81:
	s_andn2_saveexec_b32 s9, s9
	s_cbranch_execz .LBB136_83
; %bb.82:
	v_cmp_gt_f32_e64 s12, 0x800000, |v4|
	v_rcp_f32_e64 v11, |v4|
	s_mov_b32 s5, 0xbad5c4e8
	v_cndmask_b32_e64 v9, 0, 32, s12
	v_ldexp_f32 v9, |v4|, v9
	v_mul_f32_e32 v12, v11, v11
	v_log_f32_e32 v9, v9
	v_fmaak_f32 v14, s5, v12, 0x3a5b3dd2
	v_fmaak_f32 v14, v12, v14, 0xba1c065c
	v_mul_f32_e32 v13, 0x3f317217, v9
	v_fmaak_f32 v14, v12, v14, 0x3a500cfd
	v_cmp_gt_f32_e64 s5, 0x7f800000, |v9|
	v_fma_f32 v15, 0x3f317217, v9, -v13
	v_fmaak_f32 v14, v12, v14, 0xbb360b61
	v_fmamk_f32 v15, v9, 0x3377d1cf, v15
	v_fmaak_f32 v12, v12, v14, 0x3daaaaab
	v_add_f32_e32 v13, v13, v15
	v_cndmask_b32_e64 v9, v9, v13, s5
	v_cndmask_b32_e64 v13, 0, 0x41b17218, s12
	v_sub_f32_e32 v13, v9, v13
	v_fmaak_f32 v9, v11, v12, 0x3ed67f1d
	v_add_f32_e64 v11, |v4|, -0.5
	v_add_f32_e32 v12, -1.0, v13
	v_fmac_f32_e32 v9, v11, v12
.LBB136_83:
	s_or_b32 exec_lo, exec_lo, s9
.LBB136_84:
	s_andn2_saveexec_b32 s9, s6
	s_cbranch_execz .LBB136_86
; %bb.85:
	v_cvt_i32_f32_e32 v9, v10
	s_mov_b32 s6, 0x3805ff67
	v_cvt_f32_i32_e32 v11, v9
	v_cmp_lt_i32_e64 s5, 2, v9
	v_sub_f32_e64 v11, |v4|, v11
	v_add_f32_e32 v12, 2.0, v11
	v_add_f32_e32 v13, 0x40400000, v11
	v_add_f32_e32 v14, 4.0, v11
	v_add_f32_e32 v15, 0x40a00000, v11
	v_cndmask_b32_e64 v12, 1.0, v12, s5
	v_cmp_lt_i32_e64 s5, 3, v9
	v_cndmask_b32_e64 v13, 1.0, v13, s5
	v_cmp_lt_i32_e64 s5, 4, v9
	v_mul_f32_e32 v12, v12, v13
	v_cndmask_b32_e64 v14, 1.0, v14, s5
	v_cmp_lt_i32_e64 s5, 5, v9
	v_add_f32_e32 v13, 0x40c00000, v11
	v_mul_f32_e32 v12, v14, v12
	v_cndmask_b32_e64 v15, 1.0, v15, s5
	v_cmp_lt_i32_e64 s5, 6, v9
	v_fmaak_f32 v14, s6, v11, 0x3af135b4
	v_mul_f32_e32 v12, v15, v12
	v_cndmask_b32_e64 v9, 1.0, v13, s5
	s_mov_b32 s5, 0x36f5d7bd
	v_mul_f32_e32 v9, v9, v12
	v_fmaak_f32 v12, s5, v11, 0x3a4beed6
	v_cmp_gt_f32_e64 s5, 0x800000, v9
	v_fmaak_f32 v12, v11, v12, 0x3c98bf54
	v_cndmask_b32_e64 v13, 0, 32, s5
	v_fmaak_f32 v12, v11, v12, 0x3e300f6e
	v_ldexp_f32 v9, v9, v13
	v_fmaak_f32 v13, v11, v14, 0x3cda40e4
	v_fmaak_f32 v12, v11, v12, 0x3f38d0c5
	v_log_f32_e32 v9, v9
	v_fmaak_f32 v13, v11, v13, 0x3e15dce6
	v_fmaak_f32 v12, v11, v12, 0x3fb22d3b
	;; [unrolled: 1-line block ×3, first 2 shown]
	v_fma_f32 v12, v11, v12, 1.0
	v_mul_f32_e32 v14, 0x3f317217, v9
	v_fmaak_f32 v13, v11, v13, 0x3e5c245a
	v_rcp_f32_e32 v12, v12
	v_cmp_gt_f32_e64 s6, 0x7f800000, |v9|
	v_fma_f32 v15, 0x3f317217, v9, -v14
	v_fmaak_f32 v13, v11, v13, 0xbd9e233f
	v_fmamk_f32 v15, v9, 0x3377d1cf, v15
	v_mul_f32_e32 v13, v11, v13
	v_add_f32_e32 v14, v14, v15
	v_mul_f32_e32 v12, v13, v12
	v_cndmask_b32_e64 v13, 0, 0x41b17218, s5
	v_cndmask_b32_e64 v9, v9, v14, s6
	v_fmac_f32_e32 v12, 0.5, v11
	v_sub_f32_e32 v9, v9, v13
	v_add_f32_e32 v9, v9, v12
.LBB136_86:
	s_or_b32 exec_lo, exec_lo, s9
.LBB136_87:
	s_andn2_saveexec_b32 s8, s8
	s_cbranch_execz .LBB136_105
; %bb.88:
                                        ; implicit-def: $vgpr9
                                        ; implicit-def: $vgpr12
                                        ; implicit-def: $vgpr11
	s_mov_b32 s6, exec_lo
	v_cmpx_ge_f32_e64 0x3f666666, |v4|
	s_xor_b32 s9, exec_lo, s6
	s_cbranch_execz .LBB136_90
; %bb.89:
	v_cmp_gt_f32_e64 s6, 0x800000, |v4|
	v_sub_f32_e64 v13, 1.0, |v4|
	v_cmp_gt_f32_e64 s5, 0x3f3b4a23, |v4|
	v_cndmask_b32_e64 v9, 0, 32, s6
	v_cndmask_b32_e64 v14, 0, 0x41b17218, s6
	v_ldexp_f32 v9, |v4|, v9
	v_log_f32_e32 v9, v9
	v_mul_f32_e32 v11, 0x3f317217, v9
	v_cmp_gt_f32_e64 s6, 0x7f800000, |v9|
	v_fma_f32 v12, 0x3f317217, v9, -v11
	v_fmamk_f32 v12, v9, 0x3377d1cf, v12
	v_add_f32_e32 v11, v11, v12
	v_add_f32_e64 v12, 0xbeec5b0c, |v4|
	v_cndmask_b32_e64 v9, v9, v11, s6
	v_cndmask_b32_e64 v11, v13, v12, s5
	;; [unrolled: 1-line block ×3, first 2 shown]
	v_cmp_gt_f32_e64 s5, 0x3e6d3309, |v4|
	v_sub_f32_e32 v9, v9, v14
	v_cndmask_b32_e64 v11, v11, |v4|, s5
	v_cndmask_b32_e64 v12, v12, 2, s5
	v_xor_b32_e32 v9, 0x80000000, v9
.LBB136_90:
	s_andn2_saveexec_b32 s6, s9
	s_cbranch_execz .LBB136_92
; %bb.91:
	v_sub_f32_e64 v9, 2.0, |v4|
	v_add_f32_e64 v11, 0xbfbb16c3, |v4|
	v_cmp_gt_f32_e64 s5, 0x3fdda512, |v4|
	v_add_f32_e64 v12, |v4|, -1.0
	v_cndmask_b32_e64 v11, v9, v11, s5
	v_cndmask_b32_e64 v9, v9, 1.0, s5
	v_cmp_gt_f32_e64 s5, 0x3f9d70a4, |v4|
	v_cvt_i32_f32_e32 v9, v9
	v_cndmask_b32_e64 v11, v11, v12, s5
	v_cndmask_b32_e64 v12, v9, 2, s5
	v_mov_b32_e32 v9, 0
.LBB136_92:
	s_or_b32 exec_lo, exec_lo, s6
	s_mov_b32 s6, exec_lo
	v_cmpx_lt_i32_e32 0, v12
	s_xor_b32 s6, exec_lo, s6
	s_cbranch_execz .LBB136_100
; %bb.93:
	s_mov_b32 s9, exec_lo
	v_cmpx_lt_i32_e32 1, v12
	s_xor_b32 s9, exec_lo, s9
	s_cbranch_execz .LBB136_97
; %bb.94:
	s_mov_b32 s12, exec_lo
	v_cmpx_eq_u32_e32 2, v12
	s_cbranch_execz .LBB136_96
; %bb.95:
	s_mov_b32 s5, 0x3b52d5db
	v_fmaak_f32 v12, s5, v11, 0x3dd572af
	s_mov_b32 s5, 0x3c5b3c5e
	v_fmaak_f32 v13, s5, v11, 0x3e6a7578
	v_fmaak_f32 v12, v11, v12, 0x3f44efdf
	;; [unrolled: 1-line block ×7, first 2 shown]
	v_fma_f32 v12, v11, v12, 1.0
	v_fmaak_f32 v13, v11, v13, 0xbd9e233f
	v_rcp_f32_e32 v12, v12
	v_mul_f32_e32 v13, v11, v13
	v_mul_f32_e32 v12, v13, v12
	v_fmac_f32_e32 v12, -0.5, v11
	v_add_f32_e32 v9, v9, v12
.LBB136_96:
	s_or_b32 exec_lo, exec_lo, s12
                                        ; implicit-def: $vgpr11
.LBB136_97:
	s_andn2_saveexec_b32 s5, s9
	s_cbranch_execz .LBB136_99
; %bb.98:
	v_mul_f32_e32 v12, v11, v11
	s_mov_b32 s9, 0xb9a3f927
	s_mov_b32 s12, 0x39afe9f7
	v_mul_f32_e32 v13, v11, v12
	v_fmaak_f32 v14, s9, v13, 0x3a66f867
	v_fmaak_f32 v15, s12, v13, 0xba0d3085
	s_mov_b32 s9, 0x39a57b6b
	v_fmaak_f32 v16, s9, v13, 0xbab7f476
	v_fmaak_f32 v14, v13, v14, 0xbb7177fe
	;; [unrolled: 1-line block ×9, first 2 shown]
	v_fmac_f32_e32 v14, v11, v15
	v_fmaak_f32 v11, v13, v16, 0x3ef7b95e
	v_fma_f32 v13, v13, -v14, 0xa2863e55
	v_fma_f32 v11, v12, v11, -v13
	v_add_f32_e32 v11, 0xbdf8cdce, v11
	v_add_f32_e32 v9, v9, v11
.LBB136_99:
	s_or_b32 exec_lo, exec_lo, s5
                                        ; implicit-def: $vgpr12
                                        ; implicit-def: $vgpr11
.LBB136_100:
	s_andn2_saveexec_b32 s6, s6
	s_cbranch_execz .LBB136_104
; %bb.101:
	s_mov_b32 s9, exec_lo
	v_cmpx_eq_u32_e32 0, v12
	s_cbranch_execz .LBB136_103
; %bb.102:
	v_mul_f32_e32 v12, v11, v11
	s_mov_b32 s5, 0x383c2c75
	v_fmaak_f32 v13, s5, v12, 0x38e28445
	s_mov_b32 s5, 0x37d383a2
	v_fmaak_f32 v14, s5, v12, 0x39679767
	v_fmaak_f32 v13, v12, v13, 0x3a05b634
	;; [unrolled: 1-line block ×9, first 2 shown]
	v_mul_f32_e32 v12, v12, v13
	v_fmac_f32_e32 v12, v11, v14
	v_fmac_f32_e32 v12, -0.5, v11
	v_add_f32_e32 v9, v9, v12
.LBB136_103:
	s_or_b32 exec_lo, exec_lo, s9
.LBB136_104:
	s_or_b32 exec_lo, exec_lo, s6
.LBB136_105:
	s_or_b32 exec_lo, exec_lo, s8
.LBB136_106:
	s_andn2_saveexec_b32 s6, s7
	s_cbranch_execz .LBB136_108
; %bb.107:
	v_cmp_gt_f32_e64 s7, 0x800000, |v4|
	s_mov_b32 s5, 0x3e8a8991
	v_fma_f32 v13, |v4|, s5, 0xbecd26ab
	v_cndmask_b32_e64 v9, 0, 32, s7
	v_ldexp_f32 v9, |v4|, v9
	v_log_f32_e32 v9, v9
	v_mul_f32_e32 v11, 0x3f317217, v9
	v_cmp_gt_f32_e64 s5, 0x7f800000, |v9|
	v_fma_f32 v12, 0x3f317217, v9, -v11
	v_fmamk_f32 v12, v9, 0x3377d1cf, v12
	v_add_f32_e32 v11, v11, v12
	v_fma_f32 v12, |v4|, v13, 0x3f528d33
	v_cndmask_b32_e64 v9, v9, v11, s5
	v_cndmask_b32_e64 v11, 0, 0x41b17218, s7
	v_fma_f32 v12, |v4|, v12, 0xbf13c468
	v_sub_f32_e32 v9, v9, v11
	v_fma_f32 v9, |v4|, v12, -v9
.LBB136_108:
	s_or_b32 exec_lo, exec_lo, s6
	v_cmp_le_f32_e64 s5, 0, v4
	s_mov_b32 s7, exec_lo
	v_cmpx_nle_f32_e32 0, v4
	s_xor_b32 s8, exec_lo, s7
	s_cbranch_execz .LBB136_112
; %bb.109:
	v_cmp_gt_f32_e64 s6, 0x4b000000, |v4|
	v_cmp_lt_f32_e64 s7, 0x35000000, |v4|
	s_and_b32 s6, s6, s7
	s_and_saveexec_b32 s9, s6
	s_cbranch_execz .LBB136_111
; %bb.110:
	v_mul_f32_e64 v11, |v4|, 0.5
	s_mov_b32 s7, 0x3d4be544
	v_xor_b32_e32 v10, v10, v4
	v_floor_f32_e32 v12, v11
	v_cmp_neq_f32_e64 s6, 0x7f800000, v11
	v_sub_f32_e32 v12, v11, v12
	v_min_f32_e32 v12, 0x3f7fffff, v12
	v_add_f32_e32 v12, v12, v12
	v_cndmask_b32_e64 v11, 0, v12, s6
	v_cmp_gt_f32_e64 s6, |v4|, 1.0
	v_cndmask_b32_e64 v11, |v4|, v11, s6
	s_mov_b32 s6, 0x3e75aa41
	v_add_f32_e32 v12, v11, v11
	v_rndne_f32_e32 v12, v12
	v_fmac_f32_e32 v11, -0.5, v12
	v_cvt_i32_f32_e32 v12, v12
	v_mul_f32_e32 v13, v11, v11
	v_fmaak_f32 v14, s6, v13, 0xbf1f24be
	v_fmaak_f32 v15, s7, v13, 0x3e642e9d
	v_mul_f32_e32 v16, v11, v13
	v_fmaak_f32 v14, v13, v14, 0x40234736
	v_fmaak_f32 v15, v13, v15, 0xbfaad1da
	;; [unrolled: 1-line block ×4, first 2 shown]
	v_mul_f32_e32 v14, v16, v14
	v_fmaak_f32 v15, v13, v15, 0xc09de9e6
	v_and_b32_e32 v16, 1, v12
	v_lshlrev_b32_e32 v12, 30, v12
	v_fmamk_f32 v11, v11, 0x40490fdb, v14
	v_fma_f32 v13, v13, v15, 1.0
	v_cmp_eq_u32_e64 s6, 0, v16
	v_and_b32_e32 v12, 0x80000000, v12
	v_cndmask_b32_e64 v11, v13, v11, s6
	v_xor3_b32 v10, v10, v12, v11
	v_mul_f32_e32 v10, v4, v10
	v_frexp_mant_f32_e64 v11, |v10|
	v_frexp_exp_i32_f32_e32 v10, v10
	v_rcp_f32_e32 v11, v11
	v_sub_nc_u32_e32 v10, 2, v10
	v_mul_f32_e32 v11, 0x3f490fdb, v11
	v_ldexp_f32 v10, v11, v10
	v_cmp_gt_f32_e64 s6, 0x800000, v10
	v_cndmask_b32_e64 v11, 0, 32, s6
	v_ldexp_f32 v10, v10, v11
	v_log_f32_e32 v10, v10
	v_mul_f32_e32 v11, 0x3f317217, v10
	v_cmp_gt_f32_e64 s7, 0x7f800000, |v10|
	v_fma_f32 v12, 0x3f317217, v10, -v11
	v_fmamk_f32 v12, v10, 0x3377d1cf, v12
	v_add_f32_e32 v11, v11, v12
	v_floor_f32_e32 v12, v4
	v_cndmask_b32_e64 v10, v10, v11, s7
	v_cndmask_b32_e64 v11, 0, 0x41b17218, s6
	v_sub_f32_e32 v12, v4, v12
	v_sub_f32_e32 v10, v10, v11
	v_min_f32_e32 v11, 0x3f7fffff, v12
	v_sub_f32_e32 v9, v10, v9
	v_cmp_neq_f32_e64 s6, 0, v11
	v_cndmask_b32_e64 v9, 0x7f800000, v9, s6
.LBB136_111:
	s_or_b32 exec_lo, exec_lo, s9
.LBB136_112:
	s_andn2_saveexec_b32 s8, s8
; %bb.113:
	v_cmp_eq_f32_e64 s6, 1.0, v4
	v_cmp_eq_f32_e64 s7, 2.0, v4
	s_or_b32 s6, s6, s7
	v_cndmask_b32_e64 v9, v9, 0, s6
; %bb.114:
	s_or_b32 exec_lo, exec_lo, s8
	v_and_b32_e32 v10, 0x7fffffff, v5
                                        ; implicit-def: $vgpr11
	s_mov_b32 s7, exec_lo
	v_cmpx_ngt_f32_e64 0x3c800000, |v5|
	s_xor_b32 s8, exec_lo, s7
	s_cbranch_execz .LBB136_144
; %bb.115:
                                        ; implicit-def: $vgpr11
	s_mov_b32 s7, exec_lo
	v_cmpx_nlt_f32_e64 |v5|, 2.0
	s_xor_b32 s9, exec_lo, s7
	s_cbranch_execz .LBB136_125
; %bb.116:
	s_mov_b32 s7, exec_lo
                                        ; implicit-def: $vgpr11
	v_cmpx_ngt_f32_e64 0x41000000, |v5|
	s_xor_b32 s7, exec_lo, s7
	s_cbranch_execz .LBB136_122
; %bb.117:
	s_mov_b32 s12, exec_lo
                                        ; implicit-def: $vgpr11
	v_cmpx_ngt_f32_e64 0x5c800000, |v5|
	s_xor_b32 s12, exec_lo, s12
	s_cbranch_execz .LBB136_119
; %bb.118:
	v_cmp_gt_f32_e64 s13, 0x800000, |v5|
	v_cndmask_b32_e64 v11, 0, 32, s13
	v_ldexp_f32 v11, |v5|, v11
	v_log_f32_e32 v11, v11
	v_mul_f32_e32 v12, 0x3f317217, v11
	v_cmp_gt_f32_e64 s6, 0x7f800000, |v11|
	v_fma_f32 v13, 0x3f317217, v11, -v12
	v_fmamk_f32 v13, v11, 0x3377d1cf, v13
	v_add_f32_e32 v12, v12, v13
	v_cndmask_b32_e64 v11, v11, v12, s6
	v_cndmask_b32_e64 v12, 0, 0x41b17218, s13
	v_sub_f32_e32 v11, v11, v12
	v_fma_f32 v11, |v5|, v11, -|v5|
.LBB136_119:
	s_andn2_saveexec_b32 s12, s12
	s_cbranch_execz .LBB136_121
; %bb.120:
	v_cmp_gt_f32_e64 s13, 0x800000, |v5|
	v_rcp_f32_e64 v12, |v5|
	s_mov_b32 s6, 0xbad5c4e8
	v_cndmask_b32_e64 v11, 0, 32, s13
	v_ldexp_f32 v11, |v5|, v11
	v_mul_f32_e32 v13, v12, v12
	v_log_f32_e32 v11, v11
	v_fmaak_f32 v15, s6, v13, 0x3a5b3dd2
	v_fmaak_f32 v15, v13, v15, 0xba1c065c
	v_mul_f32_e32 v14, 0x3f317217, v11
	v_fmaak_f32 v15, v13, v15, 0x3a500cfd
	v_cmp_gt_f32_e64 s6, 0x7f800000, |v11|
	v_fma_f32 v16, 0x3f317217, v11, -v14
	v_fmaak_f32 v15, v13, v15, 0xbb360b61
	v_fmamk_f32 v16, v11, 0x3377d1cf, v16
	v_fmaak_f32 v13, v13, v15, 0x3daaaaab
	v_add_f32_e32 v14, v14, v16
	v_cndmask_b32_e64 v11, v11, v14, s6
	v_cndmask_b32_e64 v14, 0, 0x41b17218, s13
	v_sub_f32_e32 v14, v11, v14
	v_fmaak_f32 v11, v12, v13, 0x3ed67f1d
	v_add_f32_e64 v12, |v5|, -0.5
	v_add_f32_e32 v13, -1.0, v14
	v_fmac_f32_e32 v11, v12, v13
.LBB136_121:
	s_or_b32 exec_lo, exec_lo, s12
.LBB136_122:
	s_andn2_saveexec_b32 s12, s7
	s_cbranch_execz .LBB136_124
; %bb.123:
	v_cvt_i32_f32_e32 v11, v10
	s_mov_b32 s7, 0x3805ff67
	v_cvt_f32_i32_e32 v12, v11
	v_cmp_lt_i32_e64 s6, 2, v11
	v_sub_f32_e64 v12, |v5|, v12
	v_add_f32_e32 v13, 2.0, v12
	v_add_f32_e32 v14, 0x40400000, v12
	v_add_f32_e32 v15, 4.0, v12
	v_add_f32_e32 v16, 0x40a00000, v12
	v_cndmask_b32_e64 v13, 1.0, v13, s6
	v_cmp_lt_i32_e64 s6, 3, v11
	v_cndmask_b32_e64 v14, 1.0, v14, s6
	v_cmp_lt_i32_e64 s6, 4, v11
	v_mul_f32_e32 v13, v13, v14
	v_cndmask_b32_e64 v15, 1.0, v15, s6
	v_cmp_lt_i32_e64 s6, 5, v11
	v_add_f32_e32 v14, 0x40c00000, v12
	v_mul_f32_e32 v13, v15, v13
	v_cndmask_b32_e64 v16, 1.0, v16, s6
	v_cmp_lt_i32_e64 s6, 6, v11
	v_fmaak_f32 v15, s7, v12, 0x3af135b4
	v_mul_f32_e32 v13, v16, v13
	v_cndmask_b32_e64 v11, 1.0, v14, s6
	s_mov_b32 s6, 0x36f5d7bd
	v_mul_f32_e32 v11, v11, v13
	v_fmaak_f32 v13, s6, v12, 0x3a4beed6
	v_cmp_gt_f32_e64 s6, 0x800000, v11
	v_fmaak_f32 v13, v12, v13, 0x3c98bf54
	v_cndmask_b32_e64 v14, 0, 32, s6
	v_fmaak_f32 v13, v12, v13, 0x3e300f6e
	v_ldexp_f32 v11, v11, v14
	v_fmaak_f32 v14, v12, v15, 0x3cda40e4
	v_fmaak_f32 v13, v12, v13, 0x3f38d0c5
	v_log_f32_e32 v11, v11
	v_fmaak_f32 v14, v12, v14, 0x3e15dce6
	v_fmaak_f32 v13, v12, v13, 0x3fb22d3b
	;; [unrolled: 1-line block ×3, first 2 shown]
	v_fma_f32 v13, v12, v13, 1.0
	v_mul_f32_e32 v15, 0x3f317217, v11
	v_fmaak_f32 v14, v12, v14, 0x3e5c245a
	v_rcp_f32_e32 v13, v13
	v_cmp_gt_f32_e64 s7, 0x7f800000, |v11|
	v_fma_f32 v16, 0x3f317217, v11, -v15
	v_fmaak_f32 v14, v12, v14, 0xbd9e233f
	v_fmamk_f32 v16, v11, 0x3377d1cf, v16
	v_mul_f32_e32 v14, v12, v14
	v_add_f32_e32 v15, v15, v16
	v_mul_f32_e32 v13, v14, v13
	v_cndmask_b32_e64 v14, 0, 0x41b17218, s6
	v_cndmask_b32_e64 v11, v11, v15, s7
	v_fmac_f32_e32 v13, 0.5, v12
	v_sub_f32_e32 v11, v11, v14
	v_add_f32_e32 v11, v11, v13
.LBB136_124:
	s_or_b32 exec_lo, exec_lo, s12
.LBB136_125:
	s_andn2_saveexec_b32 s9, s9
	s_cbranch_execz .LBB136_143
; %bb.126:
                                        ; implicit-def: $vgpr11
                                        ; implicit-def: $vgpr13
                                        ; implicit-def: $vgpr12
	s_mov_b32 s7, exec_lo
	v_cmpx_ge_f32_e64 0x3f666666, |v5|
	s_xor_b32 s12, exec_lo, s7
	s_cbranch_execz .LBB136_128
; %bb.127:
	v_cmp_gt_f32_e64 s7, 0x800000, |v5|
	v_sub_f32_e64 v14, 1.0, |v5|
	v_cmp_gt_f32_e64 s6, 0x3f3b4a23, |v5|
	v_cndmask_b32_e64 v11, 0, 32, s7
	v_cndmask_b32_e64 v15, 0, 0x41b17218, s7
	v_ldexp_f32 v11, |v5|, v11
	v_log_f32_e32 v11, v11
	v_mul_f32_e32 v12, 0x3f317217, v11
	v_cmp_gt_f32_e64 s7, 0x7f800000, |v11|
	v_fma_f32 v13, 0x3f317217, v11, -v12
	v_fmamk_f32 v13, v11, 0x3377d1cf, v13
	v_add_f32_e32 v12, v12, v13
	v_add_f32_e64 v13, 0xbeec5b0c, |v5|
	v_cndmask_b32_e64 v11, v11, v12, s7
	v_cndmask_b32_e64 v12, v14, v13, s6
	;; [unrolled: 1-line block ×3, first 2 shown]
	v_cmp_gt_f32_e64 s6, 0x3e6d3309, |v5|
	v_sub_f32_e32 v11, v11, v15
	v_cndmask_b32_e64 v12, v12, |v5|, s6
	v_cndmask_b32_e64 v13, v13, 2, s6
	v_xor_b32_e32 v11, 0x80000000, v11
.LBB136_128:
	s_andn2_saveexec_b32 s7, s12
	s_cbranch_execz .LBB136_130
; %bb.129:
	v_sub_f32_e64 v11, 2.0, |v5|
	v_add_f32_e64 v12, 0xbfbb16c3, |v5|
	v_cmp_gt_f32_e64 s6, 0x3fdda512, |v5|
	v_add_f32_e64 v13, |v5|, -1.0
	v_cndmask_b32_e64 v12, v11, v12, s6
	v_cndmask_b32_e64 v11, v11, 1.0, s6
	v_cmp_gt_f32_e64 s6, 0x3f9d70a4, |v5|
	v_cvt_i32_f32_e32 v11, v11
	v_cndmask_b32_e64 v12, v12, v13, s6
	v_cndmask_b32_e64 v13, v11, 2, s6
	v_mov_b32_e32 v11, 0
.LBB136_130:
	s_or_b32 exec_lo, exec_lo, s7
	s_mov_b32 s7, exec_lo
	v_cmpx_lt_i32_e32 0, v13
	s_xor_b32 s7, exec_lo, s7
	s_cbranch_execz .LBB136_138
; %bb.131:
	s_mov_b32 s12, exec_lo
	v_cmpx_lt_i32_e32 1, v13
	s_xor_b32 s12, exec_lo, s12
	s_cbranch_execz .LBB136_135
; %bb.132:
	s_mov_b32 s13, exec_lo
	v_cmpx_eq_u32_e32 2, v13
	s_cbranch_execz .LBB136_134
; %bb.133:
	s_mov_b32 s6, 0x3b52d5db
	v_fmaak_f32 v13, s6, v12, 0x3dd572af
	s_mov_b32 s6, 0x3c5b3c5e
	v_fmaak_f32 v14, s6, v12, 0x3e6a7578
	v_fmaak_f32 v13, v12, v13, 0x3f44efdf
	;; [unrolled: 1-line block ×7, first 2 shown]
	v_fma_f32 v13, v12, v13, 1.0
	v_fmaak_f32 v14, v12, v14, 0xbd9e233f
	v_rcp_f32_e32 v13, v13
	v_mul_f32_e32 v14, v12, v14
	v_mul_f32_e32 v13, v14, v13
	v_fmac_f32_e32 v13, -0.5, v12
	v_add_f32_e32 v11, v11, v13
.LBB136_134:
	s_or_b32 exec_lo, exec_lo, s13
                                        ; implicit-def: $vgpr12
.LBB136_135:
	s_andn2_saveexec_b32 s6, s12
	s_cbranch_execz .LBB136_137
; %bb.136:
	v_mul_f32_e32 v13, v12, v12
	s_mov_b32 s12, 0xb9a3f927
	s_mov_b32 s13, 0x39afe9f7
	v_mul_f32_e32 v14, v12, v13
	v_fmaak_f32 v15, s12, v14, 0x3a66f867
	v_fmaak_f32 v16, s13, v14, 0xba0d3085
	s_mov_b32 s12, 0x39a57b6b
	v_fmaak_f32 v17, s12, v14, 0xbab7f476
	v_fmaak_f32 v15, v14, v15, 0xbb7177fe
	;; [unrolled: 1-line block ×9, first 2 shown]
	v_fmac_f32_e32 v15, v12, v16
	v_fmaak_f32 v12, v14, v17, 0x3ef7b95e
	v_fma_f32 v14, v14, -v15, 0xa2863e55
	v_fma_f32 v12, v13, v12, -v14
	v_add_f32_e32 v12, 0xbdf8cdce, v12
	v_add_f32_e32 v11, v11, v12
.LBB136_137:
	s_or_b32 exec_lo, exec_lo, s6
                                        ; implicit-def: $vgpr13
                                        ; implicit-def: $vgpr12
.LBB136_138:
	s_andn2_saveexec_b32 s7, s7
	s_cbranch_execz .LBB136_142
; %bb.139:
	s_mov_b32 s12, exec_lo
	v_cmpx_eq_u32_e32 0, v13
	s_cbranch_execz .LBB136_141
; %bb.140:
	v_mul_f32_e32 v13, v12, v12
	s_mov_b32 s6, 0x383c2c75
	v_fmaak_f32 v14, s6, v13, 0x38e28445
	s_mov_b32 s6, 0x37d383a2
	v_fmaak_f32 v15, s6, v13, 0x39679767
	v_fmaak_f32 v14, v13, v14, 0x3a05b634
	;; [unrolled: 1-line block ×9, first 2 shown]
	v_mul_f32_e32 v13, v13, v14
	v_fmac_f32_e32 v13, v12, v15
	v_fmac_f32_e32 v13, -0.5, v12
	v_add_f32_e32 v11, v11, v13
.LBB136_141:
	s_or_b32 exec_lo, exec_lo, s12
.LBB136_142:
	s_or_b32 exec_lo, exec_lo, s7
.LBB136_143:
	s_or_b32 exec_lo, exec_lo, s9
.LBB136_144:
	s_andn2_saveexec_b32 s7, s8
	s_cbranch_execz .LBB136_146
; %bb.145:
	v_cmp_gt_f32_e64 s8, 0x800000, |v5|
	s_mov_b32 s6, 0x3e8a8991
	v_fma_f32 v14, |v5|, s6, 0xbecd26ab
	v_cndmask_b32_e64 v11, 0, 32, s8
	v_ldexp_f32 v11, |v5|, v11
	v_log_f32_e32 v11, v11
	v_mul_f32_e32 v12, 0x3f317217, v11
	v_cmp_gt_f32_e64 s6, 0x7f800000, |v11|
	v_fma_f32 v13, 0x3f317217, v11, -v12
	v_fmamk_f32 v13, v11, 0x3377d1cf, v13
	v_add_f32_e32 v12, v12, v13
	v_fma_f32 v13, |v5|, v14, 0x3f528d33
	v_cndmask_b32_e64 v11, v11, v12, s6
	v_cndmask_b32_e64 v12, 0, 0x41b17218, s8
	v_fma_f32 v13, |v5|, v13, 0xbf13c468
	v_sub_f32_e32 v11, v11, v12
	v_fma_f32 v11, |v5|, v13, -v11
.LBB136_146:
	s_or_b32 exec_lo, exec_lo, s7
	v_cmp_le_f32_e64 s6, 0, v5
	s_mov_b32 s8, exec_lo
	v_cmpx_nle_f32_e32 0, v5
	s_xor_b32 s9, exec_lo, s8
	s_cbranch_execz .LBB136_150
; %bb.147:
	v_cmp_gt_f32_e64 s7, 0x4b000000, |v5|
	v_cmp_lt_f32_e64 s8, 0x35000000, |v5|
	s_and_b32 s7, s7, s8
	s_and_saveexec_b32 s12, s7
	s_cbranch_execz .LBB136_149
; %bb.148:
	v_mul_f32_e64 v12, |v5|, 0.5
	s_mov_b32 s8, 0x3d4be544
	v_xor_b32_e32 v10, v10, v5
	v_floor_f32_e32 v13, v12
	v_cmp_neq_f32_e64 s7, 0x7f800000, v12
	v_sub_f32_e32 v13, v12, v13
	v_min_f32_e32 v13, 0x3f7fffff, v13
	v_add_f32_e32 v13, v13, v13
	v_cndmask_b32_e64 v12, 0, v13, s7
	v_cmp_gt_f32_e64 s7, |v5|, 1.0
	v_cndmask_b32_e64 v12, |v5|, v12, s7
	s_mov_b32 s7, 0x3e75aa41
	v_add_f32_e32 v13, v12, v12
	v_rndne_f32_e32 v13, v13
	v_fmac_f32_e32 v12, -0.5, v13
	v_cvt_i32_f32_e32 v13, v13
	v_mul_f32_e32 v14, v12, v12
	v_fmaak_f32 v15, s7, v14, 0xbf1f24be
	v_fmaak_f32 v16, s8, v14, 0x3e642e9d
	v_mul_f32_e32 v17, v12, v14
	v_fmaak_f32 v15, v14, v15, 0x40234736
	v_fmaak_f32 v16, v14, v16, 0xbfaad1da
	;; [unrolled: 1-line block ×4, first 2 shown]
	v_mul_f32_e32 v15, v17, v15
	v_fmaak_f32 v16, v14, v16, 0xc09de9e6
	v_and_b32_e32 v17, 1, v13
	v_lshlrev_b32_e32 v13, 30, v13
	v_fmamk_f32 v12, v12, 0x40490fdb, v15
	v_fma_f32 v14, v14, v16, 1.0
	v_cmp_eq_u32_e64 s7, 0, v17
	v_and_b32_e32 v13, 0x80000000, v13
	v_cndmask_b32_e64 v12, v14, v12, s7
	v_xor3_b32 v10, v10, v13, v12
	v_mul_f32_e32 v10, v5, v10
	v_frexp_mant_f32_e64 v12, |v10|
	v_frexp_exp_i32_f32_e32 v10, v10
	v_rcp_f32_e32 v12, v12
	v_sub_nc_u32_e32 v10, 2, v10
	v_mul_f32_e32 v12, 0x3f490fdb, v12
	v_ldexp_f32 v10, v12, v10
	v_cmp_gt_f32_e64 s7, 0x800000, v10
	v_cndmask_b32_e64 v12, 0, 32, s7
	v_ldexp_f32 v10, v10, v12
	v_log_f32_e32 v10, v10
	v_mul_f32_e32 v12, 0x3f317217, v10
	v_cmp_gt_f32_e64 s8, 0x7f800000, |v10|
	v_fma_f32 v13, 0x3f317217, v10, -v12
	v_fmamk_f32 v13, v10, 0x3377d1cf, v13
	v_add_f32_e32 v12, v12, v13
	v_floor_f32_e32 v13, v5
	v_cndmask_b32_e64 v10, v10, v12, s8
	v_cndmask_b32_e64 v12, 0, 0x41b17218, s7
	v_sub_f32_e32 v13, v5, v13
	v_sub_f32_e32 v10, v10, v12
	v_min_f32_e32 v12, 0x3f7fffff, v13
	v_sub_f32_e32 v10, v10, v11
	v_cmp_neq_f32_e64 s7, 0, v12
	v_cndmask_b32_e64 v11, 0x7f800000, v10, s7
.LBB136_149:
	s_or_b32 exec_lo, exec_lo, s12
.LBB136_150:
	s_andn2_saveexec_b32 s9, s9
; %bb.151:
	v_cmp_eq_f32_e64 s7, 1.0, v5
	v_cmp_eq_f32_e64 s8, 2.0, v5
	s_or_b32 s7, s7, s8
	v_cndmask_b32_e64 v11, v11, 0, s7
; %bb.152:
	s_or_b32 exec_lo, exec_lo, s9
	v_cmp_gt_f32_e64 s7, 0x4b000000, |v4|
	v_cmp_gt_f32_e64 s8, 0x4b000000, |v3|
	;; [unrolled: 1-line block ×3, first 2 shown]
	s_or_b32 s5, s5, s7
	s_or_b32 s4, s4, s8
	v_cndmask_b32_e64 v9, 0x7f800000, v9, s5
	v_cndmask_b32_e64 v8, 0x7f800000, v8, s4
	v_cmp_class_f32_e64 s4, v4, 0x264
	s_or_b32 vcc_lo, vcc_lo, s9
	v_cmp_gt_f32_e64 s5, 0x4b000000, |v5|
	v_cndmask_b32_e32 v7, 0x7f800000, v7, vcc_lo
	v_cmp_u_f32_e32 vcc_lo, v4, v4
	v_cndmask_b32_e64 v9, v9, 0x7f800000, s4
	v_cmp_class_f32_e64 s4, v3, 0x264
	v_cndmask_b32_e32 v4, v9, v4, vcc_lo
	s_or_b32 vcc_lo, s6, s5
	v_cndmask_b32_e64 v8, v8, 0x7f800000, s4
	v_cmp_class_f32_e64 s4, v2, 0x264
	v_cndmask_b32_e32 v9, 0x7f800000, v11, vcc_lo
	v_cmp_u_f32_e32 vcc_lo, v3, v3
	v_cndmask_b32_e64 v7, v7, 0x7f800000, s4
	v_cmp_class_f32_e64 s4, v5, 0x264
	v_cndmask_b32_e32 v3, v8, v3, vcc_lo
	v_cmp_u_f32_e32 vcc_lo, v2, v2
	v_cndmask_b32_e32 v2, v7, v2, vcc_lo
	v_add_co_u32 v0, vcc_lo, v0, s10
	v_cndmask_b32_e64 v7, v9, 0x7f800000, s4
	v_add_co_ci_u32_e64 v1, null, s11, v1, vcc_lo
	v_cmp_u_f32_e32 vcc_lo, v5, v5
	v_cndmask_b32_e32 v5, v7, v5, vcc_lo
	v_add_co_u32 v0, vcc_lo, v0, v6
	v_add_co_ci_u32_e64 v1, null, 0, v1, vcc_lo
	flat_store_dwordx4 v[0:1], v[2:5]
	s_waitcnt lgkmcnt(0)
	s_setpc_b64 s[30:31]
.Lfunc_end136:
	.size	_ZN2at6native25elementwise_kernel_helperILb0EZZZNS0_18lgamma_kernel_cudaERNS_18TensorIteratorBaseEENKUlvE_clEvENKUlvE0_clEvEUlfE_NS0_6memory8policies10vectorizedILi4ESt5arrayIPcLm2EELi4EEEEEvT0_T1_, .Lfunc_end136-_ZN2at6native25elementwise_kernel_helperILb0EZZZNS0_18lgamma_kernel_cudaERNS_18TensorIteratorBaseEENKUlvE_clEvENKUlvE0_clEvEUlfE_NS0_6memory8policies10vectorizedILi4ESt5arrayIPcLm2EELi4EEEEEvT0_T1_
                                        ; -- End function
	.set .L_ZN2at6native25elementwise_kernel_helperILb0EZZZNS0_18lgamma_kernel_cudaERNS_18TensorIteratorBaseEENKUlvE_clEvENKUlvE0_clEvEUlfE_NS0_6memory8policies10vectorizedILi4ESt5arrayIPcLm2EELi4EEEEEvT0_T1_.num_vgpr, 32
	.set .L_ZN2at6native25elementwise_kernel_helperILb0EZZZNS0_18lgamma_kernel_cudaERNS_18TensorIteratorBaseEENKUlvE_clEvENKUlvE0_clEvEUlfE_NS0_6memory8policies10vectorizedILi4ESt5arrayIPcLm2EELi4EEEEEvT0_T1_.num_agpr, 0
	.set .L_ZN2at6native25elementwise_kernel_helperILb0EZZZNS0_18lgamma_kernel_cudaERNS_18TensorIteratorBaseEENKUlvE_clEvENKUlvE0_clEvEUlfE_NS0_6memory8policies10vectorizedILi4ESt5arrayIPcLm2EELi4EEEEEvT0_T1_.numbered_sgpr, 32
	.set .L_ZN2at6native25elementwise_kernel_helperILb0EZZZNS0_18lgamma_kernel_cudaERNS_18TensorIteratorBaseEENKUlvE_clEvENKUlvE0_clEvEUlfE_NS0_6memory8policies10vectorizedILi4ESt5arrayIPcLm2EELi4EEEEEvT0_T1_.num_named_barrier, 0
	.set .L_ZN2at6native25elementwise_kernel_helperILb0EZZZNS0_18lgamma_kernel_cudaERNS_18TensorIteratorBaseEENKUlvE_clEvENKUlvE0_clEvEUlfE_NS0_6memory8policies10vectorizedILi4ESt5arrayIPcLm2EELi4EEEEEvT0_T1_.private_seg_size, 0
	.set .L_ZN2at6native25elementwise_kernel_helperILb0EZZZNS0_18lgamma_kernel_cudaERNS_18TensorIteratorBaseEENKUlvE_clEvENKUlvE0_clEvEUlfE_NS0_6memory8policies10vectorizedILi4ESt5arrayIPcLm2EELi4EEEEEvT0_T1_.uses_vcc, 1
	.set .L_ZN2at6native25elementwise_kernel_helperILb0EZZZNS0_18lgamma_kernel_cudaERNS_18TensorIteratorBaseEENKUlvE_clEvENKUlvE0_clEvEUlfE_NS0_6memory8policies10vectorizedILi4ESt5arrayIPcLm2EELi4EEEEEvT0_T1_.uses_flat_scratch, 0
	.set .L_ZN2at6native25elementwise_kernel_helperILb0EZZZNS0_18lgamma_kernel_cudaERNS_18TensorIteratorBaseEENKUlvE_clEvENKUlvE0_clEvEUlfE_NS0_6memory8policies10vectorizedILi4ESt5arrayIPcLm2EELi4EEEEEvT0_T1_.has_dyn_sized_stack, 0
	.set .L_ZN2at6native25elementwise_kernel_helperILb0EZZZNS0_18lgamma_kernel_cudaERNS_18TensorIteratorBaseEENKUlvE_clEvENKUlvE0_clEvEUlfE_NS0_6memory8policies10vectorizedILi4ESt5arrayIPcLm2EELi4EEEEEvT0_T1_.has_recursion, 0
	.set .L_ZN2at6native25elementwise_kernel_helperILb0EZZZNS0_18lgamma_kernel_cudaERNS_18TensorIteratorBaseEENKUlvE_clEvENKUlvE0_clEvEUlfE_NS0_6memory8policies10vectorizedILi4ESt5arrayIPcLm2EELi4EEEEEvT0_T1_.has_indirect_call, 0
	.section	.AMDGPU.csdata,"",@progbits
; Function info:
; codeLenInByte = 9352
; TotalNumSgprs: 34
; NumVgprs: 32
; ScratchSize: 0
; MemoryBound: 0
	.section	.text._ZN2at6native29vectorized_elementwise_kernelILi16EZZZNS0_18lgamma_kernel_cudaERNS_18TensorIteratorBaseEENKUlvE_clEvENKUlvE0_clEvEUlfE_St5arrayIPcLm2EEEEviT0_T1_,"axG",@progbits,_ZN2at6native29vectorized_elementwise_kernelILi16EZZZNS0_18lgamma_kernel_cudaERNS_18TensorIteratorBaseEENKUlvE_clEvENKUlvE0_clEvEUlfE_St5arrayIPcLm2EEEEviT0_T1_,comdat
	.globl	_ZN2at6native29vectorized_elementwise_kernelILi16EZZZNS0_18lgamma_kernel_cudaERNS_18TensorIteratorBaseEENKUlvE_clEvENKUlvE0_clEvEUlfE_St5arrayIPcLm2EEEEviT0_T1_ ; -- Begin function _ZN2at6native29vectorized_elementwise_kernelILi16EZZZNS0_18lgamma_kernel_cudaERNS_18TensorIteratorBaseEENKUlvE_clEvENKUlvE0_clEvEUlfE_St5arrayIPcLm2EEEEviT0_T1_
	.p2align	8
	.type	_ZN2at6native29vectorized_elementwise_kernelILi16EZZZNS0_18lgamma_kernel_cudaERNS_18TensorIteratorBaseEENKUlvE_clEvENKUlvE0_clEvEUlfE_St5arrayIPcLm2EEEEviT0_T1_,@function
_ZN2at6native29vectorized_elementwise_kernelILi16EZZZNS0_18lgamma_kernel_cudaERNS_18TensorIteratorBaseEENKUlvE_clEvENKUlvE0_clEvEUlfE_St5arrayIPcLm2EEEEviT0_T1_: ; @_ZN2at6native29vectorized_elementwise_kernelILi16EZZZNS0_18lgamma_kernel_cudaERNS_18TensorIteratorBaseEENKUlvE_clEvENKUlvE0_clEvEUlfE_St5arrayIPcLm2EEEEviT0_T1_
; %bb.0:
	s_mov_b32 s14, s6
	s_clause 0x1
	s_load_dword s6, s[4:5], 0x0
	s_load_dwordx4 s[16:19], s[4:5], 0x8
	s_add_u32 s0, s0, s7
	s_addc_u32 s1, s1, 0
	s_lshl_b32 s4, s14, 10
	v_mov_b32_e32 v31, v0
	s_mov_b32 s32, 0
	s_waitcnt lgkmcnt(0)
	s_sub_i32 s15, s6, s4
	s_mov_b32 s4, -1
	s_cmpk_gt_i32 s15, 0x3ff
	s_cbranch_scc1 .LBB137_3
; %bb.1:
	s_andn2_b32 vcc_lo, exec_lo, s4
	s_cbranch_vccz .LBB137_4
.LBB137_2:
	s_endpgm
.LBB137_3:
	v_mov_b32_e32 v0, s16
	v_mov_b32_e32 v1, s17
	;; [unrolled: 1-line block ×4, first 2 shown]
	s_getpc_b64 s[4:5]
	s_add_u32 s4, s4, _ZN2at6native25elementwise_kernel_helperILb0EZZZNS0_18lgamma_kernel_cudaERNS_18TensorIteratorBaseEENKUlvE_clEvENKUlvE0_clEvEUlfE_NS0_6memory8policies10vectorizedILi4ESt5arrayIPcLm2EELi4EEEEEvT0_T1_@rel32@lo+4
	s_addc_u32 s5, s5, _ZN2at6native25elementwise_kernel_helperILb0EZZZNS0_18lgamma_kernel_cudaERNS_18TensorIteratorBaseEENKUlvE_clEvENKUlvE0_clEvEUlfE_NS0_6memory8policies10vectorizedILi4ESt5arrayIPcLm2EELi4EEEEEvT0_T1_@rel32@hi+12
	s_mov_b32 s12, s14
	s_swappc_b64 s[30:31], s[4:5]
	s_cbranch_execnz .LBB137_2
.LBB137_4:
	v_mov_b32_e32 v0, s16
	v_mov_b32_e32 v1, s17
	;; [unrolled: 1-line block ×5, first 2 shown]
	s_getpc_b64 s[4:5]
	s_add_u32 s4, s4, _ZN2at6native25elementwise_kernel_helperILb0EZZZNS0_18lgamma_kernel_cudaERNS_18TensorIteratorBaseEENKUlvE_clEvENKUlvE0_clEvEUlfE_NS0_6memory8policies11unroll_baseILi256ESt5arrayIPcLm2EE23TrivialOffsetCalculatorILi1EjESE_NS7_15LoadWithoutCastENS7_16StoreWithoutCastELi4ELi1EEEEEvT0_T1_@rel32@lo+4
	s_addc_u32 s5, s5, _ZN2at6native25elementwise_kernel_helperILb0EZZZNS0_18lgamma_kernel_cudaERNS_18TensorIteratorBaseEENKUlvE_clEvENKUlvE0_clEvEUlfE_NS0_6memory8policies11unroll_baseILi256ESt5arrayIPcLm2EE23TrivialOffsetCalculatorILi1EjESE_NS7_15LoadWithoutCastENS7_16StoreWithoutCastELi4ELi1EEEEEvT0_T1_@rel32@hi+12
	s_mov_b32 s12, s14
	s_swappc_b64 s[30:31], s[4:5]
	s_endpgm
	.section	.rodata,"a",@progbits
	.p2align	6, 0x0
	.amdhsa_kernel _ZN2at6native29vectorized_elementwise_kernelILi16EZZZNS0_18lgamma_kernel_cudaERNS_18TensorIteratorBaseEENKUlvE_clEvENKUlvE0_clEvEUlfE_St5arrayIPcLm2EEEEviT0_T1_
		.amdhsa_group_segment_fixed_size 0
		.amdhsa_private_segment_fixed_size 0
		.amdhsa_kernarg_size 24
		.amdhsa_user_sgpr_count 6
		.amdhsa_user_sgpr_private_segment_buffer 1
		.amdhsa_user_sgpr_dispatch_ptr 0
		.amdhsa_user_sgpr_queue_ptr 0
		.amdhsa_user_sgpr_kernarg_segment_ptr 1
		.amdhsa_user_sgpr_dispatch_id 0
		.amdhsa_user_sgpr_flat_scratch_init 0
		.amdhsa_user_sgpr_private_segment_size 0
		.amdhsa_wavefront_size32 1
		.amdhsa_uses_dynamic_stack 0
		.amdhsa_system_sgpr_private_segment_wavefront_offset 0
		.amdhsa_system_sgpr_workgroup_id_x 1
		.amdhsa_system_sgpr_workgroup_id_y 0
		.amdhsa_system_sgpr_workgroup_id_z 0
		.amdhsa_system_sgpr_workgroup_info 0
		.amdhsa_system_vgpr_workitem_id 0
		.amdhsa_next_free_vgpr 32
		.amdhsa_next_free_sgpr 33
		.amdhsa_reserve_vcc 1
		.amdhsa_reserve_flat_scratch 0
		.amdhsa_float_round_mode_32 0
		.amdhsa_float_round_mode_16_64 0
		.amdhsa_float_denorm_mode_32 3
		.amdhsa_float_denorm_mode_16_64 3
		.amdhsa_dx10_clamp 1
		.amdhsa_ieee_mode 1
		.amdhsa_fp16_overflow 0
		.amdhsa_workgroup_processor_mode 1
		.amdhsa_memory_ordered 1
		.amdhsa_forward_progress 1
		.amdhsa_shared_vgpr_count 0
		.amdhsa_exception_fp_ieee_invalid_op 0
		.amdhsa_exception_fp_denorm_src 0
		.amdhsa_exception_fp_ieee_div_zero 0
		.amdhsa_exception_fp_ieee_overflow 0
		.amdhsa_exception_fp_ieee_underflow 0
		.amdhsa_exception_fp_ieee_inexact 0
		.amdhsa_exception_int_div_zero 0
	.end_amdhsa_kernel
	.section	.text._ZN2at6native29vectorized_elementwise_kernelILi16EZZZNS0_18lgamma_kernel_cudaERNS_18TensorIteratorBaseEENKUlvE_clEvENKUlvE0_clEvEUlfE_St5arrayIPcLm2EEEEviT0_T1_,"axG",@progbits,_ZN2at6native29vectorized_elementwise_kernelILi16EZZZNS0_18lgamma_kernel_cudaERNS_18TensorIteratorBaseEENKUlvE_clEvENKUlvE0_clEvEUlfE_St5arrayIPcLm2EEEEviT0_T1_,comdat
.Lfunc_end137:
	.size	_ZN2at6native29vectorized_elementwise_kernelILi16EZZZNS0_18lgamma_kernel_cudaERNS_18TensorIteratorBaseEENKUlvE_clEvENKUlvE0_clEvEUlfE_St5arrayIPcLm2EEEEviT0_T1_, .Lfunc_end137-_ZN2at6native29vectorized_elementwise_kernelILi16EZZZNS0_18lgamma_kernel_cudaERNS_18TensorIteratorBaseEENKUlvE_clEvENKUlvE0_clEvEUlfE_St5arrayIPcLm2EEEEviT0_T1_
                                        ; -- End function
	.set _ZN2at6native29vectorized_elementwise_kernelILi16EZZZNS0_18lgamma_kernel_cudaERNS_18TensorIteratorBaseEENKUlvE_clEvENKUlvE0_clEvEUlfE_St5arrayIPcLm2EEEEviT0_T1_.num_vgpr, max(32, .L_ZN2at6native25elementwise_kernel_helperILb0EZZZNS0_18lgamma_kernel_cudaERNS_18TensorIteratorBaseEENKUlvE_clEvENKUlvE0_clEvEUlfE_NS0_6memory8policies10vectorizedILi4ESt5arrayIPcLm2EELi4EEEEEvT0_T1_.num_vgpr, .L_ZN2at6native25elementwise_kernel_helperILb0EZZZNS0_18lgamma_kernel_cudaERNS_18TensorIteratorBaseEENKUlvE_clEvENKUlvE0_clEvEUlfE_NS0_6memory8policies11unroll_baseILi256ESt5arrayIPcLm2EE23TrivialOffsetCalculatorILi1EjESE_NS7_15LoadWithoutCastENS7_16StoreWithoutCastELi4ELi1EEEEEvT0_T1_.num_vgpr)
	.set _ZN2at6native29vectorized_elementwise_kernelILi16EZZZNS0_18lgamma_kernel_cudaERNS_18TensorIteratorBaseEENKUlvE_clEvENKUlvE0_clEvEUlfE_St5arrayIPcLm2EEEEviT0_T1_.num_agpr, max(0, .L_ZN2at6native25elementwise_kernel_helperILb0EZZZNS0_18lgamma_kernel_cudaERNS_18TensorIteratorBaseEENKUlvE_clEvENKUlvE0_clEvEUlfE_NS0_6memory8policies10vectorizedILi4ESt5arrayIPcLm2EELi4EEEEEvT0_T1_.num_agpr, .L_ZN2at6native25elementwise_kernel_helperILb0EZZZNS0_18lgamma_kernel_cudaERNS_18TensorIteratorBaseEENKUlvE_clEvENKUlvE0_clEvEUlfE_NS0_6memory8policies11unroll_baseILi256ESt5arrayIPcLm2EE23TrivialOffsetCalculatorILi1EjESE_NS7_15LoadWithoutCastENS7_16StoreWithoutCastELi4ELi1EEEEEvT0_T1_.num_agpr)
	.set _ZN2at6native29vectorized_elementwise_kernelILi16EZZZNS0_18lgamma_kernel_cudaERNS_18TensorIteratorBaseEENKUlvE_clEvENKUlvE0_clEvEUlfE_St5arrayIPcLm2EEEEviT0_T1_.numbered_sgpr, max(33, .L_ZN2at6native25elementwise_kernel_helperILb0EZZZNS0_18lgamma_kernel_cudaERNS_18TensorIteratorBaseEENKUlvE_clEvENKUlvE0_clEvEUlfE_NS0_6memory8policies10vectorizedILi4ESt5arrayIPcLm2EELi4EEEEEvT0_T1_.numbered_sgpr, .L_ZN2at6native25elementwise_kernel_helperILb0EZZZNS0_18lgamma_kernel_cudaERNS_18TensorIteratorBaseEENKUlvE_clEvENKUlvE0_clEvEUlfE_NS0_6memory8policies11unroll_baseILi256ESt5arrayIPcLm2EE23TrivialOffsetCalculatorILi1EjESE_NS7_15LoadWithoutCastENS7_16StoreWithoutCastELi4ELi1EEEEEvT0_T1_.numbered_sgpr)
	.set _ZN2at6native29vectorized_elementwise_kernelILi16EZZZNS0_18lgamma_kernel_cudaERNS_18TensorIteratorBaseEENKUlvE_clEvENKUlvE0_clEvEUlfE_St5arrayIPcLm2EEEEviT0_T1_.num_named_barrier, max(0, .L_ZN2at6native25elementwise_kernel_helperILb0EZZZNS0_18lgamma_kernel_cudaERNS_18TensorIteratorBaseEENKUlvE_clEvENKUlvE0_clEvEUlfE_NS0_6memory8policies10vectorizedILi4ESt5arrayIPcLm2EELi4EEEEEvT0_T1_.num_named_barrier, .L_ZN2at6native25elementwise_kernel_helperILb0EZZZNS0_18lgamma_kernel_cudaERNS_18TensorIteratorBaseEENKUlvE_clEvENKUlvE0_clEvEUlfE_NS0_6memory8policies11unroll_baseILi256ESt5arrayIPcLm2EE23TrivialOffsetCalculatorILi1EjESE_NS7_15LoadWithoutCastENS7_16StoreWithoutCastELi4ELi1EEEEEvT0_T1_.num_named_barrier)
	.set _ZN2at6native29vectorized_elementwise_kernelILi16EZZZNS0_18lgamma_kernel_cudaERNS_18TensorIteratorBaseEENKUlvE_clEvENKUlvE0_clEvEUlfE_St5arrayIPcLm2EEEEviT0_T1_.private_seg_size, 0+max(.L_ZN2at6native25elementwise_kernel_helperILb0EZZZNS0_18lgamma_kernel_cudaERNS_18TensorIteratorBaseEENKUlvE_clEvENKUlvE0_clEvEUlfE_NS0_6memory8policies10vectorizedILi4ESt5arrayIPcLm2EELi4EEEEEvT0_T1_.private_seg_size, .L_ZN2at6native25elementwise_kernel_helperILb0EZZZNS0_18lgamma_kernel_cudaERNS_18TensorIteratorBaseEENKUlvE_clEvENKUlvE0_clEvEUlfE_NS0_6memory8policies11unroll_baseILi256ESt5arrayIPcLm2EE23TrivialOffsetCalculatorILi1EjESE_NS7_15LoadWithoutCastENS7_16StoreWithoutCastELi4ELi1EEEEEvT0_T1_.private_seg_size)
	.set _ZN2at6native29vectorized_elementwise_kernelILi16EZZZNS0_18lgamma_kernel_cudaERNS_18TensorIteratorBaseEENKUlvE_clEvENKUlvE0_clEvEUlfE_St5arrayIPcLm2EEEEviT0_T1_.uses_vcc, or(1, .L_ZN2at6native25elementwise_kernel_helperILb0EZZZNS0_18lgamma_kernel_cudaERNS_18TensorIteratorBaseEENKUlvE_clEvENKUlvE0_clEvEUlfE_NS0_6memory8policies10vectorizedILi4ESt5arrayIPcLm2EELi4EEEEEvT0_T1_.uses_vcc, .L_ZN2at6native25elementwise_kernel_helperILb0EZZZNS0_18lgamma_kernel_cudaERNS_18TensorIteratorBaseEENKUlvE_clEvENKUlvE0_clEvEUlfE_NS0_6memory8policies11unroll_baseILi256ESt5arrayIPcLm2EE23TrivialOffsetCalculatorILi1EjESE_NS7_15LoadWithoutCastENS7_16StoreWithoutCastELi4ELi1EEEEEvT0_T1_.uses_vcc)
	.set _ZN2at6native29vectorized_elementwise_kernelILi16EZZZNS0_18lgamma_kernel_cudaERNS_18TensorIteratorBaseEENKUlvE_clEvENKUlvE0_clEvEUlfE_St5arrayIPcLm2EEEEviT0_T1_.uses_flat_scratch, or(0, .L_ZN2at6native25elementwise_kernel_helperILb0EZZZNS0_18lgamma_kernel_cudaERNS_18TensorIteratorBaseEENKUlvE_clEvENKUlvE0_clEvEUlfE_NS0_6memory8policies10vectorizedILi4ESt5arrayIPcLm2EELi4EEEEEvT0_T1_.uses_flat_scratch, .L_ZN2at6native25elementwise_kernel_helperILb0EZZZNS0_18lgamma_kernel_cudaERNS_18TensorIteratorBaseEENKUlvE_clEvENKUlvE0_clEvEUlfE_NS0_6memory8policies11unroll_baseILi256ESt5arrayIPcLm2EE23TrivialOffsetCalculatorILi1EjESE_NS7_15LoadWithoutCastENS7_16StoreWithoutCastELi4ELi1EEEEEvT0_T1_.uses_flat_scratch)
	.set _ZN2at6native29vectorized_elementwise_kernelILi16EZZZNS0_18lgamma_kernel_cudaERNS_18TensorIteratorBaseEENKUlvE_clEvENKUlvE0_clEvEUlfE_St5arrayIPcLm2EEEEviT0_T1_.has_dyn_sized_stack, or(0, .L_ZN2at6native25elementwise_kernel_helperILb0EZZZNS0_18lgamma_kernel_cudaERNS_18TensorIteratorBaseEENKUlvE_clEvENKUlvE0_clEvEUlfE_NS0_6memory8policies10vectorizedILi4ESt5arrayIPcLm2EELi4EEEEEvT0_T1_.has_dyn_sized_stack, .L_ZN2at6native25elementwise_kernel_helperILb0EZZZNS0_18lgamma_kernel_cudaERNS_18TensorIteratorBaseEENKUlvE_clEvENKUlvE0_clEvEUlfE_NS0_6memory8policies11unroll_baseILi256ESt5arrayIPcLm2EE23TrivialOffsetCalculatorILi1EjESE_NS7_15LoadWithoutCastENS7_16StoreWithoutCastELi4ELi1EEEEEvT0_T1_.has_dyn_sized_stack)
	.set _ZN2at6native29vectorized_elementwise_kernelILi16EZZZNS0_18lgamma_kernel_cudaERNS_18TensorIteratorBaseEENKUlvE_clEvENKUlvE0_clEvEUlfE_St5arrayIPcLm2EEEEviT0_T1_.has_recursion, or(0, .L_ZN2at6native25elementwise_kernel_helperILb0EZZZNS0_18lgamma_kernel_cudaERNS_18TensorIteratorBaseEENKUlvE_clEvENKUlvE0_clEvEUlfE_NS0_6memory8policies10vectorizedILi4ESt5arrayIPcLm2EELi4EEEEEvT0_T1_.has_recursion, .L_ZN2at6native25elementwise_kernel_helperILb0EZZZNS0_18lgamma_kernel_cudaERNS_18TensorIteratorBaseEENKUlvE_clEvENKUlvE0_clEvEUlfE_NS0_6memory8policies11unroll_baseILi256ESt5arrayIPcLm2EE23TrivialOffsetCalculatorILi1EjESE_NS7_15LoadWithoutCastENS7_16StoreWithoutCastELi4ELi1EEEEEvT0_T1_.has_recursion)
	.set _ZN2at6native29vectorized_elementwise_kernelILi16EZZZNS0_18lgamma_kernel_cudaERNS_18TensorIteratorBaseEENKUlvE_clEvENKUlvE0_clEvEUlfE_St5arrayIPcLm2EEEEviT0_T1_.has_indirect_call, or(0, .L_ZN2at6native25elementwise_kernel_helperILb0EZZZNS0_18lgamma_kernel_cudaERNS_18TensorIteratorBaseEENKUlvE_clEvENKUlvE0_clEvEUlfE_NS0_6memory8policies10vectorizedILi4ESt5arrayIPcLm2EELi4EEEEEvT0_T1_.has_indirect_call, .L_ZN2at6native25elementwise_kernel_helperILb0EZZZNS0_18lgamma_kernel_cudaERNS_18TensorIteratorBaseEENKUlvE_clEvENKUlvE0_clEvEUlfE_NS0_6memory8policies11unroll_baseILi256ESt5arrayIPcLm2EE23TrivialOffsetCalculatorILi1EjESE_NS7_15LoadWithoutCastENS7_16StoreWithoutCastELi4ELi1EEEEEvT0_T1_.has_indirect_call)
	.section	.AMDGPU.csdata,"",@progbits
; Kernel info:
; codeLenInByte = 176
; TotalNumSgprs: 35
; NumVgprs: 32
; ScratchSize: 0
; MemoryBound: 0
; FloatMode: 240
; IeeeMode: 1
; LDSByteSize: 0 bytes/workgroup (compile time only)
; SGPRBlocks: 0
; VGPRBlocks: 3
; NumSGPRsForWavesPerEU: 35
; NumVGPRsForWavesPerEU: 32
; Occupancy: 16
; WaveLimiterHint : 0
; COMPUTE_PGM_RSRC2:SCRATCH_EN: 0
; COMPUTE_PGM_RSRC2:USER_SGPR: 6
; COMPUTE_PGM_RSRC2:TRAP_HANDLER: 0
; COMPUTE_PGM_RSRC2:TGID_X_EN: 1
; COMPUTE_PGM_RSRC2:TGID_Y_EN: 0
; COMPUTE_PGM_RSRC2:TGID_Z_EN: 0
; COMPUTE_PGM_RSRC2:TIDIG_COMP_CNT: 0
	.section	.text._ZN2at6native29vectorized_elementwise_kernelILi8EZZZNS0_18lgamma_kernel_cudaERNS_18TensorIteratorBaseEENKUlvE_clEvENKUlvE0_clEvEUlfE_St5arrayIPcLm2EEEEviT0_T1_,"axG",@progbits,_ZN2at6native29vectorized_elementwise_kernelILi8EZZZNS0_18lgamma_kernel_cudaERNS_18TensorIteratorBaseEENKUlvE_clEvENKUlvE0_clEvEUlfE_St5arrayIPcLm2EEEEviT0_T1_,comdat
	.globl	_ZN2at6native29vectorized_elementwise_kernelILi8EZZZNS0_18lgamma_kernel_cudaERNS_18TensorIteratorBaseEENKUlvE_clEvENKUlvE0_clEvEUlfE_St5arrayIPcLm2EEEEviT0_T1_ ; -- Begin function _ZN2at6native29vectorized_elementwise_kernelILi8EZZZNS0_18lgamma_kernel_cudaERNS_18TensorIteratorBaseEENKUlvE_clEvENKUlvE0_clEvEUlfE_St5arrayIPcLm2EEEEviT0_T1_
	.p2align	8
	.type	_ZN2at6native29vectorized_elementwise_kernelILi8EZZZNS0_18lgamma_kernel_cudaERNS_18TensorIteratorBaseEENKUlvE_clEvENKUlvE0_clEvEUlfE_St5arrayIPcLm2EEEEviT0_T1_,@function
_ZN2at6native29vectorized_elementwise_kernelILi8EZZZNS0_18lgamma_kernel_cudaERNS_18TensorIteratorBaseEENKUlvE_clEvENKUlvE0_clEvEUlfE_St5arrayIPcLm2EEEEviT0_T1_: ; @_ZN2at6native29vectorized_elementwise_kernelILi8EZZZNS0_18lgamma_kernel_cudaERNS_18TensorIteratorBaseEENKUlvE_clEvENKUlvE0_clEvEUlfE_St5arrayIPcLm2EEEEviT0_T1_
; %bb.0:
	s_mov_b32 s14, s6
	s_clause 0x1
	s_load_dword s6, s[4:5], 0x0
	s_load_dwordx4 s[16:19], s[4:5], 0x8
	s_add_u32 s0, s0, s7
	s_addc_u32 s1, s1, 0
	s_lshl_b32 s4, s14, 10
	v_mov_b32_e32 v31, v0
	s_mov_b32 s32, 0
	s_waitcnt lgkmcnt(0)
	s_sub_i32 s15, s6, s4
	s_mov_b32 s4, -1
	s_cmpk_gt_i32 s15, 0x3ff
	s_cbranch_scc1 .LBB138_3
; %bb.1:
	s_andn2_b32 vcc_lo, exec_lo, s4
	s_cbranch_vccz .LBB138_4
.LBB138_2:
	s_endpgm
.LBB138_3:
	v_mov_b32_e32 v0, s16
	v_mov_b32_e32 v1, s17
	;; [unrolled: 1-line block ×4, first 2 shown]
	s_getpc_b64 s[4:5]
	s_add_u32 s4, s4, _ZN2at6native25elementwise_kernel_helperILb0EZZZNS0_18lgamma_kernel_cudaERNS_18TensorIteratorBaseEENKUlvE_clEvENKUlvE0_clEvEUlfE_NS0_6memory8policies10vectorizedILi4ESt5arrayIPcLm2EELi4EEEEEvT0_T1_@rel32@lo+4
	s_addc_u32 s5, s5, _ZN2at6native25elementwise_kernel_helperILb0EZZZNS0_18lgamma_kernel_cudaERNS_18TensorIteratorBaseEENKUlvE_clEvENKUlvE0_clEvEUlfE_NS0_6memory8policies10vectorizedILi4ESt5arrayIPcLm2EELi4EEEEEvT0_T1_@rel32@hi+12
	s_mov_b32 s12, s14
	s_swappc_b64 s[30:31], s[4:5]
	s_cbranch_execnz .LBB138_2
.LBB138_4:
	v_mov_b32_e32 v0, s16
	v_mov_b32_e32 v1, s17
	v_mov_b32_e32 v2, s18
	v_mov_b32_e32 v3, s19
	v_mov_b32_e32 v4, s15
	s_getpc_b64 s[4:5]
	s_add_u32 s4, s4, _ZN2at6native25elementwise_kernel_helperILb0EZZZNS0_18lgamma_kernel_cudaERNS_18TensorIteratorBaseEENKUlvE_clEvENKUlvE0_clEvEUlfE_NS0_6memory8policies11unroll_baseILi256ESt5arrayIPcLm2EE23TrivialOffsetCalculatorILi1EjESE_NS7_15LoadWithoutCastENS7_16StoreWithoutCastELi4ELi1EEEEEvT0_T1_@rel32@lo+4
	s_addc_u32 s5, s5, _ZN2at6native25elementwise_kernel_helperILb0EZZZNS0_18lgamma_kernel_cudaERNS_18TensorIteratorBaseEENKUlvE_clEvENKUlvE0_clEvEUlfE_NS0_6memory8policies11unroll_baseILi256ESt5arrayIPcLm2EE23TrivialOffsetCalculatorILi1EjESE_NS7_15LoadWithoutCastENS7_16StoreWithoutCastELi4ELi1EEEEEvT0_T1_@rel32@hi+12
	s_mov_b32 s12, s14
	s_swappc_b64 s[30:31], s[4:5]
	s_endpgm
	.section	.rodata,"a",@progbits
	.p2align	6, 0x0
	.amdhsa_kernel _ZN2at6native29vectorized_elementwise_kernelILi8EZZZNS0_18lgamma_kernel_cudaERNS_18TensorIteratorBaseEENKUlvE_clEvENKUlvE0_clEvEUlfE_St5arrayIPcLm2EEEEviT0_T1_
		.amdhsa_group_segment_fixed_size 0
		.amdhsa_private_segment_fixed_size 0
		.amdhsa_kernarg_size 24
		.amdhsa_user_sgpr_count 6
		.amdhsa_user_sgpr_private_segment_buffer 1
		.amdhsa_user_sgpr_dispatch_ptr 0
		.amdhsa_user_sgpr_queue_ptr 0
		.amdhsa_user_sgpr_kernarg_segment_ptr 1
		.amdhsa_user_sgpr_dispatch_id 0
		.amdhsa_user_sgpr_flat_scratch_init 0
		.amdhsa_user_sgpr_private_segment_size 0
		.amdhsa_wavefront_size32 1
		.amdhsa_uses_dynamic_stack 0
		.amdhsa_system_sgpr_private_segment_wavefront_offset 0
		.amdhsa_system_sgpr_workgroup_id_x 1
		.amdhsa_system_sgpr_workgroup_id_y 0
		.amdhsa_system_sgpr_workgroup_id_z 0
		.amdhsa_system_sgpr_workgroup_info 0
		.amdhsa_system_vgpr_workitem_id 0
		.amdhsa_next_free_vgpr 32
		.amdhsa_next_free_sgpr 33
		.amdhsa_reserve_vcc 1
		.amdhsa_reserve_flat_scratch 0
		.amdhsa_float_round_mode_32 0
		.amdhsa_float_round_mode_16_64 0
		.amdhsa_float_denorm_mode_32 3
		.amdhsa_float_denorm_mode_16_64 3
		.amdhsa_dx10_clamp 1
		.amdhsa_ieee_mode 1
		.amdhsa_fp16_overflow 0
		.amdhsa_workgroup_processor_mode 1
		.amdhsa_memory_ordered 1
		.amdhsa_forward_progress 1
		.amdhsa_shared_vgpr_count 0
		.amdhsa_exception_fp_ieee_invalid_op 0
		.amdhsa_exception_fp_denorm_src 0
		.amdhsa_exception_fp_ieee_div_zero 0
		.amdhsa_exception_fp_ieee_overflow 0
		.amdhsa_exception_fp_ieee_underflow 0
		.amdhsa_exception_fp_ieee_inexact 0
		.amdhsa_exception_int_div_zero 0
	.end_amdhsa_kernel
	.section	.text._ZN2at6native29vectorized_elementwise_kernelILi8EZZZNS0_18lgamma_kernel_cudaERNS_18TensorIteratorBaseEENKUlvE_clEvENKUlvE0_clEvEUlfE_St5arrayIPcLm2EEEEviT0_T1_,"axG",@progbits,_ZN2at6native29vectorized_elementwise_kernelILi8EZZZNS0_18lgamma_kernel_cudaERNS_18TensorIteratorBaseEENKUlvE_clEvENKUlvE0_clEvEUlfE_St5arrayIPcLm2EEEEviT0_T1_,comdat
.Lfunc_end138:
	.size	_ZN2at6native29vectorized_elementwise_kernelILi8EZZZNS0_18lgamma_kernel_cudaERNS_18TensorIteratorBaseEENKUlvE_clEvENKUlvE0_clEvEUlfE_St5arrayIPcLm2EEEEviT0_T1_, .Lfunc_end138-_ZN2at6native29vectorized_elementwise_kernelILi8EZZZNS0_18lgamma_kernel_cudaERNS_18TensorIteratorBaseEENKUlvE_clEvENKUlvE0_clEvEUlfE_St5arrayIPcLm2EEEEviT0_T1_
                                        ; -- End function
	.set _ZN2at6native29vectorized_elementwise_kernelILi8EZZZNS0_18lgamma_kernel_cudaERNS_18TensorIteratorBaseEENKUlvE_clEvENKUlvE0_clEvEUlfE_St5arrayIPcLm2EEEEviT0_T1_.num_vgpr, max(32, .L_ZN2at6native25elementwise_kernel_helperILb0EZZZNS0_18lgamma_kernel_cudaERNS_18TensorIteratorBaseEENKUlvE_clEvENKUlvE0_clEvEUlfE_NS0_6memory8policies10vectorizedILi4ESt5arrayIPcLm2EELi4EEEEEvT0_T1_.num_vgpr, .L_ZN2at6native25elementwise_kernel_helperILb0EZZZNS0_18lgamma_kernel_cudaERNS_18TensorIteratorBaseEENKUlvE_clEvENKUlvE0_clEvEUlfE_NS0_6memory8policies11unroll_baseILi256ESt5arrayIPcLm2EE23TrivialOffsetCalculatorILi1EjESE_NS7_15LoadWithoutCastENS7_16StoreWithoutCastELi4ELi1EEEEEvT0_T1_.num_vgpr)
	.set _ZN2at6native29vectorized_elementwise_kernelILi8EZZZNS0_18lgamma_kernel_cudaERNS_18TensorIteratorBaseEENKUlvE_clEvENKUlvE0_clEvEUlfE_St5arrayIPcLm2EEEEviT0_T1_.num_agpr, max(0, .L_ZN2at6native25elementwise_kernel_helperILb0EZZZNS0_18lgamma_kernel_cudaERNS_18TensorIteratorBaseEENKUlvE_clEvENKUlvE0_clEvEUlfE_NS0_6memory8policies10vectorizedILi4ESt5arrayIPcLm2EELi4EEEEEvT0_T1_.num_agpr, .L_ZN2at6native25elementwise_kernel_helperILb0EZZZNS0_18lgamma_kernel_cudaERNS_18TensorIteratorBaseEENKUlvE_clEvENKUlvE0_clEvEUlfE_NS0_6memory8policies11unroll_baseILi256ESt5arrayIPcLm2EE23TrivialOffsetCalculatorILi1EjESE_NS7_15LoadWithoutCastENS7_16StoreWithoutCastELi4ELi1EEEEEvT0_T1_.num_agpr)
	.set _ZN2at6native29vectorized_elementwise_kernelILi8EZZZNS0_18lgamma_kernel_cudaERNS_18TensorIteratorBaseEENKUlvE_clEvENKUlvE0_clEvEUlfE_St5arrayIPcLm2EEEEviT0_T1_.numbered_sgpr, max(33, .L_ZN2at6native25elementwise_kernel_helperILb0EZZZNS0_18lgamma_kernel_cudaERNS_18TensorIteratorBaseEENKUlvE_clEvENKUlvE0_clEvEUlfE_NS0_6memory8policies10vectorizedILi4ESt5arrayIPcLm2EELi4EEEEEvT0_T1_.numbered_sgpr, .L_ZN2at6native25elementwise_kernel_helperILb0EZZZNS0_18lgamma_kernel_cudaERNS_18TensorIteratorBaseEENKUlvE_clEvENKUlvE0_clEvEUlfE_NS0_6memory8policies11unroll_baseILi256ESt5arrayIPcLm2EE23TrivialOffsetCalculatorILi1EjESE_NS7_15LoadWithoutCastENS7_16StoreWithoutCastELi4ELi1EEEEEvT0_T1_.numbered_sgpr)
	.set _ZN2at6native29vectorized_elementwise_kernelILi8EZZZNS0_18lgamma_kernel_cudaERNS_18TensorIteratorBaseEENKUlvE_clEvENKUlvE0_clEvEUlfE_St5arrayIPcLm2EEEEviT0_T1_.num_named_barrier, max(0, .L_ZN2at6native25elementwise_kernel_helperILb0EZZZNS0_18lgamma_kernel_cudaERNS_18TensorIteratorBaseEENKUlvE_clEvENKUlvE0_clEvEUlfE_NS0_6memory8policies10vectorizedILi4ESt5arrayIPcLm2EELi4EEEEEvT0_T1_.num_named_barrier, .L_ZN2at6native25elementwise_kernel_helperILb0EZZZNS0_18lgamma_kernel_cudaERNS_18TensorIteratorBaseEENKUlvE_clEvENKUlvE0_clEvEUlfE_NS0_6memory8policies11unroll_baseILi256ESt5arrayIPcLm2EE23TrivialOffsetCalculatorILi1EjESE_NS7_15LoadWithoutCastENS7_16StoreWithoutCastELi4ELi1EEEEEvT0_T1_.num_named_barrier)
	.set _ZN2at6native29vectorized_elementwise_kernelILi8EZZZNS0_18lgamma_kernel_cudaERNS_18TensorIteratorBaseEENKUlvE_clEvENKUlvE0_clEvEUlfE_St5arrayIPcLm2EEEEviT0_T1_.private_seg_size, 0+max(.L_ZN2at6native25elementwise_kernel_helperILb0EZZZNS0_18lgamma_kernel_cudaERNS_18TensorIteratorBaseEENKUlvE_clEvENKUlvE0_clEvEUlfE_NS0_6memory8policies10vectorizedILi4ESt5arrayIPcLm2EELi4EEEEEvT0_T1_.private_seg_size, .L_ZN2at6native25elementwise_kernel_helperILb0EZZZNS0_18lgamma_kernel_cudaERNS_18TensorIteratorBaseEENKUlvE_clEvENKUlvE0_clEvEUlfE_NS0_6memory8policies11unroll_baseILi256ESt5arrayIPcLm2EE23TrivialOffsetCalculatorILi1EjESE_NS7_15LoadWithoutCastENS7_16StoreWithoutCastELi4ELi1EEEEEvT0_T1_.private_seg_size)
	.set _ZN2at6native29vectorized_elementwise_kernelILi8EZZZNS0_18lgamma_kernel_cudaERNS_18TensorIteratorBaseEENKUlvE_clEvENKUlvE0_clEvEUlfE_St5arrayIPcLm2EEEEviT0_T1_.uses_vcc, or(1, .L_ZN2at6native25elementwise_kernel_helperILb0EZZZNS0_18lgamma_kernel_cudaERNS_18TensorIteratorBaseEENKUlvE_clEvENKUlvE0_clEvEUlfE_NS0_6memory8policies10vectorizedILi4ESt5arrayIPcLm2EELi4EEEEEvT0_T1_.uses_vcc, .L_ZN2at6native25elementwise_kernel_helperILb0EZZZNS0_18lgamma_kernel_cudaERNS_18TensorIteratorBaseEENKUlvE_clEvENKUlvE0_clEvEUlfE_NS0_6memory8policies11unroll_baseILi256ESt5arrayIPcLm2EE23TrivialOffsetCalculatorILi1EjESE_NS7_15LoadWithoutCastENS7_16StoreWithoutCastELi4ELi1EEEEEvT0_T1_.uses_vcc)
	.set _ZN2at6native29vectorized_elementwise_kernelILi8EZZZNS0_18lgamma_kernel_cudaERNS_18TensorIteratorBaseEENKUlvE_clEvENKUlvE0_clEvEUlfE_St5arrayIPcLm2EEEEviT0_T1_.uses_flat_scratch, or(0, .L_ZN2at6native25elementwise_kernel_helperILb0EZZZNS0_18lgamma_kernel_cudaERNS_18TensorIteratorBaseEENKUlvE_clEvENKUlvE0_clEvEUlfE_NS0_6memory8policies10vectorizedILi4ESt5arrayIPcLm2EELi4EEEEEvT0_T1_.uses_flat_scratch, .L_ZN2at6native25elementwise_kernel_helperILb0EZZZNS0_18lgamma_kernel_cudaERNS_18TensorIteratorBaseEENKUlvE_clEvENKUlvE0_clEvEUlfE_NS0_6memory8policies11unroll_baseILi256ESt5arrayIPcLm2EE23TrivialOffsetCalculatorILi1EjESE_NS7_15LoadWithoutCastENS7_16StoreWithoutCastELi4ELi1EEEEEvT0_T1_.uses_flat_scratch)
	.set _ZN2at6native29vectorized_elementwise_kernelILi8EZZZNS0_18lgamma_kernel_cudaERNS_18TensorIteratorBaseEENKUlvE_clEvENKUlvE0_clEvEUlfE_St5arrayIPcLm2EEEEviT0_T1_.has_dyn_sized_stack, or(0, .L_ZN2at6native25elementwise_kernel_helperILb0EZZZNS0_18lgamma_kernel_cudaERNS_18TensorIteratorBaseEENKUlvE_clEvENKUlvE0_clEvEUlfE_NS0_6memory8policies10vectorizedILi4ESt5arrayIPcLm2EELi4EEEEEvT0_T1_.has_dyn_sized_stack, .L_ZN2at6native25elementwise_kernel_helperILb0EZZZNS0_18lgamma_kernel_cudaERNS_18TensorIteratorBaseEENKUlvE_clEvENKUlvE0_clEvEUlfE_NS0_6memory8policies11unroll_baseILi256ESt5arrayIPcLm2EE23TrivialOffsetCalculatorILi1EjESE_NS7_15LoadWithoutCastENS7_16StoreWithoutCastELi4ELi1EEEEEvT0_T1_.has_dyn_sized_stack)
	.set _ZN2at6native29vectorized_elementwise_kernelILi8EZZZNS0_18lgamma_kernel_cudaERNS_18TensorIteratorBaseEENKUlvE_clEvENKUlvE0_clEvEUlfE_St5arrayIPcLm2EEEEviT0_T1_.has_recursion, or(0, .L_ZN2at6native25elementwise_kernel_helperILb0EZZZNS0_18lgamma_kernel_cudaERNS_18TensorIteratorBaseEENKUlvE_clEvENKUlvE0_clEvEUlfE_NS0_6memory8policies10vectorizedILi4ESt5arrayIPcLm2EELi4EEEEEvT0_T1_.has_recursion, .L_ZN2at6native25elementwise_kernel_helperILb0EZZZNS0_18lgamma_kernel_cudaERNS_18TensorIteratorBaseEENKUlvE_clEvENKUlvE0_clEvEUlfE_NS0_6memory8policies11unroll_baseILi256ESt5arrayIPcLm2EE23TrivialOffsetCalculatorILi1EjESE_NS7_15LoadWithoutCastENS7_16StoreWithoutCastELi4ELi1EEEEEvT0_T1_.has_recursion)
	.set _ZN2at6native29vectorized_elementwise_kernelILi8EZZZNS0_18lgamma_kernel_cudaERNS_18TensorIteratorBaseEENKUlvE_clEvENKUlvE0_clEvEUlfE_St5arrayIPcLm2EEEEviT0_T1_.has_indirect_call, or(0, .L_ZN2at6native25elementwise_kernel_helperILb0EZZZNS0_18lgamma_kernel_cudaERNS_18TensorIteratorBaseEENKUlvE_clEvENKUlvE0_clEvEUlfE_NS0_6memory8policies10vectorizedILi4ESt5arrayIPcLm2EELi4EEEEEvT0_T1_.has_indirect_call, .L_ZN2at6native25elementwise_kernel_helperILb0EZZZNS0_18lgamma_kernel_cudaERNS_18TensorIteratorBaseEENKUlvE_clEvENKUlvE0_clEvEUlfE_NS0_6memory8policies11unroll_baseILi256ESt5arrayIPcLm2EE23TrivialOffsetCalculatorILi1EjESE_NS7_15LoadWithoutCastENS7_16StoreWithoutCastELi4ELi1EEEEEvT0_T1_.has_indirect_call)
	.section	.AMDGPU.csdata,"",@progbits
; Kernel info:
; codeLenInByte = 176
; TotalNumSgprs: 35
; NumVgprs: 32
; ScratchSize: 0
; MemoryBound: 0
; FloatMode: 240
; IeeeMode: 1
; LDSByteSize: 0 bytes/workgroup (compile time only)
; SGPRBlocks: 0
; VGPRBlocks: 3
; NumSGPRsForWavesPerEU: 35
; NumVGPRsForWavesPerEU: 32
; Occupancy: 16
; WaveLimiterHint : 0
; COMPUTE_PGM_RSRC2:SCRATCH_EN: 0
; COMPUTE_PGM_RSRC2:USER_SGPR: 6
; COMPUTE_PGM_RSRC2:TRAP_HANDLER: 0
; COMPUTE_PGM_RSRC2:TGID_X_EN: 1
; COMPUTE_PGM_RSRC2:TGID_Y_EN: 0
; COMPUTE_PGM_RSRC2:TGID_Z_EN: 0
; COMPUTE_PGM_RSRC2:TIDIG_COMP_CNT: 0
	.section	.text._ZN2at6native29vectorized_elementwise_kernelILi4EZZZNS0_18lgamma_kernel_cudaERNS_18TensorIteratorBaseEENKUlvE_clEvENKUlvE0_clEvEUlfE_St5arrayIPcLm2EEEEviT0_T1_,"axG",@progbits,_ZN2at6native29vectorized_elementwise_kernelILi4EZZZNS0_18lgamma_kernel_cudaERNS_18TensorIteratorBaseEENKUlvE_clEvENKUlvE0_clEvEUlfE_St5arrayIPcLm2EEEEviT0_T1_,comdat
	.globl	_ZN2at6native29vectorized_elementwise_kernelILi4EZZZNS0_18lgamma_kernel_cudaERNS_18TensorIteratorBaseEENKUlvE_clEvENKUlvE0_clEvEUlfE_St5arrayIPcLm2EEEEviT0_T1_ ; -- Begin function _ZN2at6native29vectorized_elementwise_kernelILi4EZZZNS0_18lgamma_kernel_cudaERNS_18TensorIteratorBaseEENKUlvE_clEvENKUlvE0_clEvEUlfE_St5arrayIPcLm2EEEEviT0_T1_
	.p2align	8
	.type	_ZN2at6native29vectorized_elementwise_kernelILi4EZZZNS0_18lgamma_kernel_cudaERNS_18TensorIteratorBaseEENKUlvE_clEvENKUlvE0_clEvEUlfE_St5arrayIPcLm2EEEEviT0_T1_,@function
_ZN2at6native29vectorized_elementwise_kernelILi4EZZZNS0_18lgamma_kernel_cudaERNS_18TensorIteratorBaseEENKUlvE_clEvENKUlvE0_clEvEUlfE_St5arrayIPcLm2EEEEviT0_T1_: ; @_ZN2at6native29vectorized_elementwise_kernelILi4EZZZNS0_18lgamma_kernel_cudaERNS_18TensorIteratorBaseEENKUlvE_clEvENKUlvE0_clEvEUlfE_St5arrayIPcLm2EEEEviT0_T1_
; %bb.0:
	s_mov_b32 s14, s6
	s_clause 0x1
	s_load_dword s6, s[4:5], 0x0
	s_load_dwordx4 s[16:19], s[4:5], 0x8
	s_add_u32 s0, s0, s7
	s_addc_u32 s1, s1, 0
	s_lshl_b32 s4, s14, 10
	v_mov_b32_e32 v31, v0
	s_mov_b32 s32, 0
	s_waitcnt lgkmcnt(0)
	s_sub_i32 s15, s6, s4
	s_mov_b32 s4, -1
	s_cmpk_gt_i32 s15, 0x3ff
	s_cbranch_scc1 .LBB139_3
; %bb.1:
	s_andn2_b32 vcc_lo, exec_lo, s4
	s_cbranch_vccz .LBB139_4
.LBB139_2:
	s_endpgm
.LBB139_3:
	v_mov_b32_e32 v0, s16
	v_mov_b32_e32 v1, s17
	;; [unrolled: 1-line block ×4, first 2 shown]
	s_getpc_b64 s[4:5]
	s_add_u32 s4, s4, _ZN2at6native25elementwise_kernel_helperILb0EZZZNS0_18lgamma_kernel_cudaERNS_18TensorIteratorBaseEENKUlvE_clEvENKUlvE0_clEvEUlfE_NS0_6memory8policies10vectorizedILi4ESt5arrayIPcLm2EELi4EEEEEvT0_T1_@rel32@lo+4
	s_addc_u32 s5, s5, _ZN2at6native25elementwise_kernel_helperILb0EZZZNS0_18lgamma_kernel_cudaERNS_18TensorIteratorBaseEENKUlvE_clEvENKUlvE0_clEvEUlfE_NS0_6memory8policies10vectorizedILi4ESt5arrayIPcLm2EELi4EEEEEvT0_T1_@rel32@hi+12
	s_mov_b32 s12, s14
	s_swappc_b64 s[30:31], s[4:5]
	s_cbranch_execnz .LBB139_2
.LBB139_4:
	v_mov_b32_e32 v0, s16
	v_mov_b32_e32 v1, s17
	;; [unrolled: 1-line block ×5, first 2 shown]
	s_getpc_b64 s[4:5]
	s_add_u32 s4, s4, _ZN2at6native25elementwise_kernel_helperILb0EZZZNS0_18lgamma_kernel_cudaERNS_18TensorIteratorBaseEENKUlvE_clEvENKUlvE0_clEvEUlfE_NS0_6memory8policies11unroll_baseILi256ESt5arrayIPcLm2EE23TrivialOffsetCalculatorILi1EjESE_NS7_15LoadWithoutCastENS7_16StoreWithoutCastELi4ELi1EEEEEvT0_T1_@rel32@lo+4
	s_addc_u32 s5, s5, _ZN2at6native25elementwise_kernel_helperILb0EZZZNS0_18lgamma_kernel_cudaERNS_18TensorIteratorBaseEENKUlvE_clEvENKUlvE0_clEvEUlfE_NS0_6memory8policies11unroll_baseILi256ESt5arrayIPcLm2EE23TrivialOffsetCalculatorILi1EjESE_NS7_15LoadWithoutCastENS7_16StoreWithoutCastELi4ELi1EEEEEvT0_T1_@rel32@hi+12
	s_mov_b32 s12, s14
	s_swappc_b64 s[30:31], s[4:5]
	s_endpgm
	.section	.rodata,"a",@progbits
	.p2align	6, 0x0
	.amdhsa_kernel _ZN2at6native29vectorized_elementwise_kernelILi4EZZZNS0_18lgamma_kernel_cudaERNS_18TensorIteratorBaseEENKUlvE_clEvENKUlvE0_clEvEUlfE_St5arrayIPcLm2EEEEviT0_T1_
		.amdhsa_group_segment_fixed_size 0
		.amdhsa_private_segment_fixed_size 0
		.amdhsa_kernarg_size 24
		.amdhsa_user_sgpr_count 6
		.amdhsa_user_sgpr_private_segment_buffer 1
		.amdhsa_user_sgpr_dispatch_ptr 0
		.amdhsa_user_sgpr_queue_ptr 0
		.amdhsa_user_sgpr_kernarg_segment_ptr 1
		.amdhsa_user_sgpr_dispatch_id 0
		.amdhsa_user_sgpr_flat_scratch_init 0
		.amdhsa_user_sgpr_private_segment_size 0
		.amdhsa_wavefront_size32 1
		.amdhsa_uses_dynamic_stack 0
		.amdhsa_system_sgpr_private_segment_wavefront_offset 0
		.amdhsa_system_sgpr_workgroup_id_x 1
		.amdhsa_system_sgpr_workgroup_id_y 0
		.amdhsa_system_sgpr_workgroup_id_z 0
		.amdhsa_system_sgpr_workgroup_info 0
		.amdhsa_system_vgpr_workitem_id 0
		.amdhsa_next_free_vgpr 32
		.amdhsa_next_free_sgpr 33
		.amdhsa_reserve_vcc 1
		.amdhsa_reserve_flat_scratch 0
		.amdhsa_float_round_mode_32 0
		.amdhsa_float_round_mode_16_64 0
		.amdhsa_float_denorm_mode_32 3
		.amdhsa_float_denorm_mode_16_64 3
		.amdhsa_dx10_clamp 1
		.amdhsa_ieee_mode 1
		.amdhsa_fp16_overflow 0
		.amdhsa_workgroup_processor_mode 1
		.amdhsa_memory_ordered 1
		.amdhsa_forward_progress 1
		.amdhsa_shared_vgpr_count 0
		.amdhsa_exception_fp_ieee_invalid_op 0
		.amdhsa_exception_fp_denorm_src 0
		.amdhsa_exception_fp_ieee_div_zero 0
		.amdhsa_exception_fp_ieee_overflow 0
		.amdhsa_exception_fp_ieee_underflow 0
		.amdhsa_exception_fp_ieee_inexact 0
		.amdhsa_exception_int_div_zero 0
	.end_amdhsa_kernel
	.section	.text._ZN2at6native29vectorized_elementwise_kernelILi4EZZZNS0_18lgamma_kernel_cudaERNS_18TensorIteratorBaseEENKUlvE_clEvENKUlvE0_clEvEUlfE_St5arrayIPcLm2EEEEviT0_T1_,"axG",@progbits,_ZN2at6native29vectorized_elementwise_kernelILi4EZZZNS0_18lgamma_kernel_cudaERNS_18TensorIteratorBaseEENKUlvE_clEvENKUlvE0_clEvEUlfE_St5arrayIPcLm2EEEEviT0_T1_,comdat
.Lfunc_end139:
	.size	_ZN2at6native29vectorized_elementwise_kernelILi4EZZZNS0_18lgamma_kernel_cudaERNS_18TensorIteratorBaseEENKUlvE_clEvENKUlvE0_clEvEUlfE_St5arrayIPcLm2EEEEviT0_T1_, .Lfunc_end139-_ZN2at6native29vectorized_elementwise_kernelILi4EZZZNS0_18lgamma_kernel_cudaERNS_18TensorIteratorBaseEENKUlvE_clEvENKUlvE0_clEvEUlfE_St5arrayIPcLm2EEEEviT0_T1_
                                        ; -- End function
	.set _ZN2at6native29vectorized_elementwise_kernelILi4EZZZNS0_18lgamma_kernel_cudaERNS_18TensorIteratorBaseEENKUlvE_clEvENKUlvE0_clEvEUlfE_St5arrayIPcLm2EEEEviT0_T1_.num_vgpr, max(32, .L_ZN2at6native25elementwise_kernel_helperILb0EZZZNS0_18lgamma_kernel_cudaERNS_18TensorIteratorBaseEENKUlvE_clEvENKUlvE0_clEvEUlfE_NS0_6memory8policies10vectorizedILi4ESt5arrayIPcLm2EELi4EEEEEvT0_T1_.num_vgpr, .L_ZN2at6native25elementwise_kernel_helperILb0EZZZNS0_18lgamma_kernel_cudaERNS_18TensorIteratorBaseEENKUlvE_clEvENKUlvE0_clEvEUlfE_NS0_6memory8policies11unroll_baseILi256ESt5arrayIPcLm2EE23TrivialOffsetCalculatorILi1EjESE_NS7_15LoadWithoutCastENS7_16StoreWithoutCastELi4ELi1EEEEEvT0_T1_.num_vgpr)
	.set _ZN2at6native29vectorized_elementwise_kernelILi4EZZZNS0_18lgamma_kernel_cudaERNS_18TensorIteratorBaseEENKUlvE_clEvENKUlvE0_clEvEUlfE_St5arrayIPcLm2EEEEviT0_T1_.num_agpr, max(0, .L_ZN2at6native25elementwise_kernel_helperILb0EZZZNS0_18lgamma_kernel_cudaERNS_18TensorIteratorBaseEENKUlvE_clEvENKUlvE0_clEvEUlfE_NS0_6memory8policies10vectorizedILi4ESt5arrayIPcLm2EELi4EEEEEvT0_T1_.num_agpr, .L_ZN2at6native25elementwise_kernel_helperILb0EZZZNS0_18lgamma_kernel_cudaERNS_18TensorIteratorBaseEENKUlvE_clEvENKUlvE0_clEvEUlfE_NS0_6memory8policies11unroll_baseILi256ESt5arrayIPcLm2EE23TrivialOffsetCalculatorILi1EjESE_NS7_15LoadWithoutCastENS7_16StoreWithoutCastELi4ELi1EEEEEvT0_T1_.num_agpr)
	.set _ZN2at6native29vectorized_elementwise_kernelILi4EZZZNS0_18lgamma_kernel_cudaERNS_18TensorIteratorBaseEENKUlvE_clEvENKUlvE0_clEvEUlfE_St5arrayIPcLm2EEEEviT0_T1_.numbered_sgpr, max(33, .L_ZN2at6native25elementwise_kernel_helperILb0EZZZNS0_18lgamma_kernel_cudaERNS_18TensorIteratorBaseEENKUlvE_clEvENKUlvE0_clEvEUlfE_NS0_6memory8policies10vectorizedILi4ESt5arrayIPcLm2EELi4EEEEEvT0_T1_.numbered_sgpr, .L_ZN2at6native25elementwise_kernel_helperILb0EZZZNS0_18lgamma_kernel_cudaERNS_18TensorIteratorBaseEENKUlvE_clEvENKUlvE0_clEvEUlfE_NS0_6memory8policies11unroll_baseILi256ESt5arrayIPcLm2EE23TrivialOffsetCalculatorILi1EjESE_NS7_15LoadWithoutCastENS7_16StoreWithoutCastELi4ELi1EEEEEvT0_T1_.numbered_sgpr)
	.set _ZN2at6native29vectorized_elementwise_kernelILi4EZZZNS0_18lgamma_kernel_cudaERNS_18TensorIteratorBaseEENKUlvE_clEvENKUlvE0_clEvEUlfE_St5arrayIPcLm2EEEEviT0_T1_.num_named_barrier, max(0, .L_ZN2at6native25elementwise_kernel_helperILb0EZZZNS0_18lgamma_kernel_cudaERNS_18TensorIteratorBaseEENKUlvE_clEvENKUlvE0_clEvEUlfE_NS0_6memory8policies10vectorizedILi4ESt5arrayIPcLm2EELi4EEEEEvT0_T1_.num_named_barrier, .L_ZN2at6native25elementwise_kernel_helperILb0EZZZNS0_18lgamma_kernel_cudaERNS_18TensorIteratorBaseEENKUlvE_clEvENKUlvE0_clEvEUlfE_NS0_6memory8policies11unroll_baseILi256ESt5arrayIPcLm2EE23TrivialOffsetCalculatorILi1EjESE_NS7_15LoadWithoutCastENS7_16StoreWithoutCastELi4ELi1EEEEEvT0_T1_.num_named_barrier)
	.set _ZN2at6native29vectorized_elementwise_kernelILi4EZZZNS0_18lgamma_kernel_cudaERNS_18TensorIteratorBaseEENKUlvE_clEvENKUlvE0_clEvEUlfE_St5arrayIPcLm2EEEEviT0_T1_.private_seg_size, 0+max(.L_ZN2at6native25elementwise_kernel_helperILb0EZZZNS0_18lgamma_kernel_cudaERNS_18TensorIteratorBaseEENKUlvE_clEvENKUlvE0_clEvEUlfE_NS0_6memory8policies10vectorizedILi4ESt5arrayIPcLm2EELi4EEEEEvT0_T1_.private_seg_size, .L_ZN2at6native25elementwise_kernel_helperILb0EZZZNS0_18lgamma_kernel_cudaERNS_18TensorIteratorBaseEENKUlvE_clEvENKUlvE0_clEvEUlfE_NS0_6memory8policies11unroll_baseILi256ESt5arrayIPcLm2EE23TrivialOffsetCalculatorILi1EjESE_NS7_15LoadWithoutCastENS7_16StoreWithoutCastELi4ELi1EEEEEvT0_T1_.private_seg_size)
	.set _ZN2at6native29vectorized_elementwise_kernelILi4EZZZNS0_18lgamma_kernel_cudaERNS_18TensorIteratorBaseEENKUlvE_clEvENKUlvE0_clEvEUlfE_St5arrayIPcLm2EEEEviT0_T1_.uses_vcc, or(1, .L_ZN2at6native25elementwise_kernel_helperILb0EZZZNS0_18lgamma_kernel_cudaERNS_18TensorIteratorBaseEENKUlvE_clEvENKUlvE0_clEvEUlfE_NS0_6memory8policies10vectorizedILi4ESt5arrayIPcLm2EELi4EEEEEvT0_T1_.uses_vcc, .L_ZN2at6native25elementwise_kernel_helperILb0EZZZNS0_18lgamma_kernel_cudaERNS_18TensorIteratorBaseEENKUlvE_clEvENKUlvE0_clEvEUlfE_NS0_6memory8policies11unroll_baseILi256ESt5arrayIPcLm2EE23TrivialOffsetCalculatorILi1EjESE_NS7_15LoadWithoutCastENS7_16StoreWithoutCastELi4ELi1EEEEEvT0_T1_.uses_vcc)
	.set _ZN2at6native29vectorized_elementwise_kernelILi4EZZZNS0_18lgamma_kernel_cudaERNS_18TensorIteratorBaseEENKUlvE_clEvENKUlvE0_clEvEUlfE_St5arrayIPcLm2EEEEviT0_T1_.uses_flat_scratch, or(0, .L_ZN2at6native25elementwise_kernel_helperILb0EZZZNS0_18lgamma_kernel_cudaERNS_18TensorIteratorBaseEENKUlvE_clEvENKUlvE0_clEvEUlfE_NS0_6memory8policies10vectorizedILi4ESt5arrayIPcLm2EELi4EEEEEvT0_T1_.uses_flat_scratch, .L_ZN2at6native25elementwise_kernel_helperILb0EZZZNS0_18lgamma_kernel_cudaERNS_18TensorIteratorBaseEENKUlvE_clEvENKUlvE0_clEvEUlfE_NS0_6memory8policies11unroll_baseILi256ESt5arrayIPcLm2EE23TrivialOffsetCalculatorILi1EjESE_NS7_15LoadWithoutCastENS7_16StoreWithoutCastELi4ELi1EEEEEvT0_T1_.uses_flat_scratch)
	.set _ZN2at6native29vectorized_elementwise_kernelILi4EZZZNS0_18lgamma_kernel_cudaERNS_18TensorIteratorBaseEENKUlvE_clEvENKUlvE0_clEvEUlfE_St5arrayIPcLm2EEEEviT0_T1_.has_dyn_sized_stack, or(0, .L_ZN2at6native25elementwise_kernel_helperILb0EZZZNS0_18lgamma_kernel_cudaERNS_18TensorIteratorBaseEENKUlvE_clEvENKUlvE0_clEvEUlfE_NS0_6memory8policies10vectorizedILi4ESt5arrayIPcLm2EELi4EEEEEvT0_T1_.has_dyn_sized_stack, .L_ZN2at6native25elementwise_kernel_helperILb0EZZZNS0_18lgamma_kernel_cudaERNS_18TensorIteratorBaseEENKUlvE_clEvENKUlvE0_clEvEUlfE_NS0_6memory8policies11unroll_baseILi256ESt5arrayIPcLm2EE23TrivialOffsetCalculatorILi1EjESE_NS7_15LoadWithoutCastENS7_16StoreWithoutCastELi4ELi1EEEEEvT0_T1_.has_dyn_sized_stack)
	.set _ZN2at6native29vectorized_elementwise_kernelILi4EZZZNS0_18lgamma_kernel_cudaERNS_18TensorIteratorBaseEENKUlvE_clEvENKUlvE0_clEvEUlfE_St5arrayIPcLm2EEEEviT0_T1_.has_recursion, or(0, .L_ZN2at6native25elementwise_kernel_helperILb0EZZZNS0_18lgamma_kernel_cudaERNS_18TensorIteratorBaseEENKUlvE_clEvENKUlvE0_clEvEUlfE_NS0_6memory8policies10vectorizedILi4ESt5arrayIPcLm2EELi4EEEEEvT0_T1_.has_recursion, .L_ZN2at6native25elementwise_kernel_helperILb0EZZZNS0_18lgamma_kernel_cudaERNS_18TensorIteratorBaseEENKUlvE_clEvENKUlvE0_clEvEUlfE_NS0_6memory8policies11unroll_baseILi256ESt5arrayIPcLm2EE23TrivialOffsetCalculatorILi1EjESE_NS7_15LoadWithoutCastENS7_16StoreWithoutCastELi4ELi1EEEEEvT0_T1_.has_recursion)
	.set _ZN2at6native29vectorized_elementwise_kernelILi4EZZZNS0_18lgamma_kernel_cudaERNS_18TensorIteratorBaseEENKUlvE_clEvENKUlvE0_clEvEUlfE_St5arrayIPcLm2EEEEviT0_T1_.has_indirect_call, or(0, .L_ZN2at6native25elementwise_kernel_helperILb0EZZZNS0_18lgamma_kernel_cudaERNS_18TensorIteratorBaseEENKUlvE_clEvENKUlvE0_clEvEUlfE_NS0_6memory8policies10vectorizedILi4ESt5arrayIPcLm2EELi4EEEEEvT0_T1_.has_indirect_call, .L_ZN2at6native25elementwise_kernel_helperILb0EZZZNS0_18lgamma_kernel_cudaERNS_18TensorIteratorBaseEENKUlvE_clEvENKUlvE0_clEvEUlfE_NS0_6memory8policies11unroll_baseILi256ESt5arrayIPcLm2EE23TrivialOffsetCalculatorILi1EjESE_NS7_15LoadWithoutCastENS7_16StoreWithoutCastELi4ELi1EEEEEvT0_T1_.has_indirect_call)
	.section	.AMDGPU.csdata,"",@progbits
; Kernel info:
; codeLenInByte = 176
; TotalNumSgprs: 35
; NumVgprs: 32
; ScratchSize: 0
; MemoryBound: 0
; FloatMode: 240
; IeeeMode: 1
; LDSByteSize: 0 bytes/workgroup (compile time only)
; SGPRBlocks: 0
; VGPRBlocks: 3
; NumSGPRsForWavesPerEU: 35
; NumVGPRsForWavesPerEU: 32
; Occupancy: 16
; WaveLimiterHint : 0
; COMPUTE_PGM_RSRC2:SCRATCH_EN: 0
; COMPUTE_PGM_RSRC2:USER_SGPR: 6
; COMPUTE_PGM_RSRC2:TRAP_HANDLER: 0
; COMPUTE_PGM_RSRC2:TGID_X_EN: 1
; COMPUTE_PGM_RSRC2:TGID_Y_EN: 0
; COMPUTE_PGM_RSRC2:TGID_Z_EN: 0
; COMPUTE_PGM_RSRC2:TIDIG_COMP_CNT: 0
	.section	.text._ZN2at6native29vectorized_elementwise_kernelILi2EZZZNS0_18lgamma_kernel_cudaERNS_18TensorIteratorBaseEENKUlvE_clEvENKUlvE0_clEvEUlfE_St5arrayIPcLm2EEEEviT0_T1_,"axG",@progbits,_ZN2at6native29vectorized_elementwise_kernelILi2EZZZNS0_18lgamma_kernel_cudaERNS_18TensorIteratorBaseEENKUlvE_clEvENKUlvE0_clEvEUlfE_St5arrayIPcLm2EEEEviT0_T1_,comdat
	.globl	_ZN2at6native29vectorized_elementwise_kernelILi2EZZZNS0_18lgamma_kernel_cudaERNS_18TensorIteratorBaseEENKUlvE_clEvENKUlvE0_clEvEUlfE_St5arrayIPcLm2EEEEviT0_T1_ ; -- Begin function _ZN2at6native29vectorized_elementwise_kernelILi2EZZZNS0_18lgamma_kernel_cudaERNS_18TensorIteratorBaseEENKUlvE_clEvENKUlvE0_clEvEUlfE_St5arrayIPcLm2EEEEviT0_T1_
	.p2align	8
	.type	_ZN2at6native29vectorized_elementwise_kernelILi2EZZZNS0_18lgamma_kernel_cudaERNS_18TensorIteratorBaseEENKUlvE_clEvENKUlvE0_clEvEUlfE_St5arrayIPcLm2EEEEviT0_T1_,@function
_ZN2at6native29vectorized_elementwise_kernelILi2EZZZNS0_18lgamma_kernel_cudaERNS_18TensorIteratorBaseEENKUlvE_clEvENKUlvE0_clEvEUlfE_St5arrayIPcLm2EEEEviT0_T1_: ; @_ZN2at6native29vectorized_elementwise_kernelILi2EZZZNS0_18lgamma_kernel_cudaERNS_18TensorIteratorBaseEENKUlvE_clEvENKUlvE0_clEvEUlfE_St5arrayIPcLm2EEEEviT0_T1_
; %bb.0:
	s_add_u32 s0, s0, s7
	s_clause 0x1
	s_load_dword s7, s[4:5], 0x0
	s_load_dwordx4 s[12:15], s[4:5], 0x8
	s_addc_u32 s1, s1, 0
	s_lshl_b32 s4, s6, 10
	s_mov_b32 s5, -1
	s_mov_b32 s32, 0
	s_waitcnt lgkmcnt(0)
	s_sub_i32 s16, s7, s4
	s_cmpk_gt_i32 s16, 0x3ff
	s_cbranch_scc1 .LBB140_3
; %bb.1:
	s_and_b32 vcc_lo, exec_lo, s5
	s_cbranch_vccnz .LBB140_156
.LBB140_2:
	s_endpgm
.LBB140_3:
	s_ashr_i32 s5, s4, 31
	v_lshlrev_b32_e32 v5, 3, v0
	s_lshl_b64 s[10:11], s[4:5], 2
                                        ; implicit-def: $vgpr6
	s_add_u32 s4, s14, s10
	s_addc_u32 s5, s15, s11
	v_add_co_u32 v1, s7, s4, v5
	v_add_co_ci_u32_e64 v2, null, s5, 0, s7
	global_load_dwordx2 v[3:4], v5, s[4:5]
	v_add_co_u32 v1, vcc_lo, 0x800, v1
	v_add_co_ci_u32_e64 v2, null, 0, v2, vcc_lo
	global_load_dwordx2 v[1:2], v[1:2], off
	s_mov_b32 s5, exec_lo
	s_waitcnt vmcnt(1)
	v_and_b32_e32 v7, 0x7fffffff, v3
	v_cmpx_ngt_f32_e64 0x3c800000, |v3|
	s_xor_b32 s5, exec_lo, s5
	s_cbranch_execz .LBB140_33
; %bb.4:
	s_mov_b32 s7, exec_lo
                                        ; implicit-def: $vgpr6
	v_cmpx_nlt_f32_e64 |v3|, 2.0
	s_xor_b32 s7, exec_lo, s7
	s_cbranch_execz .LBB140_14
; %bb.5:
	v_cmp_ngt_f32_e64 s4, 0x41000000, |v3|
                                        ; implicit-def: $vgpr6
	s_and_saveexec_b32 s8, s4
	s_xor_b32 s4, exec_lo, s8
	s_cbranch_execz .LBB140_11
; %bb.6:
	v_cmp_ngt_f32_e64 s8, 0x5c800000, |v3|
                                        ; implicit-def: $vgpr6
	s_and_saveexec_b32 s9, s8
	s_xor_b32 s8, exec_lo, s9
	s_cbranch_execz .LBB140_8
; %bb.7:
	v_cmp_gt_f32_e64 s9, 0x800000, |v3|
	v_cndmask_b32_e64 v6, 0, 32, s9
	v_ldexp_f32 v6, |v3|, v6
	v_log_f32_e32 v6, v6
	v_mul_f32_e32 v8, 0x3f317217, v6
	v_cmp_gt_f32_e64 vcc_lo, 0x7f800000, |v6|
	v_fma_f32 v9, 0x3f317217, v6, -v8
	v_fmamk_f32 v9, v6, 0x3377d1cf, v9
	v_add_f32_e32 v8, v8, v9
	v_cndmask_b32_e32 v6, v6, v8, vcc_lo
	v_cndmask_b32_e64 v8, 0, 0x41b17218, s9
	v_sub_f32_e32 v6, v6, v8
	v_fma_f32 v6, |v3|, v6, -|v3|
.LBB140_8:
	s_andn2_saveexec_b32 s8, s8
	s_cbranch_execz .LBB140_10
; %bb.9:
	v_cmp_gt_f32_e64 s9, 0x800000, |v3|
	v_rcp_f32_e64 v8, |v3|
	s_mov_b32 s17, 0xbad5c4e8
	v_cndmask_b32_e64 v6, 0, 32, s9
	v_ldexp_f32 v6, |v3|, v6
	v_mul_f32_e32 v9, v8, v8
	v_log_f32_e32 v6, v6
	v_fmaak_f32 v11, s17, v9, 0x3a5b3dd2
	v_fmaak_f32 v11, v9, v11, 0xba1c065c
	v_mul_f32_e32 v10, 0x3f317217, v6
	v_fmaak_f32 v11, v9, v11, 0x3a500cfd
	v_cmp_gt_f32_e64 vcc_lo, 0x7f800000, |v6|
	v_fma_f32 v12, 0x3f317217, v6, -v10
	v_fmaak_f32 v11, v9, v11, 0xbb360b61
	v_fmamk_f32 v12, v6, 0x3377d1cf, v12
	v_fmaak_f32 v9, v9, v11, 0x3daaaaab
	v_add_f32_e32 v10, v10, v12
	v_cndmask_b32_e32 v6, v6, v10, vcc_lo
	v_cndmask_b32_e64 v10, 0, 0x41b17218, s9
	v_sub_f32_e32 v10, v6, v10
	v_fmaak_f32 v6, v8, v9, 0x3ed67f1d
	v_add_f32_e64 v8, |v3|, -0.5
	v_add_f32_e32 v9, -1.0, v10
	v_fmac_f32_e32 v6, v8, v9
.LBB140_10:
	s_or_b32 exec_lo, exec_lo, s8
.LBB140_11:
	s_andn2_saveexec_b32 s8, s4
	s_cbranch_execz .LBB140_13
; %bb.12:
	v_cvt_i32_f32_e32 v6, v7
	s_mov_b32 s4, 0x36f5d7bd
	s_mov_b32 s9, 0x3805ff67
	v_cvt_f32_i32_e32 v8, v6
	v_cmp_lt_i32_e32 vcc_lo, 2, v6
	v_sub_f32_e64 v8, |v3|, v8
	v_add_f32_e32 v9, 2.0, v8
	v_add_f32_e32 v10, 0x40400000, v8
	v_add_f32_e32 v11, 4.0, v8
	v_add_f32_e32 v12, 0x40a00000, v8
	v_cndmask_b32_e32 v9, 1.0, v9, vcc_lo
	v_cmp_lt_i32_e32 vcc_lo, 3, v6
	v_cndmask_b32_e32 v10, 1.0, v10, vcc_lo
	v_cmp_lt_i32_e32 vcc_lo, 4, v6
	v_mul_f32_e32 v9, v9, v10
	v_cndmask_b32_e32 v11, 1.0, v11, vcc_lo
	v_cmp_lt_i32_e32 vcc_lo, 5, v6
	v_add_f32_e32 v10, 0x40c00000, v8
	v_mul_f32_e32 v9, v11, v9
	v_cndmask_b32_e32 v12, 1.0, v12, vcc_lo
	v_cmp_lt_i32_e32 vcc_lo, 6, v6
	v_fmaak_f32 v11, s9, v8, 0x3af135b4
	v_mul_f32_e32 v9, v12, v9
	v_cndmask_b32_e32 v6, 1.0, v10, vcc_lo
	v_mul_f32_e32 v6, v6, v9
	v_fmaak_f32 v9, s4, v8, 0x3a4beed6
	v_cmp_gt_f32_e32 vcc_lo, 0x800000, v6
	v_fmaak_f32 v9, v8, v9, 0x3c98bf54
	v_cndmask_b32_e64 v10, 0, 32, vcc_lo
	v_fmaak_f32 v9, v8, v9, 0x3e300f6e
	v_ldexp_f32 v6, v6, v10
	v_fmaak_f32 v10, v8, v11, 0x3cda40e4
	v_fmaak_f32 v9, v8, v9, 0x3f38d0c5
	v_log_f32_e32 v6, v6
	v_fmaak_f32 v10, v8, v10, 0x3e15dce6
	v_fmaak_f32 v9, v8, v9, 0x3fb22d3b
	;; [unrolled: 1-line block ×3, first 2 shown]
	v_fma_f32 v9, v8, v9, 1.0
	v_mul_f32_e32 v11, 0x3f317217, v6
	v_fmaak_f32 v10, v8, v10, 0x3e5c245a
	v_rcp_f32_e32 v9, v9
	v_cmp_gt_f32_e64 s4, 0x7f800000, |v6|
	v_fma_f32 v12, 0x3f317217, v6, -v11
	v_fmaak_f32 v10, v8, v10, 0xbd9e233f
	v_fmamk_f32 v12, v6, 0x3377d1cf, v12
	v_mul_f32_e32 v10, v8, v10
	v_add_f32_e32 v11, v11, v12
	v_mul_f32_e32 v9, v10, v9
	v_cndmask_b32_e64 v10, 0, 0x41b17218, vcc_lo
	v_cndmask_b32_e64 v6, v6, v11, s4
	v_fmac_f32_e32 v9, 0.5, v8
	v_sub_f32_e32 v6, v6, v10
	v_add_f32_e32 v6, v6, v9
.LBB140_13:
	s_or_b32 exec_lo, exec_lo, s8
.LBB140_14:
	s_andn2_saveexec_b32 s7, s7
	s_cbranch_execz .LBB140_32
; %bb.15:
	s_mov_b32 s8, exec_lo
                                        ; implicit-def: $vgpr6
                                        ; implicit-def: $vgpr9
                                        ; implicit-def: $vgpr8
	v_cmpx_ge_f32_e64 0x3f666666, |v3|
	s_xor_b32 s8, exec_lo, s8
	s_cbranch_execz .LBB140_17
; %bb.16:
	v_cmp_gt_f32_e64 s4, 0x800000, |v3|
	v_sub_f32_e64 v10, 1.0, |v3|
	v_cmp_gt_f32_e64 vcc_lo, 0x3f3b4a23, |v3|
	v_cndmask_b32_e64 v6, 0, 32, s4
	v_cndmask_b32_e64 v11, 0, 0x41b17218, s4
	v_ldexp_f32 v6, |v3|, v6
	v_log_f32_e32 v6, v6
	v_mul_f32_e32 v8, 0x3f317217, v6
	v_cmp_gt_f32_e64 s4, 0x7f800000, |v6|
	v_fma_f32 v9, 0x3f317217, v6, -v8
	v_fmamk_f32 v9, v6, 0x3377d1cf, v9
	v_add_f32_e32 v8, v8, v9
	v_add_f32_e64 v9, 0xbeec5b0c, |v3|
	v_cndmask_b32_e64 v6, v6, v8, s4
	v_cndmask_b32_e32 v8, v10, v9, vcc_lo
	v_cndmask_b32_e64 v9, 0, 1, vcc_lo
	v_cmp_gt_f32_e64 s4, 0x3e6d3309, |v3|
	v_sub_f32_e32 v6, v6, v11
	v_cndmask_b32_e64 v8, v8, |v3|, s4
	v_cndmask_b32_e64 v9, v9, 2, s4
	v_xor_b32_e32 v6, 0x80000000, v6
.LBB140_17:
	s_andn2_saveexec_b32 s4, s8
	s_cbranch_execz .LBB140_19
; %bb.18:
	v_sub_f32_e64 v6, 2.0, |v3|
	v_add_f32_e64 v8, 0xbfbb16c3, |v3|
	v_cmp_gt_f32_e64 vcc_lo, 0x3fdda512, |v3|
	v_add_f32_e64 v9, |v3|, -1.0
	v_cndmask_b32_e32 v8, v6, v8, vcc_lo
	v_cndmask_b32_e64 v6, v6, 1.0, vcc_lo
	v_cmp_gt_f32_e64 vcc_lo, 0x3f9d70a4, |v3|
	v_cvt_i32_f32_e32 v6, v6
	v_cndmask_b32_e32 v8, v8, v9, vcc_lo
	v_cndmask_b32_e64 v9, v6, 2, vcc_lo
	v_mov_b32_e32 v6, 0
.LBB140_19:
	s_or_b32 exec_lo, exec_lo, s4
	s_mov_b32 s4, exec_lo
	v_cmpx_lt_i32_e32 0, v9
	s_xor_b32 s4, exec_lo, s4
	s_cbranch_execz .LBB140_27
; %bb.20:
	s_mov_b32 s8, exec_lo
	v_cmpx_lt_i32_e32 1, v9
	s_xor_b32 s8, exec_lo, s8
	s_cbranch_execz .LBB140_24
; %bb.21:
	s_mov_b32 s9, exec_lo
	v_cmpx_eq_u32_e32 2, v9
	s_cbranch_execz .LBB140_23
; %bb.22:
	s_mov_b32 s17, 0x3b52d5db
	v_fmaak_f32 v9, s17, v8, 0x3dd572af
	s_mov_b32 s17, 0x3c5b3c5e
	v_fmaak_f32 v10, s17, v8, 0x3e6a7578
	v_fmaak_f32 v9, v8, v9, 0x3f44efdf
	v_fmaak_f32 v10, v8, v10, 0x3f7a4bb2
	v_fmaak_f32 v9, v8, v9, 0x4008392d
	v_fmaak_f32 v10, v8, v10, 0x3fba3ae7
	v_fmaak_f32 v9, v8, v9, 0x401d2ebe
	v_fmaak_f32 v10, v8, v10, 0x3f2200f4
	v_fma_f32 v9, v8, v9, 1.0
	v_fmaak_f32 v10, v8, v10, 0xbd9e233f
	v_rcp_f32_e32 v9, v9
	v_mul_f32_e32 v10, v8, v10
	v_mul_f32_e32 v9, v10, v9
	v_fmac_f32_e32 v9, -0.5, v8
	v_add_f32_e32 v6, v6, v9
.LBB140_23:
	s_or_b32 exec_lo, exec_lo, s9
                                        ; implicit-def: $vgpr8
.LBB140_24:
	s_andn2_saveexec_b32 s8, s8
	s_cbranch_execz .LBB140_26
; %bb.25:
	v_mul_f32_e32 v9, v8, v8
	s_mov_b32 s9, 0xb9a3f927
	s_mov_b32 s17, 0x39afe9f7
	v_mul_f32_e32 v10, v8, v9
	v_fmaak_f32 v11, s9, v10, 0x3a66f867
	v_fmaak_f32 v12, s17, v10, 0xba0d3085
	s_mov_b32 s9, 0x39a57b6b
	v_fmaak_f32 v13, s9, v10, 0xbab7f476
	v_fmaak_f32 v11, v10, v11, 0xbb7177fe
	;; [unrolled: 1-line block ×9, first 2 shown]
	v_fmac_f32_e32 v11, v8, v12
	v_fmaak_f32 v8, v10, v13, 0x3ef7b95e
	v_fma_f32 v10, v10, -v11, 0xa2863e55
	v_fma_f32 v8, v9, v8, -v10
	v_add_f32_e32 v8, 0xbdf8cdce, v8
	v_add_f32_e32 v6, v6, v8
.LBB140_26:
	s_or_b32 exec_lo, exec_lo, s8
                                        ; implicit-def: $vgpr9
                                        ; implicit-def: $vgpr8
.LBB140_27:
	s_andn2_saveexec_b32 s4, s4
	s_cbranch_execz .LBB140_31
; %bb.28:
	s_mov_b32 s8, exec_lo
	v_cmpx_eq_u32_e32 0, v9
	s_cbranch_execz .LBB140_30
; %bb.29:
	v_mul_f32_e32 v9, v8, v8
	s_mov_b32 s9, 0x383c2c75
	v_fmaak_f32 v10, s9, v9, 0x38e28445
	s_mov_b32 s9, 0x37d383a2
	v_fmaak_f32 v11, s9, v9, 0x39679767
	v_fmaak_f32 v10, v9, v10, 0x3a05b634
	;; [unrolled: 1-line block ×9, first 2 shown]
	v_mul_f32_e32 v9, v9, v10
	v_fmac_f32_e32 v9, v8, v11
	v_fmac_f32_e32 v9, -0.5, v8
	v_add_f32_e32 v6, v6, v9
.LBB140_30:
	s_or_b32 exec_lo, exec_lo, s8
.LBB140_31:
	s_or_b32 exec_lo, exec_lo, s4
.LBB140_32:
	s_or_b32 exec_lo, exec_lo, s7
.LBB140_33:
	s_andn2_saveexec_b32 s4, s5
	s_cbranch_execz .LBB140_35
; %bb.34:
	v_cmp_gt_f32_e64 s5, 0x800000, |v3|
	s_mov_b32 s7, 0x3e8a8991
	v_fma_f32 v10, |v3|, s7, 0xbecd26ab
	v_cndmask_b32_e64 v6, 0, 32, s5
	v_ldexp_f32 v6, |v3|, v6
	v_log_f32_e32 v6, v6
	v_mul_f32_e32 v8, 0x3f317217, v6
	v_cmp_gt_f32_e64 vcc_lo, 0x7f800000, |v6|
	v_fma_f32 v9, 0x3f317217, v6, -v8
	v_fmamk_f32 v9, v6, 0x3377d1cf, v9
	v_add_f32_e32 v8, v8, v9
	v_fma_f32 v9, |v3|, v10, 0x3f528d33
	v_cndmask_b32_e32 v6, v6, v8, vcc_lo
	v_cndmask_b32_e64 v8, 0, 0x41b17218, s5
	v_fma_f32 v9, |v3|, v9, 0xbf13c468
	v_sub_f32_e32 v6, v6, v8
	v_fma_f32 v6, |v3|, v9, -v6
.LBB140_35:
	s_or_b32 exec_lo, exec_lo, s4
	v_cmp_le_f32_e32 vcc_lo, 0, v3
	s_mov_b32 s5, exec_lo
	v_cmpx_nle_f32_e32 0, v3
	s_xor_b32 s7, exec_lo, s5
	s_cbranch_execz .LBB140_39
; %bb.36:
	v_cmp_gt_f32_e64 s4, 0x4b000000, |v3|
	v_cmp_lt_f32_e64 s5, 0x35000000, |v3|
	s_and_b32 s4, s4, s5
	s_and_saveexec_b32 s8, s4
	s_cbranch_execz .LBB140_38
; %bb.37:
	v_mul_f32_e64 v8, |v3|, 0.5
	s_mov_b32 s5, 0x3d4be544
	v_xor_b32_e32 v7, v7, v3
	v_floor_f32_e32 v9, v8
	v_cmp_neq_f32_e64 s4, 0x7f800000, v8
	v_sub_f32_e32 v9, v8, v9
	v_min_f32_e32 v9, 0x3f7fffff, v9
	v_add_f32_e32 v9, v9, v9
	v_cndmask_b32_e64 v8, 0, v9, s4
	v_cmp_gt_f32_e64 s4, |v3|, 1.0
	v_cndmask_b32_e64 v8, |v3|, v8, s4
	s_mov_b32 s4, 0x3e75aa41
	v_add_f32_e32 v9, v8, v8
	v_rndne_f32_e32 v9, v9
	v_fmac_f32_e32 v8, -0.5, v9
	v_cvt_i32_f32_e32 v9, v9
	v_mul_f32_e32 v10, v8, v8
	v_fmaak_f32 v11, s4, v10, 0xbf1f24be
	v_fmaak_f32 v12, s5, v10, 0x3e642e9d
	v_mul_f32_e32 v13, v8, v10
	v_fmaak_f32 v11, v10, v11, 0x40234736
	v_fmaak_f32 v12, v10, v12, 0xbfaad1da
	;; [unrolled: 1-line block ×4, first 2 shown]
	v_mul_f32_e32 v11, v13, v11
	v_fmaak_f32 v12, v10, v12, 0xc09de9e6
	v_and_b32_e32 v13, 1, v9
	v_lshlrev_b32_e32 v9, 30, v9
	v_fmamk_f32 v8, v8, 0x40490fdb, v11
	v_fma_f32 v10, v10, v12, 1.0
	v_cmp_eq_u32_e64 s4, 0, v13
	v_and_b32_e32 v9, 0x80000000, v9
	v_cndmask_b32_e64 v8, v10, v8, s4
	v_xor3_b32 v7, v7, v9, v8
	v_mul_f32_e32 v7, v3, v7
	v_frexp_mant_f32_e64 v8, |v7|
	v_frexp_exp_i32_f32_e32 v7, v7
	v_rcp_f32_e32 v8, v8
	v_sub_nc_u32_e32 v7, 2, v7
	v_mul_f32_e32 v8, 0x3f490fdb, v8
	v_ldexp_f32 v7, v8, v7
	v_cmp_gt_f32_e64 s4, 0x800000, v7
	v_cndmask_b32_e64 v8, 0, 32, s4
	v_ldexp_f32 v7, v7, v8
	v_log_f32_e32 v7, v7
	v_mul_f32_e32 v8, 0x3f317217, v7
	v_cmp_gt_f32_e64 s5, 0x7f800000, |v7|
	v_fma_f32 v9, 0x3f317217, v7, -v8
	v_fmamk_f32 v9, v7, 0x3377d1cf, v9
	v_add_f32_e32 v8, v8, v9
	v_floor_f32_e32 v9, v3
	v_cndmask_b32_e64 v7, v7, v8, s5
	v_cndmask_b32_e64 v8, 0, 0x41b17218, s4
	v_sub_f32_e32 v9, v3, v9
	v_sub_f32_e32 v7, v7, v8
	v_min_f32_e32 v8, 0x3f7fffff, v9
	v_sub_f32_e32 v6, v7, v6
	v_cmp_neq_f32_e64 s4, 0, v8
	v_cndmask_b32_e64 v6, 0x7f800000, v6, s4
.LBB140_38:
	s_or_b32 exec_lo, exec_lo, s8
.LBB140_39:
	s_andn2_saveexec_b32 s7, s7
; %bb.40:
	v_cmp_eq_f32_e64 s4, 1.0, v3
	v_cmp_eq_f32_e64 s5, 2.0, v3
	s_or_b32 s4, s4, s5
	v_cndmask_b32_e64 v6, v6, 0, s4
; %bb.41:
	s_or_b32 exec_lo, exec_lo, s7
	v_and_b32_e32 v8, 0x7fffffff, v4
                                        ; implicit-def: $vgpr7
	s_mov_b32 s5, exec_lo
	v_cmpx_ngt_f32_e64 0x3c800000, |v4|
	s_xor_b32 s7, exec_lo, s5
	s_cbranch_execz .LBB140_71
; %bb.42:
                                        ; implicit-def: $vgpr7
	s_mov_b32 s5, exec_lo
	v_cmpx_nlt_f32_e64 |v4|, 2.0
	s_xor_b32 s8, exec_lo, s5
	s_cbranch_execz .LBB140_52
; %bb.43:
	s_mov_b32 s5, exec_lo
                                        ; implicit-def: $vgpr7
	v_cmpx_ngt_f32_e64 0x41000000, |v4|
	s_xor_b32 s5, exec_lo, s5
	s_cbranch_execz .LBB140_49
; %bb.44:
	s_mov_b32 s9, exec_lo
                                        ; implicit-def: $vgpr7
	v_cmpx_ngt_f32_e64 0x5c800000, |v4|
	s_xor_b32 s9, exec_lo, s9
	s_cbranch_execz .LBB140_46
; %bb.45:
	v_cmp_gt_f32_e64 s17, 0x800000, |v4|
	v_cndmask_b32_e64 v7, 0, 32, s17
	v_ldexp_f32 v7, |v4|, v7
	v_log_f32_e32 v7, v7
	v_mul_f32_e32 v9, 0x3f317217, v7
	v_cmp_gt_f32_e64 s4, 0x7f800000, |v7|
	v_fma_f32 v10, 0x3f317217, v7, -v9
	v_fmamk_f32 v10, v7, 0x3377d1cf, v10
	v_add_f32_e32 v9, v9, v10
	v_cndmask_b32_e64 v7, v7, v9, s4
	v_cndmask_b32_e64 v9, 0, 0x41b17218, s17
	v_sub_f32_e32 v7, v7, v9
	v_fma_f32 v7, |v4|, v7, -|v4|
.LBB140_46:
	s_andn2_saveexec_b32 s9, s9
	s_cbranch_execz .LBB140_48
; %bb.47:
	v_cmp_gt_f32_e64 s17, 0x800000, |v4|
	v_rcp_f32_e64 v9, |v4|
	s_mov_b32 s4, 0xbad5c4e8
	v_cndmask_b32_e64 v7, 0, 32, s17
	v_ldexp_f32 v7, |v4|, v7
	v_mul_f32_e32 v10, v9, v9
	v_log_f32_e32 v7, v7
	v_fmaak_f32 v12, s4, v10, 0x3a5b3dd2
	v_fmaak_f32 v12, v10, v12, 0xba1c065c
	v_mul_f32_e32 v11, 0x3f317217, v7
	v_fmaak_f32 v12, v10, v12, 0x3a500cfd
	v_cmp_gt_f32_e64 s4, 0x7f800000, |v7|
	v_fma_f32 v13, 0x3f317217, v7, -v11
	v_fmaak_f32 v12, v10, v12, 0xbb360b61
	v_fmamk_f32 v13, v7, 0x3377d1cf, v13
	v_fmaak_f32 v10, v10, v12, 0x3daaaaab
	v_add_f32_e32 v11, v11, v13
	v_cndmask_b32_e64 v7, v7, v11, s4
	v_cndmask_b32_e64 v11, 0, 0x41b17218, s17
	v_sub_f32_e32 v11, v7, v11
	v_fmaak_f32 v7, v9, v10, 0x3ed67f1d
	v_add_f32_e64 v9, |v4|, -0.5
	v_add_f32_e32 v10, -1.0, v11
	v_fmac_f32_e32 v7, v9, v10
.LBB140_48:
	s_or_b32 exec_lo, exec_lo, s9
.LBB140_49:
	s_andn2_saveexec_b32 s9, s5
	s_cbranch_execz .LBB140_51
; %bb.50:
	v_cvt_i32_f32_e32 v7, v8
	s_mov_b32 s5, 0x3805ff67
	v_cvt_f32_i32_e32 v9, v7
	v_cmp_lt_i32_e64 s4, 2, v7
	v_sub_f32_e64 v9, |v4|, v9
	v_add_f32_e32 v10, 2.0, v9
	v_add_f32_e32 v11, 0x40400000, v9
	v_add_f32_e32 v12, 4.0, v9
	v_add_f32_e32 v13, 0x40a00000, v9
	v_cndmask_b32_e64 v10, 1.0, v10, s4
	v_cmp_lt_i32_e64 s4, 3, v7
	v_cndmask_b32_e64 v11, 1.0, v11, s4
	v_cmp_lt_i32_e64 s4, 4, v7
	v_mul_f32_e32 v10, v10, v11
	v_cndmask_b32_e64 v12, 1.0, v12, s4
	v_cmp_lt_i32_e64 s4, 5, v7
	v_add_f32_e32 v11, 0x40c00000, v9
	v_mul_f32_e32 v10, v12, v10
	v_cndmask_b32_e64 v13, 1.0, v13, s4
	v_cmp_lt_i32_e64 s4, 6, v7
	v_fmaak_f32 v12, s5, v9, 0x3af135b4
	v_mul_f32_e32 v10, v13, v10
	v_cndmask_b32_e64 v7, 1.0, v11, s4
	s_mov_b32 s4, 0x36f5d7bd
	v_mul_f32_e32 v7, v7, v10
	v_fmaak_f32 v10, s4, v9, 0x3a4beed6
	v_cmp_gt_f32_e64 s4, 0x800000, v7
	v_fmaak_f32 v10, v9, v10, 0x3c98bf54
	v_cndmask_b32_e64 v11, 0, 32, s4
	v_fmaak_f32 v10, v9, v10, 0x3e300f6e
	v_ldexp_f32 v7, v7, v11
	v_fmaak_f32 v11, v9, v12, 0x3cda40e4
	v_fmaak_f32 v10, v9, v10, 0x3f38d0c5
	v_log_f32_e32 v7, v7
	v_fmaak_f32 v11, v9, v11, 0x3e15dce6
	v_fmaak_f32 v10, v9, v10, 0x3fb22d3b
	;; [unrolled: 1-line block ×3, first 2 shown]
	v_fma_f32 v10, v9, v10, 1.0
	v_mul_f32_e32 v12, 0x3f317217, v7
	v_fmaak_f32 v11, v9, v11, 0x3e5c245a
	v_rcp_f32_e32 v10, v10
	v_cmp_gt_f32_e64 s5, 0x7f800000, |v7|
	v_fma_f32 v13, 0x3f317217, v7, -v12
	v_fmaak_f32 v11, v9, v11, 0xbd9e233f
	v_fmamk_f32 v13, v7, 0x3377d1cf, v13
	v_mul_f32_e32 v11, v9, v11
	v_add_f32_e32 v12, v12, v13
	v_mul_f32_e32 v10, v11, v10
	v_cndmask_b32_e64 v11, 0, 0x41b17218, s4
	v_cndmask_b32_e64 v7, v7, v12, s5
	v_fmac_f32_e32 v10, 0.5, v9
	v_sub_f32_e32 v7, v7, v11
	v_add_f32_e32 v7, v7, v10
.LBB140_51:
	s_or_b32 exec_lo, exec_lo, s9
.LBB140_52:
	s_andn2_saveexec_b32 s8, s8
	s_cbranch_execz .LBB140_70
; %bb.53:
                                        ; implicit-def: $vgpr7
                                        ; implicit-def: $vgpr10
                                        ; implicit-def: $vgpr9
	s_mov_b32 s5, exec_lo
	v_cmpx_ge_f32_e64 0x3f666666, |v4|
	s_xor_b32 s9, exec_lo, s5
	s_cbranch_execz .LBB140_55
; %bb.54:
	v_cmp_gt_f32_e64 s5, 0x800000, |v4|
	v_sub_f32_e64 v11, 1.0, |v4|
	v_cmp_gt_f32_e64 s4, 0x3f3b4a23, |v4|
	v_cndmask_b32_e64 v7, 0, 32, s5
	v_cndmask_b32_e64 v12, 0, 0x41b17218, s5
	v_ldexp_f32 v7, |v4|, v7
	v_log_f32_e32 v7, v7
	v_mul_f32_e32 v9, 0x3f317217, v7
	v_cmp_gt_f32_e64 s5, 0x7f800000, |v7|
	v_fma_f32 v10, 0x3f317217, v7, -v9
	v_fmamk_f32 v10, v7, 0x3377d1cf, v10
	v_add_f32_e32 v9, v9, v10
	v_add_f32_e64 v10, 0xbeec5b0c, |v4|
	v_cndmask_b32_e64 v7, v7, v9, s5
	v_cndmask_b32_e64 v9, v11, v10, s4
	;; [unrolled: 1-line block ×3, first 2 shown]
	v_cmp_gt_f32_e64 s4, 0x3e6d3309, |v4|
	v_sub_f32_e32 v7, v7, v12
	v_cndmask_b32_e64 v9, v9, |v4|, s4
	v_cndmask_b32_e64 v10, v10, 2, s4
	v_xor_b32_e32 v7, 0x80000000, v7
.LBB140_55:
	s_andn2_saveexec_b32 s5, s9
	s_cbranch_execz .LBB140_57
; %bb.56:
	v_sub_f32_e64 v7, 2.0, |v4|
	v_add_f32_e64 v9, 0xbfbb16c3, |v4|
	v_cmp_gt_f32_e64 s4, 0x3fdda512, |v4|
	v_add_f32_e64 v10, |v4|, -1.0
	v_cndmask_b32_e64 v9, v7, v9, s4
	v_cndmask_b32_e64 v7, v7, 1.0, s4
	v_cmp_gt_f32_e64 s4, 0x3f9d70a4, |v4|
	v_cvt_i32_f32_e32 v7, v7
	v_cndmask_b32_e64 v9, v9, v10, s4
	v_cndmask_b32_e64 v10, v7, 2, s4
	v_mov_b32_e32 v7, 0
.LBB140_57:
	s_or_b32 exec_lo, exec_lo, s5
	s_mov_b32 s5, exec_lo
	v_cmpx_lt_i32_e32 0, v10
	s_xor_b32 s5, exec_lo, s5
	s_cbranch_execz .LBB140_65
; %bb.58:
	s_mov_b32 s9, exec_lo
	v_cmpx_lt_i32_e32 1, v10
	s_xor_b32 s9, exec_lo, s9
	s_cbranch_execz .LBB140_62
; %bb.59:
	s_mov_b32 s17, exec_lo
	v_cmpx_eq_u32_e32 2, v10
	s_cbranch_execz .LBB140_61
; %bb.60:
	s_mov_b32 s4, 0x3b52d5db
	v_fmaak_f32 v10, s4, v9, 0x3dd572af
	s_mov_b32 s4, 0x3c5b3c5e
	v_fmaak_f32 v11, s4, v9, 0x3e6a7578
	v_fmaak_f32 v10, v9, v10, 0x3f44efdf
	;; [unrolled: 1-line block ×7, first 2 shown]
	v_fma_f32 v10, v9, v10, 1.0
	v_fmaak_f32 v11, v9, v11, 0xbd9e233f
	v_rcp_f32_e32 v10, v10
	v_mul_f32_e32 v11, v9, v11
	v_mul_f32_e32 v10, v11, v10
	v_fmac_f32_e32 v10, -0.5, v9
	v_add_f32_e32 v7, v7, v10
.LBB140_61:
	s_or_b32 exec_lo, exec_lo, s17
                                        ; implicit-def: $vgpr9
.LBB140_62:
	s_andn2_saveexec_b32 s4, s9
	s_cbranch_execz .LBB140_64
; %bb.63:
	v_mul_f32_e32 v10, v9, v9
	s_mov_b32 s9, 0xb9a3f927
	s_mov_b32 s17, 0x39afe9f7
	v_mul_f32_e32 v11, v9, v10
	v_fmaak_f32 v12, s9, v11, 0x3a66f867
	v_fmaak_f32 v13, s17, v11, 0xba0d3085
	s_mov_b32 s9, 0x39a57b6b
	v_fmaak_f32 v14, s9, v11, 0xbab7f476
	v_fmaak_f32 v12, v11, v12, 0xbb7177fe
	;; [unrolled: 1-line block ×9, first 2 shown]
	v_fmac_f32_e32 v12, v9, v13
	v_fmaak_f32 v9, v11, v14, 0x3ef7b95e
	v_fma_f32 v11, v11, -v12, 0xa2863e55
	v_fma_f32 v9, v10, v9, -v11
	v_add_f32_e32 v9, 0xbdf8cdce, v9
	v_add_f32_e32 v7, v7, v9
.LBB140_64:
	s_or_b32 exec_lo, exec_lo, s4
                                        ; implicit-def: $vgpr10
                                        ; implicit-def: $vgpr9
.LBB140_65:
	s_andn2_saveexec_b32 s5, s5
	s_cbranch_execz .LBB140_69
; %bb.66:
	s_mov_b32 s9, exec_lo
	v_cmpx_eq_u32_e32 0, v10
	s_cbranch_execz .LBB140_68
; %bb.67:
	v_mul_f32_e32 v10, v9, v9
	s_mov_b32 s4, 0x383c2c75
	v_fmaak_f32 v11, s4, v10, 0x38e28445
	s_mov_b32 s4, 0x37d383a2
	v_fmaak_f32 v12, s4, v10, 0x39679767
	v_fmaak_f32 v11, v10, v11, 0x3a05b634
	;; [unrolled: 1-line block ×9, first 2 shown]
	v_mul_f32_e32 v10, v10, v11
	v_fmac_f32_e32 v10, v9, v12
	v_fmac_f32_e32 v10, -0.5, v9
	v_add_f32_e32 v7, v7, v10
.LBB140_68:
	s_or_b32 exec_lo, exec_lo, s9
.LBB140_69:
	s_or_b32 exec_lo, exec_lo, s5
.LBB140_70:
	s_or_b32 exec_lo, exec_lo, s8
.LBB140_71:
	s_andn2_saveexec_b32 s5, s7
	s_cbranch_execz .LBB140_73
; %bb.72:
	v_cmp_gt_f32_e64 s7, 0x800000, |v4|
	s_mov_b32 s4, 0x3e8a8991
	v_fma_f32 v11, |v4|, s4, 0xbecd26ab
	v_cndmask_b32_e64 v7, 0, 32, s7
	v_ldexp_f32 v7, |v4|, v7
	v_log_f32_e32 v7, v7
	v_mul_f32_e32 v9, 0x3f317217, v7
	v_cmp_gt_f32_e64 s4, 0x7f800000, |v7|
	v_fma_f32 v10, 0x3f317217, v7, -v9
	v_fmamk_f32 v10, v7, 0x3377d1cf, v10
	v_add_f32_e32 v9, v9, v10
	v_fma_f32 v10, |v4|, v11, 0x3f528d33
	v_cndmask_b32_e64 v7, v7, v9, s4
	v_cndmask_b32_e64 v9, 0, 0x41b17218, s7
	v_fma_f32 v10, |v4|, v10, 0xbf13c468
	v_sub_f32_e32 v7, v7, v9
	v_fma_f32 v7, |v4|, v10, -v7
.LBB140_73:
	s_or_b32 exec_lo, exec_lo, s5
	v_cmp_le_f32_e64 s4, 0, v4
	s_mov_b32 s7, exec_lo
	v_cmpx_nle_f32_e32 0, v4
	s_xor_b32 s8, exec_lo, s7
	s_cbranch_execz .LBB140_77
; %bb.74:
	v_cmp_gt_f32_e64 s5, 0x4b000000, |v4|
	v_cmp_lt_f32_e64 s7, 0x35000000, |v4|
	s_and_b32 s5, s5, s7
	s_and_saveexec_b32 s9, s5
	s_cbranch_execz .LBB140_76
; %bb.75:
	v_mul_f32_e64 v9, |v4|, 0.5
	s_mov_b32 s7, 0x3d4be544
	v_xor_b32_e32 v8, v8, v4
	v_floor_f32_e32 v10, v9
	v_cmp_neq_f32_e64 s5, 0x7f800000, v9
	v_sub_f32_e32 v10, v9, v10
	v_min_f32_e32 v10, 0x3f7fffff, v10
	v_add_f32_e32 v10, v10, v10
	v_cndmask_b32_e64 v9, 0, v10, s5
	v_cmp_gt_f32_e64 s5, |v4|, 1.0
	v_cndmask_b32_e64 v9, |v4|, v9, s5
	s_mov_b32 s5, 0x3e75aa41
	v_add_f32_e32 v10, v9, v9
	v_rndne_f32_e32 v10, v10
	v_fmac_f32_e32 v9, -0.5, v10
	v_cvt_i32_f32_e32 v10, v10
	v_mul_f32_e32 v11, v9, v9
	v_fmaak_f32 v12, s5, v11, 0xbf1f24be
	v_fmaak_f32 v13, s7, v11, 0x3e642e9d
	v_mul_f32_e32 v14, v9, v11
	v_fmaak_f32 v12, v11, v12, 0x40234736
	v_fmaak_f32 v13, v11, v13, 0xbfaad1da
	;; [unrolled: 1-line block ×4, first 2 shown]
	v_mul_f32_e32 v12, v14, v12
	v_fmaak_f32 v13, v11, v13, 0xc09de9e6
	v_and_b32_e32 v14, 1, v10
	v_lshlrev_b32_e32 v10, 30, v10
	v_fmamk_f32 v9, v9, 0x40490fdb, v12
	v_fma_f32 v11, v11, v13, 1.0
	v_cmp_eq_u32_e64 s5, 0, v14
	v_and_b32_e32 v10, 0x80000000, v10
	v_cndmask_b32_e64 v9, v11, v9, s5
	v_xor3_b32 v8, v8, v10, v9
	v_mul_f32_e32 v8, v4, v8
	v_frexp_mant_f32_e64 v9, |v8|
	v_frexp_exp_i32_f32_e32 v8, v8
	v_rcp_f32_e32 v9, v9
	v_sub_nc_u32_e32 v8, 2, v8
	v_mul_f32_e32 v9, 0x3f490fdb, v9
	v_ldexp_f32 v8, v9, v8
	v_cmp_gt_f32_e64 s5, 0x800000, v8
	v_cndmask_b32_e64 v9, 0, 32, s5
	v_ldexp_f32 v8, v8, v9
	v_log_f32_e32 v8, v8
	v_mul_f32_e32 v9, 0x3f317217, v8
	v_cmp_gt_f32_e64 s7, 0x7f800000, |v8|
	v_fma_f32 v10, 0x3f317217, v8, -v9
	v_fmamk_f32 v10, v8, 0x3377d1cf, v10
	v_add_f32_e32 v9, v9, v10
	v_floor_f32_e32 v10, v4
	v_cndmask_b32_e64 v8, v8, v9, s7
	v_cndmask_b32_e64 v9, 0, 0x41b17218, s5
	v_sub_f32_e32 v10, v4, v10
	v_sub_f32_e32 v8, v8, v9
	v_min_f32_e32 v9, 0x3f7fffff, v10
	v_sub_f32_e32 v7, v8, v7
	v_cmp_neq_f32_e64 s5, 0, v9
	v_cndmask_b32_e64 v7, 0x7f800000, v7, s5
.LBB140_76:
	s_or_b32 exec_lo, exec_lo, s9
.LBB140_77:
	s_andn2_saveexec_b32 s8, s8
; %bb.78:
	v_cmp_eq_f32_e64 s5, 1.0, v4
	v_cmp_eq_f32_e64 s7, 2.0, v4
	s_or_b32 s5, s5, s7
	v_cndmask_b32_e64 v7, v7, 0, s5
; %bb.79:
	s_or_b32 exec_lo, exec_lo, s8
	s_waitcnt vmcnt(0)
	v_and_b32_e32 v9, 0x7fffffff, v1
                                        ; implicit-def: $vgpr8
	s_mov_b32 s7, exec_lo
	v_cmpx_ngt_f32_e64 0x3c800000, |v1|
	s_xor_b32 s8, exec_lo, s7
	s_cbranch_execz .LBB140_109
; %bb.80:
                                        ; implicit-def: $vgpr8
	s_mov_b32 s7, exec_lo
	v_cmpx_nlt_f32_e64 |v1|, 2.0
	s_xor_b32 s9, exec_lo, s7
	s_cbranch_execz .LBB140_90
; %bb.81:
	s_mov_b32 s7, exec_lo
                                        ; implicit-def: $vgpr8
	v_cmpx_ngt_f32_e64 0x41000000, |v1|
	s_xor_b32 s7, exec_lo, s7
	s_cbranch_execz .LBB140_87
; %bb.82:
	s_mov_b32 s17, exec_lo
                                        ; implicit-def: $vgpr8
	v_cmpx_ngt_f32_e64 0x5c800000, |v1|
	s_xor_b32 s17, exec_lo, s17
	s_cbranch_execz .LBB140_84
; %bb.83:
	v_cmp_gt_f32_e64 s18, 0x800000, |v1|
	v_cndmask_b32_e64 v8, 0, 32, s18
	v_ldexp_f32 v8, |v1|, v8
	v_log_f32_e32 v8, v8
	v_mul_f32_e32 v10, 0x3f317217, v8
	v_cmp_gt_f32_e64 s5, 0x7f800000, |v8|
	v_fma_f32 v11, 0x3f317217, v8, -v10
	v_fmamk_f32 v11, v8, 0x3377d1cf, v11
	v_add_f32_e32 v10, v10, v11
	v_cndmask_b32_e64 v8, v8, v10, s5
	v_cndmask_b32_e64 v10, 0, 0x41b17218, s18
	v_sub_f32_e32 v8, v8, v10
	v_fma_f32 v8, |v1|, v8, -|v1|
.LBB140_84:
	s_andn2_saveexec_b32 s17, s17
	s_cbranch_execz .LBB140_86
; %bb.85:
	v_cmp_gt_f32_e64 s18, 0x800000, |v1|
	v_rcp_f32_e64 v10, |v1|
	s_mov_b32 s5, 0xbad5c4e8
	v_cndmask_b32_e64 v8, 0, 32, s18
	v_ldexp_f32 v8, |v1|, v8
	v_mul_f32_e32 v11, v10, v10
	v_log_f32_e32 v8, v8
	v_fmaak_f32 v13, s5, v11, 0x3a5b3dd2
	v_fmaak_f32 v13, v11, v13, 0xba1c065c
	v_mul_f32_e32 v12, 0x3f317217, v8
	v_fmaak_f32 v13, v11, v13, 0x3a500cfd
	v_cmp_gt_f32_e64 s5, 0x7f800000, |v8|
	v_fma_f32 v14, 0x3f317217, v8, -v12
	v_fmaak_f32 v13, v11, v13, 0xbb360b61
	v_fmamk_f32 v14, v8, 0x3377d1cf, v14
	v_fmaak_f32 v11, v11, v13, 0x3daaaaab
	v_add_f32_e32 v12, v12, v14
	v_cndmask_b32_e64 v8, v8, v12, s5
	v_cndmask_b32_e64 v12, 0, 0x41b17218, s18
	v_sub_f32_e32 v12, v8, v12
	v_fmaak_f32 v8, v10, v11, 0x3ed67f1d
	v_add_f32_e64 v10, |v1|, -0.5
	v_add_f32_e32 v11, -1.0, v12
	v_fmac_f32_e32 v8, v10, v11
.LBB140_86:
	s_or_b32 exec_lo, exec_lo, s17
.LBB140_87:
	s_andn2_saveexec_b32 s17, s7
	s_cbranch_execz .LBB140_89
; %bb.88:
	v_cvt_i32_f32_e32 v8, v9
	s_mov_b32 s7, 0x3805ff67
	v_cvt_f32_i32_e32 v10, v8
	v_cmp_lt_i32_e64 s5, 2, v8
	v_sub_f32_e64 v10, |v1|, v10
	v_add_f32_e32 v11, 2.0, v10
	v_add_f32_e32 v12, 0x40400000, v10
	v_add_f32_e32 v13, 4.0, v10
	v_add_f32_e32 v14, 0x40a00000, v10
	v_cndmask_b32_e64 v11, 1.0, v11, s5
	v_cmp_lt_i32_e64 s5, 3, v8
	v_cndmask_b32_e64 v12, 1.0, v12, s5
	v_cmp_lt_i32_e64 s5, 4, v8
	v_mul_f32_e32 v11, v11, v12
	v_cndmask_b32_e64 v13, 1.0, v13, s5
	v_cmp_lt_i32_e64 s5, 5, v8
	v_add_f32_e32 v12, 0x40c00000, v10
	v_mul_f32_e32 v11, v13, v11
	v_cndmask_b32_e64 v14, 1.0, v14, s5
	v_cmp_lt_i32_e64 s5, 6, v8
	v_fmaak_f32 v13, s7, v10, 0x3af135b4
	v_mul_f32_e32 v11, v14, v11
	v_cndmask_b32_e64 v8, 1.0, v12, s5
	s_mov_b32 s5, 0x36f5d7bd
	v_mul_f32_e32 v8, v8, v11
	v_fmaak_f32 v11, s5, v10, 0x3a4beed6
	v_cmp_gt_f32_e64 s5, 0x800000, v8
	v_fmaak_f32 v11, v10, v11, 0x3c98bf54
	v_cndmask_b32_e64 v12, 0, 32, s5
	v_fmaak_f32 v11, v10, v11, 0x3e300f6e
	v_ldexp_f32 v8, v8, v12
	v_fmaak_f32 v12, v10, v13, 0x3cda40e4
	v_fmaak_f32 v11, v10, v11, 0x3f38d0c5
	v_log_f32_e32 v8, v8
	v_fmaak_f32 v12, v10, v12, 0x3e15dce6
	v_fmaak_f32 v11, v10, v11, 0x3fb22d3b
	;; [unrolled: 1-line block ×3, first 2 shown]
	v_fma_f32 v11, v10, v11, 1.0
	v_mul_f32_e32 v13, 0x3f317217, v8
	v_fmaak_f32 v12, v10, v12, 0x3e5c245a
	v_rcp_f32_e32 v11, v11
	v_cmp_gt_f32_e64 s7, 0x7f800000, |v8|
	v_fma_f32 v14, 0x3f317217, v8, -v13
	v_fmaak_f32 v12, v10, v12, 0xbd9e233f
	v_fmamk_f32 v14, v8, 0x3377d1cf, v14
	v_mul_f32_e32 v12, v10, v12
	v_add_f32_e32 v13, v13, v14
	v_mul_f32_e32 v11, v12, v11
	v_cndmask_b32_e64 v12, 0, 0x41b17218, s5
	v_cndmask_b32_e64 v8, v8, v13, s7
	v_fmac_f32_e32 v11, 0.5, v10
	v_sub_f32_e32 v8, v8, v12
	v_add_f32_e32 v8, v8, v11
.LBB140_89:
	s_or_b32 exec_lo, exec_lo, s17
.LBB140_90:
	s_andn2_saveexec_b32 s9, s9
	s_cbranch_execz .LBB140_108
; %bb.91:
                                        ; implicit-def: $vgpr8
                                        ; implicit-def: $vgpr11
                                        ; implicit-def: $vgpr10
	s_mov_b32 s7, exec_lo
	v_cmpx_ge_f32_e64 0x3f666666, |v1|
	s_xor_b32 s17, exec_lo, s7
	s_cbranch_execz .LBB140_93
; %bb.92:
	v_cmp_gt_f32_e64 s7, 0x800000, |v1|
	v_sub_f32_e64 v12, 1.0, |v1|
	v_cmp_gt_f32_e64 s5, 0x3f3b4a23, |v1|
	v_cndmask_b32_e64 v8, 0, 32, s7
	v_cndmask_b32_e64 v13, 0, 0x41b17218, s7
	v_ldexp_f32 v8, |v1|, v8
	v_log_f32_e32 v8, v8
	v_mul_f32_e32 v10, 0x3f317217, v8
	v_cmp_gt_f32_e64 s7, 0x7f800000, |v8|
	v_fma_f32 v11, 0x3f317217, v8, -v10
	v_fmamk_f32 v11, v8, 0x3377d1cf, v11
	v_add_f32_e32 v10, v10, v11
	v_add_f32_e64 v11, 0xbeec5b0c, |v1|
	v_cndmask_b32_e64 v8, v8, v10, s7
	v_cndmask_b32_e64 v10, v12, v11, s5
	;; [unrolled: 1-line block ×3, first 2 shown]
	v_cmp_gt_f32_e64 s5, 0x3e6d3309, |v1|
	v_sub_f32_e32 v8, v8, v13
	v_cndmask_b32_e64 v10, v10, |v1|, s5
	v_cndmask_b32_e64 v11, v11, 2, s5
	v_xor_b32_e32 v8, 0x80000000, v8
.LBB140_93:
	s_andn2_saveexec_b32 s7, s17
	s_cbranch_execz .LBB140_95
; %bb.94:
	v_sub_f32_e64 v8, 2.0, |v1|
	v_add_f32_e64 v10, 0xbfbb16c3, |v1|
	v_cmp_gt_f32_e64 s5, 0x3fdda512, |v1|
	v_add_f32_e64 v11, |v1|, -1.0
	v_cndmask_b32_e64 v10, v8, v10, s5
	v_cndmask_b32_e64 v8, v8, 1.0, s5
	v_cmp_gt_f32_e64 s5, 0x3f9d70a4, |v1|
	v_cvt_i32_f32_e32 v8, v8
	v_cndmask_b32_e64 v10, v10, v11, s5
	v_cndmask_b32_e64 v11, v8, 2, s5
	v_mov_b32_e32 v8, 0
.LBB140_95:
	s_or_b32 exec_lo, exec_lo, s7
	s_mov_b32 s7, exec_lo
	v_cmpx_lt_i32_e32 0, v11
	s_xor_b32 s7, exec_lo, s7
	s_cbranch_execz .LBB140_103
; %bb.96:
	s_mov_b32 s17, exec_lo
	v_cmpx_lt_i32_e32 1, v11
	s_xor_b32 s17, exec_lo, s17
	s_cbranch_execz .LBB140_100
; %bb.97:
	s_mov_b32 s18, exec_lo
	v_cmpx_eq_u32_e32 2, v11
	s_cbranch_execz .LBB140_99
; %bb.98:
	s_mov_b32 s5, 0x3b52d5db
	v_fmaak_f32 v11, s5, v10, 0x3dd572af
	s_mov_b32 s5, 0x3c5b3c5e
	v_fmaak_f32 v12, s5, v10, 0x3e6a7578
	v_fmaak_f32 v11, v10, v11, 0x3f44efdf
	;; [unrolled: 1-line block ×7, first 2 shown]
	v_fma_f32 v11, v10, v11, 1.0
	v_fmaak_f32 v12, v10, v12, 0xbd9e233f
	v_rcp_f32_e32 v11, v11
	v_mul_f32_e32 v12, v10, v12
	v_mul_f32_e32 v11, v12, v11
	v_fmac_f32_e32 v11, -0.5, v10
	v_add_f32_e32 v8, v8, v11
.LBB140_99:
	s_or_b32 exec_lo, exec_lo, s18
                                        ; implicit-def: $vgpr10
.LBB140_100:
	s_andn2_saveexec_b32 s5, s17
	s_cbranch_execz .LBB140_102
; %bb.101:
	v_mul_f32_e32 v11, v10, v10
	s_mov_b32 s17, 0xb9a3f927
	s_mov_b32 s18, 0x39afe9f7
	v_mul_f32_e32 v12, v10, v11
	v_fmaak_f32 v13, s17, v12, 0x3a66f867
	v_fmaak_f32 v14, s18, v12, 0xba0d3085
	s_mov_b32 s17, 0x39a57b6b
	v_fmaak_f32 v15, s17, v12, 0xbab7f476
	v_fmaak_f32 v13, v12, v13, 0xbb7177fe
	;; [unrolled: 1-line block ×9, first 2 shown]
	v_fmac_f32_e32 v13, v10, v14
	v_fmaak_f32 v10, v12, v15, 0x3ef7b95e
	v_fma_f32 v12, v12, -v13, 0xa2863e55
	v_fma_f32 v10, v11, v10, -v12
	v_add_f32_e32 v10, 0xbdf8cdce, v10
	v_add_f32_e32 v8, v8, v10
.LBB140_102:
	s_or_b32 exec_lo, exec_lo, s5
                                        ; implicit-def: $vgpr11
                                        ; implicit-def: $vgpr10
.LBB140_103:
	s_andn2_saveexec_b32 s7, s7
	s_cbranch_execz .LBB140_107
; %bb.104:
	s_mov_b32 s17, exec_lo
	v_cmpx_eq_u32_e32 0, v11
	s_cbranch_execz .LBB140_106
; %bb.105:
	v_mul_f32_e32 v11, v10, v10
	s_mov_b32 s5, 0x383c2c75
	v_fmaak_f32 v12, s5, v11, 0x38e28445
	s_mov_b32 s5, 0x37d383a2
	v_fmaak_f32 v13, s5, v11, 0x39679767
	v_fmaak_f32 v12, v11, v12, 0x3a05b634
	;; [unrolled: 1-line block ×9, first 2 shown]
	v_mul_f32_e32 v11, v11, v12
	v_fmac_f32_e32 v11, v10, v13
	v_fmac_f32_e32 v11, -0.5, v10
	v_add_f32_e32 v8, v8, v11
.LBB140_106:
	s_or_b32 exec_lo, exec_lo, s17
.LBB140_107:
	s_or_b32 exec_lo, exec_lo, s7
.LBB140_108:
	s_or_b32 exec_lo, exec_lo, s9
.LBB140_109:
	s_andn2_saveexec_b32 s7, s8
	s_cbranch_execz .LBB140_111
; %bb.110:
	v_cmp_gt_f32_e64 s8, 0x800000, |v1|
	s_mov_b32 s5, 0x3e8a8991
	v_fma_f32 v12, |v1|, s5, 0xbecd26ab
	v_cndmask_b32_e64 v8, 0, 32, s8
	v_ldexp_f32 v8, |v1|, v8
	v_log_f32_e32 v8, v8
	v_mul_f32_e32 v10, 0x3f317217, v8
	v_cmp_gt_f32_e64 s5, 0x7f800000, |v8|
	v_fma_f32 v11, 0x3f317217, v8, -v10
	v_fmamk_f32 v11, v8, 0x3377d1cf, v11
	v_add_f32_e32 v10, v10, v11
	v_fma_f32 v11, |v1|, v12, 0x3f528d33
	v_cndmask_b32_e64 v8, v8, v10, s5
	v_cndmask_b32_e64 v10, 0, 0x41b17218, s8
	v_fma_f32 v11, |v1|, v11, 0xbf13c468
	v_sub_f32_e32 v8, v8, v10
	v_fma_f32 v8, |v1|, v11, -v8
.LBB140_111:
	s_or_b32 exec_lo, exec_lo, s7
	v_cmp_le_f32_e64 s5, 0, v1
	s_mov_b32 s8, exec_lo
	v_cmpx_nle_f32_e32 0, v1
	s_xor_b32 s9, exec_lo, s8
	s_cbranch_execz .LBB140_115
; %bb.112:
	v_cmp_gt_f32_e64 s7, 0x4b000000, |v1|
	v_cmp_lt_f32_e64 s8, 0x35000000, |v1|
	s_and_b32 s7, s7, s8
	s_and_saveexec_b32 s17, s7
	s_cbranch_execz .LBB140_114
; %bb.113:
	v_mul_f32_e64 v10, |v1|, 0.5
	s_mov_b32 s8, 0x3d4be544
	v_xor_b32_e32 v9, v9, v1
	v_floor_f32_e32 v11, v10
	v_cmp_neq_f32_e64 s7, 0x7f800000, v10
	v_sub_f32_e32 v11, v10, v11
	v_min_f32_e32 v11, 0x3f7fffff, v11
	v_add_f32_e32 v11, v11, v11
	v_cndmask_b32_e64 v10, 0, v11, s7
	v_cmp_gt_f32_e64 s7, |v1|, 1.0
	v_cndmask_b32_e64 v10, |v1|, v10, s7
	s_mov_b32 s7, 0x3e75aa41
	v_add_f32_e32 v11, v10, v10
	v_rndne_f32_e32 v11, v11
	v_fmac_f32_e32 v10, -0.5, v11
	v_cvt_i32_f32_e32 v11, v11
	v_mul_f32_e32 v12, v10, v10
	v_fmaak_f32 v13, s7, v12, 0xbf1f24be
	v_fmaak_f32 v14, s8, v12, 0x3e642e9d
	v_mul_f32_e32 v15, v10, v12
	v_fmaak_f32 v13, v12, v13, 0x40234736
	v_fmaak_f32 v14, v12, v14, 0xbfaad1da
	;; [unrolled: 1-line block ×4, first 2 shown]
	v_mul_f32_e32 v13, v15, v13
	v_fmaak_f32 v14, v12, v14, 0xc09de9e6
	v_and_b32_e32 v15, 1, v11
	v_lshlrev_b32_e32 v11, 30, v11
	v_fmamk_f32 v10, v10, 0x40490fdb, v13
	v_fma_f32 v12, v12, v14, 1.0
	v_cmp_eq_u32_e64 s7, 0, v15
	v_and_b32_e32 v11, 0x80000000, v11
	v_cndmask_b32_e64 v10, v12, v10, s7
	v_xor3_b32 v9, v9, v11, v10
	v_mul_f32_e32 v9, v1, v9
	v_frexp_mant_f32_e64 v10, |v9|
	v_frexp_exp_i32_f32_e32 v9, v9
	v_rcp_f32_e32 v10, v10
	v_sub_nc_u32_e32 v9, 2, v9
	v_mul_f32_e32 v10, 0x3f490fdb, v10
	v_ldexp_f32 v9, v10, v9
	v_cmp_gt_f32_e64 s7, 0x800000, v9
	v_cndmask_b32_e64 v10, 0, 32, s7
	v_ldexp_f32 v9, v9, v10
	v_log_f32_e32 v9, v9
	v_mul_f32_e32 v10, 0x3f317217, v9
	v_cmp_gt_f32_e64 s8, 0x7f800000, |v9|
	v_fma_f32 v11, 0x3f317217, v9, -v10
	v_fmamk_f32 v11, v9, 0x3377d1cf, v11
	v_add_f32_e32 v10, v10, v11
	v_floor_f32_e32 v11, v1
	v_cndmask_b32_e64 v9, v9, v10, s8
	v_cndmask_b32_e64 v10, 0, 0x41b17218, s7
	v_sub_f32_e32 v11, v1, v11
	v_sub_f32_e32 v9, v9, v10
	v_min_f32_e32 v10, 0x3f7fffff, v11
	v_sub_f32_e32 v8, v9, v8
	v_cmp_neq_f32_e64 s7, 0, v10
	v_cndmask_b32_e64 v8, 0x7f800000, v8, s7
.LBB140_114:
	s_or_b32 exec_lo, exec_lo, s17
.LBB140_115:
	s_andn2_saveexec_b32 s9, s9
; %bb.116:
	v_cmp_eq_f32_e64 s7, 1.0, v1
	v_cmp_eq_f32_e64 s8, 2.0, v1
	s_or_b32 s7, s7, s8
	v_cndmask_b32_e64 v8, v8, 0, s7
; %bb.117:
	s_or_b32 exec_lo, exec_lo, s9
	v_and_b32_e32 v9, 0x7fffffff, v2
                                        ; implicit-def: $vgpr10
	s_mov_b32 s8, exec_lo
	v_cmpx_ngt_f32_e64 0x3c800000, |v2|
	s_xor_b32 s9, exec_lo, s8
	s_cbranch_execz .LBB140_147
; %bb.118:
                                        ; implicit-def: $vgpr10
	s_mov_b32 s8, exec_lo
	v_cmpx_nlt_f32_e64 |v2|, 2.0
	s_xor_b32 s17, exec_lo, s8
	s_cbranch_execz .LBB140_128
; %bb.119:
	s_mov_b32 s8, exec_lo
                                        ; implicit-def: $vgpr10
	v_cmpx_ngt_f32_e64 0x41000000, |v2|
	s_xor_b32 s8, exec_lo, s8
	s_cbranch_execz .LBB140_125
; %bb.120:
	s_mov_b32 s18, exec_lo
                                        ; implicit-def: $vgpr10
	v_cmpx_ngt_f32_e64 0x5c800000, |v2|
	s_xor_b32 s18, exec_lo, s18
	s_cbranch_execz .LBB140_122
; %bb.121:
	v_cmp_gt_f32_e64 s19, 0x800000, |v2|
	v_cndmask_b32_e64 v10, 0, 32, s19
	v_ldexp_f32 v10, |v2|, v10
	v_log_f32_e32 v10, v10
	v_mul_f32_e32 v11, 0x3f317217, v10
	v_cmp_gt_f32_e64 s7, 0x7f800000, |v10|
	v_fma_f32 v12, 0x3f317217, v10, -v11
	v_fmamk_f32 v12, v10, 0x3377d1cf, v12
	v_add_f32_e32 v11, v11, v12
	v_cndmask_b32_e64 v10, v10, v11, s7
	v_cndmask_b32_e64 v11, 0, 0x41b17218, s19
	v_sub_f32_e32 v10, v10, v11
	v_fma_f32 v10, |v2|, v10, -|v2|
.LBB140_122:
	s_andn2_saveexec_b32 s18, s18
	s_cbranch_execz .LBB140_124
; %bb.123:
	v_cmp_gt_f32_e64 s19, 0x800000, |v2|
	v_rcp_f32_e64 v11, |v2|
	s_mov_b32 s7, 0xbad5c4e8
	v_cndmask_b32_e64 v10, 0, 32, s19
	v_ldexp_f32 v10, |v2|, v10
	v_mul_f32_e32 v12, v11, v11
	v_log_f32_e32 v10, v10
	v_fmaak_f32 v14, s7, v12, 0x3a5b3dd2
	v_fmaak_f32 v14, v12, v14, 0xba1c065c
	v_mul_f32_e32 v13, 0x3f317217, v10
	v_fmaak_f32 v14, v12, v14, 0x3a500cfd
	v_cmp_gt_f32_e64 s7, 0x7f800000, |v10|
	v_fma_f32 v15, 0x3f317217, v10, -v13
	v_fmaak_f32 v14, v12, v14, 0xbb360b61
	v_fmamk_f32 v15, v10, 0x3377d1cf, v15
	v_fmaak_f32 v12, v12, v14, 0x3daaaaab
	v_add_f32_e32 v13, v13, v15
	v_cndmask_b32_e64 v10, v10, v13, s7
	v_cndmask_b32_e64 v13, 0, 0x41b17218, s19
	v_sub_f32_e32 v13, v10, v13
	v_fmaak_f32 v10, v11, v12, 0x3ed67f1d
	v_add_f32_e64 v11, |v2|, -0.5
	v_add_f32_e32 v12, -1.0, v13
	v_fmac_f32_e32 v10, v11, v12
.LBB140_124:
	s_or_b32 exec_lo, exec_lo, s18
.LBB140_125:
	s_andn2_saveexec_b32 s18, s8
	s_cbranch_execz .LBB140_127
; %bb.126:
	v_cvt_i32_f32_e32 v10, v9
	s_mov_b32 s8, 0x3805ff67
	v_cvt_f32_i32_e32 v11, v10
	v_cmp_lt_i32_e64 s7, 2, v10
	v_sub_f32_e64 v11, |v2|, v11
	v_add_f32_e32 v12, 2.0, v11
	v_add_f32_e32 v13, 0x40400000, v11
	v_add_f32_e32 v14, 4.0, v11
	v_add_f32_e32 v15, 0x40a00000, v11
	v_cndmask_b32_e64 v12, 1.0, v12, s7
	v_cmp_lt_i32_e64 s7, 3, v10
	v_cndmask_b32_e64 v13, 1.0, v13, s7
	v_cmp_lt_i32_e64 s7, 4, v10
	v_mul_f32_e32 v12, v12, v13
	v_cndmask_b32_e64 v14, 1.0, v14, s7
	v_cmp_lt_i32_e64 s7, 5, v10
	v_add_f32_e32 v13, 0x40c00000, v11
	v_mul_f32_e32 v12, v14, v12
	v_cndmask_b32_e64 v15, 1.0, v15, s7
	v_cmp_lt_i32_e64 s7, 6, v10
	v_fmaak_f32 v14, s8, v11, 0x3af135b4
	v_mul_f32_e32 v12, v15, v12
	v_cndmask_b32_e64 v10, 1.0, v13, s7
	s_mov_b32 s7, 0x36f5d7bd
	v_mul_f32_e32 v10, v10, v12
	v_fmaak_f32 v12, s7, v11, 0x3a4beed6
	v_cmp_gt_f32_e64 s7, 0x800000, v10
	v_fmaak_f32 v12, v11, v12, 0x3c98bf54
	v_cndmask_b32_e64 v13, 0, 32, s7
	v_fmaak_f32 v12, v11, v12, 0x3e300f6e
	v_ldexp_f32 v10, v10, v13
	v_fmaak_f32 v13, v11, v14, 0x3cda40e4
	v_fmaak_f32 v12, v11, v12, 0x3f38d0c5
	v_log_f32_e32 v10, v10
	v_fmaak_f32 v13, v11, v13, 0x3e15dce6
	v_fmaak_f32 v12, v11, v12, 0x3fb22d3b
	;; [unrolled: 1-line block ×3, first 2 shown]
	v_fma_f32 v12, v11, v12, 1.0
	v_mul_f32_e32 v14, 0x3f317217, v10
	v_fmaak_f32 v13, v11, v13, 0x3e5c245a
	v_rcp_f32_e32 v12, v12
	v_cmp_gt_f32_e64 s8, 0x7f800000, |v10|
	v_fma_f32 v15, 0x3f317217, v10, -v14
	v_fmaak_f32 v13, v11, v13, 0xbd9e233f
	v_fmamk_f32 v15, v10, 0x3377d1cf, v15
	v_mul_f32_e32 v13, v11, v13
	v_add_f32_e32 v14, v14, v15
	v_mul_f32_e32 v12, v13, v12
	v_cndmask_b32_e64 v13, 0, 0x41b17218, s7
	v_cndmask_b32_e64 v10, v10, v14, s8
	v_fmac_f32_e32 v12, 0.5, v11
	v_sub_f32_e32 v10, v10, v13
	v_add_f32_e32 v10, v10, v12
.LBB140_127:
	s_or_b32 exec_lo, exec_lo, s18
.LBB140_128:
	s_andn2_saveexec_b32 s17, s17
	s_cbranch_execz .LBB140_146
; %bb.129:
                                        ; implicit-def: $vgpr10
                                        ; implicit-def: $vgpr12
                                        ; implicit-def: $vgpr11
	s_mov_b32 s8, exec_lo
	v_cmpx_ge_f32_e64 0x3f666666, |v2|
	s_xor_b32 s18, exec_lo, s8
	s_cbranch_execz .LBB140_131
; %bb.130:
	v_cmp_gt_f32_e64 s8, 0x800000, |v2|
	v_sub_f32_e64 v13, 1.0, |v2|
	v_cmp_gt_f32_e64 s7, 0x3f3b4a23, |v2|
	v_cndmask_b32_e64 v10, 0, 32, s8
	v_cndmask_b32_e64 v14, 0, 0x41b17218, s8
	v_ldexp_f32 v10, |v2|, v10
	v_log_f32_e32 v10, v10
	v_mul_f32_e32 v11, 0x3f317217, v10
	v_cmp_gt_f32_e64 s8, 0x7f800000, |v10|
	v_fma_f32 v12, 0x3f317217, v10, -v11
	v_fmamk_f32 v12, v10, 0x3377d1cf, v12
	v_add_f32_e32 v11, v11, v12
	v_add_f32_e64 v12, 0xbeec5b0c, |v2|
	v_cndmask_b32_e64 v10, v10, v11, s8
	v_cndmask_b32_e64 v11, v13, v12, s7
	;; [unrolled: 1-line block ×3, first 2 shown]
	v_cmp_gt_f32_e64 s7, 0x3e6d3309, |v2|
	v_sub_f32_e32 v10, v10, v14
	v_cndmask_b32_e64 v11, v11, |v2|, s7
	v_cndmask_b32_e64 v12, v12, 2, s7
	v_xor_b32_e32 v10, 0x80000000, v10
.LBB140_131:
	s_andn2_saveexec_b32 s8, s18
	s_cbranch_execz .LBB140_133
; %bb.132:
	v_sub_f32_e64 v10, 2.0, |v2|
	v_add_f32_e64 v11, 0xbfbb16c3, |v2|
	v_cmp_gt_f32_e64 s7, 0x3fdda512, |v2|
	v_add_f32_e64 v12, |v2|, -1.0
	v_cndmask_b32_e64 v11, v10, v11, s7
	v_cndmask_b32_e64 v10, v10, 1.0, s7
	v_cmp_gt_f32_e64 s7, 0x3f9d70a4, |v2|
	v_cvt_i32_f32_e32 v10, v10
	v_cndmask_b32_e64 v11, v11, v12, s7
	v_cndmask_b32_e64 v12, v10, 2, s7
	v_mov_b32_e32 v10, 0
.LBB140_133:
	s_or_b32 exec_lo, exec_lo, s8
	s_mov_b32 s8, exec_lo
	v_cmpx_lt_i32_e32 0, v12
	s_xor_b32 s8, exec_lo, s8
	s_cbranch_execz .LBB140_141
; %bb.134:
	s_mov_b32 s18, exec_lo
	v_cmpx_lt_i32_e32 1, v12
	s_xor_b32 s18, exec_lo, s18
	s_cbranch_execz .LBB140_138
; %bb.135:
	s_mov_b32 s19, exec_lo
	v_cmpx_eq_u32_e32 2, v12
	s_cbranch_execz .LBB140_137
; %bb.136:
	s_mov_b32 s7, 0x3b52d5db
	v_fmaak_f32 v12, s7, v11, 0x3dd572af
	s_mov_b32 s7, 0x3c5b3c5e
	v_fmaak_f32 v13, s7, v11, 0x3e6a7578
	v_fmaak_f32 v12, v11, v12, 0x3f44efdf
	;; [unrolled: 1-line block ×7, first 2 shown]
	v_fma_f32 v12, v11, v12, 1.0
	v_fmaak_f32 v13, v11, v13, 0xbd9e233f
	v_rcp_f32_e32 v12, v12
	v_mul_f32_e32 v13, v11, v13
	v_mul_f32_e32 v12, v13, v12
	v_fmac_f32_e32 v12, -0.5, v11
	v_add_f32_e32 v10, v10, v12
.LBB140_137:
	s_or_b32 exec_lo, exec_lo, s19
                                        ; implicit-def: $vgpr11
.LBB140_138:
	s_andn2_saveexec_b32 s7, s18
	s_cbranch_execz .LBB140_140
; %bb.139:
	v_mul_f32_e32 v12, v11, v11
	s_mov_b32 s18, 0xb9a3f927
	s_mov_b32 s19, 0x39afe9f7
	v_mul_f32_e32 v13, v11, v12
	v_fmaak_f32 v14, s18, v13, 0x3a66f867
	v_fmaak_f32 v15, s19, v13, 0xba0d3085
	s_mov_b32 s18, 0x39a57b6b
	v_fmaak_f32 v16, s18, v13, 0xbab7f476
	v_fmaak_f32 v14, v13, v14, 0xbb7177fe
	;; [unrolled: 1-line block ×9, first 2 shown]
	v_fmac_f32_e32 v14, v11, v15
	v_fmaak_f32 v11, v13, v16, 0x3ef7b95e
	v_fma_f32 v13, v13, -v14, 0xa2863e55
	v_fma_f32 v11, v12, v11, -v13
	v_add_f32_e32 v11, 0xbdf8cdce, v11
	v_add_f32_e32 v10, v10, v11
.LBB140_140:
	s_or_b32 exec_lo, exec_lo, s7
                                        ; implicit-def: $vgpr12
                                        ; implicit-def: $vgpr11
.LBB140_141:
	s_andn2_saveexec_b32 s8, s8
	s_cbranch_execz .LBB140_145
; %bb.142:
	s_mov_b32 s18, exec_lo
	v_cmpx_eq_u32_e32 0, v12
	s_cbranch_execz .LBB140_144
; %bb.143:
	v_mul_f32_e32 v12, v11, v11
	s_mov_b32 s7, 0x383c2c75
	v_fmaak_f32 v13, s7, v12, 0x38e28445
	s_mov_b32 s7, 0x37d383a2
	v_fmaak_f32 v14, s7, v12, 0x39679767
	v_fmaak_f32 v13, v12, v13, 0x3a05b634
	;; [unrolled: 1-line block ×9, first 2 shown]
	v_mul_f32_e32 v12, v12, v13
	v_fmac_f32_e32 v12, v11, v14
	v_fmac_f32_e32 v12, -0.5, v11
	v_add_f32_e32 v10, v10, v12
.LBB140_144:
	s_or_b32 exec_lo, exec_lo, s18
.LBB140_145:
	s_or_b32 exec_lo, exec_lo, s8
.LBB140_146:
	s_or_b32 exec_lo, exec_lo, s17
.LBB140_147:
	s_andn2_saveexec_b32 s8, s9
	s_cbranch_execz .LBB140_149
; %bb.148:
	v_cmp_gt_f32_e64 s9, 0x800000, |v2|
	s_mov_b32 s7, 0x3e8a8991
	v_fma_f32 v13, |v2|, s7, 0xbecd26ab
	v_cndmask_b32_e64 v10, 0, 32, s9
	v_ldexp_f32 v10, |v2|, v10
	v_log_f32_e32 v10, v10
	v_mul_f32_e32 v11, 0x3f317217, v10
	v_cmp_gt_f32_e64 s7, 0x7f800000, |v10|
	v_fma_f32 v12, 0x3f317217, v10, -v11
	v_fmamk_f32 v12, v10, 0x3377d1cf, v12
	v_add_f32_e32 v11, v11, v12
	v_fma_f32 v12, |v2|, v13, 0x3f528d33
	v_cndmask_b32_e64 v10, v10, v11, s7
	v_cndmask_b32_e64 v11, 0, 0x41b17218, s9
	v_fma_f32 v12, |v2|, v12, 0xbf13c468
	v_sub_f32_e32 v10, v10, v11
	v_fma_f32 v10, |v2|, v12, -v10
.LBB140_149:
	s_or_b32 exec_lo, exec_lo, s8
	v_cmp_le_f32_e64 s7, 0, v2
	s_mov_b32 s9, exec_lo
	v_cmpx_nle_f32_e32 0, v2
	s_xor_b32 s17, exec_lo, s9
	s_cbranch_execz .LBB140_153
; %bb.150:
	v_cmp_gt_f32_e64 s8, 0x4b000000, |v2|
	v_cmp_lt_f32_e64 s9, 0x35000000, |v2|
	s_and_b32 s8, s8, s9
	s_and_saveexec_b32 s18, s8
	s_cbranch_execz .LBB140_152
; %bb.151:
	v_mul_f32_e64 v11, |v2|, 0.5
	s_mov_b32 s9, 0x3d4be544
	v_xor_b32_e32 v9, v9, v2
	v_floor_f32_e32 v12, v11
	v_cmp_neq_f32_e64 s8, 0x7f800000, v11
	v_sub_f32_e32 v12, v11, v12
	v_min_f32_e32 v12, 0x3f7fffff, v12
	v_add_f32_e32 v12, v12, v12
	v_cndmask_b32_e64 v11, 0, v12, s8
	v_cmp_gt_f32_e64 s8, |v2|, 1.0
	v_cndmask_b32_e64 v11, |v2|, v11, s8
	s_mov_b32 s8, 0x3e75aa41
	v_add_f32_e32 v12, v11, v11
	v_rndne_f32_e32 v12, v12
	v_fmac_f32_e32 v11, -0.5, v12
	v_cvt_i32_f32_e32 v12, v12
	v_mul_f32_e32 v13, v11, v11
	v_fmaak_f32 v14, s8, v13, 0xbf1f24be
	v_fmaak_f32 v15, s9, v13, 0x3e642e9d
	v_mul_f32_e32 v16, v11, v13
	v_fmaak_f32 v14, v13, v14, 0x40234736
	v_fmaak_f32 v15, v13, v15, 0xbfaad1da
	;; [unrolled: 1-line block ×4, first 2 shown]
	v_mul_f32_e32 v14, v16, v14
	v_fmaak_f32 v15, v13, v15, 0xc09de9e6
	v_and_b32_e32 v16, 1, v12
	v_lshlrev_b32_e32 v12, 30, v12
	v_fmamk_f32 v11, v11, 0x40490fdb, v14
	v_fma_f32 v13, v13, v15, 1.0
	v_cmp_eq_u32_e64 s8, 0, v16
	v_and_b32_e32 v12, 0x80000000, v12
	v_cndmask_b32_e64 v11, v13, v11, s8
	v_xor3_b32 v9, v9, v12, v11
	v_mul_f32_e32 v9, v2, v9
	v_frexp_mant_f32_e64 v11, |v9|
	v_frexp_exp_i32_f32_e32 v9, v9
	v_rcp_f32_e32 v11, v11
	v_sub_nc_u32_e32 v9, 2, v9
	v_mul_f32_e32 v11, 0x3f490fdb, v11
	v_ldexp_f32 v9, v11, v9
	v_cmp_gt_f32_e64 s8, 0x800000, v9
	v_cndmask_b32_e64 v11, 0, 32, s8
	v_ldexp_f32 v9, v9, v11
	v_log_f32_e32 v9, v9
	v_mul_f32_e32 v11, 0x3f317217, v9
	v_cmp_gt_f32_e64 s9, 0x7f800000, |v9|
	v_fma_f32 v12, 0x3f317217, v9, -v11
	v_fmamk_f32 v12, v9, 0x3377d1cf, v12
	v_add_f32_e32 v11, v11, v12
	v_floor_f32_e32 v12, v2
	v_cndmask_b32_e64 v9, v9, v11, s9
	v_cndmask_b32_e64 v11, 0, 0x41b17218, s8
	v_sub_f32_e32 v12, v2, v12
	v_sub_f32_e32 v9, v9, v11
	v_min_f32_e32 v11, 0x3f7fffff, v12
	v_sub_f32_e32 v9, v9, v10
	v_cmp_neq_f32_e64 s8, 0, v11
	v_cndmask_b32_e64 v10, 0x7f800000, v9, s8
.LBB140_152:
	s_or_b32 exec_lo, exec_lo, s18
.LBB140_153:
	s_andn2_saveexec_b32 s17, s17
; %bb.154:
	v_cmp_eq_f32_e64 s8, 1.0, v2
	v_cmp_eq_f32_e64 s9, 2.0, v2
	s_or_b32 s8, s8, s9
	v_cndmask_b32_e64 v10, v10, 0, s8
; %bb.155:
	s_or_b32 exec_lo, exec_lo, s17
	v_cmp_gt_f32_e64 s8, 0x4b000000, |v3|
	v_cmp_gt_f32_e64 s9, 0x4b000000, |v4|
	;; [unrolled: 1-line block ×3, first 2 shown]
	s_or_b32 vcc_lo, vcc_lo, s8
	v_cmp_gt_f32_e64 s8, 0x4b000000, |v2|
	v_cndmask_b32_e32 v6, 0x7f800000, v6, vcc_lo
	s_or_b32 vcc_lo, s4, s9
	v_cmp_class_f32_e64 s4, v3, 0x264
	v_cndmask_b32_e32 v7, 0x7f800000, v7, vcc_lo
	s_or_b32 vcc_lo, s5, s17
	v_cndmask_b32_e32 v8, 0x7f800000, v8, vcc_lo
	v_cndmask_b32_e64 v6, v6, 0x7f800000, s4
	v_cmp_class_f32_e64 s4, v4, 0x264
	v_cmp_u_f32_e32 vcc_lo, v3, v3
	v_cndmask_b32_e64 v7, v7, 0x7f800000, s4
	v_cmp_class_f32_e64 s4, v1, 0x264
	v_cndmask_b32_e32 v3, v6, v3, vcc_lo
	s_or_b32 vcc_lo, s7, s8
	v_cndmask_b32_e64 v6, v8, 0x7f800000, s4
	v_cndmask_b32_e32 v8, 0x7f800000, v10, vcc_lo
	v_cmp_u_f32_e32 vcc_lo, v4, v4
	v_cmp_class_f32_e64 s4, v2, 0x264
	v_cndmask_b32_e32 v4, v7, v4, vcc_lo
	v_cmp_u_f32_e32 vcc_lo, v1, v1
	v_cndmask_b32_e32 v1, v6, v1, vcc_lo
	v_cndmask_b32_e64 v6, v8, 0x7f800000, s4
	s_add_u32 s4, s12, s10
	s_addc_u32 s5, s13, s11
	v_add_co_u32 v7, s7, s4, v5
	v_cmp_u_f32_e32 vcc_lo, v2, v2
	v_add_co_ci_u32_e64 v8, null, s5, 0, s7
	global_store_dwordx2 v5, v[3:4], s[4:5]
	v_cndmask_b32_e32 v2, v6, v2, vcc_lo
	v_add_co_u32 v6, vcc_lo, 0x800, v7
	v_add_co_ci_u32_e64 v7, null, 0, v8, vcc_lo
	global_store_dwordx2 v[6:7], v[1:2], off
	s_branch .LBB140_2
.LBB140_156:
	v_mov_b32_e32 v31, v0
	v_mov_b32_e32 v0, s12
	;; [unrolled: 1-line block ×6, first 2 shown]
	s_getpc_b64 s[4:5]
	s_add_u32 s4, s4, _ZN2at6native25elementwise_kernel_helperILb0EZZZNS0_18lgamma_kernel_cudaERNS_18TensorIteratorBaseEENKUlvE_clEvENKUlvE0_clEvEUlfE_NS0_6memory8policies11unroll_baseILi256ESt5arrayIPcLm2EE23TrivialOffsetCalculatorILi1EjESE_NS7_15LoadWithoutCastENS7_16StoreWithoutCastELi4ELi1EEEEEvT0_T1_@rel32@lo+4
	s_addc_u32 s5, s5, _ZN2at6native25elementwise_kernel_helperILb0EZZZNS0_18lgamma_kernel_cudaERNS_18TensorIteratorBaseEENKUlvE_clEvENKUlvE0_clEvEUlfE_NS0_6memory8policies11unroll_baseILi256ESt5arrayIPcLm2EE23TrivialOffsetCalculatorILi1EjESE_NS7_15LoadWithoutCastENS7_16StoreWithoutCastELi4ELi1EEEEEvT0_T1_@rel32@hi+12
	s_mov_b32 s12, s6
	s_swappc_b64 s[30:31], s[4:5]
	s_endpgm
	.section	.rodata,"a",@progbits
	.p2align	6, 0x0
	.amdhsa_kernel _ZN2at6native29vectorized_elementwise_kernelILi2EZZZNS0_18lgamma_kernel_cudaERNS_18TensorIteratorBaseEENKUlvE_clEvENKUlvE0_clEvEUlfE_St5arrayIPcLm2EEEEviT0_T1_
		.amdhsa_group_segment_fixed_size 0
		.amdhsa_private_segment_fixed_size 0
		.amdhsa_kernarg_size 24
		.amdhsa_user_sgpr_count 6
		.amdhsa_user_sgpr_private_segment_buffer 1
		.amdhsa_user_sgpr_dispatch_ptr 0
		.amdhsa_user_sgpr_queue_ptr 0
		.amdhsa_user_sgpr_kernarg_segment_ptr 1
		.amdhsa_user_sgpr_dispatch_id 0
		.amdhsa_user_sgpr_flat_scratch_init 0
		.amdhsa_user_sgpr_private_segment_size 0
		.amdhsa_wavefront_size32 1
		.amdhsa_uses_dynamic_stack 0
		.amdhsa_system_sgpr_private_segment_wavefront_offset 0
		.amdhsa_system_sgpr_workgroup_id_x 1
		.amdhsa_system_sgpr_workgroup_id_y 0
		.amdhsa_system_sgpr_workgroup_id_z 0
		.amdhsa_system_sgpr_workgroup_info 0
		.amdhsa_system_vgpr_workitem_id 0
		.amdhsa_next_free_vgpr 32
		.amdhsa_next_free_sgpr 33
		.amdhsa_reserve_vcc 1
		.amdhsa_reserve_flat_scratch 0
		.amdhsa_float_round_mode_32 0
		.amdhsa_float_round_mode_16_64 0
		.amdhsa_float_denorm_mode_32 3
		.amdhsa_float_denorm_mode_16_64 3
		.amdhsa_dx10_clamp 1
		.amdhsa_ieee_mode 1
		.amdhsa_fp16_overflow 0
		.amdhsa_workgroup_processor_mode 1
		.amdhsa_memory_ordered 1
		.amdhsa_forward_progress 1
		.amdhsa_shared_vgpr_count 0
		.amdhsa_exception_fp_ieee_invalid_op 0
		.amdhsa_exception_fp_denorm_src 0
		.amdhsa_exception_fp_ieee_div_zero 0
		.amdhsa_exception_fp_ieee_overflow 0
		.amdhsa_exception_fp_ieee_underflow 0
		.amdhsa_exception_fp_ieee_inexact 0
		.amdhsa_exception_int_div_zero 0
	.end_amdhsa_kernel
	.section	.text._ZN2at6native29vectorized_elementwise_kernelILi2EZZZNS0_18lgamma_kernel_cudaERNS_18TensorIteratorBaseEENKUlvE_clEvENKUlvE0_clEvEUlfE_St5arrayIPcLm2EEEEviT0_T1_,"axG",@progbits,_ZN2at6native29vectorized_elementwise_kernelILi2EZZZNS0_18lgamma_kernel_cudaERNS_18TensorIteratorBaseEENKUlvE_clEvENKUlvE0_clEvEUlfE_St5arrayIPcLm2EEEEviT0_T1_,comdat
.Lfunc_end140:
	.size	_ZN2at6native29vectorized_elementwise_kernelILi2EZZZNS0_18lgamma_kernel_cudaERNS_18TensorIteratorBaseEENKUlvE_clEvENKUlvE0_clEvEUlfE_St5arrayIPcLm2EEEEviT0_T1_, .Lfunc_end140-_ZN2at6native29vectorized_elementwise_kernelILi2EZZZNS0_18lgamma_kernel_cudaERNS_18TensorIteratorBaseEENKUlvE_clEvENKUlvE0_clEvEUlfE_St5arrayIPcLm2EEEEviT0_T1_
                                        ; -- End function
	.set _ZN2at6native29vectorized_elementwise_kernelILi2EZZZNS0_18lgamma_kernel_cudaERNS_18TensorIteratorBaseEENKUlvE_clEvENKUlvE0_clEvEUlfE_St5arrayIPcLm2EEEEviT0_T1_.num_vgpr, max(32, .L_ZN2at6native25elementwise_kernel_helperILb0EZZZNS0_18lgamma_kernel_cudaERNS_18TensorIteratorBaseEENKUlvE_clEvENKUlvE0_clEvEUlfE_NS0_6memory8policies11unroll_baseILi256ESt5arrayIPcLm2EE23TrivialOffsetCalculatorILi1EjESE_NS7_15LoadWithoutCastENS7_16StoreWithoutCastELi4ELi1EEEEEvT0_T1_.num_vgpr)
	.set _ZN2at6native29vectorized_elementwise_kernelILi2EZZZNS0_18lgamma_kernel_cudaERNS_18TensorIteratorBaseEENKUlvE_clEvENKUlvE0_clEvEUlfE_St5arrayIPcLm2EEEEviT0_T1_.num_agpr, max(0, .L_ZN2at6native25elementwise_kernel_helperILb0EZZZNS0_18lgamma_kernel_cudaERNS_18TensorIteratorBaseEENKUlvE_clEvENKUlvE0_clEvEUlfE_NS0_6memory8policies11unroll_baseILi256ESt5arrayIPcLm2EE23TrivialOffsetCalculatorILi1EjESE_NS7_15LoadWithoutCastENS7_16StoreWithoutCastELi4ELi1EEEEEvT0_T1_.num_agpr)
	.set _ZN2at6native29vectorized_elementwise_kernelILi2EZZZNS0_18lgamma_kernel_cudaERNS_18TensorIteratorBaseEENKUlvE_clEvENKUlvE0_clEvEUlfE_St5arrayIPcLm2EEEEviT0_T1_.numbered_sgpr, max(33, .L_ZN2at6native25elementwise_kernel_helperILb0EZZZNS0_18lgamma_kernel_cudaERNS_18TensorIteratorBaseEENKUlvE_clEvENKUlvE0_clEvEUlfE_NS0_6memory8policies11unroll_baseILi256ESt5arrayIPcLm2EE23TrivialOffsetCalculatorILi1EjESE_NS7_15LoadWithoutCastENS7_16StoreWithoutCastELi4ELi1EEEEEvT0_T1_.numbered_sgpr)
	.set _ZN2at6native29vectorized_elementwise_kernelILi2EZZZNS0_18lgamma_kernel_cudaERNS_18TensorIteratorBaseEENKUlvE_clEvENKUlvE0_clEvEUlfE_St5arrayIPcLm2EEEEviT0_T1_.num_named_barrier, max(0, .L_ZN2at6native25elementwise_kernel_helperILb0EZZZNS0_18lgamma_kernel_cudaERNS_18TensorIteratorBaseEENKUlvE_clEvENKUlvE0_clEvEUlfE_NS0_6memory8policies11unroll_baseILi256ESt5arrayIPcLm2EE23TrivialOffsetCalculatorILi1EjESE_NS7_15LoadWithoutCastENS7_16StoreWithoutCastELi4ELi1EEEEEvT0_T1_.num_named_barrier)
	.set _ZN2at6native29vectorized_elementwise_kernelILi2EZZZNS0_18lgamma_kernel_cudaERNS_18TensorIteratorBaseEENKUlvE_clEvENKUlvE0_clEvEUlfE_St5arrayIPcLm2EEEEviT0_T1_.private_seg_size, 0+max(.L_ZN2at6native25elementwise_kernel_helperILb0EZZZNS0_18lgamma_kernel_cudaERNS_18TensorIteratorBaseEENKUlvE_clEvENKUlvE0_clEvEUlfE_NS0_6memory8policies11unroll_baseILi256ESt5arrayIPcLm2EE23TrivialOffsetCalculatorILi1EjESE_NS7_15LoadWithoutCastENS7_16StoreWithoutCastELi4ELi1EEEEEvT0_T1_.private_seg_size)
	.set _ZN2at6native29vectorized_elementwise_kernelILi2EZZZNS0_18lgamma_kernel_cudaERNS_18TensorIteratorBaseEENKUlvE_clEvENKUlvE0_clEvEUlfE_St5arrayIPcLm2EEEEviT0_T1_.uses_vcc, or(1, .L_ZN2at6native25elementwise_kernel_helperILb0EZZZNS0_18lgamma_kernel_cudaERNS_18TensorIteratorBaseEENKUlvE_clEvENKUlvE0_clEvEUlfE_NS0_6memory8policies11unroll_baseILi256ESt5arrayIPcLm2EE23TrivialOffsetCalculatorILi1EjESE_NS7_15LoadWithoutCastENS7_16StoreWithoutCastELi4ELi1EEEEEvT0_T1_.uses_vcc)
	.set _ZN2at6native29vectorized_elementwise_kernelILi2EZZZNS0_18lgamma_kernel_cudaERNS_18TensorIteratorBaseEENKUlvE_clEvENKUlvE0_clEvEUlfE_St5arrayIPcLm2EEEEviT0_T1_.uses_flat_scratch, or(0, .L_ZN2at6native25elementwise_kernel_helperILb0EZZZNS0_18lgamma_kernel_cudaERNS_18TensorIteratorBaseEENKUlvE_clEvENKUlvE0_clEvEUlfE_NS0_6memory8policies11unroll_baseILi256ESt5arrayIPcLm2EE23TrivialOffsetCalculatorILi1EjESE_NS7_15LoadWithoutCastENS7_16StoreWithoutCastELi4ELi1EEEEEvT0_T1_.uses_flat_scratch)
	.set _ZN2at6native29vectorized_elementwise_kernelILi2EZZZNS0_18lgamma_kernel_cudaERNS_18TensorIteratorBaseEENKUlvE_clEvENKUlvE0_clEvEUlfE_St5arrayIPcLm2EEEEviT0_T1_.has_dyn_sized_stack, or(0, .L_ZN2at6native25elementwise_kernel_helperILb0EZZZNS0_18lgamma_kernel_cudaERNS_18TensorIteratorBaseEENKUlvE_clEvENKUlvE0_clEvEUlfE_NS0_6memory8policies11unroll_baseILi256ESt5arrayIPcLm2EE23TrivialOffsetCalculatorILi1EjESE_NS7_15LoadWithoutCastENS7_16StoreWithoutCastELi4ELi1EEEEEvT0_T1_.has_dyn_sized_stack)
	.set _ZN2at6native29vectorized_elementwise_kernelILi2EZZZNS0_18lgamma_kernel_cudaERNS_18TensorIteratorBaseEENKUlvE_clEvENKUlvE0_clEvEUlfE_St5arrayIPcLm2EEEEviT0_T1_.has_recursion, or(0, .L_ZN2at6native25elementwise_kernel_helperILb0EZZZNS0_18lgamma_kernel_cudaERNS_18TensorIteratorBaseEENKUlvE_clEvENKUlvE0_clEvEUlfE_NS0_6memory8policies11unroll_baseILi256ESt5arrayIPcLm2EE23TrivialOffsetCalculatorILi1EjESE_NS7_15LoadWithoutCastENS7_16StoreWithoutCastELi4ELi1EEEEEvT0_T1_.has_recursion)
	.set _ZN2at6native29vectorized_elementwise_kernelILi2EZZZNS0_18lgamma_kernel_cudaERNS_18TensorIteratorBaseEENKUlvE_clEvENKUlvE0_clEvEUlfE_St5arrayIPcLm2EEEEviT0_T1_.has_indirect_call, or(0, .L_ZN2at6native25elementwise_kernel_helperILb0EZZZNS0_18lgamma_kernel_cudaERNS_18TensorIteratorBaseEENKUlvE_clEvENKUlvE0_clEvEUlfE_NS0_6memory8policies11unroll_baseILi256ESt5arrayIPcLm2EE23TrivialOffsetCalculatorILi1EjESE_NS7_15LoadWithoutCastENS7_16StoreWithoutCastELi4ELi1EEEEEvT0_T1_.has_indirect_call)
	.section	.AMDGPU.csdata,"",@progbits
; Kernel info:
; codeLenInByte = 9492
; TotalNumSgprs: 35
; NumVgprs: 32
; ScratchSize: 0
; MemoryBound: 0
; FloatMode: 240
; IeeeMode: 1
; LDSByteSize: 0 bytes/workgroup (compile time only)
; SGPRBlocks: 0
; VGPRBlocks: 3
; NumSGPRsForWavesPerEU: 35
; NumVGPRsForWavesPerEU: 32
; Occupancy: 16
; WaveLimiterHint : 1
; COMPUTE_PGM_RSRC2:SCRATCH_EN: 0
; COMPUTE_PGM_RSRC2:USER_SGPR: 6
; COMPUTE_PGM_RSRC2:TRAP_HANDLER: 0
; COMPUTE_PGM_RSRC2:TGID_X_EN: 1
; COMPUTE_PGM_RSRC2:TGID_Y_EN: 0
; COMPUTE_PGM_RSRC2:TGID_Z_EN: 0
; COMPUTE_PGM_RSRC2:TIDIG_COMP_CNT: 0
	.section	.text._ZN2at6native27unrolled_elementwise_kernelIZZZNS0_18lgamma_kernel_cudaERNS_18TensorIteratorBaseEENKUlvE_clEvENKUlvE0_clEvEUlfE_St5arrayIPcLm2EELi4E23TrivialOffsetCalculatorILi1EjESB_NS0_6memory15LoadWithoutCastENSC_16StoreWithoutCastEEEviT_T0_T2_T3_T4_T5_,"axG",@progbits,_ZN2at6native27unrolled_elementwise_kernelIZZZNS0_18lgamma_kernel_cudaERNS_18TensorIteratorBaseEENKUlvE_clEvENKUlvE0_clEvEUlfE_St5arrayIPcLm2EELi4E23TrivialOffsetCalculatorILi1EjESB_NS0_6memory15LoadWithoutCastENSC_16StoreWithoutCastEEEviT_T0_T2_T3_T4_T5_,comdat
	.globl	_ZN2at6native27unrolled_elementwise_kernelIZZZNS0_18lgamma_kernel_cudaERNS_18TensorIteratorBaseEENKUlvE_clEvENKUlvE0_clEvEUlfE_St5arrayIPcLm2EELi4E23TrivialOffsetCalculatorILi1EjESB_NS0_6memory15LoadWithoutCastENSC_16StoreWithoutCastEEEviT_T0_T2_T3_T4_T5_ ; -- Begin function _ZN2at6native27unrolled_elementwise_kernelIZZZNS0_18lgamma_kernel_cudaERNS_18TensorIteratorBaseEENKUlvE_clEvENKUlvE0_clEvEUlfE_St5arrayIPcLm2EELi4E23TrivialOffsetCalculatorILi1EjESB_NS0_6memory15LoadWithoutCastENSC_16StoreWithoutCastEEEviT_T0_T2_T3_T4_T5_
	.p2align	8
	.type	_ZN2at6native27unrolled_elementwise_kernelIZZZNS0_18lgamma_kernel_cudaERNS_18TensorIteratorBaseEENKUlvE_clEvENKUlvE0_clEvEUlfE_St5arrayIPcLm2EELi4E23TrivialOffsetCalculatorILi1EjESB_NS0_6memory15LoadWithoutCastENSC_16StoreWithoutCastEEEviT_T0_T2_T3_T4_T5_,@function
_ZN2at6native27unrolled_elementwise_kernelIZZZNS0_18lgamma_kernel_cudaERNS_18TensorIteratorBaseEENKUlvE_clEvENKUlvE0_clEvEUlfE_St5arrayIPcLm2EELi4E23TrivialOffsetCalculatorILi1EjESB_NS0_6memory15LoadWithoutCastENSC_16StoreWithoutCastEEEviT_T0_T2_T3_T4_T5_: ; @_ZN2at6native27unrolled_elementwise_kernelIZZZNS0_18lgamma_kernel_cudaERNS_18TensorIteratorBaseEENKUlvE_clEvENKUlvE0_clEvEUlfE_St5arrayIPcLm2EELi4E23TrivialOffsetCalculatorILi1EjESB_NS0_6memory15LoadWithoutCastENSC_16StoreWithoutCastEEEviT_T0_T2_T3_T4_T5_
; %bb.0:
	s_add_u32 s0, s0, s7
	s_clause 0x1
	s_load_dword s7, s[4:5], 0x0
	s_load_dwordx4 s[8:11], s[4:5], 0x8
	s_addc_u32 s1, s1, 0
	s_lshl_b32 s12, s6, 10
	s_getpc_b64 s[4:5]
	s_add_u32 s4, s4, _ZN2at6native25elementwise_kernel_helperILb0EZZZNS0_18lgamma_kernel_cudaERNS_18TensorIteratorBaseEENKUlvE_clEvENKUlvE0_clEvEUlfE_NS0_6memory8policies11unroll_baseILi256ESt5arrayIPcLm2EE23TrivialOffsetCalculatorILi1EjESE_NS7_15LoadWithoutCastENS7_16StoreWithoutCastELi4ELi1EEEEEvT0_T1_@rel32@lo+4
	s_addc_u32 s5, s5, _ZN2at6native25elementwise_kernel_helperILb0EZZZNS0_18lgamma_kernel_cudaERNS_18TensorIteratorBaseEENKUlvE_clEvENKUlvE0_clEvEUlfE_NS0_6memory8policies11unroll_baseILi256ESt5arrayIPcLm2EE23TrivialOffsetCalculatorILi1EjESE_NS7_15LoadWithoutCastENS7_16StoreWithoutCastELi4ELi1EEEEEvT0_T1_@rel32@hi+12
	v_mov_b32_e32 v31, v0
	s_mov_b32 s32, 0
	s_waitcnt lgkmcnt(0)
	s_sub_i32 s7, s7, s12
	v_mov_b32_e32 v0, s8
	v_mov_b32_e32 v1, s9
	;; [unrolled: 1-line block ×5, first 2 shown]
	s_mov_b32 s12, s6
	s_swappc_b64 s[30:31], s[4:5]
	s_endpgm
	.section	.rodata,"a",@progbits
	.p2align	6, 0x0
	.amdhsa_kernel _ZN2at6native27unrolled_elementwise_kernelIZZZNS0_18lgamma_kernel_cudaERNS_18TensorIteratorBaseEENKUlvE_clEvENKUlvE0_clEvEUlfE_St5arrayIPcLm2EELi4E23TrivialOffsetCalculatorILi1EjESB_NS0_6memory15LoadWithoutCastENSC_16StoreWithoutCastEEEviT_T0_T2_T3_T4_T5_
		.amdhsa_group_segment_fixed_size 0
		.amdhsa_private_segment_fixed_size 0
		.amdhsa_kernarg_size 28
		.amdhsa_user_sgpr_count 6
		.amdhsa_user_sgpr_private_segment_buffer 1
		.amdhsa_user_sgpr_dispatch_ptr 0
		.amdhsa_user_sgpr_queue_ptr 0
		.amdhsa_user_sgpr_kernarg_segment_ptr 1
		.amdhsa_user_sgpr_dispatch_id 0
		.amdhsa_user_sgpr_flat_scratch_init 0
		.amdhsa_user_sgpr_private_segment_size 0
		.amdhsa_wavefront_size32 1
		.amdhsa_uses_dynamic_stack 0
		.amdhsa_system_sgpr_private_segment_wavefront_offset 0
		.amdhsa_system_sgpr_workgroup_id_x 1
		.amdhsa_system_sgpr_workgroup_id_y 0
		.amdhsa_system_sgpr_workgroup_id_z 0
		.amdhsa_system_sgpr_workgroup_info 0
		.amdhsa_system_vgpr_workitem_id 0
		.amdhsa_next_free_vgpr 32
		.amdhsa_next_free_sgpr 33
		.amdhsa_reserve_vcc 1
		.amdhsa_reserve_flat_scratch 0
		.amdhsa_float_round_mode_32 0
		.amdhsa_float_round_mode_16_64 0
		.amdhsa_float_denorm_mode_32 3
		.amdhsa_float_denorm_mode_16_64 3
		.amdhsa_dx10_clamp 1
		.amdhsa_ieee_mode 1
		.amdhsa_fp16_overflow 0
		.amdhsa_workgroup_processor_mode 1
		.amdhsa_memory_ordered 1
		.amdhsa_forward_progress 1
		.amdhsa_shared_vgpr_count 0
		.amdhsa_exception_fp_ieee_invalid_op 0
		.amdhsa_exception_fp_denorm_src 0
		.amdhsa_exception_fp_ieee_div_zero 0
		.amdhsa_exception_fp_ieee_overflow 0
		.amdhsa_exception_fp_ieee_underflow 0
		.amdhsa_exception_fp_ieee_inexact 0
		.amdhsa_exception_int_div_zero 0
	.end_amdhsa_kernel
	.section	.text._ZN2at6native27unrolled_elementwise_kernelIZZZNS0_18lgamma_kernel_cudaERNS_18TensorIteratorBaseEENKUlvE_clEvENKUlvE0_clEvEUlfE_St5arrayIPcLm2EELi4E23TrivialOffsetCalculatorILi1EjESB_NS0_6memory15LoadWithoutCastENSC_16StoreWithoutCastEEEviT_T0_T2_T3_T4_T5_,"axG",@progbits,_ZN2at6native27unrolled_elementwise_kernelIZZZNS0_18lgamma_kernel_cudaERNS_18TensorIteratorBaseEENKUlvE_clEvENKUlvE0_clEvEUlfE_St5arrayIPcLm2EELi4E23TrivialOffsetCalculatorILi1EjESB_NS0_6memory15LoadWithoutCastENSC_16StoreWithoutCastEEEviT_T0_T2_T3_T4_T5_,comdat
.Lfunc_end141:
	.size	_ZN2at6native27unrolled_elementwise_kernelIZZZNS0_18lgamma_kernel_cudaERNS_18TensorIteratorBaseEENKUlvE_clEvENKUlvE0_clEvEUlfE_St5arrayIPcLm2EELi4E23TrivialOffsetCalculatorILi1EjESB_NS0_6memory15LoadWithoutCastENSC_16StoreWithoutCastEEEviT_T0_T2_T3_T4_T5_, .Lfunc_end141-_ZN2at6native27unrolled_elementwise_kernelIZZZNS0_18lgamma_kernel_cudaERNS_18TensorIteratorBaseEENKUlvE_clEvENKUlvE0_clEvEUlfE_St5arrayIPcLm2EELi4E23TrivialOffsetCalculatorILi1EjESB_NS0_6memory15LoadWithoutCastENSC_16StoreWithoutCastEEEviT_T0_T2_T3_T4_T5_
                                        ; -- End function
	.set _ZN2at6native27unrolled_elementwise_kernelIZZZNS0_18lgamma_kernel_cudaERNS_18TensorIteratorBaseEENKUlvE_clEvENKUlvE0_clEvEUlfE_St5arrayIPcLm2EELi4E23TrivialOffsetCalculatorILi1EjESB_NS0_6memory15LoadWithoutCastENSC_16StoreWithoutCastEEEviT_T0_T2_T3_T4_T5_.num_vgpr, max(32, .L_ZN2at6native25elementwise_kernel_helperILb0EZZZNS0_18lgamma_kernel_cudaERNS_18TensorIteratorBaseEENKUlvE_clEvENKUlvE0_clEvEUlfE_NS0_6memory8policies11unroll_baseILi256ESt5arrayIPcLm2EE23TrivialOffsetCalculatorILi1EjESE_NS7_15LoadWithoutCastENS7_16StoreWithoutCastELi4ELi1EEEEEvT0_T1_.num_vgpr)
	.set _ZN2at6native27unrolled_elementwise_kernelIZZZNS0_18lgamma_kernel_cudaERNS_18TensorIteratorBaseEENKUlvE_clEvENKUlvE0_clEvEUlfE_St5arrayIPcLm2EELi4E23TrivialOffsetCalculatorILi1EjESB_NS0_6memory15LoadWithoutCastENSC_16StoreWithoutCastEEEviT_T0_T2_T3_T4_T5_.num_agpr, max(0, .L_ZN2at6native25elementwise_kernel_helperILb0EZZZNS0_18lgamma_kernel_cudaERNS_18TensorIteratorBaseEENKUlvE_clEvENKUlvE0_clEvEUlfE_NS0_6memory8policies11unroll_baseILi256ESt5arrayIPcLm2EE23TrivialOffsetCalculatorILi1EjESE_NS7_15LoadWithoutCastENS7_16StoreWithoutCastELi4ELi1EEEEEvT0_T1_.num_agpr)
	.set _ZN2at6native27unrolled_elementwise_kernelIZZZNS0_18lgamma_kernel_cudaERNS_18TensorIteratorBaseEENKUlvE_clEvENKUlvE0_clEvEUlfE_St5arrayIPcLm2EELi4E23TrivialOffsetCalculatorILi1EjESB_NS0_6memory15LoadWithoutCastENSC_16StoreWithoutCastEEEviT_T0_T2_T3_T4_T5_.numbered_sgpr, max(33, .L_ZN2at6native25elementwise_kernel_helperILb0EZZZNS0_18lgamma_kernel_cudaERNS_18TensorIteratorBaseEENKUlvE_clEvENKUlvE0_clEvEUlfE_NS0_6memory8policies11unroll_baseILi256ESt5arrayIPcLm2EE23TrivialOffsetCalculatorILi1EjESE_NS7_15LoadWithoutCastENS7_16StoreWithoutCastELi4ELi1EEEEEvT0_T1_.numbered_sgpr)
	.set _ZN2at6native27unrolled_elementwise_kernelIZZZNS0_18lgamma_kernel_cudaERNS_18TensorIteratorBaseEENKUlvE_clEvENKUlvE0_clEvEUlfE_St5arrayIPcLm2EELi4E23TrivialOffsetCalculatorILi1EjESB_NS0_6memory15LoadWithoutCastENSC_16StoreWithoutCastEEEviT_T0_T2_T3_T4_T5_.num_named_barrier, max(0, .L_ZN2at6native25elementwise_kernel_helperILb0EZZZNS0_18lgamma_kernel_cudaERNS_18TensorIteratorBaseEENKUlvE_clEvENKUlvE0_clEvEUlfE_NS0_6memory8policies11unroll_baseILi256ESt5arrayIPcLm2EE23TrivialOffsetCalculatorILi1EjESE_NS7_15LoadWithoutCastENS7_16StoreWithoutCastELi4ELi1EEEEEvT0_T1_.num_named_barrier)
	.set _ZN2at6native27unrolled_elementwise_kernelIZZZNS0_18lgamma_kernel_cudaERNS_18TensorIteratorBaseEENKUlvE_clEvENKUlvE0_clEvEUlfE_St5arrayIPcLm2EELi4E23TrivialOffsetCalculatorILi1EjESB_NS0_6memory15LoadWithoutCastENSC_16StoreWithoutCastEEEviT_T0_T2_T3_T4_T5_.private_seg_size, 0+max(.L_ZN2at6native25elementwise_kernel_helperILb0EZZZNS0_18lgamma_kernel_cudaERNS_18TensorIteratorBaseEENKUlvE_clEvENKUlvE0_clEvEUlfE_NS0_6memory8policies11unroll_baseILi256ESt5arrayIPcLm2EE23TrivialOffsetCalculatorILi1EjESE_NS7_15LoadWithoutCastENS7_16StoreWithoutCastELi4ELi1EEEEEvT0_T1_.private_seg_size)
	.set _ZN2at6native27unrolled_elementwise_kernelIZZZNS0_18lgamma_kernel_cudaERNS_18TensorIteratorBaseEENKUlvE_clEvENKUlvE0_clEvEUlfE_St5arrayIPcLm2EELi4E23TrivialOffsetCalculatorILi1EjESB_NS0_6memory15LoadWithoutCastENSC_16StoreWithoutCastEEEviT_T0_T2_T3_T4_T5_.uses_vcc, or(1, .L_ZN2at6native25elementwise_kernel_helperILb0EZZZNS0_18lgamma_kernel_cudaERNS_18TensorIteratorBaseEENKUlvE_clEvENKUlvE0_clEvEUlfE_NS0_6memory8policies11unroll_baseILi256ESt5arrayIPcLm2EE23TrivialOffsetCalculatorILi1EjESE_NS7_15LoadWithoutCastENS7_16StoreWithoutCastELi4ELi1EEEEEvT0_T1_.uses_vcc)
	.set _ZN2at6native27unrolled_elementwise_kernelIZZZNS0_18lgamma_kernel_cudaERNS_18TensorIteratorBaseEENKUlvE_clEvENKUlvE0_clEvEUlfE_St5arrayIPcLm2EELi4E23TrivialOffsetCalculatorILi1EjESB_NS0_6memory15LoadWithoutCastENSC_16StoreWithoutCastEEEviT_T0_T2_T3_T4_T5_.uses_flat_scratch, or(0, .L_ZN2at6native25elementwise_kernel_helperILb0EZZZNS0_18lgamma_kernel_cudaERNS_18TensorIteratorBaseEENKUlvE_clEvENKUlvE0_clEvEUlfE_NS0_6memory8policies11unroll_baseILi256ESt5arrayIPcLm2EE23TrivialOffsetCalculatorILi1EjESE_NS7_15LoadWithoutCastENS7_16StoreWithoutCastELi4ELi1EEEEEvT0_T1_.uses_flat_scratch)
	.set _ZN2at6native27unrolled_elementwise_kernelIZZZNS0_18lgamma_kernel_cudaERNS_18TensorIteratorBaseEENKUlvE_clEvENKUlvE0_clEvEUlfE_St5arrayIPcLm2EELi4E23TrivialOffsetCalculatorILi1EjESB_NS0_6memory15LoadWithoutCastENSC_16StoreWithoutCastEEEviT_T0_T2_T3_T4_T5_.has_dyn_sized_stack, or(0, .L_ZN2at6native25elementwise_kernel_helperILb0EZZZNS0_18lgamma_kernel_cudaERNS_18TensorIteratorBaseEENKUlvE_clEvENKUlvE0_clEvEUlfE_NS0_6memory8policies11unroll_baseILi256ESt5arrayIPcLm2EE23TrivialOffsetCalculatorILi1EjESE_NS7_15LoadWithoutCastENS7_16StoreWithoutCastELi4ELi1EEEEEvT0_T1_.has_dyn_sized_stack)
	.set _ZN2at6native27unrolled_elementwise_kernelIZZZNS0_18lgamma_kernel_cudaERNS_18TensorIteratorBaseEENKUlvE_clEvENKUlvE0_clEvEUlfE_St5arrayIPcLm2EELi4E23TrivialOffsetCalculatorILi1EjESB_NS0_6memory15LoadWithoutCastENSC_16StoreWithoutCastEEEviT_T0_T2_T3_T4_T5_.has_recursion, or(0, .L_ZN2at6native25elementwise_kernel_helperILb0EZZZNS0_18lgamma_kernel_cudaERNS_18TensorIteratorBaseEENKUlvE_clEvENKUlvE0_clEvEUlfE_NS0_6memory8policies11unroll_baseILi256ESt5arrayIPcLm2EE23TrivialOffsetCalculatorILi1EjESE_NS7_15LoadWithoutCastENS7_16StoreWithoutCastELi4ELi1EEEEEvT0_T1_.has_recursion)
	.set _ZN2at6native27unrolled_elementwise_kernelIZZZNS0_18lgamma_kernel_cudaERNS_18TensorIteratorBaseEENKUlvE_clEvENKUlvE0_clEvEUlfE_St5arrayIPcLm2EELi4E23TrivialOffsetCalculatorILi1EjESB_NS0_6memory15LoadWithoutCastENSC_16StoreWithoutCastEEEviT_T0_T2_T3_T4_T5_.has_indirect_call, or(0, .L_ZN2at6native25elementwise_kernel_helperILb0EZZZNS0_18lgamma_kernel_cudaERNS_18TensorIteratorBaseEENKUlvE_clEvENKUlvE0_clEvEUlfE_NS0_6memory8policies11unroll_baseILi256ESt5arrayIPcLm2EE23TrivialOffsetCalculatorILi1EjESE_NS7_15LoadWithoutCastENS7_16StoreWithoutCastELi4ELi1EEEEEvT0_T1_.has_indirect_call)
	.section	.AMDGPU.csdata,"",@progbits
; Kernel info:
; codeLenInByte = 100
; TotalNumSgprs: 35
; NumVgprs: 32
; ScratchSize: 0
; MemoryBound: 0
; FloatMode: 240
; IeeeMode: 1
; LDSByteSize: 0 bytes/workgroup (compile time only)
; SGPRBlocks: 0
; VGPRBlocks: 3
; NumSGPRsForWavesPerEU: 35
; NumVGPRsForWavesPerEU: 32
; Occupancy: 16
; WaveLimiterHint : 0
; COMPUTE_PGM_RSRC2:SCRATCH_EN: 0
; COMPUTE_PGM_RSRC2:USER_SGPR: 6
; COMPUTE_PGM_RSRC2:TRAP_HANDLER: 0
; COMPUTE_PGM_RSRC2:TGID_X_EN: 1
; COMPUTE_PGM_RSRC2:TGID_Y_EN: 0
; COMPUTE_PGM_RSRC2:TGID_Z_EN: 0
; COMPUTE_PGM_RSRC2:TIDIG_COMP_CNT: 0
	.section	.text._ZN2at6native32elementwise_kernel_manual_unrollILi128ELi4EZNS0_22gpu_kernel_impl_nocastIZZZNS0_18lgamma_kernel_cudaERNS_18TensorIteratorBaseEENKUlvE_clEvENKUlvE0_clEvEUlfE_EEvS4_RKT_EUlibE_EEviT1_,"axG",@progbits,_ZN2at6native32elementwise_kernel_manual_unrollILi128ELi4EZNS0_22gpu_kernel_impl_nocastIZZZNS0_18lgamma_kernel_cudaERNS_18TensorIteratorBaseEENKUlvE_clEvENKUlvE0_clEvEUlfE_EEvS4_RKT_EUlibE_EEviT1_,comdat
	.globl	_ZN2at6native32elementwise_kernel_manual_unrollILi128ELi4EZNS0_22gpu_kernel_impl_nocastIZZZNS0_18lgamma_kernel_cudaERNS_18TensorIteratorBaseEENKUlvE_clEvENKUlvE0_clEvEUlfE_EEvS4_RKT_EUlibE_EEviT1_ ; -- Begin function _ZN2at6native32elementwise_kernel_manual_unrollILi128ELi4EZNS0_22gpu_kernel_impl_nocastIZZZNS0_18lgamma_kernel_cudaERNS_18TensorIteratorBaseEENKUlvE_clEvENKUlvE0_clEvEUlfE_EEvS4_RKT_EUlibE_EEviT1_
	.p2align	8
	.type	_ZN2at6native32elementwise_kernel_manual_unrollILi128ELi4EZNS0_22gpu_kernel_impl_nocastIZZZNS0_18lgamma_kernel_cudaERNS_18TensorIteratorBaseEENKUlvE_clEvENKUlvE0_clEvEUlfE_EEvS4_RKT_EUlibE_EEviT1_,@function
_ZN2at6native32elementwise_kernel_manual_unrollILi128ELi4EZNS0_22gpu_kernel_impl_nocastIZZZNS0_18lgamma_kernel_cudaERNS_18TensorIteratorBaseEENKUlvE_clEvENKUlvE0_clEvEUlfE_EEvS4_RKT_EUlibE_EEviT1_: ; @_ZN2at6native32elementwise_kernel_manual_unrollILi128ELi4EZNS0_22gpu_kernel_impl_nocastIZZZNS0_18lgamma_kernel_cudaERNS_18TensorIteratorBaseEENKUlvE_clEvENKUlvE0_clEvEUlfE_EEvS4_RKT_EUlibE_EEviT1_
; %bb.0:
	s_clause 0x1
	s_load_dword s22, s[4:5], 0x8
	s_load_dword s27, s[4:5], 0x0
	v_lshl_or_b32 v4, s6, 9, v0
	s_add_u32 s2, s4, 8
	s_addc_u32 s3, s5, 0
	s_mov_b32 s0, exec_lo
	v_or_b32_e32 v13, 0x180, v4
	s_waitcnt lgkmcnt(0)
	s_add_i32 s23, s22, -1
	s_cmp_gt_u32 s23, 1
	s_cselect_b32 s24, -1, 0
	v_cmpx_le_i32_e64 s27, v13
	s_xor_b32 s25, exec_lo, s0
	s_cbranch_execz .LBB142_7
; %bb.1:
	s_clause 0x3
	s_load_dwordx4 s[12:15], s[2:3], 0x4
	s_load_dwordx2 s[16:17], s[2:3], 0x14
	s_load_dwordx4 s[8:11], s[2:3], 0xc4
	s_load_dwordx4 s[4:7], s[2:3], 0x148
	s_cmp_lg_u32 s22, 0
	s_mov_b32 s30, exec_lo
	s_cselect_b32 s29, -1, 0
	s_add_u32 s18, s2, 0xc4
	s_addc_u32 s19, s3, 0
	s_min_u32 s28, s23, 15
	s_cmp_gt_u32 s22, 1
	s_cselect_b32 s26, -1, 0
	v_cmpx_gt_i32_e64 s27, v4
	s_cbranch_execz .LBB142_14
; %bb.2:
	s_andn2_b32 vcc_lo, exec_lo, s24
	s_cbranch_vccnz .LBB142_21
; %bb.3:
	s_andn2_b32 vcc_lo, exec_lo, s29
	s_cbranch_vccnz .LBB142_225
; %bb.4:
	s_add_i32 s33, s28, 1
	s_cmp_eq_u32 s23, 2
	s_cbranch_scc1 .LBB142_227
; %bb.5:
	v_mov_b32_e32 v2, 0
	v_mov_b32_e32 v0, 0
	;; [unrolled: 1-line block ×3, first 2 shown]
	s_and_b32 s31, s33, 28
	s_mov_b32 s34, 0
	s_mov_b64 s[0:1], s[2:3]
	s_mov_b64 s[20:21], s[18:19]
.LBB142_6:                              ; =>This Inner Loop Header: Depth=1
	s_clause 0x1
	s_load_dwordx8 s[36:43], s[0:1], 0x4
	s_load_dwordx4 s[52:55], s[0:1], 0x24
	s_load_dwordx8 s[44:51], s[20:21], 0x0
	s_add_u32 s0, s0, 48
	s_addc_u32 s1, s1, 0
	s_add_i32 s34, s34, 4
	s_add_u32 s20, s20, 32
	s_addc_u32 s21, s21, 0
	s_cmp_lg_u32 s31, s34
	s_waitcnt lgkmcnt(0)
	v_mul_hi_u32 v3, s37, v1
	v_add_nc_u32_e32 v3, v1, v3
	v_lshrrev_b32_e32 v3, s38, v3
	v_mul_hi_u32 v5, s40, v3
	v_mul_lo_u32 v7, v3, s36
	v_add_nc_u32_e32 v5, v3, v5
	v_sub_nc_u32_e32 v1, v1, v7
	v_lshrrev_b32_e32 v5, s41, v5
	v_mul_lo_u32 v7, v1, s44
	v_mul_lo_u32 v9, v1, s45
	v_mul_hi_u32 v6, s43, v5
	v_add_nc_u32_e32 v6, v5, v6
	v_lshrrev_b32_e32 v6, s52, v6
	v_mul_hi_u32 v8, s54, v6
	v_mul_lo_u32 v10, v6, s42
	v_add_nc_u32_e32 v1, v6, v8
	v_mul_lo_u32 v8, v5, s39
	v_sub_nc_u32_e32 v5, v5, v10
	v_lshrrev_b32_e32 v1, s55, v1
	v_mul_lo_u32 v10, v5, s48
	v_mul_lo_u32 v5, v5, s49
	v_sub_nc_u32_e32 v3, v3, v8
	v_mul_lo_u32 v11, v1, s53
	v_mul_lo_u32 v8, v3, s46
	;; [unrolled: 1-line block ×3, first 2 shown]
	v_sub_nc_u32_e32 v6, v6, v11
	v_add3_u32 v0, v7, v0, v8
	v_mul_lo_u32 v11, v6, s50
	v_mul_lo_u32 v6, v6, s51
	v_add3_u32 v2, v9, v2, v3
	v_add3_u32 v0, v10, v0, v11
	;; [unrolled: 1-line block ×3, first 2 shown]
	s_cbranch_scc1 .LBB142_6
	s_branch .LBB142_228
.LBB142_7:
	s_andn2_saveexec_b32 s0, s25
	s_cbranch_execz .LBB142_329
.LBB142_8:
	v_cndmask_b32_e64 v5, 0, 1, s24
	s_andn2_b32 vcc_lo, exec_lo, s24
	s_cbranch_vccnz .LBB142_20
; %bb.9:
	s_cmp_lg_u32 s22, 0
	s_waitcnt lgkmcnt(0)
	s_mov_b32 s6, 0
	s_cbranch_scc0 .LBB142_23
; %bb.10:
	s_min_u32 s8, s23, 15
	s_add_i32 s8, s8, 1
	s_cmp_eq_u32 s23, 2
	s_cbranch_scc1 .LBB142_24
; %bb.11:
	v_mov_b32_e32 v11, 0
	v_mov_b32_e32 v0, 0
	;; [unrolled: 1-line block ×3, first 2 shown]
	s_and_b32 s7, s8, 28
	s_add_u32 s0, s2, 0xc4
	s_addc_u32 s1, s3, 0
	s_mov_b32 s9, 0
	s_mov_b64 s[4:5], s[2:3]
.LBB142_12:                             ; =>This Inner Loop Header: Depth=1
	s_clause 0x1
	s_load_dwordx8 s[12:19], s[4:5], 0x4
	s_load_dwordx4 s[36:39], s[4:5], 0x24
	s_load_dwordx8 s[24:31], s[0:1], 0x0
	s_add_u32 s4, s4, 48
	s_addc_u32 s5, s5, 0
	s_add_i32 s9, s9, 4
	s_add_u32 s0, s0, 32
	s_addc_u32 s1, s1, 0
	s_cmp_lg_u32 s7, s9
	s_waitcnt lgkmcnt(0)
	v_mul_hi_u32 v2, s13, v1
	v_add_nc_u32_e32 v2, v1, v2
	v_lshrrev_b32_e32 v2, s14, v2
	v_mul_hi_u32 v3, s16, v2
	v_mul_lo_u32 v7, v2, s12
	v_add_nc_u32_e32 v3, v2, v3
	v_sub_nc_u32_e32 v1, v1, v7
	v_lshrrev_b32_e32 v3, s17, v3
	v_mul_lo_u32 v7, v1, s24
	v_mul_lo_u32 v9, v1, s25
	v_mul_hi_u32 v6, s19, v3
	v_add_nc_u32_e32 v6, v3, v6
	v_lshrrev_b32_e32 v6, s36, v6
	v_mul_hi_u32 v8, s38, v6
	v_mul_lo_u32 v10, v6, s18
	v_add_nc_u32_e32 v1, v6, v8
	v_mul_lo_u32 v8, v3, s15
	v_sub_nc_u32_e32 v3, v3, v10
	v_lshrrev_b32_e32 v1, s39, v1
	v_mul_lo_u32 v10, v3, s28
	v_mul_lo_u32 v3, v3, s29
	v_sub_nc_u32_e32 v2, v2, v8
	v_mul_lo_u32 v12, v1, s37
	v_mul_lo_u32 v8, v2, s26
	;; [unrolled: 1-line block ×3, first 2 shown]
	v_sub_nc_u32_e32 v6, v6, v12
	v_add3_u32 v0, v7, v0, v8
	v_mul_lo_u32 v12, v6, s30
	v_mul_lo_u32 v6, v6, s31
	v_add3_u32 v2, v9, v11, v2
	v_add3_u32 v0, v10, v0, v12
	;; [unrolled: 1-line block ×3, first 2 shown]
	s_cbranch_scc1 .LBB142_12
; %bb.13:
	s_and_b32 s8, s8, 3
	s_cmp_eq_u32 s8, 0
	s_cbranch_scc0 .LBB142_25
	s_branch .LBB142_27
.LBB142_14:
	s_or_b32 exec_lo, exec_lo, s30
	s_mov_b32 s30, exec_lo
	v_cmpx_gt_i32_e64 s27, v4
	s_cbranch_execz .LBB142_273
.LBB142_15:
	s_andn2_b32 vcc_lo, exec_lo, s24
	s_cbranch_vccnz .LBB142_22
; %bb.16:
	s_andn2_b32 vcc_lo, exec_lo, s29
	s_cbranch_vccnz .LBB142_226
; %bb.17:
	s_add_i32 s33, s28, 1
	s_cmp_eq_u32 s23, 2
	s_cbranch_scc1 .LBB142_281
; %bb.18:
	v_mov_b32_e32 v2, 0
	v_mov_b32_e32 v0, 0
	;; [unrolled: 1-line block ×3, first 2 shown]
	s_and_b32 s31, s33, 28
	s_mov_b32 s34, 0
	s_mov_b64 s[0:1], s[2:3]
	s_mov_b64 s[20:21], s[18:19]
.LBB142_19:                             ; =>This Inner Loop Header: Depth=1
	s_clause 0x1
	s_load_dwordx8 s[36:43], s[0:1], 0x4
	s_load_dwordx4 s[52:55], s[0:1], 0x24
	s_load_dwordx8 s[44:51], s[20:21], 0x0
	s_add_u32 s0, s0, 48
	s_addc_u32 s1, s1, 0
	s_add_i32 s34, s34, 4
	s_add_u32 s20, s20, 32
	s_addc_u32 s21, s21, 0
	s_cmp_eq_u32 s31, s34
	s_waitcnt lgkmcnt(0)
	v_mul_hi_u32 v3, s37, v1
	v_add_nc_u32_e32 v3, v1, v3
	v_lshrrev_b32_e32 v3, s38, v3
	v_mul_hi_u32 v5, s40, v3
	v_mul_lo_u32 v7, v3, s36
	v_add_nc_u32_e32 v5, v3, v5
	v_sub_nc_u32_e32 v1, v1, v7
	v_lshrrev_b32_e32 v5, s41, v5
	v_mul_lo_u32 v7, v1, s44
	v_mul_lo_u32 v9, v1, s45
	v_mul_hi_u32 v6, s43, v5
	v_add_nc_u32_e32 v6, v5, v6
	v_lshrrev_b32_e32 v6, s52, v6
	v_mul_hi_u32 v8, s54, v6
	v_mul_lo_u32 v10, v6, s42
	v_add_nc_u32_e32 v1, v6, v8
	v_mul_lo_u32 v8, v5, s39
	v_sub_nc_u32_e32 v5, v5, v10
	v_lshrrev_b32_e32 v1, s55, v1
	v_mul_lo_u32 v10, v5, s48
	v_mul_lo_u32 v5, v5, s49
	v_sub_nc_u32_e32 v3, v3, v8
	v_mul_lo_u32 v11, v1, s53
	v_mul_lo_u32 v8, v3, s46
	;; [unrolled: 1-line block ×3, first 2 shown]
	v_sub_nc_u32_e32 v6, v6, v11
	v_add3_u32 v0, v7, v0, v8
	v_mul_lo_u32 v11, v6, s50
	v_mul_lo_u32 v6, v6, s51
	v_add3_u32 v2, v9, v2, v3
	v_add3_u32 v0, v10, v0, v11
	;; [unrolled: 1-line block ×3, first 2 shown]
	s_cbranch_scc0 .LBB142_19
	s_branch .LBB142_282
.LBB142_20:
	s_waitcnt lgkmcnt(0)
	s_mov_b32 s6, -1
                                        ; implicit-def: $vgpr0
                                        ; implicit-def: $vgpr11
	s_branch .LBB142_27
.LBB142_21:
                                        ; implicit-def: $vgpr0
                                        ; implicit-def: $vgpr2
	s_branch .LBB142_232
.LBB142_22:
                                        ; implicit-def: $vgpr0
                                        ; implicit-def: $vgpr2
	s_branch .LBB142_286
.LBB142_23:
	v_mov_b32_e32 v0, 0
	v_mov_b32_e32 v11, 0
	s_branch .LBB142_27
.LBB142_24:
	v_mov_b32_e32 v0, 0
	v_mov_b32_e32 v11, 0
	;; [unrolled: 1-line block ×3, first 2 shown]
	s_mov_b32 s7, 0
	s_and_b32 s8, s8, 3
	s_cmp_eq_u32 s8, 0
	s_cbranch_scc1 .LBB142_27
.LBB142_25:
	s_lshl_b32 s0, s7, 3
	s_mul_i32 s4, s7, 12
	s_add_u32 s0, s2, s0
	s_addc_u32 s1, s3, 0
	s_add_u32 s0, s0, 0xc4
	s_addc_u32 s1, s1, 0
	;; [unrolled: 2-line block ×3, first 2 shown]
	.p2align	6
.LBB142_26:                             ; =>This Inner Loop Header: Depth=1
	s_clause 0x1
	s_load_dwordx2 s[10:11], s[4:5], 0x4
	s_load_dword s7, s[4:5], 0xc
	s_load_dwordx2 s[12:13], s[0:1], 0x0
	s_add_u32 s4, s4, 12
	s_addc_u32 s5, s5, 0
	s_add_u32 s0, s0, 8
	s_addc_u32 s1, s1, 0
	s_add_i32 s8, s8, -1
	s_cmp_lg_u32 s8, 0
	s_waitcnt lgkmcnt(0)
	v_mul_hi_u32 v2, s11, v1
	v_add_nc_u32_e32 v2, v1, v2
	v_lshrrev_b32_e32 v2, s7, v2
	v_mul_lo_u32 v3, v2, s10
	v_sub_nc_u32_e32 v3, v1, v3
	v_mad_u64_u32 v[0:1], null, v3, s12, v[0:1]
	v_mad_u64_u32 v[11:12], null, v3, s13, v[11:12]
	v_mov_b32_e32 v1, v2
	s_cbranch_scc1 .LBB142_26
.LBB142_27:
	s_andn2_b32 vcc_lo, exec_lo, s6
	s_cbranch_vccnz .LBB142_30
; %bb.28:
	s_clause 0x1
	s_load_dwordx4 s[4:7], s[2:3], 0x4
	s_load_dwordx2 s[0:1], s[2:3], 0xc4
	s_cmp_lt_u32 s22, 2
	s_waitcnt lgkmcnt(0)
	v_mul_hi_u32 v0, s5, v4
	v_add_nc_u32_e32 v0, v4, v0
	v_lshrrev_b32_e32 v1, s6, v0
	v_mul_lo_u32 v0, v1, s4
	v_sub_nc_u32_e32 v2, v4, v0
	v_mul_lo_u32 v0, v2, s0
	v_mul_lo_u32 v11, v2, s1
	s_cbranch_scc1 .LBB142_30
; %bb.29:
	s_clause 0x1
	s_load_dwordx4 s[4:7], s[2:3], 0x10
	s_load_dwordx2 s[0:1], s[2:3], 0xcc
	s_waitcnt lgkmcnt(0)
	v_mul_hi_u32 v2, s5, v1
	v_add_nc_u32_e32 v2, v1, v2
	v_lshrrev_b32_e32 v2, s6, v2
	v_mul_lo_u32 v2, v2, s4
	v_sub_nc_u32_e32 v2, v1, v2
	v_mad_u64_u32 v[0:1], null, v2, s0, v[0:1]
	v_mad_u64_u32 v[11:12], null, v2, s1, v[11:12]
.LBB142_30:
	v_cmp_ne_u32_e32 vcc_lo, 1, v5
	v_add_nc_u32_e32 v3, 0x80, v4
	s_cbranch_vccnz .LBB142_36
; %bb.31:
	s_cmp_lg_u32 s22, 0
	s_mov_b32 s6, 0
	s_cbranch_scc0 .LBB142_37
; %bb.32:
	s_min_u32 s8, s23, 15
	s_add_i32 s8, s8, 1
	s_cmp_eq_u32 s23, 2
	s_cbranch_scc1 .LBB142_38
; %bb.33:
	v_mov_b32_e32 v9, 0
	v_mov_b32_e32 v1, 0
	;; [unrolled: 1-line block ×3, first 2 shown]
	s_and_b32 s7, s8, 28
	s_add_u32 s0, s2, 0xc4
	s_addc_u32 s1, s3, 0
	s_mov_b32 s9, 0
	s_mov_b64 s[4:5], s[2:3]
.LBB142_34:                             ; =>This Inner Loop Header: Depth=1
	s_clause 0x1
	s_load_dwordx8 s[12:19], s[4:5], 0x4
	s_load_dwordx4 s[36:39], s[4:5], 0x24
	s_load_dwordx8 s[24:31], s[0:1], 0x0
	s_add_u32 s4, s4, 48
	s_addc_u32 s5, s5, 0
	s_add_i32 s9, s9, 4
	s_add_u32 s0, s0, 32
	s_addc_u32 s1, s1, 0
	s_cmp_lg_u32 s7, s9
	s_waitcnt lgkmcnt(0)
	v_mul_hi_u32 v6, s13, v2
	v_add_nc_u32_e32 v6, v2, v6
	v_lshrrev_b32_e32 v6, s14, v6
	v_mul_hi_u32 v7, s16, v6
	v_mul_lo_u32 v10, v6, s12
	v_add_nc_u32_e32 v7, v6, v7
	v_sub_nc_u32_e32 v2, v2, v10
	v_lshrrev_b32_e32 v7, s17, v7
	v_mul_lo_u32 v10, v2, s24
	v_mul_lo_u32 v14, v2, s25
	v_mul_hi_u32 v8, s19, v7
	v_add_nc_u32_e32 v8, v7, v8
	v_lshrrev_b32_e32 v8, s36, v8
	v_mul_hi_u32 v12, s38, v8
	v_mul_lo_u32 v15, v8, s18
	v_add_nc_u32_e32 v2, v8, v12
	v_mul_lo_u32 v12, v7, s15
	v_sub_nc_u32_e32 v7, v7, v15
	v_lshrrev_b32_e32 v2, s39, v2
	v_mul_lo_u32 v15, v7, s28
	v_mul_lo_u32 v7, v7, s29
	v_sub_nc_u32_e32 v6, v6, v12
	v_mul_lo_u32 v16, v2, s37
	v_mul_lo_u32 v12, v6, s26
	;; [unrolled: 1-line block ×3, first 2 shown]
	v_sub_nc_u32_e32 v8, v8, v16
	v_add3_u32 v1, v10, v1, v12
	v_mul_lo_u32 v16, v8, s30
	v_mul_lo_u32 v8, v8, s31
	v_add3_u32 v6, v14, v9, v6
	v_add3_u32 v1, v15, v1, v16
	;; [unrolled: 1-line block ×3, first 2 shown]
	s_cbranch_scc1 .LBB142_34
; %bb.35:
	s_and_b32 s8, s8, 3
	s_cmp_eq_u32 s8, 0
	s_cbranch_scc0 .LBB142_39
	s_branch .LBB142_41
.LBB142_36:
	s_mov_b32 s6, -1
                                        ; implicit-def: $vgpr1
                                        ; implicit-def: $vgpr9
	s_branch .LBB142_41
.LBB142_37:
	v_mov_b32_e32 v1, 0
	v_mov_b32_e32 v9, 0
	s_branch .LBB142_41
.LBB142_38:
	v_mov_b32_e32 v1, 0
	v_mov_b32_e32 v9, 0
	;; [unrolled: 1-line block ×3, first 2 shown]
	s_mov_b32 s7, 0
	s_and_b32 s8, s8, 3
	s_cmp_eq_u32 s8, 0
	s_cbranch_scc1 .LBB142_41
.LBB142_39:
	s_lshl_b32 s0, s7, 3
	s_mul_i32 s4, s7, 12
	s_add_u32 s0, s2, s0
	s_addc_u32 s1, s3, 0
	s_add_u32 s0, s0, 0xc4
	s_addc_u32 s1, s1, 0
	;; [unrolled: 2-line block ×3, first 2 shown]
	.p2align	6
.LBB142_40:                             ; =>This Inner Loop Header: Depth=1
	s_clause 0x1
	s_load_dwordx2 s[10:11], s[4:5], 0x4
	s_load_dword s7, s[4:5], 0xc
	s_load_dwordx2 s[12:13], s[0:1], 0x0
	s_add_u32 s4, s4, 12
	s_addc_u32 s5, s5, 0
	s_add_u32 s0, s0, 8
	s_addc_u32 s1, s1, 0
	s_add_i32 s8, s8, -1
	s_cmp_lg_u32 s8, 0
	s_waitcnt lgkmcnt(0)
	v_mul_hi_u32 v6, s11, v2
	v_add_nc_u32_e32 v6, v2, v6
	v_lshrrev_b32_e32 v6, s7, v6
	v_mul_lo_u32 v7, v6, s10
	v_sub_nc_u32_e32 v7, v2, v7
	v_mad_u64_u32 v[1:2], null, v7, s12, v[1:2]
	v_mad_u64_u32 v[9:10], null, v7, s13, v[9:10]
	v_mov_b32_e32 v2, v6
	s_cbranch_scc1 .LBB142_40
.LBB142_41:
	s_andn2_b32 vcc_lo, exec_lo, s6
	s_cbranch_vccnz .LBB142_44
; %bb.42:
	s_clause 0x1
	s_load_dwordx4 s[4:7], s[2:3], 0x4
	s_load_dwordx2 s[0:1], s[2:3], 0xc4
	s_cmp_lt_u32 s22, 2
	s_waitcnt lgkmcnt(0)
	v_mul_hi_u32 v1, s5, v3
	v_add_nc_u32_e32 v1, v3, v1
	v_lshrrev_b32_e32 v2, s6, v1
	v_mul_lo_u32 v1, v2, s4
	v_sub_nc_u32_e32 v3, v3, v1
	v_mul_lo_u32 v1, v3, s0
	v_mul_lo_u32 v9, v3, s1
	s_cbranch_scc1 .LBB142_44
; %bb.43:
	s_clause 0x1
	s_load_dwordx4 s[4:7], s[2:3], 0x10
	s_load_dwordx2 s[0:1], s[2:3], 0xcc
	s_waitcnt lgkmcnt(0)
	v_mul_hi_u32 v3, s5, v2
	v_add_nc_u32_e32 v3, v2, v3
	v_lshrrev_b32_e32 v3, s6, v3
	v_mul_lo_u32 v3, v3, s4
	v_sub_nc_u32_e32 v3, v2, v3
	v_mad_u64_u32 v[1:2], null, v3, s0, v[1:2]
	v_mad_u64_u32 v[9:10], null, v3, s1, v[9:10]
.LBB142_44:
	v_cmp_ne_u32_e32 vcc_lo, 1, v5
	v_add_nc_u32_e32 v4, 0x100, v4
	s_cbranch_vccnz .LBB142_50
; %bb.45:
	s_cmp_lg_u32 s22, 0
	s_mov_b32 s6, 0
	s_cbranch_scc0 .LBB142_51
; %bb.46:
	s_min_u32 s8, s23, 15
	s_add_i32 s8, s8, 1
	s_cmp_eq_u32 s23, 2
	s_cbranch_scc1 .LBB142_52
; %bb.47:
	v_mov_b32_e32 v7, 0
	v_mov_b32_e32 v2, 0
	;; [unrolled: 1-line block ×3, first 2 shown]
	s_and_b32 s7, s8, 28
	s_add_u32 s0, s2, 0xc4
	s_addc_u32 s1, s3, 0
	s_mov_b32 s9, 0
	s_mov_b64 s[4:5], s[2:3]
.LBB142_48:                             ; =>This Inner Loop Header: Depth=1
	s_clause 0x1
	s_load_dwordx8 s[12:19], s[4:5], 0x4
	s_load_dwordx4 s[36:39], s[4:5], 0x24
	s_load_dwordx8 s[24:31], s[0:1], 0x0
	s_add_u32 s4, s4, 48
	s_addc_u32 s5, s5, 0
	s_add_i32 s9, s9, 4
	s_add_u32 s0, s0, 32
	s_addc_u32 s1, s1, 0
	s_cmp_lg_u32 s7, s9
	s_waitcnt lgkmcnt(0)
	v_mul_hi_u32 v6, s13, v3
	v_add_nc_u32_e32 v6, v3, v6
	v_lshrrev_b32_e32 v6, s14, v6
	v_mul_hi_u32 v8, s16, v6
	v_mul_lo_u32 v12, v6, s12
	v_add_nc_u32_e32 v8, v6, v8
	v_sub_nc_u32_e32 v3, v3, v12
	v_lshrrev_b32_e32 v8, s17, v8
	v_mul_lo_u32 v12, v3, s24
	v_mul_lo_u32 v15, v3, s25
	v_mul_hi_u32 v10, s19, v8
	v_add_nc_u32_e32 v10, v8, v10
	v_lshrrev_b32_e32 v10, s36, v10
	v_mul_hi_u32 v14, s38, v10
	v_mul_lo_u32 v16, v10, s18
	v_add_nc_u32_e32 v3, v10, v14
	v_mul_lo_u32 v14, v8, s15
	v_sub_nc_u32_e32 v8, v8, v16
	v_lshrrev_b32_e32 v3, s39, v3
	v_mul_lo_u32 v16, v8, s28
	v_mul_lo_u32 v8, v8, s29
	v_sub_nc_u32_e32 v6, v6, v14
	v_mul_lo_u32 v17, v3, s37
	v_mul_lo_u32 v14, v6, s26
	;; [unrolled: 1-line block ×3, first 2 shown]
	v_sub_nc_u32_e32 v10, v10, v17
	v_add3_u32 v2, v12, v2, v14
	v_mul_lo_u32 v17, v10, s30
	v_mul_lo_u32 v10, v10, s31
	v_add3_u32 v6, v15, v7, v6
	v_add3_u32 v2, v16, v2, v17
	v_add3_u32 v7, v8, v6, v10
	s_cbranch_scc1 .LBB142_48
; %bb.49:
	s_and_b32 s8, s8, 3
	s_cmp_eq_u32 s8, 0
	s_cbranch_scc0 .LBB142_53
	s_branch .LBB142_55
.LBB142_50:
	s_mov_b32 s6, -1
                                        ; implicit-def: $vgpr2
                                        ; implicit-def: $vgpr7
	s_branch .LBB142_55
.LBB142_51:
	v_mov_b32_e32 v2, 0
	v_mov_b32_e32 v7, 0
	s_branch .LBB142_55
.LBB142_52:
	v_mov_b32_e32 v2, 0
	v_mov_b32_e32 v7, 0
	;; [unrolled: 1-line block ×3, first 2 shown]
	s_mov_b32 s7, 0
	s_and_b32 s8, s8, 3
	s_cmp_eq_u32 s8, 0
	s_cbranch_scc1 .LBB142_55
.LBB142_53:
	s_lshl_b32 s0, s7, 3
	s_mul_i32 s4, s7, 12
	s_add_u32 s0, s2, s0
	s_addc_u32 s1, s3, 0
	s_add_u32 s0, s0, 0xc4
	s_addc_u32 s1, s1, 0
	;; [unrolled: 2-line block ×3, first 2 shown]
	.p2align	6
.LBB142_54:                             ; =>This Inner Loop Header: Depth=1
	s_clause 0x1
	s_load_dwordx2 s[10:11], s[4:5], 0x4
	s_load_dword s7, s[4:5], 0xc
	s_load_dwordx2 s[12:13], s[0:1], 0x0
	s_add_u32 s4, s4, 12
	s_addc_u32 s5, s5, 0
	s_add_u32 s0, s0, 8
	s_addc_u32 s1, s1, 0
	s_add_i32 s8, s8, -1
	s_cmp_lg_u32 s8, 0
	s_waitcnt lgkmcnt(0)
	v_mul_hi_u32 v6, s11, v3
	v_add_nc_u32_e32 v6, v3, v6
	v_lshrrev_b32_e32 v6, s7, v6
	v_mul_lo_u32 v8, v6, s10
	v_sub_nc_u32_e32 v8, v3, v8
	v_mad_u64_u32 v[2:3], null, v8, s12, v[2:3]
	v_mad_u64_u32 v[7:8], null, v8, s13, v[7:8]
	v_mov_b32_e32 v3, v6
	s_cbranch_scc1 .LBB142_54
.LBB142_55:
	s_andn2_b32 vcc_lo, exec_lo, s6
	s_cbranch_vccnz .LBB142_58
; %bb.56:
	s_clause 0x1
	s_load_dwordx4 s[4:7], s[2:3], 0x4
	s_load_dwordx2 s[0:1], s[2:3], 0xc4
	s_cmp_lt_u32 s22, 2
	s_waitcnt lgkmcnt(0)
	v_mul_hi_u32 v2, s5, v4
	v_add_nc_u32_e32 v2, v4, v2
	v_lshrrev_b32_e32 v3, s6, v2
	v_mul_lo_u32 v2, v3, s4
	v_sub_nc_u32_e32 v4, v4, v2
	v_mul_lo_u32 v2, v4, s0
	v_mul_lo_u32 v7, v4, s1
	s_cbranch_scc1 .LBB142_58
; %bb.57:
	s_clause 0x1
	s_load_dwordx4 s[4:7], s[2:3], 0x10
	s_load_dwordx2 s[0:1], s[2:3], 0xcc
	s_waitcnt lgkmcnt(0)
	v_mul_hi_u32 v4, s5, v3
	v_add_nc_u32_e32 v4, v3, v4
	v_lshrrev_b32_e32 v4, s6, v4
	v_mul_lo_u32 v4, v4, s4
	v_sub_nc_u32_e32 v4, v3, v4
	v_mad_u64_u32 v[2:3], null, v4, s0, v[2:3]
	v_mad_u64_u32 v[7:8], null, v4, s1, v[7:8]
.LBB142_58:
	v_cmp_ne_u32_e32 vcc_lo, 1, v5
	s_cbranch_vccnz .LBB142_64
; %bb.59:
	s_cmp_lg_u32 s22, 0
	s_mov_b32 s6, 0
	s_cbranch_scc0 .LBB142_65
; %bb.60:
	s_min_u32 s8, s23, 15
	s_add_i32 s8, s8, 1
	s_cmp_eq_u32 s23, 2
	s_cbranch_scc1 .LBB142_66
; %bb.61:
	v_mov_b32_e32 v5, 0
	v_mov_b32_e32 v3, 0
	;; [unrolled: 1-line block ×3, first 2 shown]
	s_and_b32 s7, s8, 28
	s_add_u32 s0, s2, 0xc4
	s_addc_u32 s1, s3, 0
	s_mov_b32 s9, 0
	s_mov_b64 s[4:5], s[2:3]
.LBB142_62:                             ; =>This Inner Loop Header: Depth=1
	s_clause 0x1
	s_load_dwordx8 s[12:19], s[4:5], 0x4
	s_load_dwordx4 s[36:39], s[4:5], 0x24
	s_load_dwordx8 s[24:31], s[0:1], 0x0
	s_add_u32 s4, s4, 48
	s_addc_u32 s5, s5, 0
	s_add_i32 s9, s9, 4
	s_add_u32 s0, s0, 32
	s_addc_u32 s1, s1, 0
	s_cmp_lg_u32 s7, s9
	s_waitcnt lgkmcnt(0)
	v_mul_hi_u32 v6, s13, v4
	v_add_nc_u32_e32 v6, v4, v6
	v_lshrrev_b32_e32 v6, s14, v6
	v_mul_hi_u32 v8, s16, v6
	v_mul_lo_u32 v12, v6, s12
	v_add_nc_u32_e32 v8, v6, v8
	v_sub_nc_u32_e32 v4, v4, v12
	v_lshrrev_b32_e32 v8, s17, v8
	v_mul_lo_u32 v12, v4, s24
	v_mul_lo_u32 v15, v4, s25
	v_mul_hi_u32 v10, s19, v8
	v_add_nc_u32_e32 v10, v8, v10
	v_lshrrev_b32_e32 v10, s36, v10
	v_mul_hi_u32 v14, s38, v10
	v_mul_lo_u32 v16, v10, s18
	v_add_nc_u32_e32 v4, v10, v14
	v_mul_lo_u32 v14, v8, s15
	v_sub_nc_u32_e32 v8, v8, v16
	v_lshrrev_b32_e32 v4, s39, v4
	v_mul_lo_u32 v16, v8, s28
	v_mul_lo_u32 v8, v8, s29
	v_sub_nc_u32_e32 v6, v6, v14
	v_mul_lo_u32 v17, v4, s37
	v_mul_lo_u32 v14, v6, s26
	;; [unrolled: 1-line block ×3, first 2 shown]
	v_sub_nc_u32_e32 v10, v10, v17
	v_add3_u32 v3, v12, v3, v14
	v_mul_lo_u32 v17, v10, s30
	v_mul_lo_u32 v10, v10, s31
	v_add3_u32 v5, v15, v5, v6
	v_add3_u32 v3, v16, v3, v17
	;; [unrolled: 1-line block ×3, first 2 shown]
	s_cbranch_scc1 .LBB142_62
; %bb.63:
	s_and_b32 s8, s8, 3
	s_cmp_eq_u32 s8, 0
	s_cbranch_scc0 .LBB142_67
	s_branch .LBB142_69
.LBB142_64:
	s_mov_b32 s6, -1
                                        ; implicit-def: $vgpr3
                                        ; implicit-def: $vgpr5
	s_branch .LBB142_69
.LBB142_65:
	v_mov_b32_e32 v3, 0
	v_mov_b32_e32 v5, 0
	s_branch .LBB142_69
.LBB142_66:
	v_mov_b32_e32 v3, 0
	v_mov_b32_e32 v5, 0
	;; [unrolled: 1-line block ×3, first 2 shown]
	s_mov_b32 s7, 0
	s_and_b32 s8, s8, 3
	s_cmp_eq_u32 s8, 0
	s_cbranch_scc1 .LBB142_69
.LBB142_67:
	s_lshl_b32 s0, s7, 3
	s_mul_i32 s4, s7, 12
	s_add_u32 s0, s2, s0
	s_addc_u32 s1, s3, 0
	s_add_u32 s0, s0, 0xc4
	s_addc_u32 s1, s1, 0
	;; [unrolled: 2-line block ×3, first 2 shown]
	.p2align	6
.LBB142_68:                             ; =>This Inner Loop Header: Depth=1
	s_clause 0x1
	s_load_dwordx2 s[10:11], s[4:5], 0x4
	s_load_dword s7, s[4:5], 0xc
	s_load_dwordx2 s[12:13], s[0:1], 0x0
	s_add_u32 s4, s4, 12
	s_addc_u32 s5, s5, 0
	s_add_u32 s0, s0, 8
	s_addc_u32 s1, s1, 0
	s_add_i32 s8, s8, -1
	s_cmp_lg_u32 s8, 0
	s_waitcnt lgkmcnt(0)
	v_mul_hi_u32 v6, s11, v4
	v_add_nc_u32_e32 v6, v4, v6
	v_lshrrev_b32_e32 v8, s7, v6
	v_mul_lo_u32 v6, v8, s10
	v_sub_nc_u32_e32 v6, v4, v6
	v_mad_u64_u32 v[3:4], null, v6, s12, v[3:4]
	v_mad_u64_u32 v[5:6], null, v6, s13, v[5:6]
	v_mov_b32_e32 v4, v8
	s_cbranch_scc1 .LBB142_68
.LBB142_69:
	s_andn2_b32 vcc_lo, exec_lo, s6
	s_cbranch_vccnz .LBB142_72
; %bb.70:
	s_clause 0x1
	s_load_dwordx4 s[4:7], s[2:3], 0x4
	s_load_dwordx2 s[0:1], s[2:3], 0xc4
	s_cmp_lt_u32 s22, 2
	s_waitcnt lgkmcnt(0)
	v_mul_hi_u32 v3, s5, v13
	v_add_nc_u32_e32 v3, v13, v3
	v_lshrrev_b32_e32 v4, s6, v3
	v_mul_lo_u32 v3, v4, s4
	v_sub_nc_u32_e32 v5, v13, v3
	v_mul_lo_u32 v3, v5, s0
	v_mul_lo_u32 v5, v5, s1
	s_cbranch_scc1 .LBB142_72
; %bb.71:
	s_clause 0x1
	s_load_dwordx4 s[4:7], s[2:3], 0x10
	s_load_dwordx2 s[0:1], s[2:3], 0xcc
	s_waitcnt lgkmcnt(0)
	v_mul_hi_u32 v6, s5, v4
	v_add_nc_u32_e32 v6, v4, v6
	v_lshrrev_b32_e32 v6, s6, v6
	v_mul_lo_u32 v6, v6, s4
	v_sub_nc_u32_e32 v6, v4, v6
	v_mad_u64_u32 v[3:4], null, v6, s0, v[3:4]
	v_mad_u64_u32 v[5:6], null, v6, s1, v[5:6]
.LBB142_72:
	s_load_dwordx4 s[8:11], s[2:3], 0x148
	s_mov_b32 s1, exec_lo
                                        ; implicit-def: $vgpr6
	s_waitcnt lgkmcnt(0)
	global_load_dword v4, v11, s[10:11]
	s_waitcnt vmcnt(0)
	v_and_b32_e32 v8, 0x7fffffff, v4
	v_cmpx_ngt_f32_e64 0x3c800000, |v4|
	s_xor_b32 s1, exec_lo, s1
	s_cbranch_execz .LBB142_102
; %bb.73:
	s_mov_b32 s2, exec_lo
                                        ; implicit-def: $vgpr6
	v_cmpx_nlt_f32_e64 |v4|, 2.0
	s_xor_b32 s2, exec_lo, s2
	s_cbranch_execz .LBB142_83
; %bb.74:
	v_cmp_ngt_f32_e64 s0, 0x41000000, |v4|
                                        ; implicit-def: $vgpr6
	s_and_saveexec_b32 s3, s0
	s_xor_b32 s0, exec_lo, s3
	s_cbranch_execz .LBB142_80
; %bb.75:
	v_cmp_ngt_f32_e64 s3, 0x5c800000, |v4|
                                        ; implicit-def: $vgpr6
	s_and_saveexec_b32 s4, s3
	s_xor_b32 s3, exec_lo, s4
	s_cbranch_execz .LBB142_77
; %bb.76:
	v_cmp_gt_f32_e64 s4, 0x800000, |v4|
	v_cndmask_b32_e64 v6, 0, 32, s4
	v_ldexp_f32 v6, |v4|, v6
	v_log_f32_e32 v6, v6
	v_mul_f32_e32 v10, 0x3f317217, v6
	v_cmp_gt_f32_e64 vcc_lo, 0x7f800000, |v6|
	v_fma_f32 v11, 0x3f317217, v6, -v10
	v_fmamk_f32 v11, v6, 0x3377d1cf, v11
	v_add_f32_e32 v10, v10, v11
	v_cndmask_b32_e32 v6, v6, v10, vcc_lo
	v_cndmask_b32_e64 v10, 0, 0x41b17218, s4
	v_sub_f32_e32 v6, v6, v10
	v_fma_f32 v6, |v4|, v6, -|v4|
.LBB142_77:
	s_andn2_saveexec_b32 s3, s3
	s_cbranch_execz .LBB142_79
; %bb.78:
	v_cmp_gt_f32_e64 s4, 0x800000, |v4|
	v_rcp_f32_e64 v10, |v4|
	s_mov_b32 s5, 0xbad5c4e8
	v_cndmask_b32_e64 v6, 0, 32, s4
	v_ldexp_f32 v6, |v4|, v6
	v_mul_f32_e32 v11, v10, v10
	v_log_f32_e32 v6, v6
	v_fmaak_f32 v13, s5, v11, 0x3a5b3dd2
	v_fmaak_f32 v13, v11, v13, 0xba1c065c
	v_mul_f32_e32 v12, 0x3f317217, v6
	v_fmaak_f32 v13, v11, v13, 0x3a500cfd
	v_cmp_gt_f32_e64 vcc_lo, 0x7f800000, |v6|
	v_fma_f32 v14, 0x3f317217, v6, -v12
	v_fmaak_f32 v13, v11, v13, 0xbb360b61
	v_fmamk_f32 v14, v6, 0x3377d1cf, v14
	v_fmaak_f32 v11, v11, v13, 0x3daaaaab
	v_add_f32_e32 v12, v12, v14
	v_cndmask_b32_e32 v6, v6, v12, vcc_lo
	v_cndmask_b32_e64 v12, 0, 0x41b17218, s4
	v_sub_f32_e32 v12, v6, v12
	v_fmaak_f32 v6, v10, v11, 0x3ed67f1d
	v_add_f32_e64 v10, |v4|, -0.5
	v_add_f32_e32 v11, -1.0, v12
	v_fmac_f32_e32 v6, v10, v11
.LBB142_79:
	s_or_b32 exec_lo, exec_lo, s3
.LBB142_80:
	s_andn2_saveexec_b32 s3, s0
	s_cbranch_execz .LBB142_82
; %bb.81:
	v_cvt_i32_f32_e32 v6, v8
	s_mov_b32 s0, 0x36f5d7bd
	s_mov_b32 s4, 0x3805ff67
	v_cvt_f32_i32_e32 v10, v6
	v_cmp_lt_i32_e32 vcc_lo, 2, v6
	v_sub_f32_e64 v10, |v4|, v10
	v_add_f32_e32 v11, 2.0, v10
	v_add_f32_e32 v12, 0x40400000, v10
	v_add_f32_e32 v13, 4.0, v10
	v_add_f32_e32 v14, 0x40a00000, v10
	v_cndmask_b32_e32 v11, 1.0, v11, vcc_lo
	v_cmp_lt_i32_e32 vcc_lo, 3, v6
	v_cndmask_b32_e32 v12, 1.0, v12, vcc_lo
	v_cmp_lt_i32_e32 vcc_lo, 4, v6
	v_mul_f32_e32 v11, v11, v12
	v_cndmask_b32_e32 v13, 1.0, v13, vcc_lo
	v_cmp_lt_i32_e32 vcc_lo, 5, v6
	v_add_f32_e32 v12, 0x40c00000, v10
	v_mul_f32_e32 v11, v13, v11
	v_cndmask_b32_e32 v14, 1.0, v14, vcc_lo
	v_cmp_lt_i32_e32 vcc_lo, 6, v6
	v_fmaak_f32 v13, s4, v10, 0x3af135b4
	v_mul_f32_e32 v11, v14, v11
	v_cndmask_b32_e32 v6, 1.0, v12, vcc_lo
	v_mul_f32_e32 v6, v6, v11
	v_fmaak_f32 v11, s0, v10, 0x3a4beed6
	v_cmp_gt_f32_e32 vcc_lo, 0x800000, v6
	v_fmaak_f32 v11, v10, v11, 0x3c98bf54
	v_cndmask_b32_e64 v12, 0, 32, vcc_lo
	v_fmaak_f32 v11, v10, v11, 0x3e300f6e
	v_ldexp_f32 v6, v6, v12
	v_fmaak_f32 v12, v10, v13, 0x3cda40e4
	v_fmaak_f32 v11, v10, v11, 0x3f38d0c5
	v_log_f32_e32 v6, v6
	v_fmaak_f32 v12, v10, v12, 0x3e15dce6
	v_fmaak_f32 v11, v10, v11, 0x3fb22d3b
	;; [unrolled: 1-line block ×3, first 2 shown]
	v_fma_f32 v11, v10, v11, 1.0
	v_mul_f32_e32 v13, 0x3f317217, v6
	v_fmaak_f32 v12, v10, v12, 0x3e5c245a
	v_rcp_f32_e32 v11, v11
	v_cmp_gt_f32_e64 s0, 0x7f800000, |v6|
	v_fma_f32 v14, 0x3f317217, v6, -v13
	v_fmaak_f32 v12, v10, v12, 0xbd9e233f
	v_fmamk_f32 v14, v6, 0x3377d1cf, v14
	v_mul_f32_e32 v12, v10, v12
	v_add_f32_e32 v13, v13, v14
	v_mul_f32_e32 v11, v12, v11
	v_cndmask_b32_e64 v12, 0, 0x41b17218, vcc_lo
	v_cndmask_b32_e64 v6, v6, v13, s0
	v_fmac_f32_e32 v11, 0.5, v10
	v_sub_f32_e32 v6, v6, v12
	v_add_f32_e32 v6, v6, v11
.LBB142_82:
	s_or_b32 exec_lo, exec_lo, s3
.LBB142_83:
	s_andn2_saveexec_b32 s2, s2
	s_cbranch_execz .LBB142_101
; %bb.84:
	s_mov_b32 s3, exec_lo
                                        ; implicit-def: $vgpr6
                                        ; implicit-def: $vgpr11
                                        ; implicit-def: $vgpr10
	v_cmpx_ge_f32_e64 0x3f666666, |v4|
	s_xor_b32 s3, exec_lo, s3
	s_cbranch_execz .LBB142_86
; %bb.85:
	v_cmp_gt_f32_e64 s0, 0x800000, |v4|
	v_sub_f32_e64 v12, 1.0, |v4|
	v_cmp_gt_f32_e64 vcc_lo, 0x3f3b4a23, |v4|
	v_cndmask_b32_e64 v6, 0, 32, s0
	v_cndmask_b32_e64 v13, 0, 0x41b17218, s0
	v_ldexp_f32 v6, |v4|, v6
	v_log_f32_e32 v6, v6
	v_mul_f32_e32 v10, 0x3f317217, v6
	v_cmp_gt_f32_e64 s0, 0x7f800000, |v6|
	v_fma_f32 v11, 0x3f317217, v6, -v10
	v_fmamk_f32 v11, v6, 0x3377d1cf, v11
	v_add_f32_e32 v10, v10, v11
	v_add_f32_e64 v11, 0xbeec5b0c, |v4|
	v_cndmask_b32_e64 v6, v6, v10, s0
	v_cndmask_b32_e32 v10, v12, v11, vcc_lo
	v_cndmask_b32_e64 v11, 0, 1, vcc_lo
	v_cmp_gt_f32_e64 s0, 0x3e6d3309, |v4|
	v_sub_f32_e32 v6, v6, v13
	v_cndmask_b32_e64 v10, v10, |v4|, s0
	v_cndmask_b32_e64 v11, v11, 2, s0
	v_xor_b32_e32 v6, 0x80000000, v6
.LBB142_86:
	s_andn2_saveexec_b32 s0, s3
	s_cbranch_execz .LBB142_88
; %bb.87:
	v_sub_f32_e64 v6, 2.0, |v4|
	v_add_f32_e64 v10, 0xbfbb16c3, |v4|
	v_cmp_gt_f32_e64 vcc_lo, 0x3fdda512, |v4|
	v_add_f32_e64 v11, |v4|, -1.0
	v_cndmask_b32_e32 v10, v6, v10, vcc_lo
	v_cndmask_b32_e64 v6, v6, 1.0, vcc_lo
	v_cmp_gt_f32_e64 vcc_lo, 0x3f9d70a4, |v4|
	v_cvt_i32_f32_e32 v6, v6
	v_cndmask_b32_e32 v10, v10, v11, vcc_lo
	v_cndmask_b32_e64 v11, v6, 2, vcc_lo
	v_mov_b32_e32 v6, 0
.LBB142_88:
	s_or_b32 exec_lo, exec_lo, s0
	s_mov_b32 s0, exec_lo
	v_cmpx_lt_i32_e32 0, v11
	s_xor_b32 s0, exec_lo, s0
	s_cbranch_execz .LBB142_96
; %bb.89:
	s_mov_b32 s3, exec_lo
	v_cmpx_lt_i32_e32 1, v11
	s_xor_b32 s3, exec_lo, s3
	s_cbranch_execz .LBB142_93
; %bb.90:
	s_mov_b32 s4, exec_lo
	v_cmpx_eq_u32_e32 2, v11
	s_cbranch_execz .LBB142_92
; %bb.91:
	s_mov_b32 s5, 0x3b52d5db
	v_fmaak_f32 v11, s5, v10, 0x3dd572af
	s_mov_b32 s5, 0x3c5b3c5e
	v_fmaak_f32 v12, s5, v10, 0x3e6a7578
	v_fmaak_f32 v11, v10, v11, 0x3f44efdf
	;; [unrolled: 1-line block ×7, first 2 shown]
	v_fma_f32 v11, v10, v11, 1.0
	v_fmaak_f32 v12, v10, v12, 0xbd9e233f
	v_rcp_f32_e32 v11, v11
	v_mul_f32_e32 v12, v10, v12
	v_mul_f32_e32 v11, v12, v11
	v_fmac_f32_e32 v11, -0.5, v10
	v_add_f32_e32 v6, v6, v11
.LBB142_92:
	s_or_b32 exec_lo, exec_lo, s4
                                        ; implicit-def: $vgpr10
.LBB142_93:
	s_andn2_saveexec_b32 s3, s3
	s_cbranch_execz .LBB142_95
; %bb.94:
	v_mul_f32_e32 v11, v10, v10
	s_mov_b32 s4, 0xb9a3f927
	s_mov_b32 s5, 0x39afe9f7
	v_mul_f32_e32 v12, v10, v11
	v_fmaak_f32 v13, s4, v12, 0x3a66f867
	v_fmaak_f32 v14, s5, v12, 0xba0d3085
	s_mov_b32 s4, 0x39a57b6b
	v_fmaak_f32 v15, s4, v12, 0xbab7f476
	v_fmaak_f32 v13, v12, v13, 0xbb7177fe
	;; [unrolled: 1-line block ×9, first 2 shown]
	v_fmac_f32_e32 v13, v10, v14
	v_fmaak_f32 v10, v12, v15, 0x3ef7b95e
	v_fma_f32 v12, v12, -v13, 0xa2863e55
	v_fma_f32 v10, v11, v10, -v12
	v_add_f32_e32 v10, 0xbdf8cdce, v10
	v_add_f32_e32 v6, v6, v10
.LBB142_95:
	s_or_b32 exec_lo, exec_lo, s3
                                        ; implicit-def: $vgpr11
                                        ; implicit-def: $vgpr10
.LBB142_96:
	s_andn2_saveexec_b32 s0, s0
	s_cbranch_execz .LBB142_100
; %bb.97:
	s_mov_b32 s3, exec_lo
	v_cmpx_eq_u32_e32 0, v11
	s_cbranch_execz .LBB142_99
; %bb.98:
	v_mul_f32_e32 v11, v10, v10
	s_mov_b32 s4, 0x383c2c75
	v_fmaak_f32 v12, s4, v11, 0x38e28445
	s_mov_b32 s4, 0x37d383a2
	v_fmaak_f32 v13, s4, v11, 0x39679767
	v_fmaak_f32 v12, v11, v12, 0x3a05b634
	;; [unrolled: 1-line block ×9, first 2 shown]
	v_mul_f32_e32 v11, v11, v12
	v_fmac_f32_e32 v11, v10, v13
	v_fmac_f32_e32 v11, -0.5, v10
	v_add_f32_e32 v6, v6, v11
.LBB142_99:
	s_or_b32 exec_lo, exec_lo, s3
.LBB142_100:
	s_or_b32 exec_lo, exec_lo, s0
.LBB142_101:
	s_or_b32 exec_lo, exec_lo, s2
.LBB142_102:
	s_andn2_saveexec_b32 s0, s1
	s_cbranch_execz .LBB142_104
; %bb.103:
	v_cmp_gt_f32_e64 s1, 0x800000, |v4|
	s_mov_b32 s2, 0x3e8a8991
	v_fma_f32 v12, |v4|, s2, 0xbecd26ab
	v_cndmask_b32_e64 v6, 0, 32, s1
	v_ldexp_f32 v6, |v4|, v6
	v_log_f32_e32 v6, v6
	v_mul_f32_e32 v10, 0x3f317217, v6
	v_cmp_gt_f32_e64 vcc_lo, 0x7f800000, |v6|
	v_fma_f32 v11, 0x3f317217, v6, -v10
	v_fmamk_f32 v11, v6, 0x3377d1cf, v11
	v_add_f32_e32 v10, v10, v11
	v_fma_f32 v11, |v4|, v12, 0x3f528d33
	v_cndmask_b32_e32 v6, v6, v10, vcc_lo
	v_cndmask_b32_e64 v10, 0, 0x41b17218, s1
	v_fma_f32 v11, |v4|, v11, 0xbf13c468
	v_sub_f32_e32 v6, v6, v10
	v_fma_f32 v6, |v4|, v11, -v6
.LBB142_104:
	s_or_b32 exec_lo, exec_lo, s0
	v_cmp_le_f32_e32 vcc_lo, 0, v4
	s_mov_b32 s1, exec_lo
	v_cmpx_nle_f32_e32 0, v4
	s_xor_b32 s2, exec_lo, s1
	s_cbranch_execz .LBB142_108
; %bb.105:
	v_cmp_gt_f32_e64 s0, 0x4b000000, |v4|
	v_cmp_lt_f32_e64 s1, 0x35000000, |v4|
	s_and_b32 s0, s0, s1
	s_and_saveexec_b32 s3, s0
	s_cbranch_execz .LBB142_107
; %bb.106:
	v_mul_f32_e64 v10, |v4|, 0.5
	s_mov_b32 s1, 0x3d4be544
	v_xor_b32_e32 v8, v8, v4
	v_floor_f32_e32 v11, v10
	v_cmp_neq_f32_e64 s0, 0x7f800000, v10
	v_sub_f32_e32 v11, v10, v11
	v_min_f32_e32 v11, 0x3f7fffff, v11
	v_add_f32_e32 v11, v11, v11
	v_cndmask_b32_e64 v10, 0, v11, s0
	v_cmp_gt_f32_e64 s0, |v4|, 1.0
	v_cndmask_b32_e64 v10, |v4|, v10, s0
	s_mov_b32 s0, 0x3e75aa41
	v_add_f32_e32 v11, v10, v10
	v_rndne_f32_e32 v11, v11
	v_fmac_f32_e32 v10, -0.5, v11
	v_cvt_i32_f32_e32 v11, v11
	v_mul_f32_e32 v12, v10, v10
	v_fmaak_f32 v13, s0, v12, 0xbf1f24be
	v_fmaak_f32 v14, s1, v12, 0x3e642e9d
	v_mul_f32_e32 v15, v10, v12
	v_fmaak_f32 v13, v12, v13, 0x40234736
	v_fmaak_f32 v14, v12, v14, 0xbfaad1da
	;; [unrolled: 1-line block ×4, first 2 shown]
	v_mul_f32_e32 v13, v15, v13
	v_fmaak_f32 v14, v12, v14, 0xc09de9e6
	v_and_b32_e32 v15, 1, v11
	v_lshlrev_b32_e32 v11, 30, v11
	v_fmamk_f32 v10, v10, 0x40490fdb, v13
	v_fma_f32 v12, v12, v14, 1.0
	v_cmp_eq_u32_e64 s0, 0, v15
	v_and_b32_e32 v11, 0x80000000, v11
	v_cndmask_b32_e64 v10, v12, v10, s0
	v_xor3_b32 v8, v8, v11, v10
	v_mul_f32_e32 v8, v4, v8
	v_frexp_mant_f32_e64 v10, |v8|
	v_frexp_exp_i32_f32_e32 v8, v8
	v_rcp_f32_e32 v10, v10
	v_sub_nc_u32_e32 v8, 2, v8
	v_mul_f32_e32 v10, 0x3f490fdb, v10
	v_ldexp_f32 v8, v10, v8
	v_cmp_gt_f32_e64 s0, 0x800000, v8
	v_cndmask_b32_e64 v10, 0, 32, s0
	v_ldexp_f32 v8, v8, v10
	v_log_f32_e32 v8, v8
	v_mul_f32_e32 v10, 0x3f317217, v8
	v_cmp_gt_f32_e64 s1, 0x7f800000, |v8|
	v_fma_f32 v11, 0x3f317217, v8, -v10
	v_fmamk_f32 v11, v8, 0x3377d1cf, v11
	v_add_f32_e32 v10, v10, v11
	v_floor_f32_e32 v11, v4
	v_cndmask_b32_e64 v8, v8, v10, s1
	v_cndmask_b32_e64 v10, 0, 0x41b17218, s0
	v_sub_f32_e32 v11, v4, v11
	v_sub_f32_e32 v8, v8, v10
	v_min_f32_e32 v10, 0x3f7fffff, v11
	v_sub_f32_e32 v6, v8, v6
	v_cmp_neq_f32_e64 s0, 0, v10
	v_cndmask_b32_e64 v6, 0x7f800000, v6, s0
.LBB142_107:
	s_or_b32 exec_lo, exec_lo, s3
.LBB142_108:
	s_andn2_saveexec_b32 s2, s2
; %bb.109:
	v_cmp_eq_f32_e64 s0, 1.0, v4
	v_cmp_eq_f32_e64 s1, 2.0, v4
	s_or_b32 s0, s0, s1
	v_cndmask_b32_e64 v6, v6, 0, s0
; %bb.110:
	s_or_b32 exec_lo, exec_lo, s2
	global_load_dword v8, v9, s[10:11]
                                        ; implicit-def: $vgpr9
	s_mov_b32 s1, exec_lo
	s_waitcnt vmcnt(0)
	v_and_b32_e32 v10, 0x7fffffff, v8
	v_cmpx_ngt_f32_e64 0x3c800000, |v8|
	s_xor_b32 s2, exec_lo, s1
	s_cbranch_execz .LBB142_140
; %bb.111:
                                        ; implicit-def: $vgpr9
	s_mov_b32 s1, exec_lo
	v_cmpx_nlt_f32_e64 |v8|, 2.0
	s_xor_b32 s3, exec_lo, s1
	s_cbranch_execz .LBB142_121
; %bb.112:
	s_mov_b32 s1, exec_lo
                                        ; implicit-def: $vgpr9
	v_cmpx_ngt_f32_e64 0x41000000, |v8|
	s_xor_b32 s1, exec_lo, s1
	s_cbranch_execz .LBB142_118
; %bb.113:
	s_mov_b32 s4, exec_lo
                                        ; implicit-def: $vgpr9
	v_cmpx_ngt_f32_e64 0x5c800000, |v8|
	s_xor_b32 s4, exec_lo, s4
	s_cbranch_execz .LBB142_115
; %bb.114:
	v_cmp_gt_f32_e64 s5, 0x800000, |v8|
	v_cndmask_b32_e64 v9, 0, 32, s5
	v_ldexp_f32 v9, |v8|, v9
	v_log_f32_e32 v9, v9
	v_mul_f32_e32 v11, 0x3f317217, v9
	v_cmp_gt_f32_e64 s0, 0x7f800000, |v9|
	v_fma_f32 v12, 0x3f317217, v9, -v11
	v_fmamk_f32 v12, v9, 0x3377d1cf, v12
	v_add_f32_e32 v11, v11, v12
	v_cndmask_b32_e64 v9, v9, v11, s0
	v_cndmask_b32_e64 v11, 0, 0x41b17218, s5
	v_sub_f32_e32 v9, v9, v11
	v_fma_f32 v9, |v8|, v9, -|v8|
.LBB142_115:
	s_andn2_saveexec_b32 s4, s4
	s_cbranch_execz .LBB142_117
; %bb.116:
	v_cmp_gt_f32_e64 s5, 0x800000, |v8|
	v_rcp_f32_e64 v11, |v8|
	s_mov_b32 s0, 0xbad5c4e8
	v_cndmask_b32_e64 v9, 0, 32, s5
	v_ldexp_f32 v9, |v8|, v9
	v_mul_f32_e32 v12, v11, v11
	v_log_f32_e32 v9, v9
	v_fmaak_f32 v14, s0, v12, 0x3a5b3dd2
	v_fmaak_f32 v14, v12, v14, 0xba1c065c
	v_mul_f32_e32 v13, 0x3f317217, v9
	v_fmaak_f32 v14, v12, v14, 0x3a500cfd
	v_cmp_gt_f32_e64 s0, 0x7f800000, |v9|
	v_fma_f32 v15, 0x3f317217, v9, -v13
	v_fmaak_f32 v14, v12, v14, 0xbb360b61
	v_fmamk_f32 v15, v9, 0x3377d1cf, v15
	v_fmaak_f32 v12, v12, v14, 0x3daaaaab
	v_add_f32_e32 v13, v13, v15
	v_cndmask_b32_e64 v9, v9, v13, s0
	v_cndmask_b32_e64 v13, 0, 0x41b17218, s5
	v_sub_f32_e32 v13, v9, v13
	v_fmaak_f32 v9, v11, v12, 0x3ed67f1d
	v_add_f32_e64 v11, |v8|, -0.5
	v_add_f32_e32 v12, -1.0, v13
	v_fmac_f32_e32 v9, v11, v12
.LBB142_117:
	s_or_b32 exec_lo, exec_lo, s4
.LBB142_118:
	s_andn2_saveexec_b32 s4, s1
	s_cbranch_execz .LBB142_120
; %bb.119:
	v_cvt_i32_f32_e32 v9, v10
	s_mov_b32 s1, 0x3805ff67
	v_cvt_f32_i32_e32 v11, v9
	v_cmp_lt_i32_e64 s0, 2, v9
	v_sub_f32_e64 v11, |v8|, v11
	v_add_f32_e32 v12, 2.0, v11
	v_add_f32_e32 v13, 0x40400000, v11
	v_add_f32_e32 v14, 4.0, v11
	v_add_f32_e32 v15, 0x40a00000, v11
	v_cndmask_b32_e64 v12, 1.0, v12, s0
	v_cmp_lt_i32_e64 s0, 3, v9
	v_cndmask_b32_e64 v13, 1.0, v13, s0
	v_cmp_lt_i32_e64 s0, 4, v9
	v_mul_f32_e32 v12, v12, v13
	v_cndmask_b32_e64 v14, 1.0, v14, s0
	v_cmp_lt_i32_e64 s0, 5, v9
	v_add_f32_e32 v13, 0x40c00000, v11
	v_mul_f32_e32 v12, v14, v12
	v_cndmask_b32_e64 v15, 1.0, v15, s0
	v_cmp_lt_i32_e64 s0, 6, v9
	v_fmaak_f32 v14, s1, v11, 0x3af135b4
	v_mul_f32_e32 v12, v15, v12
	v_cndmask_b32_e64 v9, 1.0, v13, s0
	s_mov_b32 s0, 0x36f5d7bd
	v_mul_f32_e32 v9, v9, v12
	v_fmaak_f32 v12, s0, v11, 0x3a4beed6
	v_cmp_gt_f32_e64 s0, 0x800000, v9
	v_fmaak_f32 v12, v11, v12, 0x3c98bf54
	v_cndmask_b32_e64 v13, 0, 32, s0
	v_fmaak_f32 v12, v11, v12, 0x3e300f6e
	v_ldexp_f32 v9, v9, v13
	v_fmaak_f32 v13, v11, v14, 0x3cda40e4
	v_fmaak_f32 v12, v11, v12, 0x3f38d0c5
	v_log_f32_e32 v9, v9
	v_fmaak_f32 v13, v11, v13, 0x3e15dce6
	v_fmaak_f32 v12, v11, v12, 0x3fb22d3b
	;; [unrolled: 1-line block ×3, first 2 shown]
	v_fma_f32 v12, v11, v12, 1.0
	v_mul_f32_e32 v14, 0x3f317217, v9
	v_fmaak_f32 v13, v11, v13, 0x3e5c245a
	v_rcp_f32_e32 v12, v12
	v_cmp_gt_f32_e64 s1, 0x7f800000, |v9|
	v_fma_f32 v15, 0x3f317217, v9, -v14
	v_fmaak_f32 v13, v11, v13, 0xbd9e233f
	v_fmamk_f32 v15, v9, 0x3377d1cf, v15
	v_mul_f32_e32 v13, v11, v13
	v_add_f32_e32 v14, v14, v15
	v_mul_f32_e32 v12, v13, v12
	v_cndmask_b32_e64 v13, 0, 0x41b17218, s0
	v_cndmask_b32_e64 v9, v9, v14, s1
	v_fmac_f32_e32 v12, 0.5, v11
	v_sub_f32_e32 v9, v9, v13
	v_add_f32_e32 v9, v9, v12
.LBB142_120:
	s_or_b32 exec_lo, exec_lo, s4
.LBB142_121:
	s_andn2_saveexec_b32 s3, s3
	s_cbranch_execz .LBB142_139
; %bb.122:
                                        ; implicit-def: $vgpr9
                                        ; implicit-def: $vgpr12
                                        ; implicit-def: $vgpr11
	s_mov_b32 s1, exec_lo
	v_cmpx_ge_f32_e64 0x3f666666, |v8|
	s_xor_b32 s4, exec_lo, s1
	s_cbranch_execz .LBB142_124
; %bb.123:
	v_cmp_gt_f32_e64 s1, 0x800000, |v8|
	v_sub_f32_e64 v13, 1.0, |v8|
	v_cmp_gt_f32_e64 s0, 0x3f3b4a23, |v8|
	v_cndmask_b32_e64 v9, 0, 32, s1
	v_cndmask_b32_e64 v14, 0, 0x41b17218, s1
	v_ldexp_f32 v9, |v8|, v9
	v_log_f32_e32 v9, v9
	v_mul_f32_e32 v11, 0x3f317217, v9
	v_cmp_gt_f32_e64 s1, 0x7f800000, |v9|
	v_fma_f32 v12, 0x3f317217, v9, -v11
	v_fmamk_f32 v12, v9, 0x3377d1cf, v12
	v_add_f32_e32 v11, v11, v12
	v_add_f32_e64 v12, 0xbeec5b0c, |v8|
	v_cndmask_b32_e64 v9, v9, v11, s1
	v_cndmask_b32_e64 v11, v13, v12, s0
	;; [unrolled: 1-line block ×3, first 2 shown]
	v_cmp_gt_f32_e64 s0, 0x3e6d3309, |v8|
	v_sub_f32_e32 v9, v9, v14
	v_cndmask_b32_e64 v11, v11, |v8|, s0
	v_cndmask_b32_e64 v12, v12, 2, s0
	v_xor_b32_e32 v9, 0x80000000, v9
.LBB142_124:
	s_andn2_saveexec_b32 s1, s4
	s_cbranch_execz .LBB142_126
; %bb.125:
	v_sub_f32_e64 v9, 2.0, |v8|
	v_add_f32_e64 v11, 0xbfbb16c3, |v8|
	v_cmp_gt_f32_e64 s0, 0x3fdda512, |v8|
	v_add_f32_e64 v12, |v8|, -1.0
	v_cndmask_b32_e64 v11, v9, v11, s0
	v_cndmask_b32_e64 v9, v9, 1.0, s0
	v_cmp_gt_f32_e64 s0, 0x3f9d70a4, |v8|
	v_cvt_i32_f32_e32 v9, v9
	v_cndmask_b32_e64 v11, v11, v12, s0
	v_cndmask_b32_e64 v12, v9, 2, s0
	v_mov_b32_e32 v9, 0
.LBB142_126:
	s_or_b32 exec_lo, exec_lo, s1
	s_mov_b32 s1, exec_lo
	v_cmpx_lt_i32_e32 0, v12
	s_xor_b32 s1, exec_lo, s1
	s_cbranch_execz .LBB142_134
; %bb.127:
	s_mov_b32 s4, exec_lo
	v_cmpx_lt_i32_e32 1, v12
	s_xor_b32 s4, exec_lo, s4
	s_cbranch_execz .LBB142_131
; %bb.128:
	s_mov_b32 s5, exec_lo
	v_cmpx_eq_u32_e32 2, v12
	s_cbranch_execz .LBB142_130
; %bb.129:
	s_mov_b32 s0, 0x3b52d5db
	v_fmaak_f32 v12, s0, v11, 0x3dd572af
	s_mov_b32 s0, 0x3c5b3c5e
	v_fmaak_f32 v13, s0, v11, 0x3e6a7578
	v_fmaak_f32 v12, v11, v12, 0x3f44efdf
	;; [unrolled: 1-line block ×7, first 2 shown]
	v_fma_f32 v12, v11, v12, 1.0
	v_fmaak_f32 v13, v11, v13, 0xbd9e233f
	v_rcp_f32_e32 v12, v12
	v_mul_f32_e32 v13, v11, v13
	v_mul_f32_e32 v12, v13, v12
	v_fmac_f32_e32 v12, -0.5, v11
	v_add_f32_e32 v9, v9, v12
.LBB142_130:
	s_or_b32 exec_lo, exec_lo, s5
                                        ; implicit-def: $vgpr11
.LBB142_131:
	s_andn2_saveexec_b32 s0, s4
	s_cbranch_execz .LBB142_133
; %bb.132:
	v_mul_f32_e32 v12, v11, v11
	s_mov_b32 s4, 0xb9a3f927
	s_mov_b32 s5, 0x39afe9f7
	v_mul_f32_e32 v13, v11, v12
	v_fmaak_f32 v14, s4, v13, 0x3a66f867
	v_fmaak_f32 v15, s5, v13, 0xba0d3085
	s_mov_b32 s4, 0x39a57b6b
	v_fmaak_f32 v16, s4, v13, 0xbab7f476
	v_fmaak_f32 v14, v13, v14, 0xbb7177fe
	;; [unrolled: 1-line block ×9, first 2 shown]
	v_fmac_f32_e32 v14, v11, v15
	v_fmaak_f32 v11, v13, v16, 0x3ef7b95e
	v_fma_f32 v13, v13, -v14, 0xa2863e55
	v_fma_f32 v11, v12, v11, -v13
	v_add_f32_e32 v11, 0xbdf8cdce, v11
	v_add_f32_e32 v9, v9, v11
.LBB142_133:
	s_or_b32 exec_lo, exec_lo, s0
                                        ; implicit-def: $vgpr12
                                        ; implicit-def: $vgpr11
.LBB142_134:
	s_andn2_saveexec_b32 s1, s1
	s_cbranch_execz .LBB142_138
; %bb.135:
	s_mov_b32 s4, exec_lo
	v_cmpx_eq_u32_e32 0, v12
	s_cbranch_execz .LBB142_137
; %bb.136:
	v_mul_f32_e32 v12, v11, v11
	s_mov_b32 s0, 0x383c2c75
	v_fmaak_f32 v13, s0, v12, 0x38e28445
	s_mov_b32 s0, 0x37d383a2
	v_fmaak_f32 v14, s0, v12, 0x39679767
	v_fmaak_f32 v13, v12, v13, 0x3a05b634
	;; [unrolled: 1-line block ×9, first 2 shown]
	v_mul_f32_e32 v12, v12, v13
	v_fmac_f32_e32 v12, v11, v14
	v_fmac_f32_e32 v12, -0.5, v11
	v_add_f32_e32 v9, v9, v12
.LBB142_137:
	s_or_b32 exec_lo, exec_lo, s4
.LBB142_138:
	s_or_b32 exec_lo, exec_lo, s1
.LBB142_139:
	s_or_b32 exec_lo, exec_lo, s3
.LBB142_140:
	s_andn2_saveexec_b32 s1, s2
	s_cbranch_execz .LBB142_142
; %bb.141:
	v_cmp_gt_f32_e64 s2, 0x800000, |v8|
	s_mov_b32 s0, 0x3e8a8991
	v_fma_f32 v13, |v8|, s0, 0xbecd26ab
	v_cndmask_b32_e64 v9, 0, 32, s2
	v_ldexp_f32 v9, |v8|, v9
	v_log_f32_e32 v9, v9
	v_mul_f32_e32 v11, 0x3f317217, v9
	v_cmp_gt_f32_e64 s0, 0x7f800000, |v9|
	v_fma_f32 v12, 0x3f317217, v9, -v11
	v_fmamk_f32 v12, v9, 0x3377d1cf, v12
	v_add_f32_e32 v11, v11, v12
	v_fma_f32 v12, |v8|, v13, 0x3f528d33
	v_cndmask_b32_e64 v9, v9, v11, s0
	v_cndmask_b32_e64 v11, 0, 0x41b17218, s2
	v_fma_f32 v12, |v8|, v12, 0xbf13c468
	v_sub_f32_e32 v9, v9, v11
	v_fma_f32 v9, |v8|, v12, -v9
.LBB142_142:
	s_or_b32 exec_lo, exec_lo, s1
	v_cmp_le_f32_e64 s0, 0, v8
	s_mov_b32 s2, exec_lo
	v_cmpx_nle_f32_e32 0, v8
	s_xor_b32 s3, exec_lo, s2
	s_cbranch_execz .LBB142_146
; %bb.143:
	v_cmp_gt_f32_e64 s1, 0x4b000000, |v8|
	v_cmp_lt_f32_e64 s2, 0x35000000, |v8|
	s_and_b32 s1, s1, s2
	s_and_saveexec_b32 s4, s1
	s_cbranch_execz .LBB142_145
; %bb.144:
	v_mul_f32_e64 v11, |v8|, 0.5
	s_mov_b32 s2, 0x3d4be544
	v_xor_b32_e32 v10, v10, v8
	v_floor_f32_e32 v12, v11
	v_cmp_neq_f32_e64 s1, 0x7f800000, v11
	v_sub_f32_e32 v12, v11, v12
	v_min_f32_e32 v12, 0x3f7fffff, v12
	v_add_f32_e32 v12, v12, v12
	v_cndmask_b32_e64 v11, 0, v12, s1
	v_cmp_gt_f32_e64 s1, |v8|, 1.0
	v_cndmask_b32_e64 v11, |v8|, v11, s1
	s_mov_b32 s1, 0x3e75aa41
	v_add_f32_e32 v12, v11, v11
	v_rndne_f32_e32 v12, v12
	v_fmac_f32_e32 v11, -0.5, v12
	v_cvt_i32_f32_e32 v12, v12
	v_mul_f32_e32 v13, v11, v11
	v_fmaak_f32 v14, s1, v13, 0xbf1f24be
	v_fmaak_f32 v15, s2, v13, 0x3e642e9d
	v_mul_f32_e32 v16, v11, v13
	v_fmaak_f32 v14, v13, v14, 0x40234736
	v_fmaak_f32 v15, v13, v15, 0xbfaad1da
	;; [unrolled: 1-line block ×4, first 2 shown]
	v_mul_f32_e32 v14, v16, v14
	v_fmaak_f32 v15, v13, v15, 0xc09de9e6
	v_and_b32_e32 v16, 1, v12
	v_lshlrev_b32_e32 v12, 30, v12
	v_fmamk_f32 v11, v11, 0x40490fdb, v14
	v_fma_f32 v13, v13, v15, 1.0
	v_cmp_eq_u32_e64 s1, 0, v16
	v_and_b32_e32 v12, 0x80000000, v12
	v_cndmask_b32_e64 v11, v13, v11, s1
	v_xor3_b32 v10, v10, v12, v11
	v_mul_f32_e32 v10, v8, v10
	v_frexp_mant_f32_e64 v11, |v10|
	v_frexp_exp_i32_f32_e32 v10, v10
	v_rcp_f32_e32 v11, v11
	v_sub_nc_u32_e32 v10, 2, v10
	v_mul_f32_e32 v11, 0x3f490fdb, v11
	v_ldexp_f32 v10, v11, v10
	v_cmp_gt_f32_e64 s1, 0x800000, v10
	v_cndmask_b32_e64 v11, 0, 32, s1
	v_ldexp_f32 v10, v10, v11
	v_log_f32_e32 v10, v10
	v_mul_f32_e32 v11, 0x3f317217, v10
	v_cmp_gt_f32_e64 s2, 0x7f800000, |v10|
	v_fma_f32 v12, 0x3f317217, v10, -v11
	v_fmamk_f32 v12, v10, 0x3377d1cf, v12
	v_add_f32_e32 v11, v11, v12
	v_floor_f32_e32 v12, v8
	v_cndmask_b32_e64 v10, v10, v11, s2
	v_cndmask_b32_e64 v11, 0, 0x41b17218, s1
	v_sub_f32_e32 v12, v8, v12
	v_sub_f32_e32 v10, v10, v11
	v_min_f32_e32 v11, 0x3f7fffff, v12
	v_sub_f32_e32 v9, v10, v9
	v_cmp_neq_f32_e64 s1, 0, v11
	v_cndmask_b32_e64 v9, 0x7f800000, v9, s1
.LBB142_145:
	s_or_b32 exec_lo, exec_lo, s4
.LBB142_146:
	s_andn2_saveexec_b32 s3, s3
; %bb.147:
	v_cmp_eq_f32_e64 s1, 1.0, v8
	v_cmp_eq_f32_e64 s2, 2.0, v8
	s_or_b32 s1, s1, s2
	v_cndmask_b32_e64 v9, v9, 0, s1
; %bb.148:
	s_or_b32 exec_lo, exec_lo, s3
	global_load_dword v7, v7, s[10:11]
                                        ; implicit-def: $vgpr10
	s_mov_b32 s2, exec_lo
	s_waitcnt vmcnt(0)
	v_and_b32_e32 v11, 0x7fffffff, v7
	v_cmpx_ngt_f32_e64 0x3c800000, |v7|
	s_xor_b32 s3, exec_lo, s2
	s_cbranch_execz .LBB142_178
; %bb.149:
                                        ; implicit-def: $vgpr10
	s_mov_b32 s2, exec_lo
	v_cmpx_nlt_f32_e64 |v7|, 2.0
	s_xor_b32 s4, exec_lo, s2
	s_cbranch_execz .LBB142_159
; %bb.150:
	s_mov_b32 s2, exec_lo
                                        ; implicit-def: $vgpr10
	v_cmpx_ngt_f32_e64 0x41000000, |v7|
	s_xor_b32 s2, exec_lo, s2
	s_cbranch_execz .LBB142_156
; %bb.151:
	s_mov_b32 s5, exec_lo
                                        ; implicit-def: $vgpr10
	v_cmpx_ngt_f32_e64 0x5c800000, |v7|
	s_xor_b32 s5, exec_lo, s5
	s_cbranch_execz .LBB142_153
; %bb.152:
	v_cmp_gt_f32_e64 s6, 0x800000, |v7|
	v_cndmask_b32_e64 v10, 0, 32, s6
	v_ldexp_f32 v10, |v7|, v10
	v_log_f32_e32 v10, v10
	v_mul_f32_e32 v12, 0x3f317217, v10
	v_cmp_gt_f32_e64 s1, 0x7f800000, |v10|
	v_fma_f32 v13, 0x3f317217, v10, -v12
	v_fmamk_f32 v13, v10, 0x3377d1cf, v13
	v_add_f32_e32 v12, v12, v13
	v_cndmask_b32_e64 v10, v10, v12, s1
	v_cndmask_b32_e64 v12, 0, 0x41b17218, s6
	v_sub_f32_e32 v10, v10, v12
	v_fma_f32 v10, |v7|, v10, -|v7|
.LBB142_153:
	s_andn2_saveexec_b32 s5, s5
	s_cbranch_execz .LBB142_155
; %bb.154:
	v_cmp_gt_f32_e64 s6, 0x800000, |v7|
	v_rcp_f32_e64 v12, |v7|
	s_mov_b32 s1, 0xbad5c4e8
	v_cndmask_b32_e64 v10, 0, 32, s6
	v_ldexp_f32 v10, |v7|, v10
	v_mul_f32_e32 v13, v12, v12
	v_log_f32_e32 v10, v10
	v_fmaak_f32 v15, s1, v13, 0x3a5b3dd2
	v_fmaak_f32 v15, v13, v15, 0xba1c065c
	v_mul_f32_e32 v14, 0x3f317217, v10
	v_fmaak_f32 v15, v13, v15, 0x3a500cfd
	v_cmp_gt_f32_e64 s1, 0x7f800000, |v10|
	v_fma_f32 v16, 0x3f317217, v10, -v14
	v_fmaak_f32 v15, v13, v15, 0xbb360b61
	v_fmamk_f32 v16, v10, 0x3377d1cf, v16
	v_fmaak_f32 v13, v13, v15, 0x3daaaaab
	v_add_f32_e32 v14, v14, v16
	v_cndmask_b32_e64 v10, v10, v14, s1
	v_cndmask_b32_e64 v14, 0, 0x41b17218, s6
	v_sub_f32_e32 v14, v10, v14
	v_fmaak_f32 v10, v12, v13, 0x3ed67f1d
	v_add_f32_e64 v12, |v7|, -0.5
	v_add_f32_e32 v13, -1.0, v14
	v_fmac_f32_e32 v10, v12, v13
.LBB142_155:
	s_or_b32 exec_lo, exec_lo, s5
.LBB142_156:
	s_andn2_saveexec_b32 s5, s2
	s_cbranch_execz .LBB142_158
; %bb.157:
	v_cvt_i32_f32_e32 v10, v11
	s_mov_b32 s2, 0x3805ff67
	v_cvt_f32_i32_e32 v12, v10
	v_cmp_lt_i32_e64 s1, 2, v10
	v_sub_f32_e64 v12, |v7|, v12
	v_add_f32_e32 v13, 2.0, v12
	v_add_f32_e32 v14, 0x40400000, v12
	v_add_f32_e32 v15, 4.0, v12
	v_add_f32_e32 v16, 0x40a00000, v12
	v_cndmask_b32_e64 v13, 1.0, v13, s1
	v_cmp_lt_i32_e64 s1, 3, v10
	v_cndmask_b32_e64 v14, 1.0, v14, s1
	v_cmp_lt_i32_e64 s1, 4, v10
	v_mul_f32_e32 v13, v13, v14
	v_cndmask_b32_e64 v15, 1.0, v15, s1
	v_cmp_lt_i32_e64 s1, 5, v10
	v_add_f32_e32 v14, 0x40c00000, v12
	v_mul_f32_e32 v13, v15, v13
	v_cndmask_b32_e64 v16, 1.0, v16, s1
	v_cmp_lt_i32_e64 s1, 6, v10
	v_fmaak_f32 v15, s2, v12, 0x3af135b4
	v_mul_f32_e32 v13, v16, v13
	v_cndmask_b32_e64 v10, 1.0, v14, s1
	s_mov_b32 s1, 0x36f5d7bd
	v_mul_f32_e32 v10, v10, v13
	v_fmaak_f32 v13, s1, v12, 0x3a4beed6
	v_cmp_gt_f32_e64 s1, 0x800000, v10
	v_fmaak_f32 v13, v12, v13, 0x3c98bf54
	v_cndmask_b32_e64 v14, 0, 32, s1
	v_fmaak_f32 v13, v12, v13, 0x3e300f6e
	v_ldexp_f32 v10, v10, v14
	v_fmaak_f32 v14, v12, v15, 0x3cda40e4
	v_fmaak_f32 v13, v12, v13, 0x3f38d0c5
	v_log_f32_e32 v10, v10
	v_fmaak_f32 v14, v12, v14, 0x3e15dce6
	v_fmaak_f32 v13, v12, v13, 0x3fb22d3b
	;; [unrolled: 1-line block ×3, first 2 shown]
	v_fma_f32 v13, v12, v13, 1.0
	v_mul_f32_e32 v15, 0x3f317217, v10
	v_fmaak_f32 v14, v12, v14, 0x3e5c245a
	v_rcp_f32_e32 v13, v13
	v_cmp_gt_f32_e64 s2, 0x7f800000, |v10|
	v_fma_f32 v16, 0x3f317217, v10, -v15
	v_fmaak_f32 v14, v12, v14, 0xbd9e233f
	v_fmamk_f32 v16, v10, 0x3377d1cf, v16
	v_mul_f32_e32 v14, v12, v14
	v_add_f32_e32 v15, v15, v16
	v_mul_f32_e32 v13, v14, v13
	v_cndmask_b32_e64 v14, 0, 0x41b17218, s1
	v_cndmask_b32_e64 v10, v10, v15, s2
	v_fmac_f32_e32 v13, 0.5, v12
	v_sub_f32_e32 v10, v10, v14
	v_add_f32_e32 v10, v10, v13
.LBB142_158:
	s_or_b32 exec_lo, exec_lo, s5
.LBB142_159:
	s_andn2_saveexec_b32 s4, s4
	s_cbranch_execz .LBB142_177
; %bb.160:
                                        ; implicit-def: $vgpr10
                                        ; implicit-def: $vgpr13
                                        ; implicit-def: $vgpr12
	s_mov_b32 s2, exec_lo
	v_cmpx_ge_f32_e64 0x3f666666, |v7|
	s_xor_b32 s5, exec_lo, s2
	s_cbranch_execz .LBB142_162
; %bb.161:
	v_cmp_gt_f32_e64 s2, 0x800000, |v7|
	v_sub_f32_e64 v14, 1.0, |v7|
	v_cmp_gt_f32_e64 s1, 0x3f3b4a23, |v7|
	v_cndmask_b32_e64 v10, 0, 32, s2
	v_cndmask_b32_e64 v15, 0, 0x41b17218, s2
	v_ldexp_f32 v10, |v7|, v10
	v_log_f32_e32 v10, v10
	v_mul_f32_e32 v12, 0x3f317217, v10
	v_cmp_gt_f32_e64 s2, 0x7f800000, |v10|
	v_fma_f32 v13, 0x3f317217, v10, -v12
	v_fmamk_f32 v13, v10, 0x3377d1cf, v13
	v_add_f32_e32 v12, v12, v13
	v_add_f32_e64 v13, 0xbeec5b0c, |v7|
	v_cndmask_b32_e64 v10, v10, v12, s2
	v_cndmask_b32_e64 v12, v14, v13, s1
	;; [unrolled: 1-line block ×3, first 2 shown]
	v_cmp_gt_f32_e64 s1, 0x3e6d3309, |v7|
	v_sub_f32_e32 v10, v10, v15
	v_cndmask_b32_e64 v12, v12, |v7|, s1
	v_cndmask_b32_e64 v13, v13, 2, s1
	v_xor_b32_e32 v10, 0x80000000, v10
.LBB142_162:
	s_andn2_saveexec_b32 s2, s5
	s_cbranch_execz .LBB142_164
; %bb.163:
	v_sub_f32_e64 v10, 2.0, |v7|
	v_add_f32_e64 v12, 0xbfbb16c3, |v7|
	v_cmp_gt_f32_e64 s1, 0x3fdda512, |v7|
	v_add_f32_e64 v13, |v7|, -1.0
	v_cndmask_b32_e64 v12, v10, v12, s1
	v_cndmask_b32_e64 v10, v10, 1.0, s1
	v_cmp_gt_f32_e64 s1, 0x3f9d70a4, |v7|
	v_cvt_i32_f32_e32 v10, v10
	v_cndmask_b32_e64 v12, v12, v13, s1
	v_cndmask_b32_e64 v13, v10, 2, s1
	v_mov_b32_e32 v10, 0
.LBB142_164:
	s_or_b32 exec_lo, exec_lo, s2
	s_mov_b32 s2, exec_lo
	v_cmpx_lt_i32_e32 0, v13
	s_xor_b32 s2, exec_lo, s2
	s_cbranch_execz .LBB142_172
; %bb.165:
	s_mov_b32 s5, exec_lo
	v_cmpx_lt_i32_e32 1, v13
	s_xor_b32 s5, exec_lo, s5
	s_cbranch_execz .LBB142_169
; %bb.166:
	s_mov_b32 s6, exec_lo
	v_cmpx_eq_u32_e32 2, v13
	s_cbranch_execz .LBB142_168
; %bb.167:
	s_mov_b32 s1, 0x3b52d5db
	v_fmaak_f32 v13, s1, v12, 0x3dd572af
	s_mov_b32 s1, 0x3c5b3c5e
	v_fmaak_f32 v14, s1, v12, 0x3e6a7578
	v_fmaak_f32 v13, v12, v13, 0x3f44efdf
	;; [unrolled: 1-line block ×7, first 2 shown]
	v_fma_f32 v13, v12, v13, 1.0
	v_fmaak_f32 v14, v12, v14, 0xbd9e233f
	v_rcp_f32_e32 v13, v13
	v_mul_f32_e32 v14, v12, v14
	v_mul_f32_e32 v13, v14, v13
	v_fmac_f32_e32 v13, -0.5, v12
	v_add_f32_e32 v10, v10, v13
.LBB142_168:
	s_or_b32 exec_lo, exec_lo, s6
                                        ; implicit-def: $vgpr12
.LBB142_169:
	s_andn2_saveexec_b32 s1, s5
	s_cbranch_execz .LBB142_171
; %bb.170:
	v_mul_f32_e32 v13, v12, v12
	s_mov_b32 s5, 0xb9a3f927
	s_mov_b32 s6, 0x39afe9f7
	v_mul_f32_e32 v14, v12, v13
	v_fmaak_f32 v15, s5, v14, 0x3a66f867
	v_fmaak_f32 v16, s6, v14, 0xba0d3085
	s_mov_b32 s5, 0x39a57b6b
	v_fmaak_f32 v17, s5, v14, 0xbab7f476
	v_fmaak_f32 v15, v14, v15, 0xbb7177fe
	;; [unrolled: 1-line block ×9, first 2 shown]
	v_fmac_f32_e32 v15, v12, v16
	v_fmaak_f32 v12, v14, v17, 0x3ef7b95e
	v_fma_f32 v14, v14, -v15, 0xa2863e55
	v_fma_f32 v12, v13, v12, -v14
	v_add_f32_e32 v12, 0xbdf8cdce, v12
	v_add_f32_e32 v10, v10, v12
.LBB142_171:
	s_or_b32 exec_lo, exec_lo, s1
                                        ; implicit-def: $vgpr13
                                        ; implicit-def: $vgpr12
.LBB142_172:
	s_andn2_saveexec_b32 s2, s2
	s_cbranch_execz .LBB142_176
; %bb.173:
	s_mov_b32 s5, exec_lo
	v_cmpx_eq_u32_e32 0, v13
	s_cbranch_execz .LBB142_175
; %bb.174:
	v_mul_f32_e32 v13, v12, v12
	s_mov_b32 s1, 0x383c2c75
	v_fmaak_f32 v14, s1, v13, 0x38e28445
	s_mov_b32 s1, 0x37d383a2
	v_fmaak_f32 v15, s1, v13, 0x39679767
	v_fmaak_f32 v14, v13, v14, 0x3a05b634
	v_fmaak_f32 v15, v13, v15, 0x3a9c54a1
	v_fmaak_f32 v14, v13, v14, 0x3b3d6ec6
	v_fmaak_f32 v15, v13, v15, 0x3bf2027e
	v_fmaak_f32 v14, v13, v14, 0x3ca89915
	v_fmaak_f32 v15, v13, v15, 0x3d89f001
	v_fmaak_f32 v14, v13, v14, 0x3ea51a66
	v_fmaak_f32 v15, v13, v15, 0x3d9e233f
	v_mul_f32_e32 v13, v13, v14
	v_fmac_f32_e32 v13, v12, v15
	v_fmac_f32_e32 v13, -0.5, v12
	v_add_f32_e32 v10, v10, v13
.LBB142_175:
	s_or_b32 exec_lo, exec_lo, s5
.LBB142_176:
	s_or_b32 exec_lo, exec_lo, s2
.LBB142_177:
	s_or_b32 exec_lo, exec_lo, s4
.LBB142_178:
	s_andn2_saveexec_b32 s2, s3
	s_cbranch_execz .LBB142_180
; %bb.179:
	v_cmp_gt_f32_e64 s3, 0x800000, |v7|
	s_mov_b32 s1, 0x3e8a8991
	v_fma_f32 v14, |v7|, s1, 0xbecd26ab
	v_cndmask_b32_e64 v10, 0, 32, s3
	v_ldexp_f32 v10, |v7|, v10
	v_log_f32_e32 v10, v10
	v_mul_f32_e32 v12, 0x3f317217, v10
	v_cmp_gt_f32_e64 s1, 0x7f800000, |v10|
	v_fma_f32 v13, 0x3f317217, v10, -v12
	v_fmamk_f32 v13, v10, 0x3377d1cf, v13
	v_add_f32_e32 v12, v12, v13
	v_fma_f32 v13, |v7|, v14, 0x3f528d33
	v_cndmask_b32_e64 v10, v10, v12, s1
	v_cndmask_b32_e64 v12, 0, 0x41b17218, s3
	v_fma_f32 v13, |v7|, v13, 0xbf13c468
	v_sub_f32_e32 v10, v10, v12
	v_fma_f32 v10, |v7|, v13, -v10
.LBB142_180:
	s_or_b32 exec_lo, exec_lo, s2
	v_cmp_le_f32_e64 s1, 0, v7
	s_mov_b32 s3, exec_lo
	v_cmpx_nle_f32_e32 0, v7
	s_xor_b32 s4, exec_lo, s3
	s_cbranch_execz .LBB142_184
; %bb.181:
	v_cmp_gt_f32_e64 s2, 0x4b000000, |v7|
	v_cmp_lt_f32_e64 s3, 0x35000000, |v7|
	s_and_b32 s2, s2, s3
	s_and_saveexec_b32 s5, s2
	s_cbranch_execz .LBB142_183
; %bb.182:
	v_mul_f32_e64 v12, |v7|, 0.5
	s_mov_b32 s3, 0x3d4be544
	v_xor_b32_e32 v11, v11, v7
	v_floor_f32_e32 v13, v12
	v_cmp_neq_f32_e64 s2, 0x7f800000, v12
	v_sub_f32_e32 v13, v12, v13
	v_min_f32_e32 v13, 0x3f7fffff, v13
	v_add_f32_e32 v13, v13, v13
	v_cndmask_b32_e64 v12, 0, v13, s2
	v_cmp_gt_f32_e64 s2, |v7|, 1.0
	v_cndmask_b32_e64 v12, |v7|, v12, s2
	s_mov_b32 s2, 0x3e75aa41
	v_add_f32_e32 v13, v12, v12
	v_rndne_f32_e32 v13, v13
	v_fmac_f32_e32 v12, -0.5, v13
	v_cvt_i32_f32_e32 v13, v13
	v_mul_f32_e32 v14, v12, v12
	v_fmaak_f32 v15, s2, v14, 0xbf1f24be
	v_fmaak_f32 v16, s3, v14, 0x3e642e9d
	v_mul_f32_e32 v17, v12, v14
	v_fmaak_f32 v15, v14, v15, 0x40234736
	v_fmaak_f32 v16, v14, v16, 0xbfaad1da
	;; [unrolled: 1-line block ×4, first 2 shown]
	v_mul_f32_e32 v15, v17, v15
	v_fmaak_f32 v16, v14, v16, 0xc09de9e6
	v_and_b32_e32 v17, 1, v13
	v_lshlrev_b32_e32 v13, 30, v13
	v_fmamk_f32 v12, v12, 0x40490fdb, v15
	v_fma_f32 v14, v14, v16, 1.0
	v_cmp_eq_u32_e64 s2, 0, v17
	v_and_b32_e32 v13, 0x80000000, v13
	v_cndmask_b32_e64 v12, v14, v12, s2
	v_xor3_b32 v11, v11, v13, v12
	v_mul_f32_e32 v11, v7, v11
	v_frexp_mant_f32_e64 v12, |v11|
	v_frexp_exp_i32_f32_e32 v11, v11
	v_rcp_f32_e32 v12, v12
	v_sub_nc_u32_e32 v11, 2, v11
	v_mul_f32_e32 v12, 0x3f490fdb, v12
	v_ldexp_f32 v11, v12, v11
	v_cmp_gt_f32_e64 s2, 0x800000, v11
	v_cndmask_b32_e64 v12, 0, 32, s2
	v_ldexp_f32 v11, v11, v12
	v_log_f32_e32 v11, v11
	v_mul_f32_e32 v12, 0x3f317217, v11
	v_cmp_gt_f32_e64 s3, 0x7f800000, |v11|
	v_fma_f32 v13, 0x3f317217, v11, -v12
	v_fmamk_f32 v13, v11, 0x3377d1cf, v13
	v_add_f32_e32 v12, v12, v13
	v_floor_f32_e32 v13, v7
	v_cndmask_b32_e64 v11, v11, v12, s3
	v_cndmask_b32_e64 v12, 0, 0x41b17218, s2
	v_sub_f32_e32 v13, v7, v13
	v_sub_f32_e32 v11, v11, v12
	v_min_f32_e32 v12, 0x3f7fffff, v13
	v_sub_f32_e32 v10, v11, v10
	v_cmp_neq_f32_e64 s2, 0, v12
	v_cndmask_b32_e64 v10, 0x7f800000, v10, s2
.LBB142_183:
	s_or_b32 exec_lo, exec_lo, s5
.LBB142_184:
	s_andn2_saveexec_b32 s4, s4
; %bb.185:
	v_cmp_eq_f32_e64 s2, 1.0, v7
	v_cmp_eq_f32_e64 s3, 2.0, v7
	s_or_b32 s2, s2, s3
	v_cndmask_b32_e64 v10, v10, 0, s2
; %bb.186:
	s_or_b32 exec_lo, exec_lo, s4
	global_load_dword v5, v5, s[10:11]
                                        ; implicit-def: $vgpr12
	s_mov_b32 s3, exec_lo
	s_waitcnt vmcnt(0)
	v_and_b32_e32 v11, 0x7fffffff, v5
	v_cmpx_ngt_f32_e64 0x3c800000, |v5|
	s_xor_b32 s4, exec_lo, s3
	s_cbranch_execz .LBB142_216
; %bb.187:
                                        ; implicit-def: $vgpr12
	s_mov_b32 s3, exec_lo
	v_cmpx_nlt_f32_e64 |v5|, 2.0
	s_xor_b32 s5, exec_lo, s3
	s_cbranch_execz .LBB142_197
; %bb.188:
	s_mov_b32 s3, exec_lo
                                        ; implicit-def: $vgpr12
	v_cmpx_ngt_f32_e64 0x41000000, |v5|
	s_xor_b32 s3, exec_lo, s3
	s_cbranch_execz .LBB142_194
; %bb.189:
	s_mov_b32 s6, exec_lo
                                        ; implicit-def: $vgpr12
	v_cmpx_ngt_f32_e64 0x5c800000, |v5|
	s_xor_b32 s6, exec_lo, s6
	s_cbranch_execz .LBB142_191
; %bb.190:
	v_cmp_gt_f32_e64 s7, 0x800000, |v5|
	v_cndmask_b32_e64 v12, 0, 32, s7
	v_ldexp_f32 v12, |v5|, v12
	v_log_f32_e32 v12, v12
	v_mul_f32_e32 v13, 0x3f317217, v12
	v_cmp_gt_f32_e64 s2, 0x7f800000, |v12|
	v_fma_f32 v14, 0x3f317217, v12, -v13
	v_fmamk_f32 v14, v12, 0x3377d1cf, v14
	v_add_f32_e32 v13, v13, v14
	v_cndmask_b32_e64 v12, v12, v13, s2
	v_cndmask_b32_e64 v13, 0, 0x41b17218, s7
	v_sub_f32_e32 v12, v12, v13
	v_fma_f32 v12, |v5|, v12, -|v5|
.LBB142_191:
	s_andn2_saveexec_b32 s6, s6
	s_cbranch_execz .LBB142_193
; %bb.192:
	v_cmp_gt_f32_e64 s7, 0x800000, |v5|
	v_rcp_f32_e64 v13, |v5|
	s_mov_b32 s2, 0xbad5c4e8
	v_cndmask_b32_e64 v12, 0, 32, s7
	v_ldexp_f32 v12, |v5|, v12
	v_mul_f32_e32 v14, v13, v13
	v_log_f32_e32 v12, v12
	v_fmaak_f32 v16, s2, v14, 0x3a5b3dd2
	v_fmaak_f32 v16, v14, v16, 0xba1c065c
	v_mul_f32_e32 v15, 0x3f317217, v12
	v_fmaak_f32 v16, v14, v16, 0x3a500cfd
	v_cmp_gt_f32_e64 s2, 0x7f800000, |v12|
	v_fma_f32 v17, 0x3f317217, v12, -v15
	v_fmaak_f32 v16, v14, v16, 0xbb360b61
	v_fmamk_f32 v17, v12, 0x3377d1cf, v17
	v_fmaak_f32 v14, v14, v16, 0x3daaaaab
	v_add_f32_e32 v15, v15, v17
	v_cndmask_b32_e64 v12, v12, v15, s2
	v_cndmask_b32_e64 v15, 0, 0x41b17218, s7
	v_sub_f32_e32 v15, v12, v15
	v_fmaak_f32 v12, v13, v14, 0x3ed67f1d
	v_add_f32_e64 v13, |v5|, -0.5
	v_add_f32_e32 v14, -1.0, v15
	v_fmac_f32_e32 v12, v13, v14
.LBB142_193:
	s_or_b32 exec_lo, exec_lo, s6
.LBB142_194:
	s_andn2_saveexec_b32 s6, s3
	s_cbranch_execz .LBB142_196
; %bb.195:
	v_cvt_i32_f32_e32 v12, v11
	s_mov_b32 s3, 0x3805ff67
	v_cvt_f32_i32_e32 v13, v12
	v_cmp_lt_i32_e64 s2, 2, v12
	v_sub_f32_e64 v13, |v5|, v13
	v_add_f32_e32 v14, 2.0, v13
	v_add_f32_e32 v15, 0x40400000, v13
	v_add_f32_e32 v16, 4.0, v13
	v_add_f32_e32 v17, 0x40a00000, v13
	v_cndmask_b32_e64 v14, 1.0, v14, s2
	v_cmp_lt_i32_e64 s2, 3, v12
	v_cndmask_b32_e64 v15, 1.0, v15, s2
	v_cmp_lt_i32_e64 s2, 4, v12
	v_mul_f32_e32 v14, v14, v15
	v_cndmask_b32_e64 v16, 1.0, v16, s2
	v_cmp_lt_i32_e64 s2, 5, v12
	v_add_f32_e32 v15, 0x40c00000, v13
	v_mul_f32_e32 v14, v16, v14
	v_cndmask_b32_e64 v17, 1.0, v17, s2
	v_cmp_lt_i32_e64 s2, 6, v12
	v_fmaak_f32 v16, s3, v13, 0x3af135b4
	v_mul_f32_e32 v14, v17, v14
	v_cndmask_b32_e64 v12, 1.0, v15, s2
	s_mov_b32 s2, 0x36f5d7bd
	v_mul_f32_e32 v12, v12, v14
	v_fmaak_f32 v14, s2, v13, 0x3a4beed6
	v_cmp_gt_f32_e64 s2, 0x800000, v12
	v_fmaak_f32 v14, v13, v14, 0x3c98bf54
	v_cndmask_b32_e64 v15, 0, 32, s2
	v_fmaak_f32 v14, v13, v14, 0x3e300f6e
	v_ldexp_f32 v12, v12, v15
	v_fmaak_f32 v15, v13, v16, 0x3cda40e4
	v_fmaak_f32 v14, v13, v14, 0x3f38d0c5
	v_log_f32_e32 v12, v12
	v_fmaak_f32 v15, v13, v15, 0x3e15dce6
	v_fmaak_f32 v14, v13, v14, 0x3fb22d3b
	;; [unrolled: 1-line block ×3, first 2 shown]
	v_fma_f32 v14, v13, v14, 1.0
	v_mul_f32_e32 v16, 0x3f317217, v12
	v_fmaak_f32 v15, v13, v15, 0x3e5c245a
	v_rcp_f32_e32 v14, v14
	v_cmp_gt_f32_e64 s3, 0x7f800000, |v12|
	v_fma_f32 v17, 0x3f317217, v12, -v16
	v_fmaak_f32 v15, v13, v15, 0xbd9e233f
	v_fmamk_f32 v17, v12, 0x3377d1cf, v17
	v_mul_f32_e32 v15, v13, v15
	v_add_f32_e32 v16, v16, v17
	v_mul_f32_e32 v14, v15, v14
	v_cndmask_b32_e64 v15, 0, 0x41b17218, s2
	v_cndmask_b32_e64 v12, v12, v16, s3
	v_fmac_f32_e32 v14, 0.5, v13
	v_sub_f32_e32 v12, v12, v15
	v_add_f32_e32 v12, v12, v14
.LBB142_196:
	s_or_b32 exec_lo, exec_lo, s6
.LBB142_197:
	s_andn2_saveexec_b32 s5, s5
	s_cbranch_execz .LBB142_215
; %bb.198:
                                        ; implicit-def: $vgpr12
                                        ; implicit-def: $vgpr14
                                        ; implicit-def: $vgpr13
	s_mov_b32 s3, exec_lo
	v_cmpx_ge_f32_e64 0x3f666666, |v5|
	s_xor_b32 s6, exec_lo, s3
	s_cbranch_execz .LBB142_200
; %bb.199:
	v_cmp_gt_f32_e64 s3, 0x800000, |v5|
	v_sub_f32_e64 v15, 1.0, |v5|
	v_cmp_gt_f32_e64 s2, 0x3f3b4a23, |v5|
	v_cndmask_b32_e64 v12, 0, 32, s3
	v_cndmask_b32_e64 v16, 0, 0x41b17218, s3
	v_ldexp_f32 v12, |v5|, v12
	v_log_f32_e32 v12, v12
	v_mul_f32_e32 v13, 0x3f317217, v12
	v_cmp_gt_f32_e64 s3, 0x7f800000, |v12|
	v_fma_f32 v14, 0x3f317217, v12, -v13
	v_fmamk_f32 v14, v12, 0x3377d1cf, v14
	v_add_f32_e32 v13, v13, v14
	v_add_f32_e64 v14, 0xbeec5b0c, |v5|
	v_cndmask_b32_e64 v12, v12, v13, s3
	v_cndmask_b32_e64 v13, v15, v14, s2
	;; [unrolled: 1-line block ×3, first 2 shown]
	v_cmp_gt_f32_e64 s2, 0x3e6d3309, |v5|
	v_sub_f32_e32 v12, v12, v16
	v_cndmask_b32_e64 v13, v13, |v5|, s2
	v_cndmask_b32_e64 v14, v14, 2, s2
	v_xor_b32_e32 v12, 0x80000000, v12
.LBB142_200:
	s_andn2_saveexec_b32 s3, s6
	s_cbranch_execz .LBB142_202
; %bb.201:
	v_sub_f32_e64 v12, 2.0, |v5|
	v_add_f32_e64 v13, 0xbfbb16c3, |v5|
	v_cmp_gt_f32_e64 s2, 0x3fdda512, |v5|
	v_add_f32_e64 v14, |v5|, -1.0
	v_cndmask_b32_e64 v13, v12, v13, s2
	v_cndmask_b32_e64 v12, v12, 1.0, s2
	v_cmp_gt_f32_e64 s2, 0x3f9d70a4, |v5|
	v_cvt_i32_f32_e32 v12, v12
	v_cndmask_b32_e64 v13, v13, v14, s2
	v_cndmask_b32_e64 v14, v12, 2, s2
	v_mov_b32_e32 v12, 0
.LBB142_202:
	s_or_b32 exec_lo, exec_lo, s3
	s_mov_b32 s3, exec_lo
	v_cmpx_lt_i32_e32 0, v14
	s_xor_b32 s3, exec_lo, s3
	s_cbranch_execz .LBB142_210
; %bb.203:
	s_mov_b32 s6, exec_lo
	v_cmpx_lt_i32_e32 1, v14
	s_xor_b32 s6, exec_lo, s6
	s_cbranch_execz .LBB142_207
; %bb.204:
	s_mov_b32 s7, exec_lo
	v_cmpx_eq_u32_e32 2, v14
	s_cbranch_execz .LBB142_206
; %bb.205:
	s_mov_b32 s2, 0x3b52d5db
	v_fmaak_f32 v14, s2, v13, 0x3dd572af
	s_mov_b32 s2, 0x3c5b3c5e
	v_fmaak_f32 v15, s2, v13, 0x3e6a7578
	v_fmaak_f32 v14, v13, v14, 0x3f44efdf
	v_fmaak_f32 v15, v13, v15, 0x3f7a4bb2
	v_fmaak_f32 v14, v13, v14, 0x4008392d
	v_fmaak_f32 v15, v13, v15, 0x3fba3ae7
	v_fmaak_f32 v14, v13, v14, 0x401d2ebe
	v_fmaak_f32 v15, v13, v15, 0x3f2200f4
	v_fma_f32 v14, v13, v14, 1.0
	v_fmaak_f32 v15, v13, v15, 0xbd9e233f
	v_rcp_f32_e32 v14, v14
	v_mul_f32_e32 v15, v13, v15
	v_mul_f32_e32 v14, v15, v14
	v_fmac_f32_e32 v14, -0.5, v13
	v_add_f32_e32 v12, v12, v14
.LBB142_206:
	s_or_b32 exec_lo, exec_lo, s7
                                        ; implicit-def: $vgpr13
.LBB142_207:
	s_andn2_saveexec_b32 s2, s6
	s_cbranch_execz .LBB142_209
; %bb.208:
	v_mul_f32_e32 v14, v13, v13
	s_mov_b32 s6, 0xb9a3f927
	s_mov_b32 s7, 0x39afe9f7
	v_mul_f32_e32 v15, v13, v14
	v_fmaak_f32 v16, s6, v15, 0x3a66f867
	v_fmaak_f32 v17, s7, v15, 0xba0d3085
	s_mov_b32 s6, 0x39a57b6b
	v_fmaak_f32 v18, s6, v15, 0xbab7f476
	v_fmaak_f32 v16, v15, v16, 0xbb7177fe
	;; [unrolled: 1-line block ×9, first 2 shown]
	v_fmac_f32_e32 v16, v13, v17
	v_fmaak_f32 v13, v15, v18, 0x3ef7b95e
	v_fma_f32 v15, v15, -v16, 0xa2863e55
	v_fma_f32 v13, v14, v13, -v15
	v_add_f32_e32 v13, 0xbdf8cdce, v13
	v_add_f32_e32 v12, v12, v13
.LBB142_209:
	s_or_b32 exec_lo, exec_lo, s2
                                        ; implicit-def: $vgpr14
                                        ; implicit-def: $vgpr13
.LBB142_210:
	s_andn2_saveexec_b32 s3, s3
	s_cbranch_execz .LBB142_214
; %bb.211:
	s_mov_b32 s6, exec_lo
	v_cmpx_eq_u32_e32 0, v14
	s_cbranch_execz .LBB142_213
; %bb.212:
	v_mul_f32_e32 v14, v13, v13
	s_mov_b32 s2, 0x383c2c75
	v_fmaak_f32 v15, s2, v14, 0x38e28445
	s_mov_b32 s2, 0x37d383a2
	v_fmaak_f32 v16, s2, v14, 0x39679767
	v_fmaak_f32 v15, v14, v15, 0x3a05b634
	;; [unrolled: 1-line block ×9, first 2 shown]
	v_mul_f32_e32 v14, v14, v15
	v_fmac_f32_e32 v14, v13, v16
	v_fmac_f32_e32 v14, -0.5, v13
	v_add_f32_e32 v12, v12, v14
.LBB142_213:
	s_or_b32 exec_lo, exec_lo, s6
.LBB142_214:
	s_or_b32 exec_lo, exec_lo, s3
.LBB142_215:
	s_or_b32 exec_lo, exec_lo, s5
.LBB142_216:
	s_andn2_saveexec_b32 s3, s4
	s_cbranch_execz .LBB142_218
; %bb.217:
	v_cmp_gt_f32_e64 s4, 0x800000, |v5|
	s_mov_b32 s2, 0x3e8a8991
	v_fma_f32 v15, |v5|, s2, 0xbecd26ab
	v_cndmask_b32_e64 v12, 0, 32, s4
	v_ldexp_f32 v12, |v5|, v12
	v_log_f32_e32 v12, v12
	v_mul_f32_e32 v13, 0x3f317217, v12
	v_cmp_gt_f32_e64 s2, 0x7f800000, |v12|
	v_fma_f32 v14, 0x3f317217, v12, -v13
	v_fmamk_f32 v14, v12, 0x3377d1cf, v14
	v_add_f32_e32 v13, v13, v14
	v_fma_f32 v14, |v5|, v15, 0x3f528d33
	v_cndmask_b32_e64 v12, v12, v13, s2
	v_cndmask_b32_e64 v13, 0, 0x41b17218, s4
	v_fma_f32 v14, |v5|, v14, 0xbf13c468
	v_sub_f32_e32 v12, v12, v13
	v_fma_f32 v12, |v5|, v14, -v12
.LBB142_218:
	s_or_b32 exec_lo, exec_lo, s3
	v_cmp_le_f32_e64 s2, 0, v5
	s_mov_b32 s4, exec_lo
	v_cmpx_nle_f32_e32 0, v5
	s_xor_b32 s5, exec_lo, s4
	s_cbranch_execz .LBB142_222
; %bb.219:
	v_cmp_gt_f32_e64 s3, 0x4b000000, |v5|
	v_cmp_lt_f32_e64 s4, 0x35000000, |v5|
	s_and_b32 s3, s3, s4
	s_and_saveexec_b32 s6, s3
	s_cbranch_execz .LBB142_221
; %bb.220:
	v_mul_f32_e64 v13, |v5|, 0.5
	s_mov_b32 s4, 0x3d4be544
	v_xor_b32_e32 v11, v11, v5
	v_floor_f32_e32 v14, v13
	v_cmp_neq_f32_e64 s3, 0x7f800000, v13
	v_sub_f32_e32 v14, v13, v14
	v_min_f32_e32 v14, 0x3f7fffff, v14
	v_add_f32_e32 v14, v14, v14
	v_cndmask_b32_e64 v13, 0, v14, s3
	v_cmp_gt_f32_e64 s3, |v5|, 1.0
	v_cndmask_b32_e64 v13, |v5|, v13, s3
	s_mov_b32 s3, 0x3e75aa41
	v_add_f32_e32 v14, v13, v13
	v_rndne_f32_e32 v14, v14
	v_fmac_f32_e32 v13, -0.5, v14
	v_cvt_i32_f32_e32 v14, v14
	v_mul_f32_e32 v15, v13, v13
	v_fmaak_f32 v16, s3, v15, 0xbf1f24be
	v_fmaak_f32 v17, s4, v15, 0x3e642e9d
	v_mul_f32_e32 v18, v13, v15
	v_fmaak_f32 v16, v15, v16, 0x40234736
	v_fmaak_f32 v17, v15, v17, 0xbfaad1da
	v_fmaak_f32 v16, v15, v16, 0xc0a55e0e
	v_fmaak_f32 v17, v15, v17, 0x4081e0d3
	v_mul_f32_e32 v16, v18, v16
	v_fmaak_f32 v17, v15, v17, 0xc09de9e6
	v_and_b32_e32 v18, 1, v14
	v_lshlrev_b32_e32 v14, 30, v14
	v_fmamk_f32 v13, v13, 0x40490fdb, v16
	v_fma_f32 v15, v15, v17, 1.0
	v_cmp_eq_u32_e64 s3, 0, v18
	v_and_b32_e32 v14, 0x80000000, v14
	v_cndmask_b32_e64 v13, v15, v13, s3
	v_xor3_b32 v11, v11, v14, v13
	v_mul_f32_e32 v11, v5, v11
	v_frexp_mant_f32_e64 v13, |v11|
	v_frexp_exp_i32_f32_e32 v11, v11
	v_rcp_f32_e32 v13, v13
	v_sub_nc_u32_e32 v11, 2, v11
	v_mul_f32_e32 v13, 0x3f490fdb, v13
	v_ldexp_f32 v11, v13, v11
	v_cmp_gt_f32_e64 s3, 0x800000, v11
	v_cndmask_b32_e64 v13, 0, 32, s3
	v_ldexp_f32 v11, v11, v13
	v_log_f32_e32 v11, v11
	v_mul_f32_e32 v13, 0x3f317217, v11
	v_cmp_gt_f32_e64 s4, 0x7f800000, |v11|
	v_fma_f32 v14, 0x3f317217, v11, -v13
	v_fmamk_f32 v14, v11, 0x3377d1cf, v14
	v_add_f32_e32 v13, v13, v14
	v_floor_f32_e32 v14, v5
	v_cndmask_b32_e64 v11, v11, v13, s4
	v_cndmask_b32_e64 v13, 0, 0x41b17218, s3
	v_sub_f32_e32 v14, v5, v14
	v_sub_f32_e32 v11, v11, v13
	v_min_f32_e32 v13, 0x3f7fffff, v14
	v_sub_f32_e32 v11, v11, v12
	v_cmp_neq_f32_e64 s3, 0, v13
	v_cndmask_b32_e64 v12, 0x7f800000, v11, s3
.LBB142_221:
	s_or_b32 exec_lo, exec_lo, s6
.LBB142_222:
	s_andn2_saveexec_b32 s5, s5
; %bb.223:
	v_cmp_eq_f32_e64 s3, 1.0, v5
	v_cmp_eq_f32_e64 s4, 2.0, v5
	s_or_b32 s3, s3, s4
	v_cndmask_b32_e64 v12, v12, 0, s3
; %bb.224:
	s_or_b32 exec_lo, exec_lo, s5
	v_cmp_gt_f32_e64 s3, 0x4b000000, |v7|
	v_cmp_gt_f32_e64 s4, 0x4b000000, |v8|
	;; [unrolled: 1-line block ×3, first 2 shown]
	s_or_b32 s1, s1, s3
	s_or_b32 s0, s0, s4
	v_cndmask_b32_e64 v10, 0x7f800000, v10, s1
	v_cmp_gt_f32_e64 s1, 0x4b000000, |v5|
	v_cndmask_b32_e64 v9, 0x7f800000, v9, s0
	v_cmp_class_f32_e64 s0, v7, 0x264
	s_or_b32 vcc_lo, vcc_lo, s5
	v_cndmask_b32_e32 v6, 0x7f800000, v6, vcc_lo
	s_or_b32 vcc_lo, s2, s1
	v_cndmask_b32_e64 v10, v10, 0x7f800000, s0
	v_cndmask_b32_e32 v11, 0x7f800000, v12, vcc_lo
	v_cmp_u_f32_e32 vcc_lo, v7, v7
	v_cmp_class_f32_e64 s0, v4, 0x264
	v_cndmask_b32_e32 v7, v10, v7, vcc_lo
	v_cndmask_b32_e64 v6, v6, 0x7f800000, s0
	v_cmp_class_f32_e64 s0, v8, 0x264
	v_cmp_u_f32_e32 vcc_lo, v4, v4
	v_cndmask_b32_e64 v9, v9, 0x7f800000, s0
	v_cmp_class_f32_e64 s0, v5, 0x264
	v_cndmask_b32_e32 v4, v6, v4, vcc_lo
	v_cmp_u_f32_e32 vcc_lo, v8, v8
	v_cndmask_b32_e64 v10, v11, 0x7f800000, s0
	v_cndmask_b32_e32 v6, v9, v8, vcc_lo
	v_cmp_u_f32_e32 vcc_lo, v5, v5
	v_cndmask_b32_e32 v5, v10, v5, vcc_lo
	global_store_dword v0, v4, s[8:9]
	global_store_dword v1, v6, s[8:9]
	;; [unrolled: 1-line block ×4, first 2 shown]
	s_endpgm
.LBB142_225:
	v_mov_b32_e32 v0, 0
	v_mov_b32_e32 v2, 0
	s_branch .LBB142_231
.LBB142_226:
	v_mov_b32_e32 v0, 0
	v_mov_b32_e32 v2, 0
	s_branch .LBB142_285
.LBB142_227:
	v_mov_b32_e32 v0, 0
	v_mov_b32_e32 v2, 0
	;; [unrolled: 1-line block ×3, first 2 shown]
	s_mov_b32 s31, 0
.LBB142_228:
	s_and_b32 s33, s33, 3
	s_cmp_eq_u32 s33, 0
	s_cbranch_scc1 .LBB142_231
; %bb.229:
	s_lshl_b32 s0, s31, 3
	s_mul_i32 s20, s31, 12
	s_add_u32 s0, s2, s0
	s_addc_u32 s1, s3, 0
	s_add_u32 s0, s0, 0xc4
	s_addc_u32 s1, s1, 0
	;; [unrolled: 2-line block ×3, first 2 shown]
	.p2align	6
.LBB142_230:                            ; =>This Inner Loop Header: Depth=1
	s_clause 0x1
	s_load_dwordx2 s[34:35], s[20:21], 0x4
	s_load_dword s31, s[20:21], 0xc
	s_load_dwordx2 s[36:37], s[0:1], 0x0
	s_add_u32 s20, s20, 12
	s_addc_u32 s21, s21, 0
	s_add_u32 s0, s0, 8
	s_addc_u32 s1, s1, 0
	s_add_i32 s33, s33, -1
	s_cmp_lg_u32 s33, 0
	s_waitcnt lgkmcnt(0)
	v_mul_hi_u32 v3, s35, v1
	v_add_nc_u32_e32 v3, v1, v3
	v_lshrrev_b32_e32 v5, s31, v3
	v_mul_lo_u32 v3, v5, s34
	v_sub_nc_u32_e32 v3, v1, v3
	v_mad_u64_u32 v[0:1], null, v3, s36, v[0:1]
	v_mad_u64_u32 v[2:3], null, v3, s37, v[2:3]
	v_mov_b32_e32 v1, v5
	s_cbranch_scc1 .LBB142_230
.LBB142_231:
	s_cbranch_execnz .LBB142_234
.LBB142_232:
	s_waitcnt lgkmcnt(0)
	v_mul_hi_u32 v0, s13, v4
	s_andn2_b32 vcc_lo, exec_lo, s26
	v_add_nc_u32_e32 v0, v4, v0
	v_lshrrev_b32_e32 v1, s14, v0
	v_mul_lo_u32 v0, v1, s12
	v_sub_nc_u32_e32 v2, v4, v0
	v_mul_lo_u32 v0, v2, s8
	v_mul_lo_u32 v2, v2, s9
	s_cbranch_vccnz .LBB142_234
; %bb.233:
	v_mul_hi_u32 v3, s16, v1
	v_add_nc_u32_e32 v3, v1, v3
	v_lshrrev_b32_e32 v3, s17, v3
	v_mul_lo_u32 v3, v3, s15
	v_sub_nc_u32_e32 v3, v1, v3
	v_mad_u64_u32 v[0:1], null, v3, s10, v[0:1]
	v_mad_u64_u32 v[2:3], null, v3, s11, v[2:3]
.LBB142_234:
	s_waitcnt lgkmcnt(0)
	global_load_dword v1, v2, s[6:7]
	s_mov_b32 s1, exec_lo
                                        ; implicit-def: $vgpr3
	s_waitcnt vmcnt(0)
	v_and_b32_e32 v2, 0x7fffffff, v1
	v_cmpx_ngt_f32_e64 0x3c800000, |v1|
	s_xor_b32 s1, exec_lo, s1
	s_cbranch_execz .LBB142_264
; %bb.235:
	s_mov_b32 s20, exec_lo
                                        ; implicit-def: $vgpr3
	v_cmpx_nlt_f32_e64 |v1|, 2.0
	s_xor_b32 s20, exec_lo, s20
	s_cbranch_execz .LBB142_245
; %bb.236:
	v_cmp_ngt_f32_e64 s0, 0x41000000, |v1|
                                        ; implicit-def: $vgpr3
	s_and_saveexec_b32 s21, s0
	s_xor_b32 s0, exec_lo, s21
	s_cbranch_execz .LBB142_242
; %bb.237:
	v_cmp_ngt_f32_e64 s21, 0x5c800000, |v1|
                                        ; implicit-def: $vgpr3
	s_and_saveexec_b32 s31, s21
	s_xor_b32 s21, exec_lo, s31
	s_cbranch_execz .LBB142_239
; %bb.238:
	v_cmp_gt_f32_e64 s31, 0x800000, |v1|
	v_cndmask_b32_e64 v3, 0, 32, s31
	v_ldexp_f32 v3, |v1|, v3
	v_log_f32_e32 v3, v3
	v_mul_f32_e32 v5, 0x3f317217, v3
	v_cmp_gt_f32_e64 vcc_lo, 0x7f800000, |v3|
	v_fma_f32 v6, 0x3f317217, v3, -v5
	v_fmamk_f32 v6, v3, 0x3377d1cf, v6
	v_add_f32_e32 v5, v5, v6
	v_cndmask_b32_e32 v3, v3, v5, vcc_lo
	v_cndmask_b32_e64 v5, 0, 0x41b17218, s31
	v_sub_f32_e32 v3, v3, v5
	v_fma_f32 v3, |v1|, v3, -|v1|
.LBB142_239:
	s_andn2_saveexec_b32 s21, s21
	s_cbranch_execz .LBB142_241
; %bb.240:
	v_cmp_gt_f32_e64 s31, 0x800000, |v1|
	v_rcp_f32_e64 v5, |v1|
	s_mov_b32 s33, 0xbad5c4e8
	v_cndmask_b32_e64 v3, 0, 32, s31
	v_ldexp_f32 v3, |v1|, v3
	v_mul_f32_e32 v6, v5, v5
	v_log_f32_e32 v3, v3
	v_fmaak_f32 v8, s33, v6, 0x3a5b3dd2
	v_fmaak_f32 v8, v6, v8, 0xba1c065c
	v_mul_f32_e32 v7, 0x3f317217, v3
	v_fmaak_f32 v8, v6, v8, 0x3a500cfd
	v_cmp_gt_f32_e64 vcc_lo, 0x7f800000, |v3|
	v_fma_f32 v9, 0x3f317217, v3, -v7
	v_fmaak_f32 v8, v6, v8, 0xbb360b61
	v_fmamk_f32 v9, v3, 0x3377d1cf, v9
	v_fmaak_f32 v6, v6, v8, 0x3daaaaab
	v_add_f32_e32 v7, v7, v9
	v_cndmask_b32_e32 v3, v3, v7, vcc_lo
	v_cndmask_b32_e64 v7, 0, 0x41b17218, s31
	v_sub_f32_e32 v7, v3, v7
	v_fmaak_f32 v3, v5, v6, 0x3ed67f1d
	v_add_f32_e64 v5, |v1|, -0.5
	v_add_f32_e32 v6, -1.0, v7
	v_fmac_f32_e32 v3, v5, v6
.LBB142_241:
	s_or_b32 exec_lo, exec_lo, s21
.LBB142_242:
	s_andn2_saveexec_b32 s21, s0
	s_cbranch_execz .LBB142_244
; %bb.243:
	v_cvt_i32_f32_e32 v3, v2
	s_mov_b32 s0, 0x36f5d7bd
	s_mov_b32 s31, 0x3805ff67
	v_cvt_f32_i32_e32 v5, v3
	v_cmp_lt_i32_e32 vcc_lo, 2, v3
	v_sub_f32_e64 v5, |v1|, v5
	v_add_f32_e32 v6, 2.0, v5
	v_add_f32_e32 v7, 0x40400000, v5
	v_add_f32_e32 v8, 4.0, v5
	v_add_f32_e32 v9, 0x40a00000, v5
	v_cndmask_b32_e32 v6, 1.0, v6, vcc_lo
	v_cmp_lt_i32_e32 vcc_lo, 3, v3
	v_cndmask_b32_e32 v7, 1.0, v7, vcc_lo
	v_cmp_lt_i32_e32 vcc_lo, 4, v3
	v_mul_f32_e32 v6, v6, v7
	v_cndmask_b32_e32 v8, 1.0, v8, vcc_lo
	v_cmp_lt_i32_e32 vcc_lo, 5, v3
	v_add_f32_e32 v7, 0x40c00000, v5
	v_mul_f32_e32 v6, v8, v6
	v_cndmask_b32_e32 v9, 1.0, v9, vcc_lo
	v_cmp_lt_i32_e32 vcc_lo, 6, v3
	v_fmaak_f32 v8, s31, v5, 0x3af135b4
	v_mul_f32_e32 v6, v9, v6
	v_cndmask_b32_e32 v3, 1.0, v7, vcc_lo
	v_mul_f32_e32 v3, v3, v6
	v_fmaak_f32 v6, s0, v5, 0x3a4beed6
	v_cmp_gt_f32_e32 vcc_lo, 0x800000, v3
	v_fmaak_f32 v6, v5, v6, 0x3c98bf54
	v_cndmask_b32_e64 v7, 0, 32, vcc_lo
	v_fmaak_f32 v6, v5, v6, 0x3e300f6e
	v_ldexp_f32 v3, v3, v7
	v_fmaak_f32 v7, v5, v8, 0x3cda40e4
	v_fmaak_f32 v6, v5, v6, 0x3f38d0c5
	v_log_f32_e32 v3, v3
	v_fmaak_f32 v7, v5, v7, 0x3e15dce6
	v_fmaak_f32 v6, v5, v6, 0x3fb22d3b
	;; [unrolled: 1-line block ×3, first 2 shown]
	v_fma_f32 v6, v5, v6, 1.0
	v_mul_f32_e32 v8, 0x3f317217, v3
	v_fmaak_f32 v7, v5, v7, 0x3e5c245a
	v_rcp_f32_e32 v6, v6
	v_cmp_gt_f32_e64 s0, 0x7f800000, |v3|
	v_fma_f32 v9, 0x3f317217, v3, -v8
	v_fmaak_f32 v7, v5, v7, 0xbd9e233f
	v_fmamk_f32 v9, v3, 0x3377d1cf, v9
	v_mul_f32_e32 v7, v5, v7
	v_add_f32_e32 v8, v8, v9
	v_mul_f32_e32 v6, v7, v6
	v_cndmask_b32_e64 v7, 0, 0x41b17218, vcc_lo
	v_cndmask_b32_e64 v3, v3, v8, s0
	v_fmac_f32_e32 v6, 0.5, v5
	v_sub_f32_e32 v3, v3, v7
	v_add_f32_e32 v3, v3, v6
.LBB142_244:
	s_or_b32 exec_lo, exec_lo, s21
.LBB142_245:
	s_andn2_saveexec_b32 s20, s20
	s_cbranch_execz .LBB142_263
; %bb.246:
	s_mov_b32 s21, exec_lo
                                        ; implicit-def: $vgpr3
                                        ; implicit-def: $vgpr6
                                        ; implicit-def: $vgpr5
	v_cmpx_ge_f32_e64 0x3f666666, |v1|
	s_xor_b32 s21, exec_lo, s21
	s_cbranch_execz .LBB142_248
; %bb.247:
	v_cmp_gt_f32_e64 s0, 0x800000, |v1|
	v_sub_f32_e64 v7, 1.0, |v1|
	v_cmp_gt_f32_e64 vcc_lo, 0x3f3b4a23, |v1|
	v_cndmask_b32_e64 v3, 0, 32, s0
	v_cndmask_b32_e64 v8, 0, 0x41b17218, s0
	v_ldexp_f32 v3, |v1|, v3
	v_log_f32_e32 v3, v3
	v_mul_f32_e32 v5, 0x3f317217, v3
	v_cmp_gt_f32_e64 s0, 0x7f800000, |v3|
	v_fma_f32 v6, 0x3f317217, v3, -v5
	v_fmamk_f32 v6, v3, 0x3377d1cf, v6
	v_add_f32_e32 v5, v5, v6
	v_add_f32_e64 v6, 0xbeec5b0c, |v1|
	v_cndmask_b32_e64 v3, v3, v5, s0
	v_cndmask_b32_e32 v5, v7, v6, vcc_lo
	v_cndmask_b32_e64 v6, 0, 1, vcc_lo
	v_cmp_gt_f32_e64 s0, 0x3e6d3309, |v1|
	v_sub_f32_e32 v3, v3, v8
	v_cndmask_b32_e64 v5, v5, |v1|, s0
	v_cndmask_b32_e64 v6, v6, 2, s0
	v_xor_b32_e32 v3, 0x80000000, v3
.LBB142_248:
	s_andn2_saveexec_b32 s0, s21
	s_cbranch_execz .LBB142_250
; %bb.249:
	v_sub_f32_e64 v3, 2.0, |v1|
	v_add_f32_e64 v5, 0xbfbb16c3, |v1|
	v_cmp_gt_f32_e64 vcc_lo, 0x3fdda512, |v1|
	v_add_f32_e64 v6, |v1|, -1.0
	v_cndmask_b32_e32 v5, v3, v5, vcc_lo
	v_cndmask_b32_e64 v3, v3, 1.0, vcc_lo
	v_cmp_gt_f32_e64 vcc_lo, 0x3f9d70a4, |v1|
	v_cvt_i32_f32_e32 v3, v3
	v_cndmask_b32_e32 v5, v5, v6, vcc_lo
	v_cndmask_b32_e64 v6, v3, 2, vcc_lo
	v_mov_b32_e32 v3, 0
.LBB142_250:
	s_or_b32 exec_lo, exec_lo, s0
	s_mov_b32 s0, exec_lo
	v_cmpx_lt_i32_e32 0, v6
	s_xor_b32 s0, exec_lo, s0
	s_cbranch_execz .LBB142_258
; %bb.251:
	s_mov_b32 s21, exec_lo
	v_cmpx_lt_i32_e32 1, v6
	s_xor_b32 s21, exec_lo, s21
	s_cbranch_execz .LBB142_255
; %bb.252:
	s_mov_b32 s31, exec_lo
	v_cmpx_eq_u32_e32 2, v6
	s_cbranch_execz .LBB142_254
; %bb.253:
	s_mov_b32 s33, 0x3b52d5db
	v_fmaak_f32 v6, s33, v5, 0x3dd572af
	s_mov_b32 s33, 0x3c5b3c5e
	v_fmaak_f32 v7, s33, v5, 0x3e6a7578
	v_fmaak_f32 v6, v5, v6, 0x3f44efdf
	;; [unrolled: 1-line block ×7, first 2 shown]
	v_fma_f32 v6, v5, v6, 1.0
	v_fmaak_f32 v7, v5, v7, 0xbd9e233f
	v_rcp_f32_e32 v6, v6
	v_mul_f32_e32 v7, v5, v7
	v_mul_f32_e32 v6, v7, v6
	v_fmac_f32_e32 v6, -0.5, v5
	v_add_f32_e32 v3, v3, v6
.LBB142_254:
	s_or_b32 exec_lo, exec_lo, s31
                                        ; implicit-def: $vgpr5
.LBB142_255:
	s_andn2_saveexec_b32 s21, s21
	s_cbranch_execz .LBB142_257
; %bb.256:
	v_mul_f32_e32 v6, v5, v5
	s_mov_b32 s31, 0xb9a3f927
	s_mov_b32 s33, 0x39afe9f7
	v_mul_f32_e32 v7, v5, v6
	v_fmaak_f32 v8, s31, v7, 0x3a66f867
	v_fmaak_f32 v9, s33, v7, 0xba0d3085
	s_mov_b32 s31, 0x39a57b6b
	v_fmaak_f32 v10, s31, v7, 0xbab7f476
	v_fmaak_f32 v8, v7, v8, 0xbb7177fe
	;; [unrolled: 1-line block ×9, first 2 shown]
	v_fmac_f32_e32 v8, v5, v9
	v_fmaak_f32 v5, v7, v10, 0x3ef7b95e
	v_fma_f32 v7, v7, -v8, 0xa2863e55
	v_fma_f32 v5, v6, v5, -v7
	v_add_f32_e32 v5, 0xbdf8cdce, v5
	v_add_f32_e32 v3, v3, v5
.LBB142_257:
	s_or_b32 exec_lo, exec_lo, s21
                                        ; implicit-def: $vgpr6
                                        ; implicit-def: $vgpr5
.LBB142_258:
	s_andn2_saveexec_b32 s0, s0
	s_cbranch_execz .LBB142_262
; %bb.259:
	s_mov_b32 s21, exec_lo
	v_cmpx_eq_u32_e32 0, v6
	s_cbranch_execz .LBB142_261
; %bb.260:
	v_mul_f32_e32 v6, v5, v5
	s_mov_b32 s31, 0x383c2c75
	v_fmaak_f32 v7, s31, v6, 0x38e28445
	s_mov_b32 s31, 0x37d383a2
	v_fmaak_f32 v8, s31, v6, 0x39679767
	v_fmaak_f32 v7, v6, v7, 0x3a05b634
	;; [unrolled: 1-line block ×9, first 2 shown]
	v_mul_f32_e32 v6, v6, v7
	v_fmac_f32_e32 v6, v5, v8
	v_fmac_f32_e32 v6, -0.5, v5
	v_add_f32_e32 v3, v3, v6
.LBB142_261:
	s_or_b32 exec_lo, exec_lo, s21
.LBB142_262:
	s_or_b32 exec_lo, exec_lo, s0
.LBB142_263:
	s_or_b32 exec_lo, exec_lo, s20
.LBB142_264:
	s_andn2_saveexec_b32 s0, s1
	s_cbranch_execz .LBB142_266
; %bb.265:
	v_cmp_gt_f32_e64 s1, 0x800000, |v1|
	s_mov_b32 s20, 0x3e8a8991
	v_fma_f32 v7, |v1|, s20, 0xbecd26ab
	v_cndmask_b32_e64 v3, 0, 32, s1
	v_ldexp_f32 v3, |v1|, v3
	v_log_f32_e32 v3, v3
	v_mul_f32_e32 v5, 0x3f317217, v3
	v_cmp_gt_f32_e64 vcc_lo, 0x7f800000, |v3|
	v_fma_f32 v6, 0x3f317217, v3, -v5
	v_fmamk_f32 v6, v3, 0x3377d1cf, v6
	v_add_f32_e32 v5, v5, v6
	v_fma_f32 v6, |v1|, v7, 0x3f528d33
	v_cndmask_b32_e32 v3, v3, v5, vcc_lo
	v_cndmask_b32_e64 v5, 0, 0x41b17218, s1
	v_fma_f32 v6, |v1|, v6, 0xbf13c468
	v_sub_f32_e32 v3, v3, v5
	v_fma_f32 v3, |v1|, v6, -v3
.LBB142_266:
	s_or_b32 exec_lo, exec_lo, s0
	v_cmp_le_f32_e32 vcc_lo, 0, v1
	s_mov_b32 s1, exec_lo
	v_cmpx_nle_f32_e32 0, v1
	s_xor_b32 s20, exec_lo, s1
	s_cbranch_execz .LBB142_270
; %bb.267:
	v_cmp_gt_f32_e64 s0, 0x4b000000, |v1|
	v_cmp_lt_f32_e64 s1, 0x35000000, |v1|
	s_and_b32 s0, s0, s1
	s_and_saveexec_b32 s21, s0
	s_cbranch_execz .LBB142_269
; %bb.268:
	v_mul_f32_e64 v5, |v1|, 0.5
	s_mov_b32 s1, 0x3d4be544
	v_xor_b32_e32 v2, v2, v1
	v_floor_f32_e32 v6, v5
	v_cmp_neq_f32_e64 s0, 0x7f800000, v5
	v_sub_f32_e32 v6, v5, v6
	v_min_f32_e32 v6, 0x3f7fffff, v6
	v_add_f32_e32 v6, v6, v6
	v_cndmask_b32_e64 v5, 0, v6, s0
	v_cmp_gt_f32_e64 s0, |v1|, 1.0
	v_cndmask_b32_e64 v5, |v1|, v5, s0
	s_mov_b32 s0, 0x3e75aa41
	v_add_f32_e32 v6, v5, v5
	v_rndne_f32_e32 v6, v6
	v_fmac_f32_e32 v5, -0.5, v6
	v_cvt_i32_f32_e32 v6, v6
	v_mul_f32_e32 v7, v5, v5
	v_fmaak_f32 v8, s0, v7, 0xbf1f24be
	v_fmaak_f32 v9, s1, v7, 0x3e642e9d
	v_mul_f32_e32 v10, v5, v7
	v_fmaak_f32 v8, v7, v8, 0x40234736
	v_fmaak_f32 v9, v7, v9, 0xbfaad1da
	;; [unrolled: 1-line block ×4, first 2 shown]
	v_mul_f32_e32 v8, v10, v8
	v_fmaak_f32 v9, v7, v9, 0xc09de9e6
	v_and_b32_e32 v10, 1, v6
	v_lshlrev_b32_e32 v6, 30, v6
	v_fmamk_f32 v5, v5, 0x40490fdb, v8
	v_fma_f32 v7, v7, v9, 1.0
	v_cmp_eq_u32_e64 s0, 0, v10
	v_and_b32_e32 v6, 0x80000000, v6
	v_cndmask_b32_e64 v5, v7, v5, s0
	v_xor3_b32 v2, v2, v6, v5
	v_mul_f32_e32 v2, v1, v2
	v_frexp_mant_f32_e64 v5, |v2|
	v_frexp_exp_i32_f32_e32 v2, v2
	v_rcp_f32_e32 v5, v5
	v_sub_nc_u32_e32 v2, 2, v2
	v_mul_f32_e32 v5, 0x3f490fdb, v5
	v_ldexp_f32 v2, v5, v2
	v_cmp_gt_f32_e64 s0, 0x800000, v2
	v_cndmask_b32_e64 v5, 0, 32, s0
	v_ldexp_f32 v2, v2, v5
	v_log_f32_e32 v2, v2
	v_mul_f32_e32 v5, 0x3f317217, v2
	v_cmp_gt_f32_e64 s1, 0x7f800000, |v2|
	v_fma_f32 v6, 0x3f317217, v2, -v5
	v_fmamk_f32 v6, v2, 0x3377d1cf, v6
	v_add_f32_e32 v5, v5, v6
	v_floor_f32_e32 v6, v1
	v_cndmask_b32_e64 v2, v2, v5, s1
	v_cndmask_b32_e64 v5, 0, 0x41b17218, s0
	v_sub_f32_e32 v6, v1, v6
	v_sub_f32_e32 v2, v2, v5
	v_min_f32_e32 v5, 0x3f7fffff, v6
	v_sub_f32_e32 v2, v2, v3
	v_cmp_neq_f32_e64 s0, 0, v5
	v_cndmask_b32_e64 v3, 0x7f800000, v2, s0
.LBB142_269:
	s_or_b32 exec_lo, exec_lo, s21
.LBB142_270:
	s_andn2_saveexec_b32 s20, s20
; %bb.271:
	v_cmp_eq_f32_e64 s0, 1.0, v1
	v_cmp_eq_f32_e64 s1, 2.0, v1
	s_or_b32 s0, s0, s1
	v_cndmask_b32_e64 v3, v3, 0, s0
; %bb.272:
	s_or_b32 exec_lo, exec_lo, s20
	v_cmp_gt_f32_e64 s0, 0x4b000000, |v1|
	v_add_nc_u32_e32 v4, 0x80, v4
	s_or_b32 vcc_lo, vcc_lo, s0
	v_cmp_class_f32_e64 s0, v1, 0x264
	v_cndmask_b32_e32 v2, 0x7f800000, v3, vcc_lo
	v_cmp_u_f32_e32 vcc_lo, v1, v1
	v_cndmask_b32_e64 v2, v2, 0x7f800000, s0
	v_cndmask_b32_e32 v1, v2, v1, vcc_lo
	global_store_dword v0, v1, s[4:5]
	s_or_b32 exec_lo, exec_lo, s30
	s_mov_b32 s30, exec_lo
	v_cmpx_gt_i32_e64 s27, v4
	s_cbranch_execnz .LBB142_15
.LBB142_273:
	s_or_b32 exec_lo, exec_lo, s30
	s_mov_b32 s30, exec_lo
	v_cmpx_gt_i32_e64 s27, v4
	s_cbranch_execz .LBB142_327
.LBB142_274:
	s_andn2_b32 vcc_lo, exec_lo, s24
	s_cbranch_vccnz .LBB142_279
; %bb.275:
	s_andn2_b32 vcc_lo, exec_lo, s29
	s_cbranch_vccnz .LBB142_280
; %bb.276:
	s_add_i32 s33, s28, 1
	s_cmp_eq_u32 s23, 2
	s_cbranch_scc1 .LBB142_330
; %bb.277:
	v_mov_b32_e32 v2, 0
	v_mov_b32_e32 v0, 0
	;; [unrolled: 1-line block ×3, first 2 shown]
	s_and_b32 s31, s33, 28
	s_mov_b32 s34, 0
	s_mov_b64 s[0:1], s[2:3]
	s_mov_b64 s[20:21], s[18:19]
.LBB142_278:                            ; =>This Inner Loop Header: Depth=1
	s_clause 0x1
	s_load_dwordx8 s[36:43], s[0:1], 0x4
	s_load_dwordx4 s[52:55], s[0:1], 0x24
	s_load_dwordx8 s[44:51], s[20:21], 0x0
	s_add_u32 s0, s0, 48
	s_addc_u32 s1, s1, 0
	s_add_i32 s34, s34, 4
	s_add_u32 s20, s20, 32
	s_addc_u32 s21, s21, 0
	s_cmp_eq_u32 s31, s34
	s_waitcnt lgkmcnt(0)
	v_mul_hi_u32 v3, s37, v1
	v_add_nc_u32_e32 v3, v1, v3
	v_lshrrev_b32_e32 v3, s38, v3
	v_mul_hi_u32 v5, s40, v3
	v_mul_lo_u32 v7, v3, s36
	v_add_nc_u32_e32 v5, v3, v5
	v_sub_nc_u32_e32 v1, v1, v7
	v_lshrrev_b32_e32 v5, s41, v5
	v_mul_lo_u32 v7, v1, s44
	v_mul_lo_u32 v9, v1, s45
	v_mul_hi_u32 v6, s43, v5
	v_add_nc_u32_e32 v6, v5, v6
	v_lshrrev_b32_e32 v6, s52, v6
	v_mul_hi_u32 v8, s54, v6
	v_mul_lo_u32 v10, v6, s42
	v_add_nc_u32_e32 v1, v6, v8
	v_mul_lo_u32 v8, v5, s39
	v_sub_nc_u32_e32 v5, v5, v10
	v_lshrrev_b32_e32 v1, s55, v1
	v_mul_lo_u32 v10, v5, s48
	v_mul_lo_u32 v5, v5, s49
	v_sub_nc_u32_e32 v3, v3, v8
	v_mul_lo_u32 v11, v1, s53
	v_mul_lo_u32 v8, v3, s46
	;; [unrolled: 1-line block ×3, first 2 shown]
	v_sub_nc_u32_e32 v6, v6, v11
	v_add3_u32 v0, v7, v0, v8
	v_mul_lo_u32 v11, v6, s50
	v_mul_lo_u32 v6, v6, s51
	v_add3_u32 v2, v9, v2, v3
	v_add3_u32 v0, v10, v0, v11
	;; [unrolled: 1-line block ×3, first 2 shown]
	s_cbranch_scc0 .LBB142_278
	s_branch .LBB142_331
.LBB142_279:
                                        ; implicit-def: $vgpr0
                                        ; implicit-def: $vgpr2
	s_branch .LBB142_335
.LBB142_280:
	v_mov_b32_e32 v0, 0
	v_mov_b32_e32 v2, 0
	s_branch .LBB142_334
.LBB142_281:
	v_mov_b32_e32 v0, 0
	v_mov_b32_e32 v2, 0
	;; [unrolled: 1-line block ×3, first 2 shown]
	s_mov_b32 s31, 0
.LBB142_282:
	s_and_b32 s33, s33, 3
	s_cmp_eq_u32 s33, 0
	s_cbranch_scc1 .LBB142_285
; %bb.283:
	s_lshl_b32 s0, s31, 3
	s_mul_i32 s20, s31, 12
	s_add_u32 s0, s2, s0
	s_addc_u32 s1, s3, 0
	s_add_u32 s0, s0, 0xc4
	s_addc_u32 s1, s1, 0
	;; [unrolled: 2-line block ×3, first 2 shown]
	.p2align	6
.LBB142_284:                            ; =>This Inner Loop Header: Depth=1
	s_clause 0x1
	s_load_dwordx2 s[34:35], s[20:21], 0x4
	s_load_dword s31, s[20:21], 0xc
	s_load_dwordx2 s[36:37], s[0:1], 0x0
	s_add_u32 s20, s20, 12
	s_addc_u32 s21, s21, 0
	s_add_u32 s0, s0, 8
	s_addc_u32 s1, s1, 0
	s_add_i32 s33, s33, -1
	s_cmp_lg_u32 s33, 0
	s_waitcnt lgkmcnt(0)
	v_mul_hi_u32 v3, s35, v1
	v_add_nc_u32_e32 v3, v1, v3
	v_lshrrev_b32_e32 v5, s31, v3
	v_mul_lo_u32 v3, v5, s34
	v_sub_nc_u32_e32 v3, v1, v3
	v_mad_u64_u32 v[0:1], null, v3, s36, v[0:1]
	v_mad_u64_u32 v[2:3], null, v3, s37, v[2:3]
	v_mov_b32_e32 v1, v5
	s_cbranch_scc1 .LBB142_284
.LBB142_285:
	s_cbranch_execnz .LBB142_288
.LBB142_286:
	s_waitcnt lgkmcnt(0)
	v_mul_hi_u32 v0, s13, v4
	s_andn2_b32 vcc_lo, exec_lo, s26
	v_add_nc_u32_e32 v0, v4, v0
	v_lshrrev_b32_e32 v1, s14, v0
	v_mul_lo_u32 v0, v1, s12
	v_sub_nc_u32_e32 v2, v4, v0
	v_mul_lo_u32 v0, v2, s8
	v_mul_lo_u32 v2, v2, s9
	s_cbranch_vccnz .LBB142_288
; %bb.287:
	v_mul_hi_u32 v3, s16, v1
	v_add_nc_u32_e32 v3, v1, v3
	v_lshrrev_b32_e32 v3, s17, v3
	v_mul_lo_u32 v3, v3, s15
	v_sub_nc_u32_e32 v3, v1, v3
	v_mad_u64_u32 v[0:1], null, v3, s10, v[0:1]
	v_mad_u64_u32 v[2:3], null, v3, s11, v[2:3]
.LBB142_288:
	s_waitcnt lgkmcnt(0)
	global_load_dword v1, v2, s[6:7]
	s_mov_b32 s1, exec_lo
                                        ; implicit-def: $vgpr3
	s_waitcnt vmcnt(0)
	v_and_b32_e32 v2, 0x7fffffff, v1
	v_cmpx_ngt_f32_e64 0x3c800000, |v1|
	s_xor_b32 s1, exec_lo, s1
	s_cbranch_execz .LBB142_318
; %bb.289:
	s_mov_b32 s20, exec_lo
                                        ; implicit-def: $vgpr3
	v_cmpx_nlt_f32_e64 |v1|, 2.0
	s_xor_b32 s20, exec_lo, s20
	s_cbranch_execz .LBB142_299
; %bb.290:
	v_cmp_ngt_f32_e64 s0, 0x41000000, |v1|
                                        ; implicit-def: $vgpr3
	s_and_saveexec_b32 s21, s0
	s_xor_b32 s0, exec_lo, s21
	s_cbranch_execz .LBB142_296
; %bb.291:
	v_cmp_ngt_f32_e64 s21, 0x5c800000, |v1|
                                        ; implicit-def: $vgpr3
	s_and_saveexec_b32 s31, s21
	s_xor_b32 s21, exec_lo, s31
	s_cbranch_execz .LBB142_293
; %bb.292:
	v_cmp_gt_f32_e64 s31, 0x800000, |v1|
	v_cndmask_b32_e64 v3, 0, 32, s31
	v_ldexp_f32 v3, |v1|, v3
	v_log_f32_e32 v3, v3
	v_mul_f32_e32 v5, 0x3f317217, v3
	v_cmp_gt_f32_e64 vcc_lo, 0x7f800000, |v3|
	v_fma_f32 v6, 0x3f317217, v3, -v5
	v_fmamk_f32 v6, v3, 0x3377d1cf, v6
	v_add_f32_e32 v5, v5, v6
	v_cndmask_b32_e32 v3, v3, v5, vcc_lo
	v_cndmask_b32_e64 v5, 0, 0x41b17218, s31
	v_sub_f32_e32 v3, v3, v5
	v_fma_f32 v3, |v1|, v3, -|v1|
.LBB142_293:
	s_andn2_saveexec_b32 s21, s21
	s_cbranch_execz .LBB142_295
; %bb.294:
	v_cmp_gt_f32_e64 s31, 0x800000, |v1|
	v_rcp_f32_e64 v5, |v1|
	s_mov_b32 s33, 0xbad5c4e8
	v_cndmask_b32_e64 v3, 0, 32, s31
	v_ldexp_f32 v3, |v1|, v3
	v_mul_f32_e32 v6, v5, v5
	v_log_f32_e32 v3, v3
	v_fmaak_f32 v8, s33, v6, 0x3a5b3dd2
	v_fmaak_f32 v8, v6, v8, 0xba1c065c
	v_mul_f32_e32 v7, 0x3f317217, v3
	v_fmaak_f32 v8, v6, v8, 0x3a500cfd
	v_cmp_gt_f32_e64 vcc_lo, 0x7f800000, |v3|
	v_fma_f32 v9, 0x3f317217, v3, -v7
	v_fmaak_f32 v8, v6, v8, 0xbb360b61
	v_fmamk_f32 v9, v3, 0x3377d1cf, v9
	v_fmaak_f32 v6, v6, v8, 0x3daaaaab
	v_add_f32_e32 v7, v7, v9
	v_cndmask_b32_e32 v3, v3, v7, vcc_lo
	v_cndmask_b32_e64 v7, 0, 0x41b17218, s31
	v_sub_f32_e32 v7, v3, v7
	v_fmaak_f32 v3, v5, v6, 0x3ed67f1d
	v_add_f32_e64 v5, |v1|, -0.5
	v_add_f32_e32 v6, -1.0, v7
	v_fmac_f32_e32 v3, v5, v6
.LBB142_295:
	s_or_b32 exec_lo, exec_lo, s21
.LBB142_296:
	s_andn2_saveexec_b32 s21, s0
	s_cbranch_execz .LBB142_298
; %bb.297:
	v_cvt_i32_f32_e32 v3, v2
	s_mov_b32 s0, 0x36f5d7bd
	s_mov_b32 s31, 0x3805ff67
	v_cvt_f32_i32_e32 v5, v3
	v_cmp_lt_i32_e32 vcc_lo, 2, v3
	v_sub_f32_e64 v5, |v1|, v5
	v_add_f32_e32 v6, 2.0, v5
	v_add_f32_e32 v7, 0x40400000, v5
	v_add_f32_e32 v8, 4.0, v5
	v_add_f32_e32 v9, 0x40a00000, v5
	v_cndmask_b32_e32 v6, 1.0, v6, vcc_lo
	v_cmp_lt_i32_e32 vcc_lo, 3, v3
	v_cndmask_b32_e32 v7, 1.0, v7, vcc_lo
	v_cmp_lt_i32_e32 vcc_lo, 4, v3
	v_mul_f32_e32 v6, v6, v7
	v_cndmask_b32_e32 v8, 1.0, v8, vcc_lo
	v_cmp_lt_i32_e32 vcc_lo, 5, v3
	v_add_f32_e32 v7, 0x40c00000, v5
	v_mul_f32_e32 v6, v8, v6
	v_cndmask_b32_e32 v9, 1.0, v9, vcc_lo
	v_cmp_lt_i32_e32 vcc_lo, 6, v3
	v_fmaak_f32 v8, s31, v5, 0x3af135b4
	v_mul_f32_e32 v6, v9, v6
	v_cndmask_b32_e32 v3, 1.0, v7, vcc_lo
	v_mul_f32_e32 v3, v3, v6
	v_fmaak_f32 v6, s0, v5, 0x3a4beed6
	v_cmp_gt_f32_e32 vcc_lo, 0x800000, v3
	v_fmaak_f32 v6, v5, v6, 0x3c98bf54
	v_cndmask_b32_e64 v7, 0, 32, vcc_lo
	v_fmaak_f32 v6, v5, v6, 0x3e300f6e
	v_ldexp_f32 v3, v3, v7
	v_fmaak_f32 v7, v5, v8, 0x3cda40e4
	v_fmaak_f32 v6, v5, v6, 0x3f38d0c5
	v_log_f32_e32 v3, v3
	v_fmaak_f32 v7, v5, v7, 0x3e15dce6
	v_fmaak_f32 v6, v5, v6, 0x3fb22d3b
	;; [unrolled: 1-line block ×3, first 2 shown]
	v_fma_f32 v6, v5, v6, 1.0
	v_mul_f32_e32 v8, 0x3f317217, v3
	v_fmaak_f32 v7, v5, v7, 0x3e5c245a
	v_rcp_f32_e32 v6, v6
	v_cmp_gt_f32_e64 s0, 0x7f800000, |v3|
	v_fma_f32 v9, 0x3f317217, v3, -v8
	v_fmaak_f32 v7, v5, v7, 0xbd9e233f
	v_fmamk_f32 v9, v3, 0x3377d1cf, v9
	v_mul_f32_e32 v7, v5, v7
	v_add_f32_e32 v8, v8, v9
	v_mul_f32_e32 v6, v7, v6
	v_cndmask_b32_e64 v7, 0, 0x41b17218, vcc_lo
	v_cndmask_b32_e64 v3, v3, v8, s0
	v_fmac_f32_e32 v6, 0.5, v5
	v_sub_f32_e32 v3, v3, v7
	v_add_f32_e32 v3, v3, v6
.LBB142_298:
	s_or_b32 exec_lo, exec_lo, s21
.LBB142_299:
	s_andn2_saveexec_b32 s20, s20
	s_cbranch_execz .LBB142_317
; %bb.300:
	s_mov_b32 s21, exec_lo
                                        ; implicit-def: $vgpr3
                                        ; implicit-def: $vgpr6
                                        ; implicit-def: $vgpr5
	v_cmpx_ge_f32_e64 0x3f666666, |v1|
	s_xor_b32 s21, exec_lo, s21
	s_cbranch_execz .LBB142_302
; %bb.301:
	v_cmp_gt_f32_e64 s0, 0x800000, |v1|
	v_sub_f32_e64 v7, 1.0, |v1|
	v_cmp_gt_f32_e64 vcc_lo, 0x3f3b4a23, |v1|
	v_cndmask_b32_e64 v3, 0, 32, s0
	v_cndmask_b32_e64 v8, 0, 0x41b17218, s0
	v_ldexp_f32 v3, |v1|, v3
	v_log_f32_e32 v3, v3
	v_mul_f32_e32 v5, 0x3f317217, v3
	v_cmp_gt_f32_e64 s0, 0x7f800000, |v3|
	v_fma_f32 v6, 0x3f317217, v3, -v5
	v_fmamk_f32 v6, v3, 0x3377d1cf, v6
	v_add_f32_e32 v5, v5, v6
	v_add_f32_e64 v6, 0xbeec5b0c, |v1|
	v_cndmask_b32_e64 v3, v3, v5, s0
	v_cndmask_b32_e32 v5, v7, v6, vcc_lo
	v_cndmask_b32_e64 v6, 0, 1, vcc_lo
	v_cmp_gt_f32_e64 s0, 0x3e6d3309, |v1|
	v_sub_f32_e32 v3, v3, v8
	v_cndmask_b32_e64 v5, v5, |v1|, s0
	v_cndmask_b32_e64 v6, v6, 2, s0
	v_xor_b32_e32 v3, 0x80000000, v3
.LBB142_302:
	s_andn2_saveexec_b32 s0, s21
	s_cbranch_execz .LBB142_304
; %bb.303:
	v_sub_f32_e64 v3, 2.0, |v1|
	v_add_f32_e64 v5, 0xbfbb16c3, |v1|
	v_cmp_gt_f32_e64 vcc_lo, 0x3fdda512, |v1|
	v_add_f32_e64 v6, |v1|, -1.0
	v_cndmask_b32_e32 v5, v3, v5, vcc_lo
	v_cndmask_b32_e64 v3, v3, 1.0, vcc_lo
	v_cmp_gt_f32_e64 vcc_lo, 0x3f9d70a4, |v1|
	v_cvt_i32_f32_e32 v3, v3
	v_cndmask_b32_e32 v5, v5, v6, vcc_lo
	v_cndmask_b32_e64 v6, v3, 2, vcc_lo
	v_mov_b32_e32 v3, 0
.LBB142_304:
	s_or_b32 exec_lo, exec_lo, s0
	s_mov_b32 s0, exec_lo
	v_cmpx_lt_i32_e32 0, v6
	s_xor_b32 s0, exec_lo, s0
	s_cbranch_execz .LBB142_312
; %bb.305:
	s_mov_b32 s21, exec_lo
	v_cmpx_lt_i32_e32 1, v6
	s_xor_b32 s21, exec_lo, s21
	s_cbranch_execz .LBB142_309
; %bb.306:
	s_mov_b32 s31, exec_lo
	v_cmpx_eq_u32_e32 2, v6
	s_cbranch_execz .LBB142_308
; %bb.307:
	s_mov_b32 s33, 0x3b52d5db
	v_fmaak_f32 v6, s33, v5, 0x3dd572af
	s_mov_b32 s33, 0x3c5b3c5e
	v_fmaak_f32 v7, s33, v5, 0x3e6a7578
	v_fmaak_f32 v6, v5, v6, 0x3f44efdf
	v_fmaak_f32 v7, v5, v7, 0x3f7a4bb2
	v_fmaak_f32 v6, v5, v6, 0x4008392d
	v_fmaak_f32 v7, v5, v7, 0x3fba3ae7
	v_fmaak_f32 v6, v5, v6, 0x401d2ebe
	v_fmaak_f32 v7, v5, v7, 0x3f2200f4
	v_fma_f32 v6, v5, v6, 1.0
	v_fmaak_f32 v7, v5, v7, 0xbd9e233f
	v_rcp_f32_e32 v6, v6
	v_mul_f32_e32 v7, v5, v7
	v_mul_f32_e32 v6, v7, v6
	v_fmac_f32_e32 v6, -0.5, v5
	v_add_f32_e32 v3, v3, v6
.LBB142_308:
	s_or_b32 exec_lo, exec_lo, s31
                                        ; implicit-def: $vgpr5
.LBB142_309:
	s_andn2_saveexec_b32 s21, s21
	s_cbranch_execz .LBB142_311
; %bb.310:
	v_mul_f32_e32 v6, v5, v5
	s_mov_b32 s31, 0xb9a3f927
	s_mov_b32 s33, 0x39afe9f7
	v_mul_f32_e32 v7, v5, v6
	v_fmaak_f32 v8, s31, v7, 0x3a66f867
	v_fmaak_f32 v9, s33, v7, 0xba0d3085
	s_mov_b32 s31, 0x39a57b6b
	v_fmaak_f32 v10, s31, v7, 0xbab7f476
	v_fmaak_f32 v8, v7, v8, 0xbb7177fe
	v_fmaak_f32 v9, v7, v9, 0x3b141699
	v_fmaak_f32 v10, v7, v10, 0x3bc7e707
	v_fmaak_f32 v8, v7, v8, 0x3c93373d
	v_fmaak_f32 v9, v7, v9, 0xbc28fcfe
	v_fmaak_f32 v10, v7, v10, 0xbd064d47
	v_fmaak_f32 v8, v7, v8, 0xbe17213c
	v_fmaak_f32 v9, v7, v9, 0x3d845a15
	v_fmac_f32_e32 v8, v5, v9
	v_fmaak_f32 v5, v7, v10, 0x3ef7b95e
	v_fma_f32 v7, v7, -v8, 0xa2863e55
	v_fma_f32 v5, v6, v5, -v7
	v_add_f32_e32 v5, 0xbdf8cdce, v5
	v_add_f32_e32 v3, v3, v5
.LBB142_311:
	s_or_b32 exec_lo, exec_lo, s21
                                        ; implicit-def: $vgpr6
                                        ; implicit-def: $vgpr5
.LBB142_312:
	s_andn2_saveexec_b32 s0, s0
	s_cbranch_execz .LBB142_316
; %bb.313:
	s_mov_b32 s21, exec_lo
	v_cmpx_eq_u32_e32 0, v6
	s_cbranch_execz .LBB142_315
; %bb.314:
	v_mul_f32_e32 v6, v5, v5
	s_mov_b32 s31, 0x383c2c75
	v_fmaak_f32 v7, s31, v6, 0x38e28445
	s_mov_b32 s31, 0x37d383a2
	v_fmaak_f32 v8, s31, v6, 0x39679767
	v_fmaak_f32 v7, v6, v7, 0x3a05b634
	;; [unrolled: 1-line block ×9, first 2 shown]
	v_mul_f32_e32 v6, v6, v7
	v_fmac_f32_e32 v6, v5, v8
	v_fmac_f32_e32 v6, -0.5, v5
	v_add_f32_e32 v3, v3, v6
.LBB142_315:
	s_or_b32 exec_lo, exec_lo, s21
.LBB142_316:
	s_or_b32 exec_lo, exec_lo, s0
.LBB142_317:
	s_or_b32 exec_lo, exec_lo, s20
.LBB142_318:
	s_andn2_saveexec_b32 s0, s1
	s_cbranch_execz .LBB142_320
; %bb.319:
	v_cmp_gt_f32_e64 s1, 0x800000, |v1|
	s_mov_b32 s20, 0x3e8a8991
	v_fma_f32 v7, |v1|, s20, 0xbecd26ab
	v_cndmask_b32_e64 v3, 0, 32, s1
	v_ldexp_f32 v3, |v1|, v3
	v_log_f32_e32 v3, v3
	v_mul_f32_e32 v5, 0x3f317217, v3
	v_cmp_gt_f32_e64 vcc_lo, 0x7f800000, |v3|
	v_fma_f32 v6, 0x3f317217, v3, -v5
	v_fmamk_f32 v6, v3, 0x3377d1cf, v6
	v_add_f32_e32 v5, v5, v6
	v_fma_f32 v6, |v1|, v7, 0x3f528d33
	v_cndmask_b32_e32 v3, v3, v5, vcc_lo
	v_cndmask_b32_e64 v5, 0, 0x41b17218, s1
	v_fma_f32 v6, |v1|, v6, 0xbf13c468
	v_sub_f32_e32 v3, v3, v5
	v_fma_f32 v3, |v1|, v6, -v3
.LBB142_320:
	s_or_b32 exec_lo, exec_lo, s0
	v_cmp_le_f32_e32 vcc_lo, 0, v1
	s_mov_b32 s1, exec_lo
	v_cmpx_nle_f32_e32 0, v1
	s_xor_b32 s20, exec_lo, s1
	s_cbranch_execz .LBB142_324
; %bb.321:
	v_cmp_gt_f32_e64 s0, 0x4b000000, |v1|
	v_cmp_lt_f32_e64 s1, 0x35000000, |v1|
	s_and_b32 s0, s0, s1
	s_and_saveexec_b32 s21, s0
	s_cbranch_execz .LBB142_323
; %bb.322:
	v_mul_f32_e64 v5, |v1|, 0.5
	s_mov_b32 s1, 0x3d4be544
	v_xor_b32_e32 v2, v2, v1
	v_floor_f32_e32 v6, v5
	v_cmp_neq_f32_e64 s0, 0x7f800000, v5
	v_sub_f32_e32 v6, v5, v6
	v_min_f32_e32 v6, 0x3f7fffff, v6
	v_add_f32_e32 v6, v6, v6
	v_cndmask_b32_e64 v5, 0, v6, s0
	v_cmp_gt_f32_e64 s0, |v1|, 1.0
	v_cndmask_b32_e64 v5, |v1|, v5, s0
	s_mov_b32 s0, 0x3e75aa41
	v_add_f32_e32 v6, v5, v5
	v_rndne_f32_e32 v6, v6
	v_fmac_f32_e32 v5, -0.5, v6
	v_cvt_i32_f32_e32 v6, v6
	v_mul_f32_e32 v7, v5, v5
	v_fmaak_f32 v8, s0, v7, 0xbf1f24be
	v_fmaak_f32 v9, s1, v7, 0x3e642e9d
	v_mul_f32_e32 v10, v5, v7
	v_fmaak_f32 v8, v7, v8, 0x40234736
	v_fmaak_f32 v9, v7, v9, 0xbfaad1da
	;; [unrolled: 1-line block ×4, first 2 shown]
	v_mul_f32_e32 v8, v10, v8
	v_fmaak_f32 v9, v7, v9, 0xc09de9e6
	v_and_b32_e32 v10, 1, v6
	v_lshlrev_b32_e32 v6, 30, v6
	v_fmamk_f32 v5, v5, 0x40490fdb, v8
	v_fma_f32 v7, v7, v9, 1.0
	v_cmp_eq_u32_e64 s0, 0, v10
	v_and_b32_e32 v6, 0x80000000, v6
	v_cndmask_b32_e64 v5, v7, v5, s0
	v_xor3_b32 v2, v2, v6, v5
	v_mul_f32_e32 v2, v1, v2
	v_frexp_mant_f32_e64 v5, |v2|
	v_frexp_exp_i32_f32_e32 v2, v2
	v_rcp_f32_e32 v5, v5
	v_sub_nc_u32_e32 v2, 2, v2
	v_mul_f32_e32 v5, 0x3f490fdb, v5
	v_ldexp_f32 v2, v5, v2
	v_cmp_gt_f32_e64 s0, 0x800000, v2
	v_cndmask_b32_e64 v5, 0, 32, s0
	v_ldexp_f32 v2, v2, v5
	v_log_f32_e32 v2, v2
	v_mul_f32_e32 v5, 0x3f317217, v2
	v_cmp_gt_f32_e64 s1, 0x7f800000, |v2|
	v_fma_f32 v6, 0x3f317217, v2, -v5
	v_fmamk_f32 v6, v2, 0x3377d1cf, v6
	v_add_f32_e32 v5, v5, v6
	v_floor_f32_e32 v6, v1
	v_cndmask_b32_e64 v2, v2, v5, s1
	v_cndmask_b32_e64 v5, 0, 0x41b17218, s0
	v_sub_f32_e32 v6, v1, v6
	v_sub_f32_e32 v2, v2, v5
	v_min_f32_e32 v5, 0x3f7fffff, v6
	v_sub_f32_e32 v2, v2, v3
	v_cmp_neq_f32_e64 s0, 0, v5
	v_cndmask_b32_e64 v3, 0x7f800000, v2, s0
.LBB142_323:
	s_or_b32 exec_lo, exec_lo, s21
.LBB142_324:
	s_andn2_saveexec_b32 s20, s20
; %bb.325:
	v_cmp_eq_f32_e64 s0, 1.0, v1
	v_cmp_eq_f32_e64 s1, 2.0, v1
	s_or_b32 s0, s0, s1
	v_cndmask_b32_e64 v3, v3, 0, s0
; %bb.326:
	s_or_b32 exec_lo, exec_lo, s20
	v_cmp_gt_f32_e64 s0, 0x4b000000, |v1|
	v_add_nc_u32_e32 v4, 0x80, v4
	s_or_b32 vcc_lo, vcc_lo, s0
	v_cmp_class_f32_e64 s0, v1, 0x264
	v_cndmask_b32_e32 v2, 0x7f800000, v3, vcc_lo
	v_cmp_u_f32_e32 vcc_lo, v1, v1
	v_cndmask_b32_e64 v2, v2, 0x7f800000, s0
	v_cndmask_b32_e32 v1, v2, v1, vcc_lo
	global_store_dword v0, v1, s[4:5]
	s_or_b32 exec_lo, exec_lo, s30
	s_mov_b32 s30, exec_lo
	v_cmpx_gt_i32_e64 s27, v4
	s_cbranch_execnz .LBB142_274
.LBB142_327:
	s_or_b32 exec_lo, exec_lo, s30
	s_mov_b32 s20, exec_lo
	v_cmpx_gt_i32_e64 s27, v4
	s_cbranch_execnz .LBB142_376
.LBB142_328:
	s_or_b32 exec_lo, exec_lo, s20
                                        ; implicit-def: $vgpr13
                                        ; implicit-def: $vgpr4
	s_andn2_saveexec_b32 s0, s25
	s_cbranch_execnz .LBB142_8
.LBB142_329:
	s_endpgm
.LBB142_330:
	v_mov_b32_e32 v0, 0
	v_mov_b32_e32 v2, 0
	;; [unrolled: 1-line block ×3, first 2 shown]
	s_mov_b32 s31, 0
.LBB142_331:
	s_and_b32 s33, s33, 3
	s_cmp_eq_u32 s33, 0
	s_cbranch_scc1 .LBB142_334
; %bb.332:
	s_lshl_b32 s0, s31, 3
	s_mul_i32 s20, s31, 12
	s_add_u32 s0, s2, s0
	s_addc_u32 s1, s3, 0
	s_add_u32 s0, s0, 0xc4
	s_addc_u32 s1, s1, 0
	;; [unrolled: 2-line block ×3, first 2 shown]
	.p2align	6
.LBB142_333:                            ; =>This Inner Loop Header: Depth=1
	s_clause 0x1
	s_load_dwordx2 s[34:35], s[20:21], 0x4
	s_load_dword s31, s[20:21], 0xc
	s_load_dwordx2 s[36:37], s[0:1], 0x0
	s_add_u32 s20, s20, 12
	s_addc_u32 s21, s21, 0
	s_add_u32 s0, s0, 8
	s_addc_u32 s1, s1, 0
	s_add_i32 s33, s33, -1
	s_cmp_lg_u32 s33, 0
	s_waitcnt lgkmcnt(0)
	v_mul_hi_u32 v3, s35, v1
	v_add_nc_u32_e32 v3, v1, v3
	v_lshrrev_b32_e32 v5, s31, v3
	v_mul_lo_u32 v3, v5, s34
	v_sub_nc_u32_e32 v3, v1, v3
	v_mad_u64_u32 v[0:1], null, v3, s36, v[0:1]
	v_mad_u64_u32 v[2:3], null, v3, s37, v[2:3]
	v_mov_b32_e32 v1, v5
	s_cbranch_scc1 .LBB142_333
.LBB142_334:
	s_cbranch_execnz .LBB142_337
.LBB142_335:
	s_waitcnt lgkmcnt(0)
	v_mul_hi_u32 v0, s13, v4
	s_andn2_b32 vcc_lo, exec_lo, s26
	v_add_nc_u32_e32 v0, v4, v0
	v_lshrrev_b32_e32 v1, s14, v0
	v_mul_lo_u32 v0, v1, s12
	v_sub_nc_u32_e32 v2, v4, v0
	v_mul_lo_u32 v0, v2, s8
	v_mul_lo_u32 v2, v2, s9
	s_cbranch_vccnz .LBB142_337
; %bb.336:
	v_mul_hi_u32 v3, s16, v1
	v_add_nc_u32_e32 v3, v1, v3
	v_lshrrev_b32_e32 v3, s17, v3
	v_mul_lo_u32 v3, v3, s15
	v_sub_nc_u32_e32 v3, v1, v3
	v_mad_u64_u32 v[0:1], null, v3, s10, v[0:1]
	v_mad_u64_u32 v[2:3], null, v3, s11, v[2:3]
.LBB142_337:
	s_waitcnt lgkmcnt(0)
	global_load_dword v1, v2, s[6:7]
	s_mov_b32 s1, exec_lo
                                        ; implicit-def: $vgpr3
	s_waitcnt vmcnt(0)
	v_and_b32_e32 v2, 0x7fffffff, v1
	v_cmpx_ngt_f32_e64 0x3c800000, |v1|
	s_xor_b32 s1, exec_lo, s1
	s_cbranch_execz .LBB142_367
; %bb.338:
	s_mov_b32 s20, exec_lo
                                        ; implicit-def: $vgpr3
	v_cmpx_nlt_f32_e64 |v1|, 2.0
	s_xor_b32 s20, exec_lo, s20
	s_cbranch_execz .LBB142_348
; %bb.339:
	v_cmp_ngt_f32_e64 s0, 0x41000000, |v1|
                                        ; implicit-def: $vgpr3
	s_and_saveexec_b32 s21, s0
	s_xor_b32 s0, exec_lo, s21
	s_cbranch_execz .LBB142_345
; %bb.340:
	v_cmp_ngt_f32_e64 s21, 0x5c800000, |v1|
                                        ; implicit-def: $vgpr3
	s_and_saveexec_b32 s31, s21
	s_xor_b32 s21, exec_lo, s31
	s_cbranch_execz .LBB142_342
; %bb.341:
	v_cmp_gt_f32_e64 s31, 0x800000, |v1|
	v_cndmask_b32_e64 v3, 0, 32, s31
	v_ldexp_f32 v3, |v1|, v3
	v_log_f32_e32 v3, v3
	v_mul_f32_e32 v5, 0x3f317217, v3
	v_cmp_gt_f32_e64 vcc_lo, 0x7f800000, |v3|
	v_fma_f32 v6, 0x3f317217, v3, -v5
	v_fmamk_f32 v6, v3, 0x3377d1cf, v6
	v_add_f32_e32 v5, v5, v6
	v_cndmask_b32_e32 v3, v3, v5, vcc_lo
	v_cndmask_b32_e64 v5, 0, 0x41b17218, s31
	v_sub_f32_e32 v3, v3, v5
	v_fma_f32 v3, |v1|, v3, -|v1|
.LBB142_342:
	s_andn2_saveexec_b32 s21, s21
	s_cbranch_execz .LBB142_344
; %bb.343:
	v_cmp_gt_f32_e64 s31, 0x800000, |v1|
	v_rcp_f32_e64 v5, |v1|
	s_mov_b32 s33, 0xbad5c4e8
	v_cndmask_b32_e64 v3, 0, 32, s31
	v_ldexp_f32 v3, |v1|, v3
	v_mul_f32_e32 v6, v5, v5
	v_log_f32_e32 v3, v3
	v_fmaak_f32 v8, s33, v6, 0x3a5b3dd2
	v_fmaak_f32 v8, v6, v8, 0xba1c065c
	v_mul_f32_e32 v7, 0x3f317217, v3
	v_fmaak_f32 v8, v6, v8, 0x3a500cfd
	v_cmp_gt_f32_e64 vcc_lo, 0x7f800000, |v3|
	v_fma_f32 v9, 0x3f317217, v3, -v7
	v_fmaak_f32 v8, v6, v8, 0xbb360b61
	v_fmamk_f32 v9, v3, 0x3377d1cf, v9
	v_fmaak_f32 v6, v6, v8, 0x3daaaaab
	v_add_f32_e32 v7, v7, v9
	v_cndmask_b32_e32 v3, v3, v7, vcc_lo
	v_cndmask_b32_e64 v7, 0, 0x41b17218, s31
	v_sub_f32_e32 v7, v3, v7
	v_fmaak_f32 v3, v5, v6, 0x3ed67f1d
	v_add_f32_e64 v5, |v1|, -0.5
	v_add_f32_e32 v6, -1.0, v7
	v_fmac_f32_e32 v3, v5, v6
.LBB142_344:
	s_or_b32 exec_lo, exec_lo, s21
.LBB142_345:
	s_andn2_saveexec_b32 s21, s0
	s_cbranch_execz .LBB142_347
; %bb.346:
	v_cvt_i32_f32_e32 v3, v2
	s_mov_b32 s0, 0x36f5d7bd
	s_mov_b32 s31, 0x3805ff67
	v_cvt_f32_i32_e32 v5, v3
	v_cmp_lt_i32_e32 vcc_lo, 2, v3
	v_sub_f32_e64 v5, |v1|, v5
	v_add_f32_e32 v6, 2.0, v5
	v_add_f32_e32 v7, 0x40400000, v5
	v_add_f32_e32 v8, 4.0, v5
	v_add_f32_e32 v9, 0x40a00000, v5
	v_cndmask_b32_e32 v6, 1.0, v6, vcc_lo
	v_cmp_lt_i32_e32 vcc_lo, 3, v3
	v_cndmask_b32_e32 v7, 1.0, v7, vcc_lo
	v_cmp_lt_i32_e32 vcc_lo, 4, v3
	v_mul_f32_e32 v6, v6, v7
	v_cndmask_b32_e32 v8, 1.0, v8, vcc_lo
	v_cmp_lt_i32_e32 vcc_lo, 5, v3
	v_add_f32_e32 v7, 0x40c00000, v5
	v_mul_f32_e32 v6, v8, v6
	v_cndmask_b32_e32 v9, 1.0, v9, vcc_lo
	v_cmp_lt_i32_e32 vcc_lo, 6, v3
	v_fmaak_f32 v8, s31, v5, 0x3af135b4
	v_mul_f32_e32 v6, v9, v6
	v_cndmask_b32_e32 v3, 1.0, v7, vcc_lo
	v_mul_f32_e32 v3, v3, v6
	v_fmaak_f32 v6, s0, v5, 0x3a4beed6
	v_cmp_gt_f32_e32 vcc_lo, 0x800000, v3
	v_fmaak_f32 v6, v5, v6, 0x3c98bf54
	v_cndmask_b32_e64 v7, 0, 32, vcc_lo
	v_fmaak_f32 v6, v5, v6, 0x3e300f6e
	v_ldexp_f32 v3, v3, v7
	v_fmaak_f32 v7, v5, v8, 0x3cda40e4
	v_fmaak_f32 v6, v5, v6, 0x3f38d0c5
	v_log_f32_e32 v3, v3
	v_fmaak_f32 v7, v5, v7, 0x3e15dce6
	v_fmaak_f32 v6, v5, v6, 0x3fb22d3b
	;; [unrolled: 1-line block ×3, first 2 shown]
	v_fma_f32 v6, v5, v6, 1.0
	v_mul_f32_e32 v8, 0x3f317217, v3
	v_fmaak_f32 v7, v5, v7, 0x3e5c245a
	v_rcp_f32_e32 v6, v6
	v_cmp_gt_f32_e64 s0, 0x7f800000, |v3|
	v_fma_f32 v9, 0x3f317217, v3, -v8
	v_fmaak_f32 v7, v5, v7, 0xbd9e233f
	v_fmamk_f32 v9, v3, 0x3377d1cf, v9
	v_mul_f32_e32 v7, v5, v7
	v_add_f32_e32 v8, v8, v9
	v_mul_f32_e32 v6, v7, v6
	v_cndmask_b32_e64 v7, 0, 0x41b17218, vcc_lo
	v_cndmask_b32_e64 v3, v3, v8, s0
	v_fmac_f32_e32 v6, 0.5, v5
	v_sub_f32_e32 v3, v3, v7
	v_add_f32_e32 v3, v3, v6
.LBB142_347:
	s_or_b32 exec_lo, exec_lo, s21
.LBB142_348:
	s_andn2_saveexec_b32 s20, s20
	s_cbranch_execz .LBB142_366
; %bb.349:
	s_mov_b32 s21, exec_lo
                                        ; implicit-def: $vgpr3
                                        ; implicit-def: $vgpr6
                                        ; implicit-def: $vgpr5
	v_cmpx_ge_f32_e64 0x3f666666, |v1|
	s_xor_b32 s21, exec_lo, s21
	s_cbranch_execz .LBB142_351
; %bb.350:
	v_cmp_gt_f32_e64 s0, 0x800000, |v1|
	v_sub_f32_e64 v7, 1.0, |v1|
	v_cmp_gt_f32_e64 vcc_lo, 0x3f3b4a23, |v1|
	v_cndmask_b32_e64 v3, 0, 32, s0
	v_cndmask_b32_e64 v8, 0, 0x41b17218, s0
	v_ldexp_f32 v3, |v1|, v3
	v_log_f32_e32 v3, v3
	v_mul_f32_e32 v5, 0x3f317217, v3
	v_cmp_gt_f32_e64 s0, 0x7f800000, |v3|
	v_fma_f32 v6, 0x3f317217, v3, -v5
	v_fmamk_f32 v6, v3, 0x3377d1cf, v6
	v_add_f32_e32 v5, v5, v6
	v_add_f32_e64 v6, 0xbeec5b0c, |v1|
	v_cndmask_b32_e64 v3, v3, v5, s0
	v_cndmask_b32_e32 v5, v7, v6, vcc_lo
	v_cndmask_b32_e64 v6, 0, 1, vcc_lo
	v_cmp_gt_f32_e64 s0, 0x3e6d3309, |v1|
	v_sub_f32_e32 v3, v3, v8
	v_cndmask_b32_e64 v5, v5, |v1|, s0
	v_cndmask_b32_e64 v6, v6, 2, s0
	v_xor_b32_e32 v3, 0x80000000, v3
.LBB142_351:
	s_andn2_saveexec_b32 s0, s21
	s_cbranch_execz .LBB142_353
; %bb.352:
	v_sub_f32_e64 v3, 2.0, |v1|
	v_add_f32_e64 v5, 0xbfbb16c3, |v1|
	v_cmp_gt_f32_e64 vcc_lo, 0x3fdda512, |v1|
	v_add_f32_e64 v6, |v1|, -1.0
	v_cndmask_b32_e32 v5, v3, v5, vcc_lo
	v_cndmask_b32_e64 v3, v3, 1.0, vcc_lo
	v_cmp_gt_f32_e64 vcc_lo, 0x3f9d70a4, |v1|
	v_cvt_i32_f32_e32 v3, v3
	v_cndmask_b32_e32 v5, v5, v6, vcc_lo
	v_cndmask_b32_e64 v6, v3, 2, vcc_lo
	v_mov_b32_e32 v3, 0
.LBB142_353:
	s_or_b32 exec_lo, exec_lo, s0
	s_mov_b32 s0, exec_lo
	v_cmpx_lt_i32_e32 0, v6
	s_xor_b32 s0, exec_lo, s0
	s_cbranch_execz .LBB142_361
; %bb.354:
	s_mov_b32 s21, exec_lo
	v_cmpx_lt_i32_e32 1, v6
	s_xor_b32 s21, exec_lo, s21
	s_cbranch_execz .LBB142_358
; %bb.355:
	s_mov_b32 s31, exec_lo
	v_cmpx_eq_u32_e32 2, v6
	s_cbranch_execz .LBB142_357
; %bb.356:
	s_mov_b32 s33, 0x3b52d5db
	v_fmaak_f32 v6, s33, v5, 0x3dd572af
	s_mov_b32 s33, 0x3c5b3c5e
	v_fmaak_f32 v7, s33, v5, 0x3e6a7578
	v_fmaak_f32 v6, v5, v6, 0x3f44efdf
	;; [unrolled: 1-line block ×7, first 2 shown]
	v_fma_f32 v6, v5, v6, 1.0
	v_fmaak_f32 v7, v5, v7, 0xbd9e233f
	v_rcp_f32_e32 v6, v6
	v_mul_f32_e32 v7, v5, v7
	v_mul_f32_e32 v6, v7, v6
	v_fmac_f32_e32 v6, -0.5, v5
	v_add_f32_e32 v3, v3, v6
.LBB142_357:
	s_or_b32 exec_lo, exec_lo, s31
                                        ; implicit-def: $vgpr5
.LBB142_358:
	s_andn2_saveexec_b32 s21, s21
	s_cbranch_execz .LBB142_360
; %bb.359:
	v_mul_f32_e32 v6, v5, v5
	s_mov_b32 s31, 0xb9a3f927
	s_mov_b32 s33, 0x39afe9f7
	v_mul_f32_e32 v7, v5, v6
	v_fmaak_f32 v8, s31, v7, 0x3a66f867
	v_fmaak_f32 v9, s33, v7, 0xba0d3085
	s_mov_b32 s31, 0x39a57b6b
	v_fmaak_f32 v10, s31, v7, 0xbab7f476
	v_fmaak_f32 v8, v7, v8, 0xbb7177fe
	;; [unrolled: 1-line block ×9, first 2 shown]
	v_fmac_f32_e32 v8, v5, v9
	v_fmaak_f32 v5, v7, v10, 0x3ef7b95e
	v_fma_f32 v7, v7, -v8, 0xa2863e55
	v_fma_f32 v5, v6, v5, -v7
	v_add_f32_e32 v5, 0xbdf8cdce, v5
	v_add_f32_e32 v3, v3, v5
.LBB142_360:
	s_or_b32 exec_lo, exec_lo, s21
                                        ; implicit-def: $vgpr6
                                        ; implicit-def: $vgpr5
.LBB142_361:
	s_andn2_saveexec_b32 s0, s0
	s_cbranch_execz .LBB142_365
; %bb.362:
	s_mov_b32 s21, exec_lo
	v_cmpx_eq_u32_e32 0, v6
	s_cbranch_execz .LBB142_364
; %bb.363:
	v_mul_f32_e32 v6, v5, v5
	s_mov_b32 s31, 0x383c2c75
	v_fmaak_f32 v7, s31, v6, 0x38e28445
	s_mov_b32 s31, 0x37d383a2
	v_fmaak_f32 v8, s31, v6, 0x39679767
	v_fmaak_f32 v7, v6, v7, 0x3a05b634
	v_fmaak_f32 v8, v6, v8, 0x3a9c54a1
	v_fmaak_f32 v7, v6, v7, 0x3b3d6ec6
	v_fmaak_f32 v8, v6, v8, 0x3bf2027e
	v_fmaak_f32 v7, v6, v7, 0x3ca89915
	v_fmaak_f32 v8, v6, v8, 0x3d89f001
	v_fmaak_f32 v7, v6, v7, 0x3ea51a66
	v_fmaak_f32 v8, v6, v8, 0x3d9e233f
	v_mul_f32_e32 v6, v6, v7
	v_fmac_f32_e32 v6, v5, v8
	v_fmac_f32_e32 v6, -0.5, v5
	v_add_f32_e32 v3, v3, v6
.LBB142_364:
	s_or_b32 exec_lo, exec_lo, s21
.LBB142_365:
	s_or_b32 exec_lo, exec_lo, s0
.LBB142_366:
	s_or_b32 exec_lo, exec_lo, s20
.LBB142_367:
	s_andn2_saveexec_b32 s0, s1
	s_cbranch_execz .LBB142_369
; %bb.368:
	v_cmp_gt_f32_e64 s1, 0x800000, |v1|
	s_mov_b32 s20, 0x3e8a8991
	v_fma_f32 v7, |v1|, s20, 0xbecd26ab
	v_cndmask_b32_e64 v3, 0, 32, s1
	v_ldexp_f32 v3, |v1|, v3
	v_log_f32_e32 v3, v3
	v_mul_f32_e32 v5, 0x3f317217, v3
	v_cmp_gt_f32_e64 vcc_lo, 0x7f800000, |v3|
	v_fma_f32 v6, 0x3f317217, v3, -v5
	v_fmamk_f32 v6, v3, 0x3377d1cf, v6
	v_add_f32_e32 v5, v5, v6
	v_fma_f32 v6, |v1|, v7, 0x3f528d33
	v_cndmask_b32_e32 v3, v3, v5, vcc_lo
	v_cndmask_b32_e64 v5, 0, 0x41b17218, s1
	v_fma_f32 v6, |v1|, v6, 0xbf13c468
	v_sub_f32_e32 v3, v3, v5
	v_fma_f32 v3, |v1|, v6, -v3
.LBB142_369:
	s_or_b32 exec_lo, exec_lo, s0
	v_cmp_le_f32_e32 vcc_lo, 0, v1
	s_mov_b32 s1, exec_lo
	v_cmpx_nle_f32_e32 0, v1
	s_xor_b32 s20, exec_lo, s1
	s_cbranch_execz .LBB142_373
; %bb.370:
	v_cmp_gt_f32_e64 s0, 0x4b000000, |v1|
	v_cmp_lt_f32_e64 s1, 0x35000000, |v1|
	s_and_b32 s0, s0, s1
	s_and_saveexec_b32 s21, s0
	s_cbranch_execz .LBB142_372
; %bb.371:
	v_mul_f32_e64 v5, |v1|, 0.5
	s_mov_b32 s1, 0x3d4be544
	v_xor_b32_e32 v2, v2, v1
	v_floor_f32_e32 v6, v5
	v_cmp_neq_f32_e64 s0, 0x7f800000, v5
	v_sub_f32_e32 v6, v5, v6
	v_min_f32_e32 v6, 0x3f7fffff, v6
	v_add_f32_e32 v6, v6, v6
	v_cndmask_b32_e64 v5, 0, v6, s0
	v_cmp_gt_f32_e64 s0, |v1|, 1.0
	v_cndmask_b32_e64 v5, |v1|, v5, s0
	s_mov_b32 s0, 0x3e75aa41
	v_add_f32_e32 v6, v5, v5
	v_rndne_f32_e32 v6, v6
	v_fmac_f32_e32 v5, -0.5, v6
	v_cvt_i32_f32_e32 v6, v6
	v_mul_f32_e32 v7, v5, v5
	v_fmaak_f32 v8, s0, v7, 0xbf1f24be
	v_fmaak_f32 v9, s1, v7, 0x3e642e9d
	v_mul_f32_e32 v10, v5, v7
	v_fmaak_f32 v8, v7, v8, 0x40234736
	v_fmaak_f32 v9, v7, v9, 0xbfaad1da
	;; [unrolled: 1-line block ×4, first 2 shown]
	v_mul_f32_e32 v8, v10, v8
	v_fmaak_f32 v9, v7, v9, 0xc09de9e6
	v_and_b32_e32 v10, 1, v6
	v_lshlrev_b32_e32 v6, 30, v6
	v_fmamk_f32 v5, v5, 0x40490fdb, v8
	v_fma_f32 v7, v7, v9, 1.0
	v_cmp_eq_u32_e64 s0, 0, v10
	v_and_b32_e32 v6, 0x80000000, v6
	v_cndmask_b32_e64 v5, v7, v5, s0
	v_xor3_b32 v2, v2, v6, v5
	v_mul_f32_e32 v2, v1, v2
	v_frexp_mant_f32_e64 v5, |v2|
	v_frexp_exp_i32_f32_e32 v2, v2
	v_rcp_f32_e32 v5, v5
	v_sub_nc_u32_e32 v2, 2, v2
	v_mul_f32_e32 v5, 0x3f490fdb, v5
	v_ldexp_f32 v2, v5, v2
	v_cmp_gt_f32_e64 s0, 0x800000, v2
	v_cndmask_b32_e64 v5, 0, 32, s0
	v_ldexp_f32 v2, v2, v5
	v_log_f32_e32 v2, v2
	v_mul_f32_e32 v5, 0x3f317217, v2
	v_cmp_gt_f32_e64 s1, 0x7f800000, |v2|
	v_fma_f32 v6, 0x3f317217, v2, -v5
	v_fmamk_f32 v6, v2, 0x3377d1cf, v6
	v_add_f32_e32 v5, v5, v6
	v_floor_f32_e32 v6, v1
	v_cndmask_b32_e64 v2, v2, v5, s1
	v_cndmask_b32_e64 v5, 0, 0x41b17218, s0
	v_sub_f32_e32 v6, v1, v6
	v_sub_f32_e32 v2, v2, v5
	v_min_f32_e32 v5, 0x3f7fffff, v6
	v_sub_f32_e32 v2, v2, v3
	v_cmp_neq_f32_e64 s0, 0, v5
	v_cndmask_b32_e64 v3, 0x7f800000, v2, s0
.LBB142_372:
	s_or_b32 exec_lo, exec_lo, s21
.LBB142_373:
	s_andn2_saveexec_b32 s20, s20
; %bb.374:
	v_cmp_eq_f32_e64 s0, 1.0, v1
	v_cmp_eq_f32_e64 s1, 2.0, v1
	s_or_b32 s0, s0, s1
	v_cndmask_b32_e64 v3, v3, 0, s0
; %bb.375:
	s_or_b32 exec_lo, exec_lo, s20
	v_cmp_gt_f32_e64 s0, 0x4b000000, |v1|
	v_add_nc_u32_e32 v4, 0x80, v4
	s_or_b32 vcc_lo, vcc_lo, s0
	v_cmp_class_f32_e64 s0, v1, 0x264
	v_cndmask_b32_e32 v2, 0x7f800000, v3, vcc_lo
	v_cmp_u_f32_e32 vcc_lo, v1, v1
	v_cndmask_b32_e64 v2, v2, 0x7f800000, s0
	v_cndmask_b32_e32 v1, v2, v1, vcc_lo
	global_store_dword v0, v1, s[4:5]
	s_or_b32 exec_lo, exec_lo, s30
	s_mov_b32 s20, exec_lo
	v_cmpx_gt_i32_e64 s27, v4
	s_cbranch_execz .LBB142_328
.LBB142_376:
	s_andn2_b32 vcc_lo, exec_lo, s24
	s_cbranch_vccnz .LBB142_381
; %bb.377:
	s_andn2_b32 vcc_lo, exec_lo, s29
	s_cbranch_vccnz .LBB142_382
; %bb.378:
	s_add_i32 s28, s28, 1
	s_cmp_eq_u32 s23, 2
	s_cbranch_scc1 .LBB142_383
; %bb.379:
	v_mov_b32_e32 v2, 0
	v_mov_b32_e32 v0, 0
	;; [unrolled: 1-line block ×3, first 2 shown]
	s_and_b32 s21, s28, 28
	s_mov_b32 s27, 0
	s_mov_b64 s[0:1], s[2:3]
.LBB142_380:                            ; =>This Inner Loop Header: Depth=1
	s_clause 0x1
	s_load_dwordx8 s[36:43], s[0:1], 0x4
	s_load_dwordx4 s[52:55], s[0:1], 0x24
	s_load_dwordx8 s[44:51], s[18:19], 0x0
	s_add_u32 s0, s0, 48
	s_addc_u32 s1, s1, 0
	s_add_i32 s27, s27, 4
	s_add_u32 s18, s18, 32
	s_addc_u32 s19, s19, 0
	s_cmp_eq_u32 s21, s27
	s_waitcnt lgkmcnt(0)
	v_mul_hi_u32 v3, s37, v1
	v_add_nc_u32_e32 v3, v1, v3
	v_lshrrev_b32_e32 v3, s38, v3
	v_mul_hi_u32 v5, s40, v3
	v_mul_lo_u32 v7, v3, s36
	v_add_nc_u32_e32 v5, v3, v5
	v_sub_nc_u32_e32 v1, v1, v7
	v_lshrrev_b32_e32 v5, s41, v5
	v_mul_lo_u32 v7, v1, s44
	v_mul_lo_u32 v9, v1, s45
	v_mul_hi_u32 v6, s43, v5
	v_add_nc_u32_e32 v6, v5, v6
	v_lshrrev_b32_e32 v6, s52, v6
	v_mul_hi_u32 v8, s54, v6
	v_mul_lo_u32 v10, v6, s42
	v_add_nc_u32_e32 v1, v6, v8
	v_mul_lo_u32 v8, v5, s39
	v_sub_nc_u32_e32 v5, v5, v10
	v_lshrrev_b32_e32 v1, s55, v1
	v_mul_lo_u32 v10, v5, s48
	v_mul_lo_u32 v5, v5, s49
	v_sub_nc_u32_e32 v3, v3, v8
	v_mul_lo_u32 v11, v1, s53
	v_mul_lo_u32 v8, v3, s46
	;; [unrolled: 1-line block ×3, first 2 shown]
	v_sub_nc_u32_e32 v6, v6, v11
	v_add3_u32 v0, v7, v0, v8
	v_mul_lo_u32 v11, v6, s50
	v_mul_lo_u32 v6, v6, s51
	v_add3_u32 v2, v9, v2, v3
	v_add3_u32 v0, v10, v0, v11
	;; [unrolled: 1-line block ×3, first 2 shown]
	s_cbranch_scc0 .LBB142_380
	s_branch .LBB142_384
.LBB142_381:
                                        ; implicit-def: $vgpr0
                                        ; implicit-def: $vgpr2
	s_branch .LBB142_388
.LBB142_382:
	v_mov_b32_e32 v0, 0
	v_mov_b32_e32 v2, 0
	s_branch .LBB142_387
.LBB142_383:
	v_mov_b32_e32 v0, 0
	v_mov_b32_e32 v2, 0
	;; [unrolled: 1-line block ×3, first 2 shown]
	s_mov_b32 s21, 0
.LBB142_384:
	s_and_b32 s27, s28, 3
	s_cmp_eq_u32 s27, 0
	s_cbranch_scc1 .LBB142_387
; %bb.385:
	s_lshl_b32 s0, s21, 3
	s_mul_i32 s18, s21, 12
	s_add_u32 s0, s2, s0
	s_addc_u32 s1, s3, 0
	s_add_u32 s0, s0, 0xc4
	s_addc_u32 s1, s1, 0
	s_add_u32 s18, s2, s18
	s_addc_u32 s19, s3, 0
	.p2align	6
.LBB142_386:                            ; =>This Inner Loop Header: Depth=1
	s_clause 0x1
	s_load_dwordx2 s[28:29], s[18:19], 0x4
	s_load_dword s21, s[18:19], 0xc
	s_load_dwordx2 s[30:31], s[0:1], 0x0
	s_add_u32 s18, s18, 12
	s_addc_u32 s19, s19, 0
	s_add_u32 s0, s0, 8
	s_addc_u32 s1, s1, 0
	s_add_i32 s27, s27, -1
	s_cmp_lg_u32 s27, 0
	s_waitcnt lgkmcnt(0)
	v_mul_hi_u32 v3, s29, v1
	v_add_nc_u32_e32 v3, v1, v3
	v_lshrrev_b32_e32 v5, s21, v3
	v_mul_lo_u32 v3, v5, s28
	v_sub_nc_u32_e32 v3, v1, v3
	v_mad_u64_u32 v[0:1], null, v3, s30, v[0:1]
	v_mad_u64_u32 v[2:3], null, v3, s31, v[2:3]
	v_mov_b32_e32 v1, v5
	s_cbranch_scc1 .LBB142_386
.LBB142_387:
	s_cbranch_execnz .LBB142_390
.LBB142_388:
	s_waitcnt lgkmcnt(0)
	v_mul_hi_u32 v0, s13, v4
	s_andn2_b32 vcc_lo, exec_lo, s26
	v_add_nc_u32_e32 v0, v4, v0
	v_lshrrev_b32_e32 v1, s14, v0
	v_mul_lo_u32 v0, v1, s12
	v_sub_nc_u32_e32 v2, v4, v0
	v_mul_lo_u32 v0, v2, s8
	v_mul_lo_u32 v2, v2, s9
	s_cbranch_vccnz .LBB142_390
; %bb.389:
	v_mul_hi_u32 v3, s16, v1
	v_add_nc_u32_e32 v3, v1, v3
	v_lshrrev_b32_e32 v3, s17, v3
	v_mul_lo_u32 v3, v3, s15
	v_sub_nc_u32_e32 v3, v1, v3
	v_mad_u64_u32 v[0:1], null, v3, s10, v[0:1]
	v_mad_u64_u32 v[2:3], null, v3, s11, v[2:3]
.LBB142_390:
	s_waitcnt lgkmcnt(0)
	global_load_dword v1, v2, s[6:7]
	s_mov_b32 s1, exec_lo
                                        ; implicit-def: $vgpr3
	s_waitcnt vmcnt(0)
	v_and_b32_e32 v2, 0x7fffffff, v1
	v_cmpx_ngt_f32_e64 0x3c800000, |v1|
	s_xor_b32 s1, exec_lo, s1
	s_cbranch_execz .LBB142_420
; %bb.391:
	s_mov_b32 s6, exec_lo
                                        ; implicit-def: $vgpr3
	v_cmpx_nlt_f32_e64 |v1|, 2.0
	s_xor_b32 s6, exec_lo, s6
	s_cbranch_execz .LBB142_401
; %bb.392:
	v_cmp_ngt_f32_e64 s0, 0x41000000, |v1|
                                        ; implicit-def: $vgpr3
	s_and_saveexec_b32 s7, s0
	s_xor_b32 s0, exec_lo, s7
	s_cbranch_execz .LBB142_398
; %bb.393:
	v_cmp_ngt_f32_e64 s7, 0x5c800000, |v1|
                                        ; implicit-def: $vgpr3
	s_and_saveexec_b32 s8, s7
	s_xor_b32 s7, exec_lo, s8
	s_cbranch_execz .LBB142_395
; %bb.394:
	v_cmp_gt_f32_e64 s8, 0x800000, |v1|
	v_cndmask_b32_e64 v3, 0, 32, s8
	v_ldexp_f32 v3, |v1|, v3
	v_log_f32_e32 v3, v3
	v_mul_f32_e32 v4, 0x3f317217, v3
	v_cmp_gt_f32_e64 vcc_lo, 0x7f800000, |v3|
	v_fma_f32 v5, 0x3f317217, v3, -v4
	v_fmamk_f32 v5, v3, 0x3377d1cf, v5
	v_add_f32_e32 v4, v4, v5
	v_cndmask_b32_e32 v3, v3, v4, vcc_lo
	v_cndmask_b32_e64 v4, 0, 0x41b17218, s8
	v_sub_f32_e32 v3, v3, v4
	v_fma_f32 v3, |v1|, v3, -|v1|
.LBB142_395:
	s_andn2_saveexec_b32 s7, s7
	s_cbranch_execz .LBB142_397
; %bb.396:
	v_cmp_gt_f32_e64 s8, 0x800000, |v1|
	v_rcp_f32_e64 v4, |v1|
	s_mov_b32 s9, 0xbad5c4e8
	v_cndmask_b32_e64 v3, 0, 32, s8
	v_ldexp_f32 v3, |v1|, v3
	v_mul_f32_e32 v5, v4, v4
	v_log_f32_e32 v3, v3
	v_fmaak_f32 v7, s9, v5, 0x3a5b3dd2
	v_fmaak_f32 v7, v5, v7, 0xba1c065c
	v_mul_f32_e32 v6, 0x3f317217, v3
	v_fmaak_f32 v7, v5, v7, 0x3a500cfd
	v_cmp_gt_f32_e64 vcc_lo, 0x7f800000, |v3|
	v_fma_f32 v8, 0x3f317217, v3, -v6
	v_fmaak_f32 v7, v5, v7, 0xbb360b61
	v_fmamk_f32 v8, v3, 0x3377d1cf, v8
	v_fmaak_f32 v5, v5, v7, 0x3daaaaab
	v_add_f32_e32 v6, v6, v8
	v_cndmask_b32_e32 v3, v3, v6, vcc_lo
	v_cndmask_b32_e64 v6, 0, 0x41b17218, s8
	v_sub_f32_e32 v6, v3, v6
	v_fmaak_f32 v3, v4, v5, 0x3ed67f1d
	v_add_f32_e64 v4, |v1|, -0.5
	v_add_f32_e32 v5, -1.0, v6
	v_fmac_f32_e32 v3, v4, v5
.LBB142_397:
	s_or_b32 exec_lo, exec_lo, s7
.LBB142_398:
	s_andn2_saveexec_b32 s7, s0
	s_cbranch_execz .LBB142_400
; %bb.399:
	v_cvt_i32_f32_e32 v3, v2
	s_mov_b32 s0, 0x36f5d7bd
	s_mov_b32 s8, 0x3805ff67
	v_cvt_f32_i32_e32 v4, v3
	v_cmp_lt_i32_e32 vcc_lo, 2, v3
	v_sub_f32_e64 v4, |v1|, v4
	v_add_f32_e32 v5, 2.0, v4
	v_add_f32_e32 v6, 0x40400000, v4
	v_add_f32_e32 v7, 4.0, v4
	v_add_f32_e32 v8, 0x40a00000, v4
	v_cndmask_b32_e32 v5, 1.0, v5, vcc_lo
	v_cmp_lt_i32_e32 vcc_lo, 3, v3
	v_cndmask_b32_e32 v6, 1.0, v6, vcc_lo
	v_cmp_lt_i32_e32 vcc_lo, 4, v3
	v_mul_f32_e32 v5, v5, v6
	v_cndmask_b32_e32 v7, 1.0, v7, vcc_lo
	v_cmp_lt_i32_e32 vcc_lo, 5, v3
	v_add_f32_e32 v6, 0x40c00000, v4
	v_mul_f32_e32 v5, v7, v5
	v_cndmask_b32_e32 v8, 1.0, v8, vcc_lo
	v_cmp_lt_i32_e32 vcc_lo, 6, v3
	v_fmaak_f32 v7, s8, v4, 0x3af135b4
	v_mul_f32_e32 v5, v8, v5
	v_cndmask_b32_e32 v3, 1.0, v6, vcc_lo
	v_mul_f32_e32 v3, v3, v5
	v_fmaak_f32 v5, s0, v4, 0x3a4beed6
	v_cmp_gt_f32_e32 vcc_lo, 0x800000, v3
	v_fmaak_f32 v5, v4, v5, 0x3c98bf54
	v_cndmask_b32_e64 v6, 0, 32, vcc_lo
	v_fmaak_f32 v5, v4, v5, 0x3e300f6e
	v_ldexp_f32 v3, v3, v6
	v_fmaak_f32 v6, v4, v7, 0x3cda40e4
	v_fmaak_f32 v5, v4, v5, 0x3f38d0c5
	v_log_f32_e32 v3, v3
	v_fmaak_f32 v6, v4, v6, 0x3e15dce6
	v_fmaak_f32 v5, v4, v5, 0x3fb22d3b
	;; [unrolled: 1-line block ×3, first 2 shown]
	v_fma_f32 v5, v4, v5, 1.0
	v_mul_f32_e32 v7, 0x3f317217, v3
	v_fmaak_f32 v6, v4, v6, 0x3e5c245a
	v_rcp_f32_e32 v5, v5
	v_cmp_gt_f32_e64 s0, 0x7f800000, |v3|
	v_fma_f32 v8, 0x3f317217, v3, -v7
	v_fmaak_f32 v6, v4, v6, 0xbd9e233f
	v_fmamk_f32 v8, v3, 0x3377d1cf, v8
	v_mul_f32_e32 v6, v4, v6
	v_add_f32_e32 v7, v7, v8
	v_mul_f32_e32 v5, v6, v5
	v_cndmask_b32_e64 v6, 0, 0x41b17218, vcc_lo
	v_cndmask_b32_e64 v3, v3, v7, s0
	v_fmac_f32_e32 v5, 0.5, v4
	v_sub_f32_e32 v3, v3, v6
	v_add_f32_e32 v3, v3, v5
.LBB142_400:
	s_or_b32 exec_lo, exec_lo, s7
.LBB142_401:
	s_andn2_saveexec_b32 s6, s6
	s_cbranch_execz .LBB142_419
; %bb.402:
	s_mov_b32 s7, exec_lo
                                        ; implicit-def: $vgpr3
                                        ; implicit-def: $vgpr5
                                        ; implicit-def: $vgpr4
	v_cmpx_ge_f32_e64 0x3f666666, |v1|
	s_xor_b32 s7, exec_lo, s7
	s_cbranch_execz .LBB142_404
; %bb.403:
	v_cmp_gt_f32_e64 s0, 0x800000, |v1|
	v_sub_f32_e64 v6, 1.0, |v1|
	v_cmp_gt_f32_e64 vcc_lo, 0x3f3b4a23, |v1|
	v_cndmask_b32_e64 v3, 0, 32, s0
	v_cndmask_b32_e64 v7, 0, 0x41b17218, s0
	v_ldexp_f32 v3, |v1|, v3
	v_log_f32_e32 v3, v3
	v_mul_f32_e32 v4, 0x3f317217, v3
	v_cmp_gt_f32_e64 s0, 0x7f800000, |v3|
	v_fma_f32 v5, 0x3f317217, v3, -v4
	v_fmamk_f32 v5, v3, 0x3377d1cf, v5
	v_add_f32_e32 v4, v4, v5
	v_add_f32_e64 v5, 0xbeec5b0c, |v1|
	v_cndmask_b32_e64 v3, v3, v4, s0
	v_cndmask_b32_e32 v4, v6, v5, vcc_lo
	v_cndmask_b32_e64 v5, 0, 1, vcc_lo
	v_cmp_gt_f32_e64 s0, 0x3e6d3309, |v1|
	v_sub_f32_e32 v3, v3, v7
	v_cndmask_b32_e64 v4, v4, |v1|, s0
	v_cndmask_b32_e64 v5, v5, 2, s0
	v_xor_b32_e32 v3, 0x80000000, v3
.LBB142_404:
	s_andn2_saveexec_b32 s0, s7
	s_cbranch_execz .LBB142_406
; %bb.405:
	v_sub_f32_e64 v3, 2.0, |v1|
	v_add_f32_e64 v4, 0xbfbb16c3, |v1|
	v_cmp_gt_f32_e64 vcc_lo, 0x3fdda512, |v1|
	v_add_f32_e64 v5, |v1|, -1.0
	v_cndmask_b32_e32 v4, v3, v4, vcc_lo
	v_cndmask_b32_e64 v3, v3, 1.0, vcc_lo
	v_cmp_gt_f32_e64 vcc_lo, 0x3f9d70a4, |v1|
	v_cvt_i32_f32_e32 v3, v3
	v_cndmask_b32_e32 v4, v4, v5, vcc_lo
	v_cndmask_b32_e64 v5, v3, 2, vcc_lo
	v_mov_b32_e32 v3, 0
.LBB142_406:
	s_or_b32 exec_lo, exec_lo, s0
	s_mov_b32 s0, exec_lo
	v_cmpx_lt_i32_e32 0, v5
	s_xor_b32 s0, exec_lo, s0
	s_cbranch_execz .LBB142_414
; %bb.407:
	s_mov_b32 s7, exec_lo
	v_cmpx_lt_i32_e32 1, v5
	s_xor_b32 s7, exec_lo, s7
	s_cbranch_execz .LBB142_411
; %bb.408:
	s_mov_b32 s8, exec_lo
	v_cmpx_eq_u32_e32 2, v5
	s_cbranch_execz .LBB142_410
; %bb.409:
	s_mov_b32 s9, 0x3b52d5db
	v_fmaak_f32 v5, s9, v4, 0x3dd572af
	s_mov_b32 s9, 0x3c5b3c5e
	v_fmaak_f32 v6, s9, v4, 0x3e6a7578
	v_fmaak_f32 v5, v4, v5, 0x3f44efdf
	;; [unrolled: 1-line block ×7, first 2 shown]
	v_fma_f32 v5, v4, v5, 1.0
	v_fmaak_f32 v6, v4, v6, 0xbd9e233f
	v_rcp_f32_e32 v5, v5
	v_mul_f32_e32 v6, v4, v6
	v_mul_f32_e32 v5, v6, v5
	v_fmac_f32_e32 v5, -0.5, v4
	v_add_f32_e32 v3, v3, v5
.LBB142_410:
	s_or_b32 exec_lo, exec_lo, s8
                                        ; implicit-def: $vgpr4
.LBB142_411:
	s_andn2_saveexec_b32 s7, s7
	s_cbranch_execz .LBB142_413
; %bb.412:
	v_mul_f32_e32 v5, v4, v4
	s_mov_b32 s8, 0xb9a3f927
	s_mov_b32 s9, 0x39afe9f7
	v_mul_f32_e32 v6, v4, v5
	v_fmaak_f32 v7, s8, v6, 0x3a66f867
	v_fmaak_f32 v8, s9, v6, 0xba0d3085
	s_mov_b32 s8, 0x39a57b6b
	v_fmaak_f32 v9, s8, v6, 0xbab7f476
	v_fmaak_f32 v7, v6, v7, 0xbb7177fe
	;; [unrolled: 1-line block ×9, first 2 shown]
	v_fmac_f32_e32 v7, v4, v8
	v_fmaak_f32 v4, v6, v9, 0x3ef7b95e
	v_fma_f32 v6, v6, -v7, 0xa2863e55
	v_fma_f32 v4, v5, v4, -v6
	v_add_f32_e32 v4, 0xbdf8cdce, v4
	v_add_f32_e32 v3, v3, v4
.LBB142_413:
	s_or_b32 exec_lo, exec_lo, s7
                                        ; implicit-def: $vgpr5
                                        ; implicit-def: $vgpr4
.LBB142_414:
	s_andn2_saveexec_b32 s0, s0
	s_cbranch_execz .LBB142_418
; %bb.415:
	s_mov_b32 s7, exec_lo
	v_cmpx_eq_u32_e32 0, v5
	s_cbranch_execz .LBB142_417
; %bb.416:
	v_mul_f32_e32 v5, v4, v4
	s_mov_b32 s8, 0x383c2c75
	v_fmaak_f32 v6, s8, v5, 0x38e28445
	s_mov_b32 s8, 0x37d383a2
	v_fmaak_f32 v7, s8, v5, 0x39679767
	v_fmaak_f32 v6, v5, v6, 0x3a05b634
	;; [unrolled: 1-line block ×9, first 2 shown]
	v_mul_f32_e32 v5, v5, v6
	v_fmac_f32_e32 v5, v4, v7
	v_fmac_f32_e32 v5, -0.5, v4
	v_add_f32_e32 v3, v3, v5
.LBB142_417:
	s_or_b32 exec_lo, exec_lo, s7
.LBB142_418:
	s_or_b32 exec_lo, exec_lo, s0
.LBB142_419:
	s_or_b32 exec_lo, exec_lo, s6
.LBB142_420:
	s_andn2_saveexec_b32 s0, s1
	s_cbranch_execz .LBB142_422
; %bb.421:
	v_cmp_gt_f32_e64 s1, 0x800000, |v1|
	s_mov_b32 s6, 0x3e8a8991
	v_fma_f32 v6, |v1|, s6, 0xbecd26ab
	v_cndmask_b32_e64 v3, 0, 32, s1
	v_ldexp_f32 v3, |v1|, v3
	v_log_f32_e32 v3, v3
	v_mul_f32_e32 v4, 0x3f317217, v3
	v_cmp_gt_f32_e64 vcc_lo, 0x7f800000, |v3|
	v_fma_f32 v5, 0x3f317217, v3, -v4
	v_fmamk_f32 v5, v3, 0x3377d1cf, v5
	v_add_f32_e32 v4, v4, v5
	v_fma_f32 v5, |v1|, v6, 0x3f528d33
	v_cndmask_b32_e32 v3, v3, v4, vcc_lo
	v_cndmask_b32_e64 v4, 0, 0x41b17218, s1
	v_fma_f32 v5, |v1|, v5, 0xbf13c468
	v_sub_f32_e32 v3, v3, v4
	v_fma_f32 v3, |v1|, v5, -v3
.LBB142_422:
	s_or_b32 exec_lo, exec_lo, s0
	v_cmp_le_f32_e32 vcc_lo, 0, v1
	s_mov_b32 s1, exec_lo
	v_cmpx_nle_f32_e32 0, v1
	s_xor_b32 s6, exec_lo, s1
	s_cbranch_execz .LBB142_426
; %bb.423:
	v_cmp_gt_f32_e64 s0, 0x4b000000, |v1|
	v_cmp_lt_f32_e64 s1, 0x35000000, |v1|
	s_and_b32 s0, s0, s1
	s_and_saveexec_b32 s7, s0
	s_cbranch_execz .LBB142_425
; %bb.424:
	v_mul_f32_e64 v4, |v1|, 0.5
	s_mov_b32 s1, 0x3d4be544
	v_xor_b32_e32 v2, v2, v1
	v_floor_f32_e32 v5, v4
	v_cmp_neq_f32_e64 s0, 0x7f800000, v4
	v_sub_f32_e32 v5, v4, v5
	v_min_f32_e32 v5, 0x3f7fffff, v5
	v_add_f32_e32 v5, v5, v5
	v_cndmask_b32_e64 v4, 0, v5, s0
	v_cmp_gt_f32_e64 s0, |v1|, 1.0
	v_cndmask_b32_e64 v4, |v1|, v4, s0
	s_mov_b32 s0, 0x3e75aa41
	v_add_f32_e32 v5, v4, v4
	v_rndne_f32_e32 v5, v5
	v_fmac_f32_e32 v4, -0.5, v5
	v_cvt_i32_f32_e32 v5, v5
	v_mul_f32_e32 v6, v4, v4
	v_fmaak_f32 v7, s0, v6, 0xbf1f24be
	v_fmaak_f32 v8, s1, v6, 0x3e642e9d
	v_mul_f32_e32 v9, v4, v6
	v_fmaak_f32 v7, v6, v7, 0x40234736
	v_fmaak_f32 v8, v6, v8, 0xbfaad1da
	;; [unrolled: 1-line block ×4, first 2 shown]
	v_mul_f32_e32 v7, v9, v7
	v_fmaak_f32 v8, v6, v8, 0xc09de9e6
	v_and_b32_e32 v9, 1, v5
	v_lshlrev_b32_e32 v5, 30, v5
	v_fmamk_f32 v4, v4, 0x40490fdb, v7
	v_fma_f32 v6, v6, v8, 1.0
	v_cmp_eq_u32_e64 s0, 0, v9
	v_and_b32_e32 v5, 0x80000000, v5
	v_cndmask_b32_e64 v4, v6, v4, s0
	v_xor3_b32 v2, v2, v5, v4
	v_mul_f32_e32 v2, v1, v2
	v_frexp_mant_f32_e64 v4, |v2|
	v_frexp_exp_i32_f32_e32 v2, v2
	v_rcp_f32_e32 v4, v4
	v_sub_nc_u32_e32 v2, 2, v2
	v_mul_f32_e32 v4, 0x3f490fdb, v4
	v_ldexp_f32 v2, v4, v2
	v_cmp_gt_f32_e64 s0, 0x800000, v2
	v_cndmask_b32_e64 v4, 0, 32, s0
	v_ldexp_f32 v2, v2, v4
	v_log_f32_e32 v2, v2
	v_mul_f32_e32 v4, 0x3f317217, v2
	v_cmp_gt_f32_e64 s1, 0x7f800000, |v2|
	v_fma_f32 v5, 0x3f317217, v2, -v4
	v_fmamk_f32 v5, v2, 0x3377d1cf, v5
	v_add_f32_e32 v4, v4, v5
	v_floor_f32_e32 v5, v1
	v_cndmask_b32_e64 v2, v2, v4, s1
	v_cndmask_b32_e64 v4, 0, 0x41b17218, s0
	v_sub_f32_e32 v5, v1, v5
	v_sub_f32_e32 v2, v2, v4
	v_min_f32_e32 v4, 0x3f7fffff, v5
	v_sub_f32_e32 v2, v2, v3
	v_cmp_neq_f32_e64 s0, 0, v4
	v_cndmask_b32_e64 v3, 0x7f800000, v2, s0
.LBB142_425:
	s_or_b32 exec_lo, exec_lo, s7
.LBB142_426:
	s_andn2_saveexec_b32 s6, s6
; %bb.427:
	v_cmp_eq_f32_e64 s0, 1.0, v1
	v_cmp_eq_f32_e64 s1, 2.0, v1
	s_or_b32 s0, s0, s1
	v_cndmask_b32_e64 v3, v3, 0, s0
; %bb.428:
	s_or_b32 exec_lo, exec_lo, s6
	v_cmp_gt_f32_e64 s0, 0x4b000000, |v1|
	s_or_b32 vcc_lo, vcc_lo, s0
	v_cmp_class_f32_e64 s0, v1, 0x264
	v_cndmask_b32_e32 v2, 0x7f800000, v3, vcc_lo
	v_cmp_u_f32_e32 vcc_lo, v1, v1
	v_cndmask_b32_e64 v2, v2, 0x7f800000, s0
	v_cndmask_b32_e32 v1, v2, v1, vcc_lo
	global_store_dword v0, v1, s[4:5]
	s_or_b32 exec_lo, exec_lo, s20
                                        ; implicit-def: $vgpr13
                                        ; implicit-def: $vgpr4
	s_andn2_saveexec_b32 s0, s25
	s_cbranch_execz .LBB142_329
	s_branch .LBB142_8
	.section	.rodata,"a",@progbits
	.p2align	6, 0x0
	.amdhsa_kernel _ZN2at6native32elementwise_kernel_manual_unrollILi128ELi4EZNS0_22gpu_kernel_impl_nocastIZZZNS0_18lgamma_kernel_cudaERNS_18TensorIteratorBaseEENKUlvE_clEvENKUlvE0_clEvEUlfE_EEvS4_RKT_EUlibE_EEviT1_
		.amdhsa_group_segment_fixed_size 0
		.amdhsa_private_segment_fixed_size 0
		.amdhsa_kernarg_size 360
		.amdhsa_user_sgpr_count 6
		.amdhsa_user_sgpr_private_segment_buffer 1
		.amdhsa_user_sgpr_dispatch_ptr 0
		.amdhsa_user_sgpr_queue_ptr 0
		.amdhsa_user_sgpr_kernarg_segment_ptr 1
		.amdhsa_user_sgpr_dispatch_id 0
		.amdhsa_user_sgpr_flat_scratch_init 0
		.amdhsa_user_sgpr_private_segment_size 0
		.amdhsa_wavefront_size32 1
		.amdhsa_uses_dynamic_stack 0
		.amdhsa_system_sgpr_private_segment_wavefront_offset 0
		.amdhsa_system_sgpr_workgroup_id_x 1
		.amdhsa_system_sgpr_workgroup_id_y 0
		.amdhsa_system_sgpr_workgroup_id_z 0
		.amdhsa_system_sgpr_workgroup_info 0
		.amdhsa_system_vgpr_workitem_id 0
		.amdhsa_next_free_vgpr 19
		.amdhsa_next_free_sgpr 56
		.amdhsa_reserve_vcc 1
		.amdhsa_reserve_flat_scratch 0
		.amdhsa_float_round_mode_32 0
		.amdhsa_float_round_mode_16_64 0
		.amdhsa_float_denorm_mode_32 3
		.amdhsa_float_denorm_mode_16_64 3
		.amdhsa_dx10_clamp 1
		.amdhsa_ieee_mode 1
		.amdhsa_fp16_overflow 0
		.amdhsa_workgroup_processor_mode 1
		.amdhsa_memory_ordered 1
		.amdhsa_forward_progress 1
		.amdhsa_shared_vgpr_count 0
		.amdhsa_exception_fp_ieee_invalid_op 0
		.amdhsa_exception_fp_denorm_src 0
		.amdhsa_exception_fp_ieee_div_zero 0
		.amdhsa_exception_fp_ieee_overflow 0
		.amdhsa_exception_fp_ieee_underflow 0
		.amdhsa_exception_fp_ieee_inexact 0
		.amdhsa_exception_int_div_zero 0
	.end_amdhsa_kernel
	.section	.text._ZN2at6native32elementwise_kernel_manual_unrollILi128ELi4EZNS0_22gpu_kernel_impl_nocastIZZZNS0_18lgamma_kernel_cudaERNS_18TensorIteratorBaseEENKUlvE_clEvENKUlvE0_clEvEUlfE_EEvS4_RKT_EUlibE_EEviT1_,"axG",@progbits,_ZN2at6native32elementwise_kernel_manual_unrollILi128ELi4EZNS0_22gpu_kernel_impl_nocastIZZZNS0_18lgamma_kernel_cudaERNS_18TensorIteratorBaseEENKUlvE_clEvENKUlvE0_clEvEUlfE_EEvS4_RKT_EUlibE_EEviT1_,comdat
.Lfunc_end142:
	.size	_ZN2at6native32elementwise_kernel_manual_unrollILi128ELi4EZNS0_22gpu_kernel_impl_nocastIZZZNS0_18lgamma_kernel_cudaERNS_18TensorIteratorBaseEENKUlvE_clEvENKUlvE0_clEvEUlfE_EEvS4_RKT_EUlibE_EEviT1_, .Lfunc_end142-_ZN2at6native32elementwise_kernel_manual_unrollILi128ELi4EZNS0_22gpu_kernel_impl_nocastIZZZNS0_18lgamma_kernel_cudaERNS_18TensorIteratorBaseEENKUlvE_clEvENKUlvE0_clEvEUlfE_EEvS4_RKT_EUlibE_EEviT1_
                                        ; -- End function
	.set _ZN2at6native32elementwise_kernel_manual_unrollILi128ELi4EZNS0_22gpu_kernel_impl_nocastIZZZNS0_18lgamma_kernel_cudaERNS_18TensorIteratorBaseEENKUlvE_clEvENKUlvE0_clEvEUlfE_EEvS4_RKT_EUlibE_EEviT1_.num_vgpr, 19
	.set _ZN2at6native32elementwise_kernel_manual_unrollILi128ELi4EZNS0_22gpu_kernel_impl_nocastIZZZNS0_18lgamma_kernel_cudaERNS_18TensorIteratorBaseEENKUlvE_clEvENKUlvE0_clEvEUlfE_EEvS4_RKT_EUlibE_EEviT1_.num_agpr, 0
	.set _ZN2at6native32elementwise_kernel_manual_unrollILi128ELi4EZNS0_22gpu_kernel_impl_nocastIZZZNS0_18lgamma_kernel_cudaERNS_18TensorIteratorBaseEENKUlvE_clEvENKUlvE0_clEvEUlfE_EEvS4_RKT_EUlibE_EEviT1_.numbered_sgpr, 56
	.set _ZN2at6native32elementwise_kernel_manual_unrollILi128ELi4EZNS0_22gpu_kernel_impl_nocastIZZZNS0_18lgamma_kernel_cudaERNS_18TensorIteratorBaseEENKUlvE_clEvENKUlvE0_clEvEUlfE_EEvS4_RKT_EUlibE_EEviT1_.num_named_barrier, 0
	.set _ZN2at6native32elementwise_kernel_manual_unrollILi128ELi4EZNS0_22gpu_kernel_impl_nocastIZZZNS0_18lgamma_kernel_cudaERNS_18TensorIteratorBaseEENKUlvE_clEvENKUlvE0_clEvEUlfE_EEvS4_RKT_EUlibE_EEviT1_.private_seg_size, 0
	.set _ZN2at6native32elementwise_kernel_manual_unrollILi128ELi4EZNS0_22gpu_kernel_impl_nocastIZZZNS0_18lgamma_kernel_cudaERNS_18TensorIteratorBaseEENKUlvE_clEvENKUlvE0_clEvEUlfE_EEvS4_RKT_EUlibE_EEviT1_.uses_vcc, 1
	.set _ZN2at6native32elementwise_kernel_manual_unrollILi128ELi4EZNS0_22gpu_kernel_impl_nocastIZZZNS0_18lgamma_kernel_cudaERNS_18TensorIteratorBaseEENKUlvE_clEvENKUlvE0_clEvEUlfE_EEvS4_RKT_EUlibE_EEviT1_.uses_flat_scratch, 0
	.set _ZN2at6native32elementwise_kernel_manual_unrollILi128ELi4EZNS0_22gpu_kernel_impl_nocastIZZZNS0_18lgamma_kernel_cudaERNS_18TensorIteratorBaseEENKUlvE_clEvENKUlvE0_clEvEUlfE_EEvS4_RKT_EUlibE_EEviT1_.has_dyn_sized_stack, 0
	.set _ZN2at6native32elementwise_kernel_manual_unrollILi128ELi4EZNS0_22gpu_kernel_impl_nocastIZZZNS0_18lgamma_kernel_cudaERNS_18TensorIteratorBaseEENKUlvE_clEvENKUlvE0_clEvEUlfE_EEvS4_RKT_EUlibE_EEviT1_.has_recursion, 0
	.set _ZN2at6native32elementwise_kernel_manual_unrollILi128ELi4EZNS0_22gpu_kernel_impl_nocastIZZZNS0_18lgamma_kernel_cudaERNS_18TensorIteratorBaseEENKUlvE_clEvENKUlvE0_clEvEUlfE_EEvS4_RKT_EUlibE_EEviT1_.has_indirect_call, 0
	.section	.AMDGPU.csdata,"",@progbits
; Kernel info:
; codeLenInByte = 24328
; TotalNumSgprs: 58
; NumVgprs: 19
; ScratchSize: 0
; MemoryBound: 0
; FloatMode: 240
; IeeeMode: 1
; LDSByteSize: 0 bytes/workgroup (compile time only)
; SGPRBlocks: 0
; VGPRBlocks: 2
; NumSGPRsForWavesPerEU: 58
; NumVGPRsForWavesPerEU: 19
; Occupancy: 16
; WaveLimiterHint : 1
; COMPUTE_PGM_RSRC2:SCRATCH_EN: 0
; COMPUTE_PGM_RSRC2:USER_SGPR: 6
; COMPUTE_PGM_RSRC2:TRAP_HANDLER: 0
; COMPUTE_PGM_RSRC2:TGID_X_EN: 1
; COMPUTE_PGM_RSRC2:TGID_Y_EN: 0
; COMPUTE_PGM_RSRC2:TGID_Z_EN: 0
; COMPUTE_PGM_RSRC2:TIDIG_COMP_CNT: 0
	.section	.text._ZN2at6native32elementwise_kernel_manual_unrollILi128ELi4EZNS0_15gpu_kernel_implIZZZNS0_18lgamma_kernel_cudaERNS_18TensorIteratorBaseEENKUlvE_clEvENKUlvE0_clEvEUlfE_EEvS4_RKT_EUlibE_EEviT1_,"axG",@progbits,_ZN2at6native32elementwise_kernel_manual_unrollILi128ELi4EZNS0_15gpu_kernel_implIZZZNS0_18lgamma_kernel_cudaERNS_18TensorIteratorBaseEENKUlvE_clEvENKUlvE0_clEvEUlfE_EEvS4_RKT_EUlibE_EEviT1_,comdat
	.globl	_ZN2at6native32elementwise_kernel_manual_unrollILi128ELi4EZNS0_15gpu_kernel_implIZZZNS0_18lgamma_kernel_cudaERNS_18TensorIteratorBaseEENKUlvE_clEvENKUlvE0_clEvEUlfE_EEvS4_RKT_EUlibE_EEviT1_ ; -- Begin function _ZN2at6native32elementwise_kernel_manual_unrollILi128ELi4EZNS0_15gpu_kernel_implIZZZNS0_18lgamma_kernel_cudaERNS_18TensorIteratorBaseEENKUlvE_clEvENKUlvE0_clEvEUlfE_EEvS4_RKT_EUlibE_EEviT1_
	.p2align	8
	.type	_ZN2at6native32elementwise_kernel_manual_unrollILi128ELi4EZNS0_15gpu_kernel_implIZZZNS0_18lgamma_kernel_cudaERNS_18TensorIteratorBaseEENKUlvE_clEvENKUlvE0_clEvEUlfE_EEvS4_RKT_EUlibE_EEviT1_,@function
_ZN2at6native32elementwise_kernel_manual_unrollILi128ELi4EZNS0_15gpu_kernel_implIZZZNS0_18lgamma_kernel_cudaERNS_18TensorIteratorBaseEENKUlvE_clEvENKUlvE0_clEvEUlfE_EEvS4_RKT_EUlibE_EEviT1_: ; @_ZN2at6native32elementwise_kernel_manual_unrollILi128ELi4EZNS0_15gpu_kernel_implIZZZNS0_18lgamma_kernel_cudaERNS_18TensorIteratorBaseEENKUlvE_clEvENKUlvE0_clEvEUlfE_EEvS4_RKT_EUlibE_EEviT1_
; %bb.0:
	v_mov_b32_e32 v1, 0
	s_clause 0x2
	s_load_dword s7, s[4:5], 0x0
	s_load_dwordx2 s[12:13], s[4:5], 0x18
	s_load_dwordx4 s[8:11], s[4:5], 0x8
	v_lshl_or_b32 v4, s6, 9, v0
	s_mov_b32 s2, 0
	s_mov_b32 s6, 0
	global_load_ushort v1, v1, s[4:5] offset:33
	v_or_b32_e32 v0, 0x180, v4
	s_waitcnt vmcnt(0)
	v_readfirstlane_b32 s5, v1
	s_and_b32 s0, 0xffff, s5
	s_lshr_b32 s3, s0, 8
	s_mov_b32 s0, exec_lo
	s_waitcnt lgkmcnt(0)
	v_cmpx_le_i32_e64 s7, v0
	s_xor_b32 s4, exec_lo, s0
	s_cbranch_execz .LBB143_1183
; %bb.1:
	s_mov_b32 s1, -1
	s_mov_b32 s16, 0
	s_mov_b32 s14, 0
	s_mov_b32 s15, exec_lo
	v_cmpx_gt_i32_e64 s7, v4
	s_cbranch_execz .LBB143_290
; %bb.2:
	v_mul_lo_u32 v0, v4, s13
	s_and_b32 s0, 0xffff, s3
	s_cmp_lt_i32 s0, 11
	v_ashrrev_i32_e32 v1, 31, v0
	v_add_co_u32 v0, vcc_lo, s10, v0
	v_add_co_ci_u32_e64 v1, null, s11, v1, vcc_lo
	s_cbranch_scc1 .LBB143_9
; %bb.3:
	s_cmp_gt_i32 s0, 25
	s_cbranch_scc0 .LBB143_56
; %bb.4:
	s_cmp_gt_i32 s0, 28
	s_cbranch_scc0 .LBB143_59
	;; [unrolled: 3-line block ×4, first 2 shown]
; %bb.7:
	s_cmp_eq_u32 s0, 46
	s_cbranch_scc0 .LBB143_65
; %bb.8:
	global_load_dword v2, v[0:1], off
	s_waitcnt vmcnt(0)
	v_lshlrev_b32_e32 v2, 16, v2
	s_branch .LBB143_67
.LBB143_9:
	s_mov_b32 s1, 0
                                        ; implicit-def: $vgpr2
	s_cbranch_execnz .LBB143_240
.LBB143_10:
	s_andn2_b32 vcc_lo, exec_lo, s1
	s_cbranch_vccnz .LBB143_287
.LBB143_11:
	s_waitcnt vmcnt(0)
	v_and_b32_e32 v0, 0x7fffffff, v2
	s_mov_b32 s1, exec_lo
                                        ; implicit-def: $vgpr1
	v_cmpx_ngt_f32_e64 0x3c800000, |v2|
	s_xor_b32 s1, exec_lo, s1
	s_cbranch_execz .LBB143_41
; %bb.12:
	s_mov_b32 s6, exec_lo
                                        ; implicit-def: $vgpr1
	v_cmpx_nlt_f32_e64 |v2|, 2.0
	s_xor_b32 s6, exec_lo, s6
	s_cbranch_execz .LBB143_22
; %bb.13:
	v_cmp_ngt_f32_e64 s0, 0x41000000, |v2|
                                        ; implicit-def: $vgpr1
	s_and_saveexec_b32 s17, s0
	s_xor_b32 s0, exec_lo, s17
	s_cbranch_execz .LBB143_19
; %bb.14:
	v_cmp_ngt_f32_e64 s17, 0x5c800000, |v2|
                                        ; implicit-def: $vgpr1
	s_and_saveexec_b32 s18, s17
	s_xor_b32 s17, exec_lo, s18
	s_cbranch_execz .LBB143_16
; %bb.15:
	v_cmp_gt_f32_e64 s18, 0x800000, |v2|
	v_cndmask_b32_e64 v1, 0, 32, s18
	v_ldexp_f32 v1, |v2|, v1
	v_log_f32_e32 v1, v1
	v_mul_f32_e32 v3, 0x3f317217, v1
	v_cmp_gt_f32_e64 vcc_lo, 0x7f800000, |v1|
	v_fma_f32 v5, 0x3f317217, v1, -v3
	v_fmamk_f32 v5, v1, 0x3377d1cf, v5
	v_add_f32_e32 v3, v3, v5
	v_cndmask_b32_e32 v1, v1, v3, vcc_lo
	v_cndmask_b32_e64 v3, 0, 0x41b17218, s18
	v_sub_f32_e32 v1, v1, v3
	v_fma_f32 v1, |v2|, v1, -|v2|
.LBB143_16:
	s_andn2_saveexec_b32 s17, s17
	s_cbranch_execz .LBB143_18
; %bb.17:
	v_cmp_gt_f32_e64 s18, 0x800000, |v2|
	v_rcp_f32_e64 v3, |v2|
	s_mov_b32 s19, 0xbad5c4e8
	v_cndmask_b32_e64 v1, 0, 32, s18
	v_ldexp_f32 v1, |v2|, v1
	v_mul_f32_e32 v5, v3, v3
	v_log_f32_e32 v1, v1
	v_fmaak_f32 v7, s19, v5, 0x3a5b3dd2
	v_fmaak_f32 v7, v5, v7, 0xba1c065c
	v_mul_f32_e32 v6, 0x3f317217, v1
	v_fmaak_f32 v7, v5, v7, 0x3a500cfd
	v_cmp_gt_f32_e64 vcc_lo, 0x7f800000, |v1|
	v_fma_f32 v8, 0x3f317217, v1, -v6
	v_fmaak_f32 v7, v5, v7, 0xbb360b61
	v_fmamk_f32 v8, v1, 0x3377d1cf, v8
	v_fmaak_f32 v5, v5, v7, 0x3daaaaab
	v_add_f32_e32 v6, v6, v8
	v_cndmask_b32_e32 v1, v1, v6, vcc_lo
	v_cndmask_b32_e64 v6, 0, 0x41b17218, s18
	v_sub_f32_e32 v6, v1, v6
	v_fmaak_f32 v1, v3, v5, 0x3ed67f1d
	v_add_f32_e64 v3, |v2|, -0.5
	v_add_f32_e32 v5, -1.0, v6
	v_fmac_f32_e32 v1, v3, v5
.LBB143_18:
	s_or_b32 exec_lo, exec_lo, s17
.LBB143_19:
	s_andn2_saveexec_b32 s17, s0
	s_cbranch_execz .LBB143_21
; %bb.20:
	v_cvt_i32_f32_e32 v1, v0
	s_mov_b32 s0, 0x36f5d7bd
	s_mov_b32 s18, 0x3805ff67
	v_cvt_f32_i32_e32 v3, v1
	v_cmp_lt_i32_e32 vcc_lo, 2, v1
	v_sub_f32_e64 v3, |v2|, v3
	v_add_f32_e32 v5, 2.0, v3
	v_add_f32_e32 v6, 0x40400000, v3
	v_add_f32_e32 v7, 4.0, v3
	v_add_f32_e32 v8, 0x40a00000, v3
	v_cndmask_b32_e32 v5, 1.0, v5, vcc_lo
	v_cmp_lt_i32_e32 vcc_lo, 3, v1
	v_cndmask_b32_e32 v6, 1.0, v6, vcc_lo
	v_cmp_lt_i32_e32 vcc_lo, 4, v1
	v_mul_f32_e32 v5, v5, v6
	v_cndmask_b32_e32 v7, 1.0, v7, vcc_lo
	v_cmp_lt_i32_e32 vcc_lo, 5, v1
	v_add_f32_e32 v6, 0x40c00000, v3
	v_mul_f32_e32 v5, v7, v5
	v_cndmask_b32_e32 v8, 1.0, v8, vcc_lo
	v_cmp_lt_i32_e32 vcc_lo, 6, v1
	v_fmaak_f32 v7, s18, v3, 0x3af135b4
	v_mul_f32_e32 v5, v8, v5
	v_cndmask_b32_e32 v1, 1.0, v6, vcc_lo
	v_mul_f32_e32 v1, v1, v5
	v_fmaak_f32 v5, s0, v3, 0x3a4beed6
	v_cmp_gt_f32_e32 vcc_lo, 0x800000, v1
	v_fmaak_f32 v5, v3, v5, 0x3c98bf54
	v_cndmask_b32_e64 v6, 0, 32, vcc_lo
	v_fmaak_f32 v5, v3, v5, 0x3e300f6e
	v_ldexp_f32 v1, v1, v6
	v_fmaak_f32 v6, v3, v7, 0x3cda40e4
	v_fmaak_f32 v5, v3, v5, 0x3f38d0c5
	v_log_f32_e32 v1, v1
	v_fmaak_f32 v6, v3, v6, 0x3e15dce6
	v_fmaak_f32 v5, v3, v5, 0x3fb22d3b
	v_fmaak_f32 v6, v3, v6, 0x3ea6cc7a
	v_fma_f32 v5, v3, v5, 1.0
	v_mul_f32_e32 v7, 0x3f317217, v1
	v_fmaak_f32 v6, v3, v6, 0x3e5c245a
	v_rcp_f32_e32 v5, v5
	v_cmp_gt_f32_e64 s0, 0x7f800000, |v1|
	v_fma_f32 v8, 0x3f317217, v1, -v7
	v_fmaak_f32 v6, v3, v6, 0xbd9e233f
	v_fmamk_f32 v8, v1, 0x3377d1cf, v8
	v_mul_f32_e32 v6, v3, v6
	v_add_f32_e32 v7, v7, v8
	v_mul_f32_e32 v5, v6, v5
	v_cndmask_b32_e64 v6, 0, 0x41b17218, vcc_lo
	v_cndmask_b32_e64 v1, v1, v7, s0
	v_fmac_f32_e32 v5, 0.5, v3
	v_sub_f32_e32 v1, v1, v6
	v_add_f32_e32 v1, v1, v5
.LBB143_21:
	s_or_b32 exec_lo, exec_lo, s17
.LBB143_22:
	s_andn2_saveexec_b32 s6, s6
	s_cbranch_execz .LBB143_40
; %bb.23:
	s_mov_b32 s17, exec_lo
                                        ; implicit-def: $vgpr1
                                        ; implicit-def: $vgpr5
                                        ; implicit-def: $vgpr3
	v_cmpx_ge_f32_e64 0x3f666666, |v2|
	s_xor_b32 s17, exec_lo, s17
	s_cbranch_execz .LBB143_25
; %bb.24:
	v_cmp_gt_f32_e64 s0, 0x800000, |v2|
	v_sub_f32_e64 v6, 1.0, |v2|
	v_cmp_gt_f32_e64 vcc_lo, 0x3f3b4a23, |v2|
	v_cndmask_b32_e64 v1, 0, 32, s0
	v_cndmask_b32_e64 v7, 0, 0x41b17218, s0
	v_ldexp_f32 v1, |v2|, v1
	v_log_f32_e32 v1, v1
	v_mul_f32_e32 v3, 0x3f317217, v1
	v_cmp_gt_f32_e64 s0, 0x7f800000, |v1|
	v_fma_f32 v5, 0x3f317217, v1, -v3
	v_fmamk_f32 v5, v1, 0x3377d1cf, v5
	v_add_f32_e32 v3, v3, v5
	v_add_f32_e64 v5, 0xbeec5b0c, |v2|
	v_cndmask_b32_e64 v1, v1, v3, s0
	v_cndmask_b32_e32 v3, v6, v5, vcc_lo
	v_cndmask_b32_e64 v5, 0, 1, vcc_lo
	v_cmp_gt_f32_e64 s0, 0x3e6d3309, |v2|
	v_sub_f32_e32 v1, v1, v7
	v_cndmask_b32_e64 v3, v3, |v2|, s0
	v_cndmask_b32_e64 v5, v5, 2, s0
	v_xor_b32_e32 v1, 0x80000000, v1
.LBB143_25:
	s_andn2_saveexec_b32 s0, s17
	s_cbranch_execz .LBB143_27
; %bb.26:
	v_sub_f32_e64 v1, 2.0, |v2|
	v_add_f32_e64 v3, 0xbfbb16c3, |v2|
	v_cmp_gt_f32_e64 vcc_lo, 0x3fdda512, |v2|
	v_add_f32_e64 v5, |v2|, -1.0
	v_cndmask_b32_e32 v3, v1, v3, vcc_lo
	v_cndmask_b32_e64 v1, v1, 1.0, vcc_lo
	v_cmp_gt_f32_e64 vcc_lo, 0x3f9d70a4, |v2|
	v_cvt_i32_f32_e32 v1, v1
	v_cndmask_b32_e32 v3, v3, v5, vcc_lo
	v_cndmask_b32_e64 v5, v1, 2, vcc_lo
	v_mov_b32_e32 v1, 0
.LBB143_27:
	s_or_b32 exec_lo, exec_lo, s0
	s_mov_b32 s0, exec_lo
	v_cmpx_lt_i32_e32 0, v5
	s_xor_b32 s0, exec_lo, s0
	s_cbranch_execz .LBB143_35
; %bb.28:
	s_mov_b32 s17, exec_lo
	v_cmpx_lt_i32_e32 1, v5
	s_xor_b32 s17, exec_lo, s17
	s_cbranch_execz .LBB143_32
; %bb.29:
	s_mov_b32 s18, exec_lo
	v_cmpx_eq_u32_e32 2, v5
	s_cbranch_execz .LBB143_31
; %bb.30:
	s_mov_b32 s19, 0x3b52d5db
	v_fmaak_f32 v5, s19, v3, 0x3dd572af
	s_mov_b32 s19, 0x3c5b3c5e
	v_fmaak_f32 v6, s19, v3, 0x3e6a7578
	v_fmaak_f32 v5, v3, v5, 0x3f44efdf
	;; [unrolled: 1-line block ×7, first 2 shown]
	v_fma_f32 v5, v3, v5, 1.0
	v_fmaak_f32 v6, v3, v6, 0xbd9e233f
	v_rcp_f32_e32 v5, v5
	v_mul_f32_e32 v6, v3, v6
	v_mul_f32_e32 v5, v6, v5
	v_fmac_f32_e32 v5, -0.5, v3
	v_add_f32_e32 v1, v1, v5
.LBB143_31:
	s_or_b32 exec_lo, exec_lo, s18
                                        ; implicit-def: $vgpr3
.LBB143_32:
	s_andn2_saveexec_b32 s17, s17
	s_cbranch_execz .LBB143_34
; %bb.33:
	v_mul_f32_e32 v5, v3, v3
	s_mov_b32 s18, 0xb9a3f927
	s_mov_b32 s19, 0x39afe9f7
	v_mul_f32_e32 v6, v3, v5
	v_fmaak_f32 v7, s18, v6, 0x3a66f867
	v_fmaak_f32 v8, s19, v6, 0xba0d3085
	s_mov_b32 s18, 0x39a57b6b
	v_fmaak_f32 v9, s18, v6, 0xbab7f476
	v_fmaak_f32 v7, v6, v7, 0xbb7177fe
	v_fmaak_f32 v8, v6, v8, 0x3b141699
	v_fmaak_f32 v9, v6, v9, 0x3bc7e707
	v_fmaak_f32 v7, v6, v7, 0x3c93373d
	v_fmaak_f32 v8, v6, v8, 0xbc28fcfe
	v_fmaak_f32 v9, v6, v9, 0xbd064d47
	v_fmaak_f32 v7, v6, v7, 0xbe17213c
	v_fmaak_f32 v8, v6, v8, 0x3d845a15
	v_fmac_f32_e32 v7, v3, v8
	v_fmaak_f32 v3, v6, v9, 0x3ef7b95e
	v_fma_f32 v6, v6, -v7, 0xa2863e55
	v_fma_f32 v3, v5, v3, -v6
	v_add_f32_e32 v3, 0xbdf8cdce, v3
	v_add_f32_e32 v1, v1, v3
.LBB143_34:
	s_or_b32 exec_lo, exec_lo, s17
                                        ; implicit-def: $vgpr5
                                        ; implicit-def: $vgpr3
.LBB143_35:
	s_andn2_saveexec_b32 s0, s0
	s_cbranch_execz .LBB143_39
; %bb.36:
	s_mov_b32 s17, exec_lo
	v_cmpx_eq_u32_e32 0, v5
	s_cbranch_execz .LBB143_38
; %bb.37:
	v_mul_f32_e32 v5, v3, v3
	s_mov_b32 s18, 0x383c2c75
	v_fmaak_f32 v6, s18, v5, 0x38e28445
	s_mov_b32 s18, 0x37d383a2
	v_fmaak_f32 v7, s18, v5, 0x39679767
	v_fmaak_f32 v6, v5, v6, 0x3a05b634
	;; [unrolled: 1-line block ×9, first 2 shown]
	v_mul_f32_e32 v5, v5, v6
	v_fmac_f32_e32 v5, v3, v7
	v_fmac_f32_e32 v5, -0.5, v3
	v_add_f32_e32 v1, v1, v5
.LBB143_38:
	s_or_b32 exec_lo, exec_lo, s17
.LBB143_39:
	s_or_b32 exec_lo, exec_lo, s0
.LBB143_40:
	s_or_b32 exec_lo, exec_lo, s6
.LBB143_41:
	s_andn2_saveexec_b32 s0, s1
	s_cbranch_execz .LBB143_43
; %bb.42:
	v_cmp_gt_f32_e64 s1, 0x800000, |v2|
	s_mov_b32 s6, 0x3e8a8991
	v_fma_f32 v6, |v2|, s6, 0xbecd26ab
	v_cndmask_b32_e64 v1, 0, 32, s1
	v_ldexp_f32 v1, |v2|, v1
	v_log_f32_e32 v1, v1
	v_mul_f32_e32 v3, 0x3f317217, v1
	v_cmp_gt_f32_e64 vcc_lo, 0x7f800000, |v1|
	v_fma_f32 v5, 0x3f317217, v1, -v3
	v_fmamk_f32 v5, v1, 0x3377d1cf, v5
	v_add_f32_e32 v3, v3, v5
	v_fma_f32 v5, |v2|, v6, 0x3f528d33
	v_cndmask_b32_e32 v1, v1, v3, vcc_lo
	v_cndmask_b32_e64 v3, 0, 0x41b17218, s1
	v_fma_f32 v5, |v2|, v5, 0xbf13c468
	v_sub_f32_e32 v1, v1, v3
	v_fma_f32 v1, |v2|, v5, -v1
.LBB143_43:
	s_or_b32 exec_lo, exec_lo, s0
	v_cmp_le_f32_e32 vcc_lo, 0, v2
	s_mov_b32 s1, exec_lo
	v_cmpx_nle_f32_e32 0, v2
	s_xor_b32 s6, exec_lo, s1
	s_cbranch_execz .LBB143_47
; %bb.44:
	v_cmp_gt_f32_e64 s0, 0x4b000000, |v2|
	v_cmp_lt_f32_e64 s1, 0x35000000, |v2|
	s_and_b32 s0, s0, s1
	s_and_saveexec_b32 s17, s0
	s_cbranch_execz .LBB143_46
; %bb.45:
	v_mul_f32_e64 v3, |v2|, 0.5
	s_mov_b32 s1, 0x3d4be544
	v_xor_b32_e32 v0, v0, v2
	v_floor_f32_e32 v5, v3
	v_cmp_neq_f32_e64 s0, 0x7f800000, v3
	v_sub_f32_e32 v5, v3, v5
	v_min_f32_e32 v5, 0x3f7fffff, v5
	v_add_f32_e32 v5, v5, v5
	v_cndmask_b32_e64 v3, 0, v5, s0
	v_cmp_gt_f32_e64 s0, |v2|, 1.0
	v_cndmask_b32_e64 v3, |v2|, v3, s0
	s_mov_b32 s0, 0x3e75aa41
	v_add_f32_e32 v5, v3, v3
	v_rndne_f32_e32 v5, v5
	v_fmac_f32_e32 v3, -0.5, v5
	v_cvt_i32_f32_e32 v5, v5
	v_mul_f32_e32 v6, v3, v3
	v_fmaak_f32 v7, s0, v6, 0xbf1f24be
	v_fmaak_f32 v8, s1, v6, 0x3e642e9d
	v_mul_f32_e32 v9, v3, v6
	v_fmaak_f32 v7, v6, v7, 0x40234736
	v_fmaak_f32 v8, v6, v8, 0xbfaad1da
	;; [unrolled: 1-line block ×4, first 2 shown]
	v_mul_f32_e32 v7, v9, v7
	v_fmaak_f32 v8, v6, v8, 0xc09de9e6
	v_and_b32_e32 v9, 1, v5
	v_lshlrev_b32_e32 v5, 30, v5
	v_fmamk_f32 v3, v3, 0x40490fdb, v7
	v_fma_f32 v6, v6, v8, 1.0
	v_cmp_eq_u32_e64 s0, 0, v9
	v_and_b32_e32 v5, 0x80000000, v5
	v_cndmask_b32_e64 v3, v6, v3, s0
	v_xor3_b32 v0, v0, v5, v3
	v_mul_f32_e32 v0, v2, v0
	v_frexp_mant_f32_e64 v3, |v0|
	v_frexp_exp_i32_f32_e32 v0, v0
	v_rcp_f32_e32 v3, v3
	v_sub_nc_u32_e32 v0, 2, v0
	v_mul_f32_e32 v3, 0x3f490fdb, v3
	v_ldexp_f32 v0, v3, v0
	v_cmp_gt_f32_e64 s0, 0x800000, v0
	v_cndmask_b32_e64 v3, 0, 32, s0
	v_ldexp_f32 v0, v0, v3
	v_log_f32_e32 v0, v0
	v_mul_f32_e32 v3, 0x3f317217, v0
	v_cmp_gt_f32_e64 s1, 0x7f800000, |v0|
	v_fma_f32 v5, 0x3f317217, v0, -v3
	v_fmamk_f32 v5, v0, 0x3377d1cf, v5
	v_add_f32_e32 v3, v3, v5
	v_floor_f32_e32 v5, v2
	v_cndmask_b32_e64 v0, v0, v3, s1
	v_cndmask_b32_e64 v3, 0, 0x41b17218, s0
	v_sub_f32_e32 v5, v2, v5
	v_sub_f32_e32 v0, v0, v3
	v_min_f32_e32 v3, 0x3f7fffff, v5
	v_sub_f32_e32 v0, v0, v1
	v_cmp_neq_f32_e64 s0, 0, v3
	v_cndmask_b32_e64 v1, 0x7f800000, v0, s0
.LBB143_46:
	s_or_b32 exec_lo, exec_lo, s17
.LBB143_47:
	s_andn2_saveexec_b32 s6, s6
; %bb.48:
	v_cmp_eq_f32_e64 s0, 1.0, v2
	v_cmp_eq_f32_e64 s1, 2.0, v2
	s_or_b32 s0, s0, s1
	v_cndmask_b32_e64 v1, v1, 0, s0
; %bb.49:
	s_or_b32 exec_lo, exec_lo, s6
	v_mul_lo_u32 v0, v4, s12
	v_cmp_gt_f32_e64 s0, 0x4b000000, |v2|
	s_and_b32 s1, s5, 0xff
	s_or_b32 vcc_lo, vcc_lo, s0
	v_cmp_class_f32_e64 s0, v2, 0x264
	v_cndmask_b32_e32 v1, 0x7f800000, v1, vcc_lo
	v_ashrrev_i32_e32 v3, 31, v0
	v_add_co_u32 v0, vcc_lo, s8, v0
	s_cmp_lt_i32 s1, 11
	v_cndmask_b32_e64 v5, v1, 0x7f800000, s0
	v_add_co_ci_u32_e64 v1, null, s9, v3, vcc_lo
	v_cmp_u_f32_e32 vcc_lo, v2, v2
	v_cndmask_b32_e32 v2, v5, v2, vcc_lo
	s_cbranch_scc1 .LBB143_57
; %bb.50:
	s_and_b32 s6, 0xffff, s1
	s_cmp_gt_i32 s6, 25
	s_cbranch_scc0 .LBB143_60
; %bb.51:
	s_cmp_gt_i32 s6, 28
	s_cbranch_scc0 .LBB143_62
; %bb.52:
	;; [unrolled: 3-line block ×4, first 2 shown]
	s_mov_b32 s18, 0
	s_mov_b32 s0, -1
	s_cmp_eq_u32 s6, 46
	s_mov_b32 s17, 0
	s_cbranch_scc0 .LBB143_71
; %bb.55:
	v_bfe_u32 v3, v2, 16, 1
	v_cmp_o_f32_e32 vcc_lo, v2, v2
	v_mov_b32_e32 v5, 0x7fc0
	s_mov_b32 s17, -1
	s_mov_b32 s0, 0
	v_add3_u32 v3, v2, v3, 0x7fff
	v_cndmask_b32_sdwa v3, v5, v3, vcc_lo dst_sel:DWORD dst_unused:UNUSED_PAD src0_sel:DWORD src1_sel:WORD_1
	global_store_dword v[0:1], v3, off
	s_branch .LBB143_71
.LBB143_56:
	s_mov_b32 s1, 0
                                        ; implicit-def: $vgpr2
	s_cbranch_execnz .LBB143_205
	s_branch .LBB143_239
.LBB143_57:
	s_mov_b32 s0, 0
	s_mov_b32 s17, 0
	s_cbranch_execnz .LBB143_140
.LBB143_58:
	s_andn2_b32 vcc_lo, exec_lo, s17
	s_cbranch_vccnz .LBB143_288
	s_branch .LBB143_178
.LBB143_59:
	s_mov_b32 s6, -1
	s_mov_b32 s1, 0
                                        ; implicit-def: $vgpr2
	s_branch .LBB143_186
.LBB143_60:
	s_mov_b32 s18, -1
	s_mov_b32 s0, 0
	s_mov_b32 s17, 0
	s_branch .LBB143_98
.LBB143_61:
	s_mov_b32 s6, -1
	s_mov_b32 s1, 0
                                        ; implicit-def: $vgpr2
	s_branch .LBB143_181
.LBB143_62:
	s_mov_b32 s18, -1
	s_mov_b32 s0, 0
	s_mov_b32 s17, 0
	s_branch .LBB143_81
.LBB143_63:
	s_mov_b32 s6, -1
	s_branch .LBB143_66
.LBB143_64:
	s_mov_b32 s18, -1
	s_mov_b32 s0, 0
	s_mov_b32 s17, 0
	s_branch .LBB143_77
.LBB143_65:
	s_mov_b32 s14, -1
.LBB143_66:
	s_mov_b32 s1, 0
                                        ; implicit-def: $vgpr2
.LBB143_67:
	s_and_b32 vcc_lo, exec_lo, s6
	s_cbranch_vccz .LBB143_180
; %bb.68:
	s_cmp_eq_u32 s0, 44
	s_cbranch_scc0 .LBB143_179
; %bb.69:
	global_load_ubyte v2, v[0:1], off
	s_mov_b32 s14, 0
	s_mov_b32 s1, -1
	s_waitcnt vmcnt(0)
	v_lshlrev_b32_e32 v3, 23, v2
	v_cmp_ne_u32_e32 vcc_lo, 0xff, v2
	v_cndmask_b32_e32 v3, 0x7f800001, v3, vcc_lo
	v_cmp_ne_u32_e32 vcc_lo, 0, v2
	v_cndmask_b32_e32 v2, 0x400000, v3, vcc_lo
	s_branch .LBB143_180
.LBB143_70:
	s_mov_b32 s18, -1
	s_mov_b32 s0, 0
	s_mov_b32 s17, 0
.LBB143_71:
	s_and_b32 vcc_lo, exec_lo, s18
	s_cbranch_vccz .LBB143_76
; %bb.72:
	s_cmp_eq_u32 s6, 44
	s_mov_b32 s0, -1
	s_cbranch_scc0 .LBB143_76
; %bb.73:
	v_bfe_u32 v5, v2, 23, 8
	v_mov_b32_e32 v3, 0xff
	s_mov_b32 s17, exec_lo
	v_cmpx_ne_u32_e32 0xff, v5
	s_cbranch_execz .LBB143_75
; %bb.74:
	v_and_b32_e32 v3, 0x400000, v2
	v_and_or_b32 v5, 0x3fffff, v2, v5
	v_cmp_ne_u32_e32 vcc_lo, 0, v3
	v_cmp_ne_u32_e64 s0, 0, v5
	v_lshrrev_b32_e32 v3, 23, v2
	s_and_b32 s0, vcc_lo, s0
	v_cndmask_b32_e64 v5, 0, 1, s0
	v_add_nc_u32_e32 v3, v3, v5
.LBB143_75:
	s_or_b32 exec_lo, exec_lo, s17
	s_mov_b32 s17, -1
	s_mov_b32 s0, 0
	global_store_byte v[0:1], v3, off
.LBB143_76:
	s_mov_b32 s18, 0
.LBB143_77:
	s_and_b32 vcc_lo, exec_lo, s18
	s_cbranch_vccz .LBB143_80
; %bb.78:
	s_cmp_eq_u32 s6, 29
	s_mov_b32 s0, -1
	s_cbranch_scc0 .LBB143_80
; %bb.79:
	v_trunc_f32_e32 v3, v2
	s_mov_b32 s17, -1
	s_mov_b32 s0, 0
	s_mov_b32 s18, 0
	v_mul_f32_e32 v5, 0x2f800000, v3
	v_floor_f32_e32 v5, v5
	v_fmamk_f32 v3, v5, 0xcf800000, v3
	v_cvt_u32_f32_e32 v6, v5
	v_cvt_u32_f32_e32 v5, v3
	global_store_dwordx2 v[0:1], v[5:6], off
	s_branch .LBB143_81
.LBB143_80:
	s_mov_b32 s18, 0
.LBB143_81:
	s_and_b32 vcc_lo, exec_lo, s18
	s_cbranch_vccz .LBB143_97
; %bb.82:
	s_cmp_lt_i32 s6, 27
	s_mov_b32 s17, -1
	s_cbranch_scc1 .LBB143_88
; %bb.83:
	v_cvt_u32_f32_e32 v3, v2
	s_cmp_gt_i32 s6, 27
	s_cbranch_scc0 .LBB143_85
; %bb.84:
	s_mov_b32 s17, 0
	global_store_dword v[0:1], v3, off
.LBB143_85:
	s_andn2_b32 vcc_lo, exec_lo, s17
	s_cbranch_vccnz .LBB143_87
; %bb.86:
	global_store_short v[0:1], v3, off
.LBB143_87:
	s_mov_b32 s17, 0
.LBB143_88:
	s_andn2_b32 vcc_lo, exec_lo, s17
	s_cbranch_vccnz .LBB143_96
; %bb.89:
	v_and_b32_e32 v3, 0x7fffffff, v2
	v_mov_b32_e32 v5, 0x80
	s_mov_b32 s17, exec_lo
	v_cmpx_gt_u32_e32 0x43800000, v3
	s_cbranch_execz .LBB143_95
; %bb.90:
	v_cmp_lt_u32_e32 vcc_lo, 0x3bffffff, v3
	s_mov_b32 s18, 0
                                        ; implicit-def: $vgpr3
	s_and_saveexec_b32 s19, vcc_lo
	s_xor_b32 s19, exec_lo, s19
	s_cbranch_execz .LBB143_355
; %bb.91:
	v_bfe_u32 v3, v2, 20, 1
	s_mov_b32 s18, exec_lo
	v_add3_u32 v3, v2, v3, 0x487ffff
	v_lshrrev_b32_e32 v3, 20, v3
	s_andn2_saveexec_b32 s19, s19
	s_cbranch_execnz .LBB143_356
.LBB143_92:
	s_or_b32 exec_lo, exec_lo, s19
	v_mov_b32_e32 v5, 0
	s_and_saveexec_b32 s19, s18
.LBB143_93:
	v_lshrrev_b32_e32 v5, 24, v2
	v_and_or_b32 v5, 0x80, v5, v3
.LBB143_94:
	s_or_b32 exec_lo, exec_lo, s19
.LBB143_95:
	s_or_b32 exec_lo, exec_lo, s17
	global_store_byte v[0:1], v5, off
.LBB143_96:
	s_mov_b32 s17, -1
.LBB143_97:
	s_mov_b32 s18, 0
.LBB143_98:
	s_and_b32 vcc_lo, exec_lo, s18
	s_cbranch_vccz .LBB143_139
; %bb.99:
	s_cmp_gt_i32 s6, 22
	s_mov_b32 s18, -1
	s_cbranch_scc0 .LBB143_131
; %bb.100:
	s_cmp_lt_i32 s6, 24
	s_mov_b32 s17, -1
	s_cbranch_scc1 .LBB143_120
; %bb.101:
	s_cmp_gt_i32 s6, 24
	s_cbranch_scc0 .LBB143_109
; %bb.102:
	v_and_b32_e32 v3, 0x7fffffff, v2
	v_mov_b32_e32 v5, 0x80
	s_mov_b32 s17, exec_lo
	v_cmpx_gt_u32_e32 0x47800000, v3
	s_cbranch_execz .LBB143_108
; %bb.103:
	v_cmp_lt_u32_e32 vcc_lo, 0x37ffffff, v3
	s_mov_b32 s18, 0
                                        ; implicit-def: $vgpr3
	s_and_saveexec_b32 s19, vcc_lo
	s_xor_b32 s19, exec_lo, s19
	s_cbranch_execz .LBB143_359
; %bb.104:
	v_bfe_u32 v3, v2, 21, 1
	s_mov_b32 s18, exec_lo
	v_add3_u32 v3, v2, v3, 0x88fffff
	v_lshrrev_b32_e32 v3, 21, v3
	s_andn2_saveexec_b32 s19, s19
	s_cbranch_execnz .LBB143_360
.LBB143_105:
	s_or_b32 exec_lo, exec_lo, s19
	v_mov_b32_e32 v5, 0
	s_and_saveexec_b32 s19, s18
.LBB143_106:
	v_lshrrev_b32_e32 v5, 24, v2
	v_and_or_b32 v5, 0x80, v5, v3
.LBB143_107:
	s_or_b32 exec_lo, exec_lo, s19
.LBB143_108:
	s_or_b32 exec_lo, exec_lo, s17
	s_mov_b32 s17, 0
	global_store_byte v[0:1], v5, off
.LBB143_109:
	s_and_b32 vcc_lo, exec_lo, s17
	s_cbranch_vccz .LBB143_119
; %bb.110:
	v_and_b32_e32 v5, 0x7fffffff, v2
	s_mov_b32 s17, exec_lo
                                        ; implicit-def: $vgpr3
	v_cmpx_gt_u32_e32 0x43f00000, v5
	s_xor_b32 s17, exec_lo, s17
	s_cbranch_execz .LBB143_116
; %bb.111:
	s_mov_b32 s18, exec_lo
                                        ; implicit-def: $vgpr3
	v_cmpx_lt_u32_e32 0x3c7fffff, v5
	s_xor_b32 s18, exec_lo, s18
; %bb.112:
	v_bfe_u32 v3, v2, 20, 1
	v_add3_u32 v3, v2, v3, 0x407ffff
	v_and_b32_e32 v5, 0xff00000, v3
	v_lshrrev_b32_e32 v3, 20, v3
	v_cmp_ne_u32_e32 vcc_lo, 0x7f00000, v5
	v_cndmask_b32_e32 v3, 0x7e, v3, vcc_lo
; %bb.113:
	s_andn2_saveexec_b32 s18, s18
; %bb.114:
	v_add_f32_e64 v3, 0x46800000, |v2|
; %bb.115:
	s_or_b32 exec_lo, exec_lo, s18
                                        ; implicit-def: $vgpr5
.LBB143_116:
	s_andn2_saveexec_b32 s17, s17
; %bb.117:
	v_mov_b32_e32 v3, 0x7f
	v_cmp_lt_u32_e32 vcc_lo, 0x7f800000, v5
	v_cndmask_b32_e32 v3, 0x7e, v3, vcc_lo
; %bb.118:
	s_or_b32 exec_lo, exec_lo, s17
	v_lshrrev_b32_e32 v5, 24, v2
	v_and_or_b32 v3, 0x80, v5, v3
	global_store_byte v[0:1], v3, off
.LBB143_119:
	s_mov_b32 s17, 0
.LBB143_120:
	s_andn2_b32 vcc_lo, exec_lo, s17
	s_cbranch_vccnz .LBB143_130
; %bb.121:
	v_and_b32_e32 v5, 0x7fffffff, v2
	s_mov_b32 s17, exec_lo
                                        ; implicit-def: $vgpr3
	v_cmpx_gt_u32_e32 0x47800000, v5
	s_xor_b32 s17, exec_lo, s17
	s_cbranch_execz .LBB143_127
; %bb.122:
	s_mov_b32 s18, exec_lo
                                        ; implicit-def: $vgpr3
	v_cmpx_lt_u32_e32 0x387fffff, v5
	s_xor_b32 s18, exec_lo, s18
; %bb.123:
	v_bfe_u32 v3, v2, 21, 1
	v_add3_u32 v3, v2, v3, 0x80fffff
	v_lshrrev_b32_e32 v3, 21, v3
; %bb.124:
	s_andn2_saveexec_b32 s18, s18
; %bb.125:
	v_add_f32_e64 v3, 0x43000000, |v2|
; %bb.126:
	s_or_b32 exec_lo, exec_lo, s18
                                        ; implicit-def: $vgpr5
.LBB143_127:
	s_andn2_saveexec_b32 s17, s17
; %bb.128:
	v_mov_b32_e32 v3, 0x7f
	v_cmp_lt_u32_e32 vcc_lo, 0x7f800000, v5
	v_cndmask_b32_e32 v3, 0x7c, v3, vcc_lo
; %bb.129:
	s_or_b32 exec_lo, exec_lo, s17
	v_lshrrev_b32_e32 v5, 24, v2
	v_and_or_b32 v3, 0x80, v5, v3
	global_store_byte v[0:1], v3, off
.LBB143_130:
	s_mov_b32 s18, 0
	s_mov_b32 s17, -1
.LBB143_131:
	s_andn2_b32 vcc_lo, exec_lo, s18
	s_cbranch_vccnz .LBB143_139
; %bb.132:
	s_cmp_gt_i32 s6, 14
	s_mov_b32 s18, -1
	s_cbranch_scc0 .LBB143_136
; %bb.133:
	s_cmp_eq_u32 s6, 15
	s_mov_b32 s0, -1
	s_cbranch_scc0 .LBB143_135
; %bb.134:
	v_bfe_u32 v3, v2, 16, 1
	v_cmp_o_f32_e32 vcc_lo, v2, v2
	v_mov_b32_e32 v5, 0x7fc0
	s_mov_b32 s17, -1
	s_mov_b32 s0, 0
	v_add3_u32 v3, v2, v3, 0x7fff
	v_cndmask_b32_sdwa v3, v5, v3, vcc_lo dst_sel:DWORD dst_unused:UNUSED_PAD src0_sel:DWORD src1_sel:WORD_1
	global_store_short v[0:1], v3, off
.LBB143_135:
	s_mov_b32 s18, 0
.LBB143_136:
	s_and_b32 vcc_lo, exec_lo, s18
	s_cbranch_vccz .LBB143_139
; %bb.137:
	s_cmp_eq_u32 s6, 11
	s_mov_b32 s0, -1
	s_cbranch_scc0 .LBB143_139
; %bb.138:
	v_cmp_neq_f32_e32 vcc_lo, 0, v2
	s_mov_b32 s0, 0
	s_mov_b32 s17, -1
	v_cndmask_b32_e64 v3, 0, 1, vcc_lo
	global_store_byte v[0:1], v3, off
.LBB143_139:
	s_branch .LBB143_58
.LBB143_140:
	s_and_b32 s1, 0xffff, s1
	s_mov_b32 s6, -1
	s_cmp_lt_i32 s1, 5
	s_cbranch_scc1 .LBB143_161
; %bb.141:
	s_cmp_lt_i32 s1, 8
	s_cbranch_scc1 .LBB143_151
; %bb.142:
	;; [unrolled: 3-line block ×3, first 2 shown]
	s_cmp_gt_i32 s1, 9
	s_cbranch_scc0 .LBB143_145
; %bb.144:
	v_cvt_f64_f32_e32 v[5:6], v2
	v_mov_b32_e32 v7, 0
	s_mov_b32 s6, 0
	v_mov_b32_e32 v8, v7
	global_store_dwordx4 v[0:1], v[5:8], off
.LBB143_145:
	s_andn2_b32 vcc_lo, exec_lo, s6
	s_cbranch_vccnz .LBB143_147
; %bb.146:
	v_mov_b32_e32 v3, 0
	global_store_dwordx2 v[0:1], v[2:3], off
.LBB143_147:
	s_mov_b32 s6, 0
.LBB143_148:
	s_andn2_b32 vcc_lo, exec_lo, s6
	s_cbranch_vccnz .LBB143_150
; %bb.149:
	v_cvt_f16_f32_e32 v3, v2
	v_and_b32_e32 v3, 0xffff, v3
	global_store_dword v[0:1], v3, off
.LBB143_150:
	s_mov_b32 s6, 0
.LBB143_151:
	s_andn2_b32 vcc_lo, exec_lo, s6
	s_cbranch_vccnz .LBB143_160
; %bb.152:
	s_cmp_lt_i32 s1, 6
	s_mov_b32 s6, -1
	s_cbranch_scc1 .LBB143_158
; %bb.153:
	s_cmp_gt_i32 s1, 6
	s_cbranch_scc0 .LBB143_155
; %bb.154:
	v_cvt_f64_f32_e32 v[5:6], v2
	s_mov_b32 s6, 0
	global_store_dwordx2 v[0:1], v[5:6], off
.LBB143_155:
	s_andn2_b32 vcc_lo, exec_lo, s6
	s_cbranch_vccnz .LBB143_157
; %bb.156:
	global_store_dword v[0:1], v2, off
.LBB143_157:
	s_mov_b32 s6, 0
.LBB143_158:
	s_andn2_b32 vcc_lo, exec_lo, s6
	s_cbranch_vccnz .LBB143_160
; %bb.159:
	v_cvt_f16_f32_e32 v3, v2
	global_store_short v[0:1], v3, off
.LBB143_160:
	s_mov_b32 s6, 0
.LBB143_161:
	s_andn2_b32 vcc_lo, exec_lo, s6
	s_cbranch_vccnz .LBB143_177
; %bb.162:
	s_cmp_lt_i32 s1, 2
	s_mov_b32 s6, -1
	s_cbranch_scc1 .LBB143_172
; %bb.163:
	s_cmp_lt_i32 s1, 3
	s_cbranch_scc1 .LBB143_169
; %bb.164:
	s_cmp_gt_i32 s1, 3
	s_cbranch_scc0 .LBB143_166
; %bb.165:
	v_trunc_f32_e32 v3, v2
	s_mov_b32 s6, 0
	v_mul_f32_e64 v5, 0x2f800000, |v3|
	v_floor_f32_e32 v5, v5
	v_fma_f32 v6, 0xcf800000, v5, |v3|
	v_ashrrev_i32_e32 v3, 31, v3
	v_cvt_u32_f32_e32 v5, v5
	v_cvt_u32_f32_e32 v6, v6
	v_xor_b32_e32 v7, v5, v3
	v_xor_b32_e32 v6, v6, v3
	v_sub_co_u32 v5, vcc_lo, v6, v3
	v_sub_co_ci_u32_e64 v6, null, v7, v3, vcc_lo
	global_store_dwordx2 v[0:1], v[5:6], off
.LBB143_166:
	s_andn2_b32 vcc_lo, exec_lo, s6
	s_cbranch_vccnz .LBB143_168
; %bb.167:
	v_cvt_i32_f32_e32 v3, v2
	global_store_dword v[0:1], v3, off
.LBB143_168:
	s_mov_b32 s6, 0
.LBB143_169:
	s_andn2_b32 vcc_lo, exec_lo, s6
	s_cbranch_vccnz .LBB143_171
; %bb.170:
	v_cvt_i32_f32_e32 v3, v2
	global_store_short v[0:1], v3, off
.LBB143_171:
	s_mov_b32 s6, 0
.LBB143_172:
	s_andn2_b32 vcc_lo, exec_lo, s6
	s_cbranch_vccnz .LBB143_177
; %bb.173:
	s_cmp_gt_i32 s1, 0
	s_mov_b32 s1, -1
	s_cbranch_scc0 .LBB143_175
; %bb.174:
	v_cvt_i32_f32_e32 v3, v2
	s_mov_b32 s1, 0
	global_store_byte v[0:1], v3, off
.LBB143_175:
	s_andn2_b32 vcc_lo, exec_lo, s1
	s_cbranch_vccnz .LBB143_177
; %bb.176:
	v_trunc_f32_e32 v2, v2
	v_mul_f32_e64 v3, 0x2f800000, |v2|
	v_floor_f32_e32 v3, v3
	v_fma_f32 v3, 0xcf800000, v3, |v2|
	v_ashrrev_i32_e32 v2, 31, v2
	v_cvt_u32_f32_e32 v3, v3
	v_xor_b32_e32 v3, v3, v2
	v_sub_nc_u32_e32 v2, v3, v2
	global_store_byte v[0:1], v2, off
.LBB143_177:
.LBB143_178:
	v_add_nc_u32_e32 v4, 0x80, v4
	s_mov_b32 s1, -1
	s_branch .LBB143_289
.LBB143_179:
	s_mov_b32 s14, -1
                                        ; implicit-def: $vgpr2
.LBB143_180:
	s_mov_b32 s6, 0
.LBB143_181:
	s_and_b32 vcc_lo, exec_lo, s6
	s_cbranch_vccz .LBB143_185
; %bb.182:
	s_cmp_eq_u32 s0, 29
	s_cbranch_scc0 .LBB143_184
; %bb.183:
	global_load_dwordx2 v[2:3], v[0:1], off
	s_mov_b32 s1, -1
	s_mov_b32 s14, 0
	s_mov_b32 s6, 0
	s_waitcnt vmcnt(0)
	v_ffbh_u32_e32 v5, v3
	v_min_u32_e32 v5, 32, v5
	v_lshlrev_b64 v[2:3], v5, v[2:3]
	v_min_u32_e32 v2, 1, v2
	v_or_b32_e32 v2, v3, v2
	v_sub_nc_u32_e32 v3, 32, v5
	v_cvt_f32_u32_e32 v2, v2
	v_ldexp_f32 v2, v2, v3
	s_branch .LBB143_186
.LBB143_184:
	s_mov_b32 s14, -1
                                        ; implicit-def: $vgpr2
.LBB143_185:
	s_mov_b32 s6, 0
.LBB143_186:
	s_and_b32 vcc_lo, exec_lo, s6
	s_cbranch_vccz .LBB143_204
; %bb.187:
	s_cmp_lt_i32 s0, 27
	s_cbranch_scc1 .LBB143_190
; %bb.188:
	s_cmp_gt_i32 s0, 27
	s_cbranch_scc0 .LBB143_191
; %bb.189:
	global_load_dword v2, v[0:1], off
	s_mov_b32 s1, 0
	s_waitcnt vmcnt(0)
	v_cvt_f32_u32_e32 v2, v2
	s_branch .LBB143_192
.LBB143_190:
	s_mov_b32 s1, -1
                                        ; implicit-def: $vgpr2
	s_branch .LBB143_195
.LBB143_191:
	s_mov_b32 s1, -1
                                        ; implicit-def: $vgpr2
.LBB143_192:
	s_andn2_b32 vcc_lo, exec_lo, s1
	s_cbranch_vccnz .LBB143_194
; %bb.193:
	global_load_ushort v2, v[0:1], off
	s_waitcnt vmcnt(0)
	v_cvt_f32_u32_e32 v2, v2
.LBB143_194:
	s_mov_b32 s1, 0
.LBB143_195:
	s_andn2_b32 vcc_lo, exec_lo, s1
	s_cbranch_vccnz .LBB143_203
; %bb.196:
	global_load_ubyte v3, v[0:1], off
	s_mov_b32 s1, 0
	s_mov_b32 s6, exec_lo
	s_waitcnt vmcnt(0)
	v_cmpx_lt_i16_e32 0x7f, v3
	s_xor_b32 s6, exec_lo, s6
	s_cbranch_execz .LBB143_216
; %bb.197:
	s_mov_b32 s1, -1
	s_mov_b32 s17, exec_lo
	v_cmpx_eq_u16_e32 0x80, v3
; %bb.198:
	s_xor_b32 s1, exec_lo, -1
; %bb.199:
	s_or_b32 exec_lo, exec_lo, s17
	s_and_b32 s1, s1, exec_lo
	s_or_saveexec_b32 s6, s6
	v_mov_b32_e32 v2, 0x7f800001
	s_xor_b32 exec_lo, exec_lo, s6
	s_cbranch_execnz .LBB143_217
.LBB143_200:
	s_or_b32 exec_lo, exec_lo, s6
	s_and_saveexec_b32 s6, s1
	s_cbranch_execz .LBB143_202
.LBB143_201:
	v_and_b32_e32 v2, 0xffff, v3
	v_lshlrev_b32_e32 v3, 24, v3
	v_and_b32_e32 v5, 7, v2
	v_bfe_u32 v8, v2, 3, 4
	v_and_b32_e32 v3, 0x80000000, v3
	v_ffbh_u32_e32 v6, v5
	v_cmp_eq_u32_e32 vcc_lo, 0, v8
	v_min_u32_e32 v6, 32, v6
	v_subrev_nc_u32_e32 v7, 28, v6
	v_sub_nc_u32_e32 v6, 29, v6
	v_lshlrev_b32_e32 v2, v7, v2
	v_cndmask_b32_e32 v6, v8, v6, vcc_lo
	v_and_b32_e32 v2, 7, v2
	v_cndmask_b32_e32 v2, v5, v2, vcc_lo
	v_lshl_add_u32 v5, v6, 23, 0x3b800000
	v_lshlrev_b32_e32 v2, 20, v2
	v_or3_b32 v2, v3, v5, v2
.LBB143_202:
	s_or_b32 exec_lo, exec_lo, s6
.LBB143_203:
	s_mov_b32 s1, -1
.LBB143_204:
	s_branch .LBB143_239
.LBB143_205:
	s_cmp_gt_i32 s0, 22
	s_cbranch_scc0 .LBB143_215
; %bb.206:
	s_cmp_lt_i32 s0, 24
	s_cbranch_scc1 .LBB143_218
; %bb.207:
	s_cmp_gt_i32 s0, 24
	s_cbranch_scc0 .LBB143_219
; %bb.208:
	global_load_ubyte v3, v[0:1], off
	s_mov_b32 s1, 0
	s_mov_b32 s6, exec_lo
	s_waitcnt vmcnt(0)
	v_cmpx_lt_i16_e32 0x7f, v3
	s_xor_b32 s6, exec_lo, s6
	s_cbranch_execz .LBB143_231
; %bb.209:
	s_mov_b32 s1, -1
	s_mov_b32 s17, exec_lo
	v_cmpx_eq_u16_e32 0x80, v3
; %bb.210:
	s_xor_b32 s1, exec_lo, -1
; %bb.211:
	s_or_b32 exec_lo, exec_lo, s17
	s_and_b32 s1, s1, exec_lo
	s_or_saveexec_b32 s6, s6
	v_mov_b32_e32 v2, 0x7f800001
	s_xor_b32 exec_lo, exec_lo, s6
	s_cbranch_execnz .LBB143_232
.LBB143_212:
	s_or_b32 exec_lo, exec_lo, s6
	s_and_saveexec_b32 s6, s1
	s_cbranch_execz .LBB143_214
.LBB143_213:
	v_and_b32_e32 v2, 0xffff, v3
	v_lshlrev_b32_e32 v3, 24, v3
	v_and_b32_e32 v5, 3, v2
	v_bfe_u32 v8, v2, 2, 5
	v_and_b32_e32 v3, 0x80000000, v3
	v_ffbh_u32_e32 v6, v5
	v_cmp_eq_u32_e32 vcc_lo, 0, v8
	v_min_u32_e32 v6, 32, v6
	v_subrev_nc_u32_e32 v7, 29, v6
	v_sub_nc_u32_e32 v6, 30, v6
	v_lshlrev_b32_e32 v2, v7, v2
	v_cndmask_b32_e32 v6, v8, v6, vcc_lo
	v_and_b32_e32 v2, 3, v2
	v_cndmask_b32_e32 v2, v5, v2, vcc_lo
	v_lshl_add_u32 v5, v6, 23, 0x37800000
	v_lshlrev_b32_e32 v2, 21, v2
	v_or3_b32 v2, v3, v5, v2
.LBB143_214:
	s_or_b32 exec_lo, exec_lo, s6
	s_mov_b32 s1, 0
	s_branch .LBB143_220
.LBB143_215:
	s_mov_b32 s6, -1
                                        ; implicit-def: $vgpr2
	s_branch .LBB143_226
.LBB143_216:
	s_or_saveexec_b32 s6, s6
	v_mov_b32_e32 v2, 0x7f800001
	s_xor_b32 exec_lo, exec_lo, s6
	s_cbranch_execz .LBB143_200
.LBB143_217:
	v_cmp_ne_u16_e32 vcc_lo, 0, v3
	v_mov_b32_e32 v2, 0
	s_andn2_b32 s1, s1, exec_lo
	s_and_b32 s17, vcc_lo, exec_lo
	s_or_b32 s1, s1, s17
	s_or_b32 exec_lo, exec_lo, s6
	s_and_saveexec_b32 s6, s1
	s_cbranch_execnz .LBB143_201
	s_branch .LBB143_202
.LBB143_218:
	s_mov_b32 s1, -1
                                        ; implicit-def: $vgpr2
	s_branch .LBB143_223
.LBB143_219:
	s_mov_b32 s1, -1
                                        ; implicit-def: $vgpr2
.LBB143_220:
	s_and_b32 vcc_lo, exec_lo, s1
	s_cbranch_vccz .LBB143_222
; %bb.221:
	global_load_ubyte v2, v[0:1], off
	s_waitcnt vmcnt(0)
	v_lshlrev_b32_e32 v2, 24, v2
	v_and_b32_e32 v3, 0x7f000000, v2
	v_ffbh_u32_e32 v5, v3
	v_add_nc_u32_e32 v7, 0x1000000, v3
	v_cmp_ne_u32_e32 vcc_lo, 0, v3
	v_min_u32_e32 v5, 32, v5
	v_sub_nc_u32_e64 v5, v5, 4 clamp
	v_lshlrev_b32_e32 v6, v5, v3
	v_lshlrev_b32_e32 v5, 23, v5
	v_lshrrev_b32_e32 v6, 4, v6
	v_sub_nc_u32_e32 v5, v6, v5
	v_ashrrev_i32_e32 v6, 8, v7
	v_add_nc_u32_e32 v5, 0x3c000000, v5
	v_and_or_b32 v5, 0x7f800000, v6, v5
	v_cndmask_b32_e32 v3, 0, v5, vcc_lo
	v_and_or_b32 v2, 0x80000000, v2, v3
.LBB143_222:
	s_mov_b32 s1, 0
.LBB143_223:
	s_andn2_b32 vcc_lo, exec_lo, s1
	s_cbranch_vccnz .LBB143_225
; %bb.224:
	global_load_ubyte v2, v[0:1], off
	s_waitcnt vmcnt(0)
	v_lshlrev_b32_e32 v3, 25, v2
	v_lshlrev_b16 v2, 8, v2
	v_lshrrev_b32_e32 v5, 4, v3
	v_and_or_b32 v6, 0x7f00, v2, 0.5
	v_cmp_gt_u32_e32 vcc_lo, 0x8000000, v3
	v_bfe_i32 v2, v2, 0, 16
	v_or_b32_e32 v5, 0x70000000, v5
	v_add_f32_e32 v6, -0.5, v6
	v_mul_f32_e32 v5, 0x7800000, v5
	v_cndmask_b32_e32 v3, v5, v6, vcc_lo
	v_and_or_b32 v2, 0x80000000, v2, v3
.LBB143_225:
	s_mov_b32 s6, 0
	s_mov_b32 s1, -1
.LBB143_226:
	s_andn2_b32 vcc_lo, exec_lo, s6
	s_cbranch_vccnz .LBB143_239
; %bb.227:
	s_cmp_gt_i32 s0, 14
	s_cbranch_scc0 .LBB143_230
; %bb.228:
	s_cmp_eq_u32 s0, 15
	s_cbranch_scc0 .LBB143_233
; %bb.229:
	global_load_ushort v2, v[0:1], off
	s_mov_b32 s1, -1
	s_mov_b32 s14, 0
	s_waitcnt vmcnt(0)
	v_lshlrev_b32_e32 v2, 16, v2
	s_branch .LBB143_234
.LBB143_230:
	s_mov_b32 s6, -1
                                        ; implicit-def: $vgpr2
	s_branch .LBB143_235
.LBB143_231:
	s_or_saveexec_b32 s6, s6
	v_mov_b32_e32 v2, 0x7f800001
	s_xor_b32 exec_lo, exec_lo, s6
	s_cbranch_execz .LBB143_212
.LBB143_232:
	v_cmp_ne_u16_e32 vcc_lo, 0, v3
	v_mov_b32_e32 v2, 0
	s_andn2_b32 s1, s1, exec_lo
	s_and_b32 s17, vcc_lo, exec_lo
	s_or_b32 s1, s1, s17
	s_or_b32 exec_lo, exec_lo, s6
	s_and_saveexec_b32 s6, s1
	s_cbranch_execnz .LBB143_213
	s_branch .LBB143_214
.LBB143_233:
	s_mov_b32 s14, -1
                                        ; implicit-def: $vgpr2
.LBB143_234:
	s_mov_b32 s6, 0
.LBB143_235:
	s_and_b32 vcc_lo, exec_lo, s6
	s_cbranch_vccz .LBB143_239
; %bb.236:
	s_cmp_eq_u32 s0, 11
	s_cbranch_scc0 .LBB143_238
; %bb.237:
	global_load_ubyte v2, v[0:1], off
	s_mov_b32 s14, 0
	s_mov_b32 s1, -1
	s_waitcnt vmcnt(0)
	v_cmp_ne_u16_e32 vcc_lo, 0, v2
	v_cndmask_b32_e64 v2, 0, 1.0, vcc_lo
	s_branch .LBB143_239
.LBB143_238:
	s_mov_b32 s14, -1
                                        ; implicit-def: $vgpr2
.LBB143_239:
	s_branch .LBB143_10
.LBB143_240:
	s_cmp_lt_i32 s0, 5
	s_cbranch_scc1 .LBB143_245
; %bb.241:
	s_cmp_lt_i32 s0, 8
	s_cbranch_scc1 .LBB143_246
; %bb.242:
	;; [unrolled: 3-line block ×3, first 2 shown]
	s_cmp_gt_i32 s0, 9
	s_cbranch_scc0 .LBB143_248
; %bb.244:
	global_load_dwordx2 v[2:3], v[0:1], off
	s_mov_b32 s1, 0
	s_waitcnt vmcnt(0)
	v_cvt_f32_f64_e32 v2, v[2:3]
	s_branch .LBB143_249
.LBB143_245:
                                        ; implicit-def: $vgpr2
	s_branch .LBB143_267
.LBB143_246:
	s_mov_b32 s1, -1
                                        ; implicit-def: $vgpr2
	s_branch .LBB143_255
.LBB143_247:
	s_mov_b32 s1, -1
                                        ; implicit-def: $vgpr2
	s_branch .LBB143_252
.LBB143_248:
	s_mov_b32 s1, -1
                                        ; implicit-def: $vgpr2
.LBB143_249:
	s_andn2_b32 vcc_lo, exec_lo, s1
	s_cbranch_vccnz .LBB143_251
; %bb.250:
	global_load_dword v2, v[0:1], off
.LBB143_251:
	s_mov_b32 s1, 0
.LBB143_252:
	s_andn2_b32 vcc_lo, exec_lo, s1
	s_cbranch_vccnz .LBB143_254
; %bb.253:
	global_load_dword v2, v[0:1], off
	s_waitcnt vmcnt(0)
	v_cvt_f32_f16_e32 v2, v2
.LBB143_254:
	s_mov_b32 s1, 0
.LBB143_255:
	s_andn2_b32 vcc_lo, exec_lo, s1
	s_cbranch_vccnz .LBB143_266
; %bb.256:
	s_cmp_lt_i32 s0, 6
	s_cbranch_scc1 .LBB143_259
; %bb.257:
	s_cmp_gt_i32 s0, 6
	s_cbranch_scc0 .LBB143_260
; %bb.258:
	global_load_dwordx2 v[2:3], v[0:1], off
	s_mov_b32 s1, 0
	s_waitcnt vmcnt(0)
	v_cvt_f32_f64_e32 v2, v[2:3]
	s_branch .LBB143_261
.LBB143_259:
	s_mov_b32 s1, -1
                                        ; implicit-def: $vgpr2
	s_branch .LBB143_264
.LBB143_260:
	s_mov_b32 s1, -1
                                        ; implicit-def: $vgpr2
.LBB143_261:
	s_andn2_b32 vcc_lo, exec_lo, s1
	s_cbranch_vccnz .LBB143_263
; %bb.262:
	global_load_dword v2, v[0:1], off
.LBB143_263:
	s_mov_b32 s1, 0
.LBB143_264:
	s_andn2_b32 vcc_lo, exec_lo, s1
	s_cbranch_vccnz .LBB143_266
; %bb.265:
	global_load_ushort v2, v[0:1], off
	s_waitcnt vmcnt(0)
	v_cvt_f32_f16_e32 v2, v2
.LBB143_266:
	s_cbranch_execnz .LBB143_286
.LBB143_267:
	s_cmp_lt_i32 s0, 2
	s_cbranch_scc1 .LBB143_271
; %bb.268:
	s_cmp_lt_i32 s0, 3
	s_cbranch_scc1 .LBB143_272
; %bb.269:
	s_cmp_gt_i32 s0, 3
	s_cbranch_scc0 .LBB143_273
; %bb.270:
	global_load_dwordx2 v[2:3], v[0:1], off
	s_mov_b32 s1, 0
	s_waitcnt vmcnt(0)
	v_xor_b32_e32 v5, v2, v3
	v_ffbh_i32_e32 v6, v3
	v_ashrrev_i32_e32 v5, 31, v5
	v_add_nc_u32_e32 v6, -1, v6
	v_add_nc_u32_e32 v5, 32, v5
	v_min_u32_e32 v5, v6, v5
	v_lshlrev_b64 v[2:3], v5, v[2:3]
	v_min_u32_e32 v2, 1, v2
	v_or_b32_e32 v2, v3, v2
	v_sub_nc_u32_e32 v3, 32, v5
	v_cvt_f32_i32_e32 v2, v2
	v_ldexp_f32 v2, v2, v3
	s_branch .LBB143_274
.LBB143_271:
	s_mov_b32 s1, -1
                                        ; implicit-def: $vgpr2
	s_branch .LBB143_280
.LBB143_272:
	s_mov_b32 s1, -1
                                        ; implicit-def: $vgpr2
	s_branch .LBB143_277
.LBB143_273:
	s_mov_b32 s1, -1
                                        ; implicit-def: $vgpr2
.LBB143_274:
	s_andn2_b32 vcc_lo, exec_lo, s1
	s_cbranch_vccnz .LBB143_276
; %bb.275:
	global_load_dword v2, v[0:1], off
	s_waitcnt vmcnt(0)
	v_cvt_f32_i32_e32 v2, v2
.LBB143_276:
	s_mov_b32 s1, 0
.LBB143_277:
	s_andn2_b32 vcc_lo, exec_lo, s1
	s_cbranch_vccnz .LBB143_279
; %bb.278:
	global_load_sshort v2, v[0:1], off
	s_waitcnt vmcnt(0)
	v_cvt_f32_i32_e32 v2, v2
.LBB143_279:
	s_mov_b32 s1, 0
.LBB143_280:
	s_andn2_b32 vcc_lo, exec_lo, s1
	s_cbranch_vccnz .LBB143_286
; %bb.281:
	s_cmp_gt_i32 s0, 0
	s_mov_b32 s0, 0
	s_cbranch_scc0 .LBB143_283
; %bb.282:
	global_load_sbyte v2, v[0:1], off
	s_waitcnt vmcnt(0)
	v_cvt_f32_i32_e32 v2, v2
	s_branch .LBB143_284
.LBB143_283:
	s_mov_b32 s0, -1
                                        ; implicit-def: $vgpr2
.LBB143_284:
	s_andn2_b32 vcc_lo, exec_lo, s0
	s_cbranch_vccnz .LBB143_286
; %bb.285:
	global_load_ubyte v0, v[0:1], off
	s_waitcnt vmcnt(0)
	v_cvt_f32_ubyte0_e32 v2, v0
.LBB143_286:
	s_branch .LBB143_11
.LBB143_287:
	s_mov_b32 s0, 0
.LBB143_288:
	s_mov_b32 s1, 0
                                        ; implicit-def: $vgpr4
.LBB143_289:
	s_and_b32 s6, s0, exec_lo
	s_and_b32 s14, s14, exec_lo
	s_orn2_b32 s1, s1, exec_lo
.LBB143_290:
	s_or_b32 exec_lo, exec_lo, s15
	s_mov_b32 s17, 0
	s_mov_b32 s0, 0
                                        ; implicit-def: $vgpr0_vgpr1
                                        ; implicit-def: $vgpr3
	s_and_saveexec_b32 s15, s1
	s_cbranch_execz .LBB143_299
; %bb.291:
	s_mov_b32 s0, -1
	s_mov_b32 s16, s14
	s_mov_b32 s17, s6
	s_mov_b32 s18, exec_lo
	v_cmpx_gt_i32_e64 s7, v4
	s_cbranch_execz .LBB143_591
; %bb.292:
	v_mul_lo_u32 v0, v4, s13
	s_and_b32 s0, 0xffff, s3
	s_cmp_lt_i32 s0, 11
	v_ashrrev_i32_e32 v1, 31, v0
	v_add_co_u32 v0, vcc_lo, s10, v0
	v_add_co_ci_u32_e64 v1, null, s11, v1, vcc_lo
	s_cbranch_scc1 .LBB143_302
; %bb.293:
	s_cmp_gt_i32 s0, 25
	s_cbranch_scc0 .LBB143_349
; %bb.294:
	s_cmp_gt_i32 s0, 28
	s_cbranch_scc0 .LBB143_351
	;; [unrolled: 3-line block ×4, first 2 shown]
; %bb.297:
	s_cmp_eq_u32 s0, 46
	s_mov_b32 s17, 0
	s_cbranch_scc0 .LBB143_361
; %bb.298:
	global_load_dword v2, v[0:1], off
	s_mov_b32 s1, -1
	s_mov_b32 s16, 0
	s_waitcnt vmcnt(0)
	v_lshlrev_b32_e32 v2, 16, v2
	s_branch .LBB143_363
.LBB143_299:
	s_or_b32 exec_lo, exec_lo, s15
	s_mov_b32 s7, 0
	s_and_saveexec_b32 s1, s14
	s_cbranch_execnz .LBB143_977
.LBB143_300:
	s_or_b32 exec_lo, exec_lo, s1
	s_and_saveexec_b32 s1, s16
	s_xor_b32 s1, exec_lo, s1
	s_cbranch_execz .LBB143_978
.LBB143_301:
	global_load_ubyte v2, v[0:1], off
	s_or_b32 s0, s0, exec_lo
	s_waitcnt vmcnt(0)
	v_cmp_ne_u16_e32 vcc_lo, 0, v2
	v_cndmask_b32_e64 v3, 0, 1.0, vcc_lo
	s_or_b32 exec_lo, exec_lo, s1
	s_and_saveexec_b32 s1, s17
	s_cbranch_execz .LBB143_1024
	s_branch .LBB143_979
.LBB143_302:
	s_mov_b32 s1, 0
	s_mov_b32 s16, s14
                                        ; implicit-def: $vgpr2
	s_cbranch_execnz .LBB143_540
.LBB143_303:
	s_andn2_b32 vcc_lo, exec_lo, s1
	s_cbranch_vccnz .LBB143_588
.LBB143_304:
	s_waitcnt vmcnt(0)
	v_and_b32_e32 v0, 0x7fffffff, v2
	s_mov_b32 s1, exec_lo
                                        ; implicit-def: $vgpr1
	v_cmpx_ngt_f32_e64 0x3c800000, |v2|
	s_xor_b32 s1, exec_lo, s1
	s_cbranch_execz .LBB143_334
; %bb.305:
	s_mov_b32 s17, exec_lo
                                        ; implicit-def: $vgpr1
	v_cmpx_nlt_f32_e64 |v2|, 2.0
	s_xor_b32 s17, exec_lo, s17
	s_cbranch_execz .LBB143_315
; %bb.306:
	v_cmp_ngt_f32_e64 s0, 0x41000000, |v2|
                                        ; implicit-def: $vgpr1
	s_and_saveexec_b32 s19, s0
	s_xor_b32 s0, exec_lo, s19
	s_cbranch_execz .LBB143_312
; %bb.307:
	v_cmp_ngt_f32_e64 s19, 0x5c800000, |v2|
                                        ; implicit-def: $vgpr1
	s_and_saveexec_b32 s20, s19
	s_xor_b32 s19, exec_lo, s20
	s_cbranch_execz .LBB143_309
; %bb.308:
	v_cmp_gt_f32_e64 s20, 0x800000, |v2|
	v_cndmask_b32_e64 v1, 0, 32, s20
	v_ldexp_f32 v1, |v2|, v1
	v_log_f32_e32 v1, v1
	v_mul_f32_e32 v3, 0x3f317217, v1
	v_cmp_gt_f32_e64 vcc_lo, 0x7f800000, |v1|
	v_fma_f32 v5, 0x3f317217, v1, -v3
	v_fmamk_f32 v5, v1, 0x3377d1cf, v5
	v_add_f32_e32 v3, v3, v5
	v_cndmask_b32_e32 v1, v1, v3, vcc_lo
	v_cndmask_b32_e64 v3, 0, 0x41b17218, s20
	v_sub_f32_e32 v1, v1, v3
	v_fma_f32 v1, |v2|, v1, -|v2|
.LBB143_309:
	s_andn2_saveexec_b32 s19, s19
	s_cbranch_execz .LBB143_311
; %bb.310:
	v_cmp_gt_f32_e64 s20, 0x800000, |v2|
	v_rcp_f32_e64 v3, |v2|
	s_mov_b32 s21, 0xbad5c4e8
	v_cndmask_b32_e64 v1, 0, 32, s20
	v_ldexp_f32 v1, |v2|, v1
	v_mul_f32_e32 v5, v3, v3
	v_log_f32_e32 v1, v1
	v_fmaak_f32 v7, s21, v5, 0x3a5b3dd2
	v_fmaak_f32 v7, v5, v7, 0xba1c065c
	v_mul_f32_e32 v6, 0x3f317217, v1
	v_fmaak_f32 v7, v5, v7, 0x3a500cfd
	v_cmp_gt_f32_e64 vcc_lo, 0x7f800000, |v1|
	v_fma_f32 v8, 0x3f317217, v1, -v6
	v_fmaak_f32 v7, v5, v7, 0xbb360b61
	v_fmamk_f32 v8, v1, 0x3377d1cf, v8
	v_fmaak_f32 v5, v5, v7, 0x3daaaaab
	v_add_f32_e32 v6, v6, v8
	v_cndmask_b32_e32 v1, v1, v6, vcc_lo
	v_cndmask_b32_e64 v6, 0, 0x41b17218, s20
	v_sub_f32_e32 v6, v1, v6
	v_fmaak_f32 v1, v3, v5, 0x3ed67f1d
	v_add_f32_e64 v3, |v2|, -0.5
	v_add_f32_e32 v5, -1.0, v6
	v_fmac_f32_e32 v1, v3, v5
.LBB143_311:
	s_or_b32 exec_lo, exec_lo, s19
.LBB143_312:
	s_andn2_saveexec_b32 s19, s0
	s_cbranch_execz .LBB143_314
; %bb.313:
	v_cvt_i32_f32_e32 v1, v0
	s_mov_b32 s0, 0x36f5d7bd
	s_mov_b32 s20, 0x3805ff67
	v_cvt_f32_i32_e32 v3, v1
	v_cmp_lt_i32_e32 vcc_lo, 2, v1
	v_sub_f32_e64 v3, |v2|, v3
	v_add_f32_e32 v5, 2.0, v3
	v_add_f32_e32 v6, 0x40400000, v3
	v_add_f32_e32 v7, 4.0, v3
	v_add_f32_e32 v8, 0x40a00000, v3
	v_cndmask_b32_e32 v5, 1.0, v5, vcc_lo
	v_cmp_lt_i32_e32 vcc_lo, 3, v1
	v_cndmask_b32_e32 v6, 1.0, v6, vcc_lo
	v_cmp_lt_i32_e32 vcc_lo, 4, v1
	v_mul_f32_e32 v5, v5, v6
	v_cndmask_b32_e32 v7, 1.0, v7, vcc_lo
	v_cmp_lt_i32_e32 vcc_lo, 5, v1
	v_add_f32_e32 v6, 0x40c00000, v3
	v_mul_f32_e32 v5, v7, v5
	v_cndmask_b32_e32 v8, 1.0, v8, vcc_lo
	v_cmp_lt_i32_e32 vcc_lo, 6, v1
	v_fmaak_f32 v7, s20, v3, 0x3af135b4
	v_mul_f32_e32 v5, v8, v5
	v_cndmask_b32_e32 v1, 1.0, v6, vcc_lo
	v_mul_f32_e32 v1, v1, v5
	v_fmaak_f32 v5, s0, v3, 0x3a4beed6
	v_cmp_gt_f32_e32 vcc_lo, 0x800000, v1
	v_fmaak_f32 v5, v3, v5, 0x3c98bf54
	v_cndmask_b32_e64 v6, 0, 32, vcc_lo
	v_fmaak_f32 v5, v3, v5, 0x3e300f6e
	v_ldexp_f32 v1, v1, v6
	v_fmaak_f32 v6, v3, v7, 0x3cda40e4
	v_fmaak_f32 v5, v3, v5, 0x3f38d0c5
	v_log_f32_e32 v1, v1
	v_fmaak_f32 v6, v3, v6, 0x3e15dce6
	v_fmaak_f32 v5, v3, v5, 0x3fb22d3b
	;; [unrolled: 1-line block ×3, first 2 shown]
	v_fma_f32 v5, v3, v5, 1.0
	v_mul_f32_e32 v7, 0x3f317217, v1
	v_fmaak_f32 v6, v3, v6, 0x3e5c245a
	v_rcp_f32_e32 v5, v5
	v_cmp_gt_f32_e64 s0, 0x7f800000, |v1|
	v_fma_f32 v8, 0x3f317217, v1, -v7
	v_fmaak_f32 v6, v3, v6, 0xbd9e233f
	v_fmamk_f32 v8, v1, 0x3377d1cf, v8
	v_mul_f32_e32 v6, v3, v6
	v_add_f32_e32 v7, v7, v8
	v_mul_f32_e32 v5, v6, v5
	v_cndmask_b32_e64 v6, 0, 0x41b17218, vcc_lo
	v_cndmask_b32_e64 v1, v1, v7, s0
	v_fmac_f32_e32 v5, 0.5, v3
	v_sub_f32_e32 v1, v1, v6
	v_add_f32_e32 v1, v1, v5
.LBB143_314:
	s_or_b32 exec_lo, exec_lo, s19
.LBB143_315:
	s_andn2_saveexec_b32 s17, s17
	s_cbranch_execz .LBB143_333
; %bb.316:
	s_mov_b32 s19, exec_lo
                                        ; implicit-def: $vgpr1
                                        ; implicit-def: $vgpr5
                                        ; implicit-def: $vgpr3
	v_cmpx_ge_f32_e64 0x3f666666, |v2|
	s_xor_b32 s19, exec_lo, s19
	s_cbranch_execz .LBB143_318
; %bb.317:
	v_cmp_gt_f32_e64 s0, 0x800000, |v2|
	v_sub_f32_e64 v6, 1.0, |v2|
	v_cmp_gt_f32_e64 vcc_lo, 0x3f3b4a23, |v2|
	v_cndmask_b32_e64 v1, 0, 32, s0
	v_cndmask_b32_e64 v7, 0, 0x41b17218, s0
	v_ldexp_f32 v1, |v2|, v1
	v_log_f32_e32 v1, v1
	v_mul_f32_e32 v3, 0x3f317217, v1
	v_cmp_gt_f32_e64 s0, 0x7f800000, |v1|
	v_fma_f32 v5, 0x3f317217, v1, -v3
	v_fmamk_f32 v5, v1, 0x3377d1cf, v5
	v_add_f32_e32 v3, v3, v5
	v_add_f32_e64 v5, 0xbeec5b0c, |v2|
	v_cndmask_b32_e64 v1, v1, v3, s0
	v_cndmask_b32_e32 v3, v6, v5, vcc_lo
	v_cndmask_b32_e64 v5, 0, 1, vcc_lo
	v_cmp_gt_f32_e64 s0, 0x3e6d3309, |v2|
	v_sub_f32_e32 v1, v1, v7
	v_cndmask_b32_e64 v3, v3, |v2|, s0
	v_cndmask_b32_e64 v5, v5, 2, s0
	v_xor_b32_e32 v1, 0x80000000, v1
.LBB143_318:
	s_andn2_saveexec_b32 s0, s19
	s_cbranch_execz .LBB143_320
; %bb.319:
	v_sub_f32_e64 v1, 2.0, |v2|
	v_add_f32_e64 v3, 0xbfbb16c3, |v2|
	v_cmp_gt_f32_e64 vcc_lo, 0x3fdda512, |v2|
	v_add_f32_e64 v5, |v2|, -1.0
	v_cndmask_b32_e32 v3, v1, v3, vcc_lo
	v_cndmask_b32_e64 v1, v1, 1.0, vcc_lo
	v_cmp_gt_f32_e64 vcc_lo, 0x3f9d70a4, |v2|
	v_cvt_i32_f32_e32 v1, v1
	v_cndmask_b32_e32 v3, v3, v5, vcc_lo
	v_cndmask_b32_e64 v5, v1, 2, vcc_lo
	v_mov_b32_e32 v1, 0
.LBB143_320:
	s_or_b32 exec_lo, exec_lo, s0
	s_mov_b32 s0, exec_lo
	v_cmpx_lt_i32_e32 0, v5
	s_xor_b32 s0, exec_lo, s0
	s_cbranch_execz .LBB143_328
; %bb.321:
	s_mov_b32 s19, exec_lo
	v_cmpx_lt_i32_e32 1, v5
	s_xor_b32 s19, exec_lo, s19
	s_cbranch_execz .LBB143_325
; %bb.322:
	s_mov_b32 s20, exec_lo
	v_cmpx_eq_u32_e32 2, v5
	s_cbranch_execz .LBB143_324
; %bb.323:
	s_mov_b32 s21, 0x3b52d5db
	v_fmaak_f32 v5, s21, v3, 0x3dd572af
	s_mov_b32 s21, 0x3c5b3c5e
	v_fmaak_f32 v6, s21, v3, 0x3e6a7578
	v_fmaak_f32 v5, v3, v5, 0x3f44efdf
	;; [unrolled: 1-line block ×7, first 2 shown]
	v_fma_f32 v5, v3, v5, 1.0
	v_fmaak_f32 v6, v3, v6, 0xbd9e233f
	v_rcp_f32_e32 v5, v5
	v_mul_f32_e32 v6, v3, v6
	v_mul_f32_e32 v5, v6, v5
	v_fmac_f32_e32 v5, -0.5, v3
	v_add_f32_e32 v1, v1, v5
.LBB143_324:
	s_or_b32 exec_lo, exec_lo, s20
                                        ; implicit-def: $vgpr3
.LBB143_325:
	s_andn2_saveexec_b32 s19, s19
	s_cbranch_execz .LBB143_327
; %bb.326:
	v_mul_f32_e32 v5, v3, v3
	s_mov_b32 s20, 0xb9a3f927
	s_mov_b32 s21, 0x39afe9f7
	v_mul_f32_e32 v6, v3, v5
	v_fmaak_f32 v7, s20, v6, 0x3a66f867
	v_fmaak_f32 v8, s21, v6, 0xba0d3085
	s_mov_b32 s20, 0x39a57b6b
	v_fmaak_f32 v9, s20, v6, 0xbab7f476
	v_fmaak_f32 v7, v6, v7, 0xbb7177fe
	;; [unrolled: 1-line block ×9, first 2 shown]
	v_fmac_f32_e32 v7, v3, v8
	v_fmaak_f32 v3, v6, v9, 0x3ef7b95e
	v_fma_f32 v6, v6, -v7, 0xa2863e55
	v_fma_f32 v3, v5, v3, -v6
	v_add_f32_e32 v3, 0xbdf8cdce, v3
	v_add_f32_e32 v1, v1, v3
.LBB143_327:
	s_or_b32 exec_lo, exec_lo, s19
                                        ; implicit-def: $vgpr5
                                        ; implicit-def: $vgpr3
.LBB143_328:
	s_andn2_saveexec_b32 s0, s0
	s_cbranch_execz .LBB143_332
; %bb.329:
	s_mov_b32 s19, exec_lo
	v_cmpx_eq_u32_e32 0, v5
	s_cbranch_execz .LBB143_331
; %bb.330:
	v_mul_f32_e32 v5, v3, v3
	s_mov_b32 s20, 0x383c2c75
	v_fmaak_f32 v6, s20, v5, 0x38e28445
	s_mov_b32 s20, 0x37d383a2
	v_fmaak_f32 v7, s20, v5, 0x39679767
	v_fmaak_f32 v6, v5, v6, 0x3a05b634
	;; [unrolled: 1-line block ×9, first 2 shown]
	v_mul_f32_e32 v5, v5, v6
	v_fmac_f32_e32 v5, v3, v7
	v_fmac_f32_e32 v5, -0.5, v3
	v_add_f32_e32 v1, v1, v5
.LBB143_331:
	s_or_b32 exec_lo, exec_lo, s19
.LBB143_332:
	s_or_b32 exec_lo, exec_lo, s0
.LBB143_333:
	s_or_b32 exec_lo, exec_lo, s17
.LBB143_334:
	s_andn2_saveexec_b32 s0, s1
	s_cbranch_execz .LBB143_336
; %bb.335:
	v_cmp_gt_f32_e64 s1, 0x800000, |v2|
	s_mov_b32 s17, 0x3e8a8991
	v_fma_f32 v6, |v2|, s17, 0xbecd26ab
	v_cndmask_b32_e64 v1, 0, 32, s1
	v_ldexp_f32 v1, |v2|, v1
	v_log_f32_e32 v1, v1
	v_mul_f32_e32 v3, 0x3f317217, v1
	v_cmp_gt_f32_e64 vcc_lo, 0x7f800000, |v1|
	v_fma_f32 v5, 0x3f317217, v1, -v3
	v_fmamk_f32 v5, v1, 0x3377d1cf, v5
	v_add_f32_e32 v3, v3, v5
	v_fma_f32 v5, |v2|, v6, 0x3f528d33
	v_cndmask_b32_e32 v1, v1, v3, vcc_lo
	v_cndmask_b32_e64 v3, 0, 0x41b17218, s1
	v_fma_f32 v5, |v2|, v5, 0xbf13c468
	v_sub_f32_e32 v1, v1, v3
	v_fma_f32 v1, |v2|, v5, -v1
.LBB143_336:
	s_or_b32 exec_lo, exec_lo, s0
	v_cmp_le_f32_e32 vcc_lo, 0, v2
	s_mov_b32 s1, exec_lo
	v_cmpx_nle_f32_e32 0, v2
	s_xor_b32 s17, exec_lo, s1
	s_cbranch_execz .LBB143_340
; %bb.337:
	v_cmp_gt_f32_e64 s0, 0x4b000000, |v2|
	v_cmp_lt_f32_e64 s1, 0x35000000, |v2|
	s_and_b32 s0, s0, s1
	s_and_saveexec_b32 s19, s0
	s_cbranch_execz .LBB143_339
; %bb.338:
	v_mul_f32_e64 v3, |v2|, 0.5
	s_mov_b32 s1, 0x3d4be544
	v_xor_b32_e32 v0, v0, v2
	v_floor_f32_e32 v5, v3
	v_cmp_neq_f32_e64 s0, 0x7f800000, v3
	v_sub_f32_e32 v5, v3, v5
	v_min_f32_e32 v5, 0x3f7fffff, v5
	v_add_f32_e32 v5, v5, v5
	v_cndmask_b32_e64 v3, 0, v5, s0
	v_cmp_gt_f32_e64 s0, |v2|, 1.0
	v_cndmask_b32_e64 v3, |v2|, v3, s0
	s_mov_b32 s0, 0x3e75aa41
	v_add_f32_e32 v5, v3, v3
	v_rndne_f32_e32 v5, v5
	v_fmac_f32_e32 v3, -0.5, v5
	v_cvt_i32_f32_e32 v5, v5
	v_mul_f32_e32 v6, v3, v3
	v_fmaak_f32 v7, s0, v6, 0xbf1f24be
	v_fmaak_f32 v8, s1, v6, 0x3e642e9d
	v_mul_f32_e32 v9, v3, v6
	v_fmaak_f32 v7, v6, v7, 0x40234736
	v_fmaak_f32 v8, v6, v8, 0xbfaad1da
	;; [unrolled: 1-line block ×4, first 2 shown]
	v_mul_f32_e32 v7, v9, v7
	v_fmaak_f32 v8, v6, v8, 0xc09de9e6
	v_and_b32_e32 v9, 1, v5
	v_lshlrev_b32_e32 v5, 30, v5
	v_fmamk_f32 v3, v3, 0x40490fdb, v7
	v_fma_f32 v6, v6, v8, 1.0
	v_cmp_eq_u32_e64 s0, 0, v9
	v_and_b32_e32 v5, 0x80000000, v5
	v_cndmask_b32_e64 v3, v6, v3, s0
	v_xor3_b32 v0, v0, v5, v3
	v_mul_f32_e32 v0, v2, v0
	v_frexp_mant_f32_e64 v3, |v0|
	v_frexp_exp_i32_f32_e32 v0, v0
	v_rcp_f32_e32 v3, v3
	v_sub_nc_u32_e32 v0, 2, v0
	v_mul_f32_e32 v3, 0x3f490fdb, v3
	v_ldexp_f32 v0, v3, v0
	v_cmp_gt_f32_e64 s0, 0x800000, v0
	v_cndmask_b32_e64 v3, 0, 32, s0
	v_ldexp_f32 v0, v0, v3
	v_log_f32_e32 v0, v0
	v_mul_f32_e32 v3, 0x3f317217, v0
	v_cmp_gt_f32_e64 s1, 0x7f800000, |v0|
	v_fma_f32 v5, 0x3f317217, v0, -v3
	v_fmamk_f32 v5, v0, 0x3377d1cf, v5
	v_add_f32_e32 v3, v3, v5
	v_floor_f32_e32 v5, v2
	v_cndmask_b32_e64 v0, v0, v3, s1
	v_cndmask_b32_e64 v3, 0, 0x41b17218, s0
	v_sub_f32_e32 v5, v2, v5
	v_sub_f32_e32 v0, v0, v3
	v_min_f32_e32 v3, 0x3f7fffff, v5
	v_sub_f32_e32 v0, v0, v1
	v_cmp_neq_f32_e64 s0, 0, v3
	v_cndmask_b32_e64 v1, 0x7f800000, v0, s0
.LBB143_339:
	s_or_b32 exec_lo, exec_lo, s19
.LBB143_340:
	s_andn2_saveexec_b32 s17, s17
; %bb.341:
	v_cmp_eq_f32_e64 s0, 1.0, v2
	v_cmp_eq_f32_e64 s1, 2.0, v2
	s_or_b32 s0, s0, s1
	v_cndmask_b32_e64 v1, v1, 0, s0
; %bb.342:
	s_or_b32 exec_lo, exec_lo, s17
	v_mul_lo_u32 v0, v4, s12
	v_cmp_gt_f32_e64 s0, 0x4b000000, |v2|
	s_and_b32 s1, s5, 0xff
	s_or_b32 vcc_lo, vcc_lo, s0
	v_cmp_class_f32_e64 s0, v2, 0x264
	v_cndmask_b32_e32 v1, 0x7f800000, v1, vcc_lo
	v_ashrrev_i32_e32 v3, 31, v0
	v_add_co_u32 v0, vcc_lo, s8, v0
	s_cmp_lt_i32 s1, 11
	v_cndmask_b32_e64 v5, v1, 0x7f800000, s0
	v_add_co_ci_u32_e64 v1, null, s9, v3, vcc_lo
	v_cmp_u_f32_e32 vcc_lo, v2, v2
	v_cndmask_b32_e32 v2, v5, v2, vcc_lo
	s_cbranch_scc1 .LBB143_350
; %bb.343:
	s_and_b32 s17, 0xffff, s1
	s_cmp_gt_i32 s17, 25
	s_cbranch_scc0 .LBB143_352
; %bb.344:
	s_cmp_gt_i32 s17, 28
	s_cbranch_scc0 .LBB143_354
; %bb.345:
	;; [unrolled: 3-line block ×4, first 2 shown]
	s_mov_b32 s20, 0
	s_mov_b32 s0, -1
	s_cmp_eq_u32 s17, 46
	s_mov_b32 s19, 0
	s_cbranch_scc0 .LBB143_367
; %bb.348:
	v_bfe_u32 v3, v2, 16, 1
	v_cmp_o_f32_e32 vcc_lo, v2, v2
	v_mov_b32_e32 v5, 0x7fc0
	s_mov_b32 s19, -1
	s_mov_b32 s0, 0
	v_add3_u32 v3, v2, v3, 0x7fff
	v_cndmask_b32_sdwa v3, v5, v3, vcc_lo dst_sel:DWORD dst_unused:UNUSED_PAD src0_sel:DWORD src1_sel:WORD_1
	global_store_dword v[0:1], v3, off
	s_branch .LBB143_367
.LBB143_349:
	s_mov_b32 s17, -1
	s_mov_b32 s1, 0
	s_mov_b32 s16, s14
                                        ; implicit-def: $vgpr2
	s_branch .LBB143_504
.LBB143_350:
	s_mov_b32 s17, -1
	s_mov_b32 s19, 0
	s_mov_b32 s0, s6
	s_branch .LBB143_436
.LBB143_351:
	s_mov_b32 s17, -1
	s_mov_b32 s1, 0
	s_mov_b32 s16, s14
                                        ; implicit-def: $vgpr2
	s_branch .LBB143_485
.LBB143_352:
	s_mov_b32 s20, -1
	s_mov_b32 s19, 0
	s_mov_b32 s0, s6
	s_branch .LBB143_394
.LBB143_353:
	s_mov_b32 s17, -1
	s_mov_b32 s1, 0
	s_mov_b32 s16, s14
                                        ; implicit-def: $vgpr2
	s_branch .LBB143_480
.LBB143_354:
	s_mov_b32 s20, -1
	s_mov_b32 s19, 0
	s_mov_b32 s0, s6
	s_branch .LBB143_377
.LBB143_355:
	s_andn2_saveexec_b32 s19, s19
	s_cbranch_execz .LBB143_92
.LBB143_356:
	v_add_f32_e64 v3, 0x46000000, |v2|
	s_andn2_b32 s18, s18, exec_lo
	v_and_b32_e32 v3, 0xff, v3
	v_cmp_ne_u32_e32 vcc_lo, 0, v3
	s_and_b32 s20, vcc_lo, exec_lo
	s_or_b32 s18, s18, s20
	s_or_b32 exec_lo, exec_lo, s19
	v_mov_b32_e32 v5, 0
	s_and_saveexec_b32 s19, s18
	s_cbranch_execnz .LBB143_93
	s_branch .LBB143_94
.LBB143_357:
	s_mov_b32 s17, -1
	s_mov_b32 s1, 0
	s_mov_b32 s16, s14
	s_branch .LBB143_362
.LBB143_358:
	s_mov_b32 s20, -1
	s_mov_b32 s19, 0
	s_mov_b32 s0, s6
	s_branch .LBB143_373
.LBB143_359:
	s_andn2_saveexec_b32 s19, s19
	s_cbranch_execz .LBB143_105
.LBB143_360:
	v_add_f32_e64 v3, 0x42800000, |v2|
	s_andn2_b32 s18, s18, exec_lo
	v_and_b32_e32 v3, 0xff, v3
	v_cmp_ne_u32_e32 vcc_lo, 0, v3
	s_and_b32 s20, vcc_lo, exec_lo
	s_or_b32 s18, s18, s20
	s_or_b32 exec_lo, exec_lo, s19
	v_mov_b32_e32 v5, 0
	s_and_saveexec_b32 s19, s18
	s_cbranch_execnz .LBB143_106
	s_branch .LBB143_107
.LBB143_361:
	s_mov_b32 s16, -1
	s_mov_b32 s1, 0
.LBB143_362:
                                        ; implicit-def: $vgpr2
.LBB143_363:
	s_and_b32 vcc_lo, exec_lo, s17
	s_cbranch_vccz .LBB143_479
; %bb.364:
	s_cmp_eq_u32 s0, 44
	s_cbranch_scc0 .LBB143_478
; %bb.365:
	global_load_ubyte v2, v[0:1], off
	s_mov_b32 s16, 0
	s_mov_b32 s1, -1
	s_waitcnt vmcnt(0)
	v_lshlrev_b32_e32 v3, 23, v2
	v_cmp_ne_u32_e32 vcc_lo, 0xff, v2
	v_cndmask_b32_e32 v3, 0x7f800001, v3, vcc_lo
	v_cmp_ne_u32_e32 vcc_lo, 0, v2
	v_cndmask_b32_e32 v2, 0x400000, v3, vcc_lo
	s_branch .LBB143_479
.LBB143_366:
	s_mov_b32 s20, -1
	s_mov_b32 s19, 0
	s_mov_b32 s0, s6
.LBB143_367:
	s_and_b32 vcc_lo, exec_lo, s20
	s_cbranch_vccz .LBB143_372
; %bb.368:
	s_cmp_eq_u32 s17, 44
	s_mov_b32 s0, -1
	s_cbranch_scc0 .LBB143_372
; %bb.369:
	v_bfe_u32 v5, v2, 23, 8
	v_mov_b32_e32 v3, 0xff
	s_mov_b32 s19, exec_lo
	v_cmpx_ne_u32_e32 0xff, v5
	s_cbranch_execz .LBB143_371
; %bb.370:
	v_and_b32_e32 v3, 0x400000, v2
	v_and_or_b32 v5, 0x3fffff, v2, v5
	v_cmp_ne_u32_e32 vcc_lo, 0, v3
	v_cmp_ne_u32_e64 s0, 0, v5
	v_lshrrev_b32_e32 v3, 23, v2
	s_and_b32 s0, vcc_lo, s0
	v_cndmask_b32_e64 v5, 0, 1, s0
	v_add_nc_u32_e32 v3, v3, v5
.LBB143_371:
	s_or_b32 exec_lo, exec_lo, s19
	s_mov_b32 s19, -1
	s_mov_b32 s0, 0
	global_store_byte v[0:1], v3, off
.LBB143_372:
	s_mov_b32 s20, 0
.LBB143_373:
	s_and_b32 vcc_lo, exec_lo, s20
	s_cbranch_vccz .LBB143_376
; %bb.374:
	s_cmp_eq_u32 s17, 29
	s_mov_b32 s0, -1
	s_cbranch_scc0 .LBB143_376
; %bb.375:
	v_trunc_f32_e32 v3, v2
	s_mov_b32 s19, -1
	s_mov_b32 s0, 0
	s_mov_b32 s20, 0
	v_mul_f32_e32 v5, 0x2f800000, v3
	v_floor_f32_e32 v5, v5
	v_fmamk_f32 v3, v5, 0xcf800000, v3
	v_cvt_u32_f32_e32 v6, v5
	v_cvt_u32_f32_e32 v5, v3
	global_store_dwordx2 v[0:1], v[5:6], off
	s_branch .LBB143_377
.LBB143_376:
	s_mov_b32 s20, 0
.LBB143_377:
	s_and_b32 vcc_lo, exec_lo, s20
	s_cbranch_vccz .LBB143_393
; %bb.378:
	s_cmp_lt_i32 s17, 27
	s_mov_b32 s19, -1
	s_cbranch_scc1 .LBB143_384
; %bb.379:
	v_cvt_u32_f32_e32 v3, v2
	s_cmp_gt_i32 s17, 27
	s_cbranch_scc0 .LBB143_381
; %bb.380:
	s_mov_b32 s19, 0
	global_store_dword v[0:1], v3, off
.LBB143_381:
	s_andn2_b32 vcc_lo, exec_lo, s19
	s_cbranch_vccnz .LBB143_383
; %bb.382:
	global_store_short v[0:1], v3, off
.LBB143_383:
	s_mov_b32 s19, 0
.LBB143_384:
	s_andn2_b32 vcc_lo, exec_lo, s19
	s_cbranch_vccnz .LBB143_392
; %bb.385:
	v_and_b32_e32 v3, 0x7fffffff, v2
	v_mov_b32_e32 v5, 0x80
	s_mov_b32 s19, exec_lo
	v_cmpx_gt_u32_e32 0x43800000, v3
	s_cbranch_execz .LBB143_391
; %bb.386:
	v_cmp_lt_u32_e32 vcc_lo, 0x3bffffff, v3
	s_mov_b32 s20, 0
                                        ; implicit-def: $vgpr3
	s_and_saveexec_b32 s21, vcc_lo
	s_xor_b32 s21, exec_lo, s21
	s_cbranch_execz .LBB143_604
; %bb.387:
	v_bfe_u32 v3, v2, 20, 1
	s_mov_b32 s20, exec_lo
	v_add3_u32 v3, v2, v3, 0x487ffff
	v_lshrrev_b32_e32 v3, 20, v3
	s_andn2_saveexec_b32 s21, s21
	s_cbranch_execnz .LBB143_605
.LBB143_388:
	s_or_b32 exec_lo, exec_lo, s21
	v_mov_b32_e32 v5, 0
	s_and_saveexec_b32 s21, s20
.LBB143_389:
	v_lshrrev_b32_e32 v5, 24, v2
	v_and_or_b32 v5, 0x80, v5, v3
.LBB143_390:
	s_or_b32 exec_lo, exec_lo, s21
.LBB143_391:
	s_or_b32 exec_lo, exec_lo, s19
	global_store_byte v[0:1], v5, off
.LBB143_392:
	s_mov_b32 s19, -1
.LBB143_393:
	s_mov_b32 s20, 0
.LBB143_394:
	s_and_b32 vcc_lo, exec_lo, s20
	s_cbranch_vccz .LBB143_435
; %bb.395:
	s_cmp_gt_i32 s17, 22
	s_mov_b32 s20, -1
	s_cbranch_scc0 .LBB143_427
; %bb.396:
	s_cmp_lt_i32 s17, 24
	s_mov_b32 s19, -1
	s_cbranch_scc1 .LBB143_416
; %bb.397:
	s_cmp_gt_i32 s17, 24
	s_cbranch_scc0 .LBB143_405
; %bb.398:
	v_and_b32_e32 v3, 0x7fffffff, v2
	v_mov_b32_e32 v5, 0x80
	s_mov_b32 s19, exec_lo
	v_cmpx_gt_u32_e32 0x47800000, v3
	s_cbranch_execz .LBB143_404
; %bb.399:
	v_cmp_lt_u32_e32 vcc_lo, 0x37ffffff, v3
	s_mov_b32 s20, 0
                                        ; implicit-def: $vgpr3
	s_and_saveexec_b32 s21, vcc_lo
	s_xor_b32 s21, exec_lo, s21
	s_cbranch_execz .LBB143_607
; %bb.400:
	v_bfe_u32 v3, v2, 21, 1
	s_mov_b32 s20, exec_lo
	v_add3_u32 v3, v2, v3, 0x88fffff
	v_lshrrev_b32_e32 v3, 21, v3
	s_andn2_saveexec_b32 s21, s21
	s_cbranch_execnz .LBB143_608
.LBB143_401:
	s_or_b32 exec_lo, exec_lo, s21
	v_mov_b32_e32 v5, 0
	s_and_saveexec_b32 s21, s20
.LBB143_402:
	v_lshrrev_b32_e32 v5, 24, v2
	v_and_or_b32 v5, 0x80, v5, v3
.LBB143_403:
	s_or_b32 exec_lo, exec_lo, s21
.LBB143_404:
	s_or_b32 exec_lo, exec_lo, s19
	s_mov_b32 s19, 0
	global_store_byte v[0:1], v5, off
.LBB143_405:
	s_and_b32 vcc_lo, exec_lo, s19
	s_cbranch_vccz .LBB143_415
; %bb.406:
	v_and_b32_e32 v5, 0x7fffffff, v2
	s_mov_b32 s19, exec_lo
                                        ; implicit-def: $vgpr3
	v_cmpx_gt_u32_e32 0x43f00000, v5
	s_xor_b32 s19, exec_lo, s19
	s_cbranch_execz .LBB143_412
; %bb.407:
	s_mov_b32 s20, exec_lo
                                        ; implicit-def: $vgpr3
	v_cmpx_lt_u32_e32 0x3c7fffff, v5
	s_xor_b32 s20, exec_lo, s20
; %bb.408:
	v_bfe_u32 v3, v2, 20, 1
	v_add3_u32 v3, v2, v3, 0x407ffff
	v_and_b32_e32 v5, 0xff00000, v3
	v_lshrrev_b32_e32 v3, 20, v3
	v_cmp_ne_u32_e32 vcc_lo, 0x7f00000, v5
	v_cndmask_b32_e32 v3, 0x7e, v3, vcc_lo
; %bb.409:
	s_andn2_saveexec_b32 s20, s20
; %bb.410:
	v_add_f32_e64 v3, 0x46800000, |v2|
; %bb.411:
	s_or_b32 exec_lo, exec_lo, s20
                                        ; implicit-def: $vgpr5
.LBB143_412:
	s_andn2_saveexec_b32 s19, s19
; %bb.413:
	v_mov_b32_e32 v3, 0x7f
	v_cmp_lt_u32_e32 vcc_lo, 0x7f800000, v5
	v_cndmask_b32_e32 v3, 0x7e, v3, vcc_lo
; %bb.414:
	s_or_b32 exec_lo, exec_lo, s19
	v_lshrrev_b32_e32 v5, 24, v2
	v_and_or_b32 v3, 0x80, v5, v3
	global_store_byte v[0:1], v3, off
.LBB143_415:
	s_mov_b32 s19, 0
.LBB143_416:
	s_andn2_b32 vcc_lo, exec_lo, s19
	s_cbranch_vccnz .LBB143_426
; %bb.417:
	v_and_b32_e32 v5, 0x7fffffff, v2
	s_mov_b32 s19, exec_lo
                                        ; implicit-def: $vgpr3
	v_cmpx_gt_u32_e32 0x47800000, v5
	s_xor_b32 s19, exec_lo, s19
	s_cbranch_execz .LBB143_423
; %bb.418:
	s_mov_b32 s20, exec_lo
                                        ; implicit-def: $vgpr3
	v_cmpx_lt_u32_e32 0x387fffff, v5
	s_xor_b32 s20, exec_lo, s20
; %bb.419:
	v_bfe_u32 v3, v2, 21, 1
	v_add3_u32 v3, v2, v3, 0x80fffff
	v_lshrrev_b32_e32 v3, 21, v3
; %bb.420:
	s_andn2_saveexec_b32 s20, s20
; %bb.421:
	v_add_f32_e64 v3, 0x43000000, |v2|
; %bb.422:
	s_or_b32 exec_lo, exec_lo, s20
                                        ; implicit-def: $vgpr5
.LBB143_423:
	s_andn2_saveexec_b32 s19, s19
; %bb.424:
	v_mov_b32_e32 v3, 0x7f
	v_cmp_lt_u32_e32 vcc_lo, 0x7f800000, v5
	v_cndmask_b32_e32 v3, 0x7c, v3, vcc_lo
; %bb.425:
	s_or_b32 exec_lo, exec_lo, s19
	v_lshrrev_b32_e32 v5, 24, v2
	v_and_or_b32 v3, 0x80, v5, v3
	global_store_byte v[0:1], v3, off
.LBB143_426:
	s_mov_b32 s20, 0
	s_mov_b32 s19, -1
.LBB143_427:
	s_andn2_b32 vcc_lo, exec_lo, s20
	s_cbranch_vccnz .LBB143_435
; %bb.428:
	s_cmp_gt_i32 s17, 14
	s_mov_b32 s20, -1
	s_cbranch_scc0 .LBB143_432
; %bb.429:
	s_cmp_eq_u32 s17, 15
	s_mov_b32 s0, -1
	s_cbranch_scc0 .LBB143_431
; %bb.430:
	v_bfe_u32 v3, v2, 16, 1
	v_cmp_o_f32_e32 vcc_lo, v2, v2
	v_mov_b32_e32 v5, 0x7fc0
	s_mov_b32 s19, -1
	s_mov_b32 s0, 0
	v_add3_u32 v3, v2, v3, 0x7fff
	v_cndmask_b32_sdwa v3, v5, v3, vcc_lo dst_sel:DWORD dst_unused:UNUSED_PAD src0_sel:DWORD src1_sel:WORD_1
	global_store_short v[0:1], v3, off
.LBB143_431:
	s_mov_b32 s20, 0
.LBB143_432:
	s_and_b32 vcc_lo, exec_lo, s20
	s_cbranch_vccz .LBB143_435
; %bb.433:
	s_cmp_eq_u32 s17, 11
	s_mov_b32 s0, -1
	s_cbranch_scc0 .LBB143_435
; %bb.434:
	v_cmp_neq_f32_e32 vcc_lo, 0, v2
	s_mov_b32 s0, 0
	s_mov_b32 s19, -1
	v_cndmask_b32_e64 v3, 0, 1, vcc_lo
	global_store_byte v[0:1], v3, off
.LBB143_435:
	s_mov_b32 s17, 0
.LBB143_436:
	s_and_b32 vcc_lo, exec_lo, s17
	s_cbranch_vccz .LBB143_475
; %bb.437:
	s_and_b32 s1, 0xffff, s1
	s_mov_b32 s17, -1
	s_cmp_lt_i32 s1, 5
	s_cbranch_scc1 .LBB143_458
; %bb.438:
	s_cmp_lt_i32 s1, 8
	s_cbranch_scc1 .LBB143_448
; %bb.439:
	;; [unrolled: 3-line block ×3, first 2 shown]
	s_cmp_gt_i32 s1, 9
	s_cbranch_scc0 .LBB143_442
; %bb.441:
	v_cvt_f64_f32_e32 v[5:6], v2
	v_mov_b32_e32 v7, 0
	s_mov_b32 s17, 0
	v_mov_b32_e32 v8, v7
	global_store_dwordx4 v[0:1], v[5:8], off
.LBB143_442:
	s_andn2_b32 vcc_lo, exec_lo, s17
	s_cbranch_vccnz .LBB143_444
; %bb.443:
	v_mov_b32_e32 v3, 0
	global_store_dwordx2 v[0:1], v[2:3], off
.LBB143_444:
	s_mov_b32 s17, 0
.LBB143_445:
	s_andn2_b32 vcc_lo, exec_lo, s17
	s_cbranch_vccnz .LBB143_447
; %bb.446:
	v_cvt_f16_f32_e32 v3, v2
	v_and_b32_e32 v3, 0xffff, v3
	global_store_dword v[0:1], v3, off
.LBB143_447:
	s_mov_b32 s17, 0
.LBB143_448:
	s_andn2_b32 vcc_lo, exec_lo, s17
	s_cbranch_vccnz .LBB143_457
; %bb.449:
	s_cmp_lt_i32 s1, 6
	s_mov_b32 s17, -1
	s_cbranch_scc1 .LBB143_455
; %bb.450:
	s_cmp_gt_i32 s1, 6
	s_cbranch_scc0 .LBB143_452
; %bb.451:
	v_cvt_f64_f32_e32 v[5:6], v2
	s_mov_b32 s17, 0
	global_store_dwordx2 v[0:1], v[5:6], off
.LBB143_452:
	s_andn2_b32 vcc_lo, exec_lo, s17
	s_cbranch_vccnz .LBB143_454
; %bb.453:
	global_store_dword v[0:1], v2, off
.LBB143_454:
	s_mov_b32 s17, 0
.LBB143_455:
	s_andn2_b32 vcc_lo, exec_lo, s17
	s_cbranch_vccnz .LBB143_457
; %bb.456:
	v_cvt_f16_f32_e32 v3, v2
	global_store_short v[0:1], v3, off
.LBB143_457:
	s_mov_b32 s17, 0
.LBB143_458:
	s_andn2_b32 vcc_lo, exec_lo, s17
	s_cbranch_vccnz .LBB143_474
; %bb.459:
	s_cmp_lt_i32 s1, 2
	s_mov_b32 s17, -1
	s_cbranch_scc1 .LBB143_469
; %bb.460:
	s_cmp_lt_i32 s1, 3
	s_cbranch_scc1 .LBB143_466
; %bb.461:
	s_cmp_gt_i32 s1, 3
	s_cbranch_scc0 .LBB143_463
; %bb.462:
	v_trunc_f32_e32 v3, v2
	s_mov_b32 s17, 0
	v_mul_f32_e64 v5, 0x2f800000, |v3|
	v_floor_f32_e32 v5, v5
	v_fma_f32 v6, 0xcf800000, v5, |v3|
	v_ashrrev_i32_e32 v3, 31, v3
	v_cvt_u32_f32_e32 v5, v5
	v_cvt_u32_f32_e32 v6, v6
	v_xor_b32_e32 v7, v5, v3
	v_xor_b32_e32 v6, v6, v3
	v_sub_co_u32 v5, vcc_lo, v6, v3
	v_sub_co_ci_u32_e64 v6, null, v7, v3, vcc_lo
	global_store_dwordx2 v[0:1], v[5:6], off
.LBB143_463:
	s_andn2_b32 vcc_lo, exec_lo, s17
	s_cbranch_vccnz .LBB143_465
; %bb.464:
	v_cvt_i32_f32_e32 v3, v2
	global_store_dword v[0:1], v3, off
.LBB143_465:
	s_mov_b32 s17, 0
.LBB143_466:
	s_andn2_b32 vcc_lo, exec_lo, s17
	s_cbranch_vccnz .LBB143_468
; %bb.467:
	v_cvt_i32_f32_e32 v3, v2
	global_store_short v[0:1], v3, off
.LBB143_468:
	s_mov_b32 s17, 0
.LBB143_469:
	s_andn2_b32 vcc_lo, exec_lo, s17
	s_cbranch_vccnz .LBB143_474
; %bb.470:
	s_cmp_gt_i32 s1, 0
	s_mov_b32 s1, -1
	s_cbranch_scc0 .LBB143_472
; %bb.471:
	v_cvt_i32_f32_e32 v3, v2
	s_mov_b32 s1, 0
	global_store_byte v[0:1], v3, off
.LBB143_472:
	s_andn2_b32 vcc_lo, exec_lo, s1
	s_cbranch_vccnz .LBB143_474
; %bb.473:
	v_trunc_f32_e32 v2, v2
	v_mul_f32_e64 v3, 0x2f800000, |v2|
	v_floor_f32_e32 v3, v3
	v_fma_f32 v3, 0xcf800000, v3, |v2|
	v_ashrrev_i32_e32 v2, 31, v2
	v_cvt_u32_f32_e32 v3, v3
	v_xor_b32_e32 v3, v3, v2
	v_sub_nc_u32_e32 v2, v3, v2
	global_store_byte v[0:1], v2, off
.LBB143_474:
	s_mov_b32 s19, -1
.LBB143_475:
	s_andn2_b32 vcc_lo, exec_lo, s19
	s_cbranch_vccnz .LBB143_477
; %bb.476:
	v_add_nc_u32_e32 v4, 0x80, v4
	s_mov_b32 s1, -1
	s_branch .LBB143_590
.LBB143_477:
	s_mov_b32 s1, 0
	s_branch .LBB143_589
.LBB143_478:
	s_mov_b32 s16, -1
                                        ; implicit-def: $vgpr2
.LBB143_479:
	s_mov_b32 s17, 0
.LBB143_480:
	s_and_b32 vcc_lo, exec_lo, s17
	s_cbranch_vccz .LBB143_484
; %bb.481:
	s_cmp_eq_u32 s0, 29
	s_cbranch_scc0 .LBB143_483
; %bb.482:
	global_load_dwordx2 v[2:3], v[0:1], off
	s_mov_b32 s1, -1
	s_mov_b32 s16, 0
	s_mov_b32 s17, 0
	s_waitcnt vmcnt(0)
	v_ffbh_u32_e32 v5, v3
	v_min_u32_e32 v5, 32, v5
	v_lshlrev_b64 v[2:3], v5, v[2:3]
	v_min_u32_e32 v2, 1, v2
	v_or_b32_e32 v2, v3, v2
	v_sub_nc_u32_e32 v3, 32, v5
	v_cvt_f32_u32_e32 v2, v2
	v_ldexp_f32 v2, v2, v3
	s_branch .LBB143_485
.LBB143_483:
	s_mov_b32 s16, -1
                                        ; implicit-def: $vgpr2
.LBB143_484:
	s_mov_b32 s17, 0
.LBB143_485:
	s_and_b32 vcc_lo, exec_lo, s17
	s_cbranch_vccz .LBB143_503
; %bb.486:
	s_cmp_lt_i32 s0, 27
	s_cbranch_scc1 .LBB143_489
; %bb.487:
	s_cmp_gt_i32 s0, 27
	s_cbranch_scc0 .LBB143_490
; %bb.488:
	global_load_dword v2, v[0:1], off
	s_mov_b32 s1, 0
	s_waitcnt vmcnt(0)
	v_cvt_f32_u32_e32 v2, v2
	s_branch .LBB143_491
.LBB143_489:
	s_mov_b32 s1, -1
                                        ; implicit-def: $vgpr2
	s_branch .LBB143_494
.LBB143_490:
	s_mov_b32 s1, -1
                                        ; implicit-def: $vgpr2
.LBB143_491:
	s_andn2_b32 vcc_lo, exec_lo, s1
	s_cbranch_vccnz .LBB143_493
; %bb.492:
	global_load_ushort v2, v[0:1], off
	s_waitcnt vmcnt(0)
	v_cvt_f32_u32_e32 v2, v2
.LBB143_493:
	s_mov_b32 s1, 0
.LBB143_494:
	s_andn2_b32 vcc_lo, exec_lo, s1
	s_cbranch_vccnz .LBB143_502
; %bb.495:
	global_load_ubyte v3, v[0:1], off
	s_mov_b32 s1, 0
	s_mov_b32 s17, exec_lo
	s_waitcnt vmcnt(0)
	v_cmpx_lt_i16_e32 0x7f, v3
	s_xor_b32 s17, exec_lo, s17
	s_cbranch_execz .LBB143_516
; %bb.496:
	s_mov_b32 s1, -1
	s_mov_b32 s19, exec_lo
	v_cmpx_eq_u16_e32 0x80, v3
; %bb.497:
	s_xor_b32 s1, exec_lo, -1
; %bb.498:
	s_or_b32 exec_lo, exec_lo, s19
	s_and_b32 s1, s1, exec_lo
	s_or_saveexec_b32 s17, s17
	v_mov_b32_e32 v2, 0x7f800001
	s_xor_b32 exec_lo, exec_lo, s17
	s_cbranch_execnz .LBB143_517
.LBB143_499:
	s_or_b32 exec_lo, exec_lo, s17
	s_and_saveexec_b32 s17, s1
	s_cbranch_execz .LBB143_501
.LBB143_500:
	v_and_b32_e32 v2, 0xffff, v3
	v_lshlrev_b32_e32 v3, 24, v3
	v_and_b32_e32 v5, 7, v2
	v_bfe_u32 v8, v2, 3, 4
	v_and_b32_e32 v3, 0x80000000, v3
	v_ffbh_u32_e32 v6, v5
	v_cmp_eq_u32_e32 vcc_lo, 0, v8
	v_min_u32_e32 v6, 32, v6
	v_subrev_nc_u32_e32 v7, 28, v6
	v_sub_nc_u32_e32 v6, 29, v6
	v_lshlrev_b32_e32 v2, v7, v2
	v_cndmask_b32_e32 v6, v8, v6, vcc_lo
	v_and_b32_e32 v2, 7, v2
	v_cndmask_b32_e32 v2, v5, v2, vcc_lo
	v_lshl_add_u32 v5, v6, 23, 0x3b800000
	v_lshlrev_b32_e32 v2, 20, v2
	v_or3_b32 v2, v3, v5, v2
.LBB143_501:
	s_or_b32 exec_lo, exec_lo, s17
.LBB143_502:
	s_mov_b32 s1, -1
.LBB143_503:
	s_mov_b32 s17, 0
.LBB143_504:
	s_and_b32 vcc_lo, exec_lo, s17
	s_cbranch_vccz .LBB143_539
; %bb.505:
	s_cmp_gt_i32 s0, 22
	s_cbranch_scc0 .LBB143_515
; %bb.506:
	s_cmp_lt_i32 s0, 24
	s_cbranch_scc1 .LBB143_518
; %bb.507:
	s_cmp_gt_i32 s0, 24
	s_cbranch_scc0 .LBB143_519
; %bb.508:
	global_load_ubyte v3, v[0:1], off
	s_mov_b32 s1, 0
	s_mov_b32 s17, exec_lo
	s_waitcnt vmcnt(0)
	v_cmpx_lt_i16_e32 0x7f, v3
	s_xor_b32 s17, exec_lo, s17
	s_cbranch_execz .LBB143_531
; %bb.509:
	s_mov_b32 s1, -1
	s_mov_b32 s19, exec_lo
	v_cmpx_eq_u16_e32 0x80, v3
; %bb.510:
	s_xor_b32 s1, exec_lo, -1
; %bb.511:
	s_or_b32 exec_lo, exec_lo, s19
	s_and_b32 s1, s1, exec_lo
	s_or_saveexec_b32 s17, s17
	v_mov_b32_e32 v2, 0x7f800001
	s_xor_b32 exec_lo, exec_lo, s17
	s_cbranch_execnz .LBB143_532
.LBB143_512:
	s_or_b32 exec_lo, exec_lo, s17
	s_and_saveexec_b32 s17, s1
	s_cbranch_execz .LBB143_514
.LBB143_513:
	v_and_b32_e32 v2, 0xffff, v3
	v_lshlrev_b32_e32 v3, 24, v3
	v_and_b32_e32 v5, 3, v2
	v_bfe_u32 v8, v2, 2, 5
	v_and_b32_e32 v3, 0x80000000, v3
	v_ffbh_u32_e32 v6, v5
	v_cmp_eq_u32_e32 vcc_lo, 0, v8
	v_min_u32_e32 v6, 32, v6
	v_subrev_nc_u32_e32 v7, 29, v6
	v_sub_nc_u32_e32 v6, 30, v6
	v_lshlrev_b32_e32 v2, v7, v2
	v_cndmask_b32_e32 v6, v8, v6, vcc_lo
	v_and_b32_e32 v2, 3, v2
	v_cndmask_b32_e32 v2, v5, v2, vcc_lo
	v_lshl_add_u32 v5, v6, 23, 0x37800000
	v_lshlrev_b32_e32 v2, 21, v2
	v_or3_b32 v2, v3, v5, v2
.LBB143_514:
	s_or_b32 exec_lo, exec_lo, s17
	s_mov_b32 s1, 0
	s_branch .LBB143_520
.LBB143_515:
	s_mov_b32 s17, -1
                                        ; implicit-def: $vgpr2
	s_branch .LBB143_526
.LBB143_516:
	s_or_saveexec_b32 s17, s17
	v_mov_b32_e32 v2, 0x7f800001
	s_xor_b32 exec_lo, exec_lo, s17
	s_cbranch_execz .LBB143_499
.LBB143_517:
	v_cmp_ne_u16_e32 vcc_lo, 0, v3
	v_mov_b32_e32 v2, 0
	s_andn2_b32 s1, s1, exec_lo
	s_and_b32 s19, vcc_lo, exec_lo
	s_or_b32 s1, s1, s19
	s_or_b32 exec_lo, exec_lo, s17
	s_and_saveexec_b32 s17, s1
	s_cbranch_execnz .LBB143_500
	s_branch .LBB143_501
.LBB143_518:
	s_mov_b32 s1, -1
                                        ; implicit-def: $vgpr2
	s_branch .LBB143_523
.LBB143_519:
	s_mov_b32 s1, -1
                                        ; implicit-def: $vgpr2
.LBB143_520:
	s_and_b32 vcc_lo, exec_lo, s1
	s_cbranch_vccz .LBB143_522
; %bb.521:
	global_load_ubyte v2, v[0:1], off
	s_waitcnt vmcnt(0)
	v_lshlrev_b32_e32 v2, 24, v2
	v_and_b32_e32 v3, 0x7f000000, v2
	v_ffbh_u32_e32 v5, v3
	v_add_nc_u32_e32 v7, 0x1000000, v3
	v_cmp_ne_u32_e32 vcc_lo, 0, v3
	v_min_u32_e32 v5, 32, v5
	v_sub_nc_u32_e64 v5, v5, 4 clamp
	v_lshlrev_b32_e32 v6, v5, v3
	v_lshlrev_b32_e32 v5, 23, v5
	v_lshrrev_b32_e32 v6, 4, v6
	v_sub_nc_u32_e32 v5, v6, v5
	v_ashrrev_i32_e32 v6, 8, v7
	v_add_nc_u32_e32 v5, 0x3c000000, v5
	v_and_or_b32 v5, 0x7f800000, v6, v5
	v_cndmask_b32_e32 v3, 0, v5, vcc_lo
	v_and_or_b32 v2, 0x80000000, v2, v3
.LBB143_522:
	s_mov_b32 s1, 0
.LBB143_523:
	s_andn2_b32 vcc_lo, exec_lo, s1
	s_cbranch_vccnz .LBB143_525
; %bb.524:
	global_load_ubyte v2, v[0:1], off
	s_waitcnt vmcnt(0)
	v_lshlrev_b32_e32 v3, 25, v2
	v_lshlrev_b16 v2, 8, v2
	v_lshrrev_b32_e32 v5, 4, v3
	v_and_or_b32 v6, 0x7f00, v2, 0.5
	v_cmp_gt_u32_e32 vcc_lo, 0x8000000, v3
	v_bfe_i32 v2, v2, 0, 16
	v_or_b32_e32 v5, 0x70000000, v5
	v_add_f32_e32 v6, -0.5, v6
	v_mul_f32_e32 v5, 0x7800000, v5
	v_cndmask_b32_e32 v3, v5, v6, vcc_lo
	v_and_or_b32 v2, 0x80000000, v2, v3
.LBB143_525:
	s_mov_b32 s17, 0
	s_mov_b32 s1, -1
.LBB143_526:
	s_andn2_b32 vcc_lo, exec_lo, s17
	s_cbranch_vccnz .LBB143_539
; %bb.527:
	s_cmp_gt_i32 s0, 14
	s_cbranch_scc0 .LBB143_530
; %bb.528:
	s_cmp_eq_u32 s0, 15
	s_cbranch_scc0 .LBB143_533
; %bb.529:
	global_load_ushort v2, v[0:1], off
	s_mov_b32 s1, -1
	s_mov_b32 s16, 0
	s_waitcnt vmcnt(0)
	v_lshlrev_b32_e32 v2, 16, v2
	s_branch .LBB143_534
.LBB143_530:
	s_mov_b32 s17, -1
                                        ; implicit-def: $vgpr2
	s_branch .LBB143_535
.LBB143_531:
	s_or_saveexec_b32 s17, s17
	v_mov_b32_e32 v2, 0x7f800001
	s_xor_b32 exec_lo, exec_lo, s17
	s_cbranch_execz .LBB143_512
.LBB143_532:
	v_cmp_ne_u16_e32 vcc_lo, 0, v3
	v_mov_b32_e32 v2, 0
	s_andn2_b32 s1, s1, exec_lo
	s_and_b32 s19, vcc_lo, exec_lo
	s_or_b32 s1, s1, s19
	s_or_b32 exec_lo, exec_lo, s17
	s_and_saveexec_b32 s17, s1
	s_cbranch_execnz .LBB143_513
	s_branch .LBB143_514
.LBB143_533:
	s_mov_b32 s16, -1
                                        ; implicit-def: $vgpr2
.LBB143_534:
	s_mov_b32 s17, 0
.LBB143_535:
	s_and_b32 vcc_lo, exec_lo, s17
	s_cbranch_vccz .LBB143_539
; %bb.536:
	s_cmp_eq_u32 s0, 11
	s_cbranch_scc0 .LBB143_538
; %bb.537:
	global_load_ubyte v2, v[0:1], off
	s_mov_b32 s16, 0
	s_mov_b32 s1, -1
	s_waitcnt vmcnt(0)
	v_cmp_ne_u16_e32 vcc_lo, 0, v2
	v_cndmask_b32_e64 v2, 0, 1.0, vcc_lo
	s_branch .LBB143_539
.LBB143_538:
	s_mov_b32 s16, -1
                                        ; implicit-def: $vgpr2
.LBB143_539:
	s_branch .LBB143_303
.LBB143_540:
	s_cmp_lt_i32 s0, 5
	s_cbranch_scc1 .LBB143_545
; %bb.541:
	s_cmp_lt_i32 s0, 8
	s_cbranch_scc1 .LBB143_546
; %bb.542:
	;; [unrolled: 3-line block ×3, first 2 shown]
	s_cmp_gt_i32 s0, 9
	s_cbranch_scc0 .LBB143_548
; %bb.544:
	global_load_dwordx2 v[2:3], v[0:1], off
	s_mov_b32 s1, 0
	s_waitcnt vmcnt(0)
	v_cvt_f32_f64_e32 v2, v[2:3]
	s_branch .LBB143_549
.LBB143_545:
	s_mov_b32 s1, -1
                                        ; implicit-def: $vgpr2
	s_branch .LBB143_567
.LBB143_546:
	s_mov_b32 s1, -1
                                        ; implicit-def: $vgpr2
	s_branch .LBB143_555
.LBB143_547:
	s_mov_b32 s1, -1
                                        ; implicit-def: $vgpr2
	s_branch .LBB143_552
.LBB143_548:
	s_mov_b32 s1, -1
                                        ; implicit-def: $vgpr2
.LBB143_549:
	s_andn2_b32 vcc_lo, exec_lo, s1
	s_cbranch_vccnz .LBB143_551
; %bb.550:
	global_load_dword v2, v[0:1], off
.LBB143_551:
	s_mov_b32 s1, 0
.LBB143_552:
	s_andn2_b32 vcc_lo, exec_lo, s1
	s_cbranch_vccnz .LBB143_554
; %bb.553:
	global_load_dword v2, v[0:1], off
	s_waitcnt vmcnt(0)
	v_cvt_f32_f16_e32 v2, v2
.LBB143_554:
	s_mov_b32 s1, 0
.LBB143_555:
	s_andn2_b32 vcc_lo, exec_lo, s1
	s_cbranch_vccnz .LBB143_566
; %bb.556:
	s_cmp_lt_i32 s0, 6
	s_cbranch_scc1 .LBB143_559
; %bb.557:
	s_cmp_gt_i32 s0, 6
	s_cbranch_scc0 .LBB143_560
; %bb.558:
	global_load_dwordx2 v[2:3], v[0:1], off
	s_mov_b32 s1, 0
	s_waitcnt vmcnt(0)
	v_cvt_f32_f64_e32 v2, v[2:3]
	s_branch .LBB143_561
.LBB143_559:
	s_mov_b32 s1, -1
                                        ; implicit-def: $vgpr2
	s_branch .LBB143_564
.LBB143_560:
	s_mov_b32 s1, -1
                                        ; implicit-def: $vgpr2
.LBB143_561:
	s_andn2_b32 vcc_lo, exec_lo, s1
	s_cbranch_vccnz .LBB143_563
; %bb.562:
	global_load_dword v2, v[0:1], off
.LBB143_563:
	s_mov_b32 s1, 0
.LBB143_564:
	s_andn2_b32 vcc_lo, exec_lo, s1
	s_cbranch_vccnz .LBB143_566
; %bb.565:
	global_load_ushort v2, v[0:1], off
	s_waitcnt vmcnt(0)
	v_cvt_f32_f16_e32 v2, v2
.LBB143_566:
	s_mov_b32 s1, 0
.LBB143_567:
	s_andn2_b32 vcc_lo, exec_lo, s1
	s_cbranch_vccnz .LBB143_587
; %bb.568:
	s_cmp_lt_i32 s0, 2
	s_cbranch_scc1 .LBB143_572
; %bb.569:
	s_cmp_lt_i32 s0, 3
	s_cbranch_scc1 .LBB143_573
; %bb.570:
	s_cmp_gt_i32 s0, 3
	s_cbranch_scc0 .LBB143_574
; %bb.571:
	global_load_dwordx2 v[2:3], v[0:1], off
	s_mov_b32 s1, 0
	s_waitcnt vmcnt(0)
	v_xor_b32_e32 v5, v2, v3
	v_ffbh_i32_e32 v6, v3
	v_ashrrev_i32_e32 v5, 31, v5
	v_add_nc_u32_e32 v6, -1, v6
	v_add_nc_u32_e32 v5, 32, v5
	v_min_u32_e32 v5, v6, v5
	v_lshlrev_b64 v[2:3], v5, v[2:3]
	v_min_u32_e32 v2, 1, v2
	v_or_b32_e32 v2, v3, v2
	v_sub_nc_u32_e32 v3, 32, v5
	v_cvt_f32_i32_e32 v2, v2
	v_ldexp_f32 v2, v2, v3
	s_branch .LBB143_575
.LBB143_572:
	s_mov_b32 s1, -1
                                        ; implicit-def: $vgpr2
	s_branch .LBB143_581
.LBB143_573:
	s_mov_b32 s1, -1
                                        ; implicit-def: $vgpr2
	s_branch .LBB143_578
.LBB143_574:
	s_mov_b32 s1, -1
                                        ; implicit-def: $vgpr2
.LBB143_575:
	s_andn2_b32 vcc_lo, exec_lo, s1
	s_cbranch_vccnz .LBB143_577
; %bb.576:
	global_load_dword v2, v[0:1], off
	s_waitcnt vmcnt(0)
	v_cvt_f32_i32_e32 v2, v2
.LBB143_577:
	s_mov_b32 s1, 0
.LBB143_578:
	s_andn2_b32 vcc_lo, exec_lo, s1
	s_cbranch_vccnz .LBB143_580
; %bb.579:
	global_load_sshort v2, v[0:1], off
	s_waitcnt vmcnt(0)
	v_cvt_f32_i32_e32 v2, v2
.LBB143_580:
	s_mov_b32 s1, 0
.LBB143_581:
	s_andn2_b32 vcc_lo, exec_lo, s1
	s_cbranch_vccnz .LBB143_587
; %bb.582:
	s_cmp_gt_i32 s0, 0
	s_mov_b32 s0, 0
	s_cbranch_scc0 .LBB143_584
; %bb.583:
	global_load_sbyte v2, v[0:1], off
	s_waitcnt vmcnt(0)
	v_cvt_f32_i32_e32 v2, v2
	s_branch .LBB143_585
.LBB143_584:
	s_mov_b32 s0, -1
                                        ; implicit-def: $vgpr2
.LBB143_585:
	s_andn2_b32 vcc_lo, exec_lo, s0
	s_cbranch_vccnz .LBB143_587
; %bb.586:
	global_load_ubyte v0, v[0:1], off
	s_waitcnt vmcnt(0)
	v_cvt_f32_ubyte0_e32 v2, v0
.LBB143_587:
	s_branch .LBB143_304
.LBB143_588:
	s_mov_b32 s1, 0
	s_mov_b32 s0, s6
.LBB143_589:
                                        ; implicit-def: $vgpr4
.LBB143_590:
	s_andn2_b32 s17, s6, exec_lo
	s_and_b32 s0, s0, exec_lo
	s_andn2_b32 s19, s14, exec_lo
	s_and_b32 s16, s16, exec_lo
	s_or_b32 s17, s17, s0
	s_or_b32 s16, s19, s16
	s_orn2_b32 s0, s1, exec_lo
.LBB143_591:
	s_or_b32 exec_lo, exec_lo, s18
	s_mov_b32 s1, 0
	s_mov_b32 s19, 0
	;; [unrolled: 1-line block ×3, first 2 shown]
                                        ; implicit-def: $vgpr0_vgpr1
                                        ; implicit-def: $vgpr3
	s_and_saveexec_b32 s18, s0
	s_cbranch_execz .LBB143_976
; %bb.592:
	s_mov_b32 s20, -1
	s_mov_b32 s0, s16
	s_mov_b32 s1, s17
	s_mov_b32 s19, exec_lo
	v_cmpx_gt_i32_e64 s7, v4
	s_cbranch_execz .LBB143_890
; %bb.593:
	v_mul_lo_u32 v0, v4, s13
	s_and_b32 s0, 0xffff, s3
	s_cmp_lt_i32 s0, 11
	v_ashrrev_i32_e32 v1, 31, v0
	v_add_co_u32 v0, vcc_lo, s10, v0
	v_add_co_ci_u32_e64 v1, null, s11, v1, vcc_lo
	s_cbranch_scc1 .LBB143_600
; %bb.594:
	s_cmp_gt_i32 s0, 25
	s_cbranch_scc0 .LBB143_601
; %bb.595:
	s_cmp_gt_i32 s0, 28
	s_cbranch_scc0 .LBB143_602
	;; [unrolled: 3-line block ×4, first 2 shown]
; %bb.598:
	s_cmp_eq_u32 s0, 46
	s_mov_b32 s21, 0
	s_cbranch_scc0 .LBB143_609
; %bb.599:
	global_load_dword v2, v[0:1], off
	s_mov_b32 s1, -1
	s_mov_b32 s20, 0
	s_waitcnt vmcnt(0)
	v_lshlrev_b32_e32 v2, 16, v2
	s_branch .LBB143_611
.LBB143_600:
	s_mov_b32 s21, -1
	s_mov_b32 s1, 0
	s_mov_b32 s20, s16
                                        ; implicit-def: $vgpr2
	s_branch .LBB143_676
.LBB143_601:
	s_mov_b32 s21, -1
	s_mov_b32 s1, 0
	s_mov_b32 s20, s16
                                        ; implicit-def: $vgpr2
	s_branch .LBB143_640
.LBB143_602:
	s_mov_b32 s21, -1
	s_mov_b32 s1, 0
	s_mov_b32 s20, s16
                                        ; implicit-def: $vgpr2
	s_branch .LBB143_621
.LBB143_603:
	s_mov_b32 s21, -1
	s_mov_b32 s1, 0
	s_mov_b32 s20, s16
                                        ; implicit-def: $vgpr2
	s_branch .LBB143_616
.LBB143_604:
	s_andn2_saveexec_b32 s21, s21
	s_cbranch_execz .LBB143_388
.LBB143_605:
	v_add_f32_e64 v3, 0x46000000, |v2|
	s_andn2_b32 s20, s20, exec_lo
	v_and_b32_e32 v3, 0xff, v3
	v_cmp_ne_u32_e32 vcc_lo, 0, v3
	s_and_b32 s22, vcc_lo, exec_lo
	s_or_b32 s20, s20, s22
	s_or_b32 exec_lo, exec_lo, s21
	v_mov_b32_e32 v5, 0
	s_and_saveexec_b32 s21, s20
	s_cbranch_execnz .LBB143_389
	s_branch .LBB143_390
.LBB143_606:
	s_mov_b32 s21, -1
	s_mov_b32 s1, 0
	s_mov_b32 s20, s16
	s_branch .LBB143_610
.LBB143_607:
	s_andn2_saveexec_b32 s21, s21
	s_cbranch_execz .LBB143_401
.LBB143_608:
	v_add_f32_e64 v3, 0x42800000, |v2|
	s_andn2_b32 s20, s20, exec_lo
	v_and_b32_e32 v3, 0xff, v3
	v_cmp_ne_u32_e32 vcc_lo, 0, v3
	s_and_b32 s22, vcc_lo, exec_lo
	s_or_b32 s20, s20, s22
	s_or_b32 exec_lo, exec_lo, s21
	v_mov_b32_e32 v5, 0
	s_and_saveexec_b32 s21, s20
	s_cbranch_execnz .LBB143_402
	s_branch .LBB143_403
.LBB143_609:
	s_mov_b32 s1, 0
.LBB143_610:
                                        ; implicit-def: $vgpr2
.LBB143_611:
	s_and_b32 vcc_lo, exec_lo, s21
	s_cbranch_vccz .LBB143_615
; %bb.612:
	s_cmp_eq_u32 s0, 44
	s_cbranch_scc0 .LBB143_614
; %bb.613:
	global_load_ubyte v2, v[0:1], off
	s_mov_b32 s20, 0
	s_mov_b32 s1, -1
	s_waitcnt vmcnt(0)
	v_lshlrev_b32_e32 v3, 23, v2
	v_cmp_ne_u32_e32 vcc_lo, 0xff, v2
	v_cndmask_b32_e32 v3, 0x7f800001, v3, vcc_lo
	v_cmp_ne_u32_e32 vcc_lo, 0, v2
	v_cndmask_b32_e32 v2, 0x400000, v3, vcc_lo
	s_branch .LBB143_615
.LBB143_614:
	s_mov_b32 s20, -1
                                        ; implicit-def: $vgpr2
.LBB143_615:
	s_mov_b32 s21, 0
.LBB143_616:
	s_and_b32 vcc_lo, exec_lo, s21
	s_cbranch_vccz .LBB143_620
; %bb.617:
	s_cmp_eq_u32 s0, 29
	s_cbranch_scc0 .LBB143_619
; %bb.618:
	global_load_dwordx2 v[2:3], v[0:1], off
	s_mov_b32 s1, -1
	s_mov_b32 s20, 0
	s_mov_b32 s21, 0
	s_waitcnt vmcnt(0)
	v_ffbh_u32_e32 v5, v3
	v_min_u32_e32 v5, 32, v5
	v_lshlrev_b64 v[2:3], v5, v[2:3]
	v_min_u32_e32 v2, 1, v2
	v_or_b32_e32 v2, v3, v2
	v_sub_nc_u32_e32 v3, 32, v5
	v_cvt_f32_u32_e32 v2, v2
	v_ldexp_f32 v2, v2, v3
	s_branch .LBB143_621
.LBB143_619:
	s_mov_b32 s20, -1
                                        ; implicit-def: $vgpr2
.LBB143_620:
	s_mov_b32 s21, 0
.LBB143_621:
	s_and_b32 vcc_lo, exec_lo, s21
	s_cbranch_vccz .LBB143_639
; %bb.622:
	s_cmp_lt_i32 s0, 27
	s_cbranch_scc1 .LBB143_625
; %bb.623:
	s_cmp_gt_i32 s0, 27
	s_cbranch_scc0 .LBB143_626
; %bb.624:
	global_load_dword v2, v[0:1], off
	s_mov_b32 s1, 0
	s_waitcnt vmcnt(0)
	v_cvt_f32_u32_e32 v2, v2
	s_branch .LBB143_627
.LBB143_625:
	s_mov_b32 s1, -1
                                        ; implicit-def: $vgpr2
	s_branch .LBB143_630
.LBB143_626:
	s_mov_b32 s1, -1
                                        ; implicit-def: $vgpr2
.LBB143_627:
	s_andn2_b32 vcc_lo, exec_lo, s1
	s_cbranch_vccnz .LBB143_629
; %bb.628:
	global_load_ushort v2, v[0:1], off
	s_waitcnt vmcnt(0)
	v_cvt_f32_u32_e32 v2, v2
.LBB143_629:
	s_mov_b32 s1, 0
.LBB143_630:
	s_andn2_b32 vcc_lo, exec_lo, s1
	s_cbranch_vccnz .LBB143_638
; %bb.631:
	global_load_ubyte v3, v[0:1], off
	s_mov_b32 s1, 0
	s_mov_b32 s21, exec_lo
	s_waitcnt vmcnt(0)
	v_cmpx_lt_i16_e32 0x7f, v3
	s_xor_b32 s21, exec_lo, s21
	s_cbranch_execz .LBB143_652
; %bb.632:
	s_mov_b32 s1, -1
	s_mov_b32 s22, exec_lo
	v_cmpx_eq_u16_e32 0x80, v3
; %bb.633:
	s_xor_b32 s1, exec_lo, -1
; %bb.634:
	s_or_b32 exec_lo, exec_lo, s22
	s_and_b32 s1, s1, exec_lo
	s_or_saveexec_b32 s21, s21
	v_mov_b32_e32 v2, 0x7f800001
	s_xor_b32 exec_lo, exec_lo, s21
	s_cbranch_execnz .LBB143_653
.LBB143_635:
	s_or_b32 exec_lo, exec_lo, s21
	s_and_saveexec_b32 s21, s1
	s_cbranch_execz .LBB143_637
.LBB143_636:
	v_and_b32_e32 v2, 0xffff, v3
	v_lshlrev_b32_e32 v3, 24, v3
	v_and_b32_e32 v5, 7, v2
	v_bfe_u32 v8, v2, 3, 4
	v_and_b32_e32 v3, 0x80000000, v3
	v_ffbh_u32_e32 v6, v5
	v_cmp_eq_u32_e32 vcc_lo, 0, v8
	v_min_u32_e32 v6, 32, v6
	v_subrev_nc_u32_e32 v7, 28, v6
	v_sub_nc_u32_e32 v6, 29, v6
	v_lshlrev_b32_e32 v2, v7, v2
	v_cndmask_b32_e32 v6, v8, v6, vcc_lo
	v_and_b32_e32 v2, 7, v2
	v_cndmask_b32_e32 v2, v5, v2, vcc_lo
	v_lshl_add_u32 v5, v6, 23, 0x3b800000
	v_lshlrev_b32_e32 v2, 20, v2
	v_or3_b32 v2, v3, v5, v2
.LBB143_637:
	s_or_b32 exec_lo, exec_lo, s21
.LBB143_638:
	s_mov_b32 s1, -1
.LBB143_639:
	s_mov_b32 s21, 0
.LBB143_640:
	s_and_b32 vcc_lo, exec_lo, s21
	s_cbranch_vccz .LBB143_675
; %bb.641:
	s_cmp_gt_i32 s0, 22
	s_cbranch_scc0 .LBB143_651
; %bb.642:
	s_cmp_lt_i32 s0, 24
	s_cbranch_scc1 .LBB143_654
; %bb.643:
	s_cmp_gt_i32 s0, 24
	s_cbranch_scc0 .LBB143_655
; %bb.644:
	global_load_ubyte v3, v[0:1], off
	s_mov_b32 s1, 0
	s_mov_b32 s21, exec_lo
	s_waitcnt vmcnt(0)
	v_cmpx_lt_i16_e32 0x7f, v3
	s_xor_b32 s21, exec_lo, s21
	s_cbranch_execz .LBB143_667
; %bb.645:
	s_mov_b32 s1, -1
	s_mov_b32 s22, exec_lo
	v_cmpx_eq_u16_e32 0x80, v3
; %bb.646:
	s_xor_b32 s1, exec_lo, -1
; %bb.647:
	s_or_b32 exec_lo, exec_lo, s22
	s_and_b32 s1, s1, exec_lo
	s_or_saveexec_b32 s21, s21
	v_mov_b32_e32 v2, 0x7f800001
	s_xor_b32 exec_lo, exec_lo, s21
	s_cbranch_execnz .LBB143_668
.LBB143_648:
	s_or_b32 exec_lo, exec_lo, s21
	s_and_saveexec_b32 s21, s1
	s_cbranch_execz .LBB143_650
.LBB143_649:
	v_and_b32_e32 v2, 0xffff, v3
	v_lshlrev_b32_e32 v3, 24, v3
	v_and_b32_e32 v5, 3, v2
	v_bfe_u32 v8, v2, 2, 5
	v_and_b32_e32 v3, 0x80000000, v3
	v_ffbh_u32_e32 v6, v5
	v_cmp_eq_u32_e32 vcc_lo, 0, v8
	v_min_u32_e32 v6, 32, v6
	v_subrev_nc_u32_e32 v7, 29, v6
	v_sub_nc_u32_e32 v6, 30, v6
	v_lshlrev_b32_e32 v2, v7, v2
	v_cndmask_b32_e32 v6, v8, v6, vcc_lo
	v_and_b32_e32 v2, 3, v2
	v_cndmask_b32_e32 v2, v5, v2, vcc_lo
	v_lshl_add_u32 v5, v6, 23, 0x37800000
	v_lshlrev_b32_e32 v2, 21, v2
	v_or3_b32 v2, v3, v5, v2
.LBB143_650:
	s_or_b32 exec_lo, exec_lo, s21
	s_mov_b32 s1, 0
	s_branch .LBB143_656
.LBB143_651:
	s_mov_b32 s21, -1
                                        ; implicit-def: $vgpr2
	s_branch .LBB143_662
.LBB143_652:
	s_or_saveexec_b32 s21, s21
	v_mov_b32_e32 v2, 0x7f800001
	s_xor_b32 exec_lo, exec_lo, s21
	s_cbranch_execz .LBB143_635
.LBB143_653:
	v_cmp_ne_u16_e32 vcc_lo, 0, v3
	v_mov_b32_e32 v2, 0
	s_andn2_b32 s1, s1, exec_lo
	s_and_b32 s22, vcc_lo, exec_lo
	s_or_b32 s1, s1, s22
	s_or_b32 exec_lo, exec_lo, s21
	s_and_saveexec_b32 s21, s1
	s_cbranch_execnz .LBB143_636
	s_branch .LBB143_637
.LBB143_654:
	s_mov_b32 s1, -1
                                        ; implicit-def: $vgpr2
	s_branch .LBB143_659
.LBB143_655:
	s_mov_b32 s1, -1
                                        ; implicit-def: $vgpr2
.LBB143_656:
	s_and_b32 vcc_lo, exec_lo, s1
	s_cbranch_vccz .LBB143_658
; %bb.657:
	global_load_ubyte v2, v[0:1], off
	s_waitcnt vmcnt(0)
	v_lshlrev_b32_e32 v2, 24, v2
	v_and_b32_e32 v3, 0x7f000000, v2
	v_ffbh_u32_e32 v5, v3
	v_add_nc_u32_e32 v7, 0x1000000, v3
	v_cmp_ne_u32_e32 vcc_lo, 0, v3
	v_min_u32_e32 v5, 32, v5
	v_sub_nc_u32_e64 v5, v5, 4 clamp
	v_lshlrev_b32_e32 v6, v5, v3
	v_lshlrev_b32_e32 v5, 23, v5
	v_lshrrev_b32_e32 v6, 4, v6
	v_sub_nc_u32_e32 v5, v6, v5
	v_ashrrev_i32_e32 v6, 8, v7
	v_add_nc_u32_e32 v5, 0x3c000000, v5
	v_and_or_b32 v5, 0x7f800000, v6, v5
	v_cndmask_b32_e32 v3, 0, v5, vcc_lo
	v_and_or_b32 v2, 0x80000000, v2, v3
.LBB143_658:
	s_mov_b32 s1, 0
.LBB143_659:
	s_andn2_b32 vcc_lo, exec_lo, s1
	s_cbranch_vccnz .LBB143_661
; %bb.660:
	global_load_ubyte v2, v[0:1], off
	s_waitcnt vmcnt(0)
	v_lshlrev_b32_e32 v3, 25, v2
	v_lshlrev_b16 v2, 8, v2
	v_lshrrev_b32_e32 v5, 4, v3
	v_and_or_b32 v6, 0x7f00, v2, 0.5
	v_cmp_gt_u32_e32 vcc_lo, 0x8000000, v3
	v_bfe_i32 v2, v2, 0, 16
	v_or_b32_e32 v5, 0x70000000, v5
	v_add_f32_e32 v6, -0.5, v6
	v_mul_f32_e32 v5, 0x7800000, v5
	v_cndmask_b32_e32 v3, v5, v6, vcc_lo
	v_and_or_b32 v2, 0x80000000, v2, v3
.LBB143_661:
	s_mov_b32 s21, 0
	s_mov_b32 s1, -1
.LBB143_662:
	s_andn2_b32 vcc_lo, exec_lo, s21
	s_cbranch_vccnz .LBB143_675
; %bb.663:
	s_cmp_gt_i32 s0, 14
	s_cbranch_scc0 .LBB143_666
; %bb.664:
	s_cmp_eq_u32 s0, 15
	s_cbranch_scc0 .LBB143_669
; %bb.665:
	global_load_ushort v2, v[0:1], off
	s_mov_b32 s1, -1
	s_mov_b32 s20, 0
	s_waitcnt vmcnt(0)
	v_lshlrev_b32_e32 v2, 16, v2
	s_branch .LBB143_670
.LBB143_666:
	s_mov_b32 s21, -1
                                        ; implicit-def: $vgpr2
	s_branch .LBB143_671
.LBB143_667:
	s_or_saveexec_b32 s21, s21
	v_mov_b32_e32 v2, 0x7f800001
	s_xor_b32 exec_lo, exec_lo, s21
	s_cbranch_execz .LBB143_648
.LBB143_668:
	v_cmp_ne_u16_e32 vcc_lo, 0, v3
	v_mov_b32_e32 v2, 0
	s_andn2_b32 s1, s1, exec_lo
	s_and_b32 s22, vcc_lo, exec_lo
	s_or_b32 s1, s1, s22
	s_or_b32 exec_lo, exec_lo, s21
	s_and_saveexec_b32 s21, s1
	s_cbranch_execnz .LBB143_649
	s_branch .LBB143_650
.LBB143_669:
	s_mov_b32 s20, -1
                                        ; implicit-def: $vgpr2
.LBB143_670:
	s_mov_b32 s21, 0
.LBB143_671:
	s_and_b32 vcc_lo, exec_lo, s21
	s_cbranch_vccz .LBB143_675
; %bb.672:
	s_cmp_eq_u32 s0, 11
	s_cbranch_scc0 .LBB143_674
; %bb.673:
	global_load_ubyte v2, v[0:1], off
	s_mov_b32 s20, 0
	s_mov_b32 s1, -1
	s_waitcnt vmcnt(0)
	v_cmp_ne_u16_e32 vcc_lo, 0, v2
	v_cndmask_b32_e64 v2, 0, 1.0, vcc_lo
	s_branch .LBB143_675
.LBB143_674:
	s_mov_b32 s20, -1
                                        ; implicit-def: $vgpr2
.LBB143_675:
	s_mov_b32 s21, 0
.LBB143_676:
	s_and_b32 vcc_lo, exec_lo, s21
	s_cbranch_vccz .LBB143_725
; %bb.677:
	s_cmp_lt_i32 s0, 5
	s_cbranch_scc1 .LBB143_682
; %bb.678:
	s_cmp_lt_i32 s0, 8
	s_cbranch_scc1 .LBB143_683
	;; [unrolled: 3-line block ×3, first 2 shown]
; %bb.680:
	s_cmp_gt_i32 s0, 9
	s_cbranch_scc0 .LBB143_685
; %bb.681:
	global_load_dwordx2 v[2:3], v[0:1], off
	s_mov_b32 s1, 0
	s_waitcnt vmcnt(0)
	v_cvt_f32_f64_e32 v2, v[2:3]
	s_branch .LBB143_686
.LBB143_682:
	s_mov_b32 s1, -1
                                        ; implicit-def: $vgpr2
	s_branch .LBB143_704
.LBB143_683:
	s_mov_b32 s1, -1
                                        ; implicit-def: $vgpr2
	s_branch .LBB143_692
.LBB143_684:
	s_mov_b32 s1, -1
                                        ; implicit-def: $vgpr2
	s_branch .LBB143_689
.LBB143_685:
	s_mov_b32 s1, -1
                                        ; implicit-def: $vgpr2
.LBB143_686:
	s_andn2_b32 vcc_lo, exec_lo, s1
	s_cbranch_vccnz .LBB143_688
; %bb.687:
	global_load_dword v2, v[0:1], off
.LBB143_688:
	s_mov_b32 s1, 0
.LBB143_689:
	s_andn2_b32 vcc_lo, exec_lo, s1
	s_cbranch_vccnz .LBB143_691
; %bb.690:
	global_load_dword v2, v[0:1], off
	s_waitcnt vmcnt(0)
	v_cvt_f32_f16_e32 v2, v2
.LBB143_691:
	s_mov_b32 s1, 0
.LBB143_692:
	s_andn2_b32 vcc_lo, exec_lo, s1
	s_cbranch_vccnz .LBB143_703
; %bb.693:
	s_cmp_lt_i32 s0, 6
	s_cbranch_scc1 .LBB143_696
; %bb.694:
	s_cmp_gt_i32 s0, 6
	s_cbranch_scc0 .LBB143_697
; %bb.695:
	global_load_dwordx2 v[2:3], v[0:1], off
	s_mov_b32 s1, 0
	s_waitcnt vmcnt(0)
	v_cvt_f32_f64_e32 v2, v[2:3]
	s_branch .LBB143_698
.LBB143_696:
	s_mov_b32 s1, -1
                                        ; implicit-def: $vgpr2
	s_branch .LBB143_701
.LBB143_697:
	s_mov_b32 s1, -1
                                        ; implicit-def: $vgpr2
.LBB143_698:
	s_andn2_b32 vcc_lo, exec_lo, s1
	s_cbranch_vccnz .LBB143_700
; %bb.699:
	global_load_dword v2, v[0:1], off
.LBB143_700:
	s_mov_b32 s1, 0
.LBB143_701:
	s_andn2_b32 vcc_lo, exec_lo, s1
	s_cbranch_vccnz .LBB143_703
; %bb.702:
	global_load_ushort v2, v[0:1], off
	s_waitcnt vmcnt(0)
	v_cvt_f32_f16_e32 v2, v2
.LBB143_703:
	s_mov_b32 s1, 0
.LBB143_704:
	s_andn2_b32 vcc_lo, exec_lo, s1
	s_cbranch_vccnz .LBB143_724
; %bb.705:
	s_cmp_lt_i32 s0, 2
	s_cbranch_scc1 .LBB143_709
; %bb.706:
	s_cmp_lt_i32 s0, 3
	s_cbranch_scc1 .LBB143_710
; %bb.707:
	s_cmp_gt_i32 s0, 3
	s_cbranch_scc0 .LBB143_711
; %bb.708:
	global_load_dwordx2 v[2:3], v[0:1], off
	s_mov_b32 s1, 0
	s_waitcnt vmcnt(0)
	v_xor_b32_e32 v5, v2, v3
	v_ffbh_i32_e32 v6, v3
	v_ashrrev_i32_e32 v5, 31, v5
	v_add_nc_u32_e32 v6, -1, v6
	v_add_nc_u32_e32 v5, 32, v5
	v_min_u32_e32 v5, v6, v5
	v_lshlrev_b64 v[2:3], v5, v[2:3]
	v_min_u32_e32 v2, 1, v2
	v_or_b32_e32 v2, v3, v2
	v_sub_nc_u32_e32 v3, 32, v5
	v_cvt_f32_i32_e32 v2, v2
	v_ldexp_f32 v2, v2, v3
	s_branch .LBB143_712
.LBB143_709:
	s_mov_b32 s1, -1
                                        ; implicit-def: $vgpr2
	s_branch .LBB143_718
.LBB143_710:
	s_mov_b32 s1, -1
                                        ; implicit-def: $vgpr2
	s_branch .LBB143_715
.LBB143_711:
	s_mov_b32 s1, -1
                                        ; implicit-def: $vgpr2
.LBB143_712:
	s_andn2_b32 vcc_lo, exec_lo, s1
	s_cbranch_vccnz .LBB143_714
; %bb.713:
	global_load_dword v2, v[0:1], off
	s_waitcnt vmcnt(0)
	v_cvt_f32_i32_e32 v2, v2
.LBB143_714:
	s_mov_b32 s1, 0
.LBB143_715:
	s_andn2_b32 vcc_lo, exec_lo, s1
	s_cbranch_vccnz .LBB143_717
; %bb.716:
	global_load_sshort v2, v[0:1], off
	s_waitcnt vmcnt(0)
	v_cvt_f32_i32_e32 v2, v2
.LBB143_717:
	s_mov_b32 s1, 0
.LBB143_718:
	s_andn2_b32 vcc_lo, exec_lo, s1
	s_cbranch_vccnz .LBB143_724
; %bb.719:
	s_cmp_gt_i32 s0, 0
	s_mov_b32 s0, 0
	s_cbranch_scc0 .LBB143_721
; %bb.720:
	global_load_sbyte v2, v[0:1], off
	s_waitcnt vmcnt(0)
	v_cvt_f32_i32_e32 v2, v2
	s_branch .LBB143_722
.LBB143_721:
	s_mov_b32 s0, -1
                                        ; implicit-def: $vgpr2
.LBB143_722:
	s_andn2_b32 vcc_lo, exec_lo, s0
	s_cbranch_vccnz .LBB143_724
; %bb.723:
	global_load_ubyte v0, v[0:1], off
	s_waitcnt vmcnt(0)
	v_cvt_f32_ubyte0_e32 v2, v0
.LBB143_724:
	s_mov_b32 s1, -1
.LBB143_725:
	s_andn2_b32 vcc_lo, exec_lo, s1
	s_cbranch_vccnz .LBB143_771
; %bb.726:
	s_waitcnt vmcnt(0)
	v_and_b32_e32 v0, 0x7fffffff, v2
	s_mov_b32 s1, exec_lo
                                        ; implicit-def: $vgpr1
	v_cmpx_ngt_f32_e64 0x3c800000, |v2|
	s_xor_b32 s1, exec_lo, s1
	s_cbranch_execz .LBB143_756
; %bb.727:
	s_mov_b32 s21, exec_lo
                                        ; implicit-def: $vgpr1
	v_cmpx_nlt_f32_e64 |v2|, 2.0
	s_xor_b32 s21, exec_lo, s21
	s_cbranch_execz .LBB143_737
; %bb.728:
	v_cmp_ngt_f32_e64 s0, 0x41000000, |v2|
                                        ; implicit-def: $vgpr1
	s_and_saveexec_b32 s22, s0
	s_xor_b32 s0, exec_lo, s22
	s_cbranch_execz .LBB143_734
; %bb.729:
	v_cmp_ngt_f32_e64 s22, 0x5c800000, |v2|
                                        ; implicit-def: $vgpr1
	s_and_saveexec_b32 s23, s22
	s_xor_b32 s22, exec_lo, s23
	s_cbranch_execz .LBB143_731
; %bb.730:
	v_cmp_gt_f32_e64 s23, 0x800000, |v2|
	v_cndmask_b32_e64 v1, 0, 32, s23
	v_ldexp_f32 v1, |v2|, v1
	v_log_f32_e32 v1, v1
	v_mul_f32_e32 v3, 0x3f317217, v1
	v_cmp_gt_f32_e64 vcc_lo, 0x7f800000, |v1|
	v_fma_f32 v5, 0x3f317217, v1, -v3
	v_fmamk_f32 v5, v1, 0x3377d1cf, v5
	v_add_f32_e32 v3, v3, v5
	v_cndmask_b32_e32 v1, v1, v3, vcc_lo
	v_cndmask_b32_e64 v3, 0, 0x41b17218, s23
	v_sub_f32_e32 v1, v1, v3
	v_fma_f32 v1, |v2|, v1, -|v2|
.LBB143_731:
	s_andn2_saveexec_b32 s22, s22
	s_cbranch_execz .LBB143_733
; %bb.732:
	v_cmp_gt_f32_e64 s23, 0x800000, |v2|
	v_rcp_f32_e64 v3, |v2|
	s_mov_b32 s24, 0xbad5c4e8
	v_cndmask_b32_e64 v1, 0, 32, s23
	v_ldexp_f32 v1, |v2|, v1
	v_mul_f32_e32 v5, v3, v3
	v_log_f32_e32 v1, v1
	v_fmaak_f32 v7, s24, v5, 0x3a5b3dd2
	v_fmaak_f32 v7, v5, v7, 0xba1c065c
	v_mul_f32_e32 v6, 0x3f317217, v1
	v_fmaak_f32 v7, v5, v7, 0x3a500cfd
	v_cmp_gt_f32_e64 vcc_lo, 0x7f800000, |v1|
	v_fma_f32 v8, 0x3f317217, v1, -v6
	v_fmaak_f32 v7, v5, v7, 0xbb360b61
	v_fmamk_f32 v8, v1, 0x3377d1cf, v8
	v_fmaak_f32 v5, v5, v7, 0x3daaaaab
	v_add_f32_e32 v6, v6, v8
	v_cndmask_b32_e32 v1, v1, v6, vcc_lo
	v_cndmask_b32_e64 v6, 0, 0x41b17218, s23
	v_sub_f32_e32 v6, v1, v6
	v_fmaak_f32 v1, v3, v5, 0x3ed67f1d
	v_add_f32_e64 v3, |v2|, -0.5
	v_add_f32_e32 v5, -1.0, v6
	v_fmac_f32_e32 v1, v3, v5
.LBB143_733:
	s_or_b32 exec_lo, exec_lo, s22
.LBB143_734:
	s_andn2_saveexec_b32 s22, s0
	s_cbranch_execz .LBB143_736
; %bb.735:
	v_cvt_i32_f32_e32 v1, v0
	s_mov_b32 s0, 0x36f5d7bd
	s_mov_b32 s23, 0x3805ff67
	v_cvt_f32_i32_e32 v3, v1
	v_cmp_lt_i32_e32 vcc_lo, 2, v1
	v_sub_f32_e64 v3, |v2|, v3
	v_add_f32_e32 v5, 2.0, v3
	v_add_f32_e32 v6, 0x40400000, v3
	v_add_f32_e32 v7, 4.0, v3
	v_add_f32_e32 v8, 0x40a00000, v3
	v_cndmask_b32_e32 v5, 1.0, v5, vcc_lo
	v_cmp_lt_i32_e32 vcc_lo, 3, v1
	v_cndmask_b32_e32 v6, 1.0, v6, vcc_lo
	v_cmp_lt_i32_e32 vcc_lo, 4, v1
	v_mul_f32_e32 v5, v5, v6
	v_cndmask_b32_e32 v7, 1.0, v7, vcc_lo
	v_cmp_lt_i32_e32 vcc_lo, 5, v1
	v_add_f32_e32 v6, 0x40c00000, v3
	v_mul_f32_e32 v5, v7, v5
	v_cndmask_b32_e32 v8, 1.0, v8, vcc_lo
	v_cmp_lt_i32_e32 vcc_lo, 6, v1
	v_fmaak_f32 v7, s23, v3, 0x3af135b4
	v_mul_f32_e32 v5, v8, v5
	v_cndmask_b32_e32 v1, 1.0, v6, vcc_lo
	v_mul_f32_e32 v1, v1, v5
	v_fmaak_f32 v5, s0, v3, 0x3a4beed6
	v_cmp_gt_f32_e32 vcc_lo, 0x800000, v1
	v_fmaak_f32 v5, v3, v5, 0x3c98bf54
	v_cndmask_b32_e64 v6, 0, 32, vcc_lo
	v_fmaak_f32 v5, v3, v5, 0x3e300f6e
	v_ldexp_f32 v1, v1, v6
	v_fmaak_f32 v6, v3, v7, 0x3cda40e4
	v_fmaak_f32 v5, v3, v5, 0x3f38d0c5
	v_log_f32_e32 v1, v1
	v_fmaak_f32 v6, v3, v6, 0x3e15dce6
	v_fmaak_f32 v5, v3, v5, 0x3fb22d3b
	;; [unrolled: 1-line block ×3, first 2 shown]
	v_fma_f32 v5, v3, v5, 1.0
	v_mul_f32_e32 v7, 0x3f317217, v1
	v_fmaak_f32 v6, v3, v6, 0x3e5c245a
	v_rcp_f32_e32 v5, v5
	v_cmp_gt_f32_e64 s0, 0x7f800000, |v1|
	v_fma_f32 v8, 0x3f317217, v1, -v7
	v_fmaak_f32 v6, v3, v6, 0xbd9e233f
	v_fmamk_f32 v8, v1, 0x3377d1cf, v8
	v_mul_f32_e32 v6, v3, v6
	v_add_f32_e32 v7, v7, v8
	v_mul_f32_e32 v5, v6, v5
	v_cndmask_b32_e64 v6, 0, 0x41b17218, vcc_lo
	v_cndmask_b32_e64 v1, v1, v7, s0
	v_fmac_f32_e32 v5, 0.5, v3
	v_sub_f32_e32 v1, v1, v6
	v_add_f32_e32 v1, v1, v5
.LBB143_736:
	s_or_b32 exec_lo, exec_lo, s22
.LBB143_737:
	s_andn2_saveexec_b32 s21, s21
	s_cbranch_execz .LBB143_755
; %bb.738:
	s_mov_b32 s22, exec_lo
                                        ; implicit-def: $vgpr1
                                        ; implicit-def: $vgpr5
                                        ; implicit-def: $vgpr3
	v_cmpx_ge_f32_e64 0x3f666666, |v2|
	s_xor_b32 s22, exec_lo, s22
	s_cbranch_execz .LBB143_740
; %bb.739:
	v_cmp_gt_f32_e64 s0, 0x800000, |v2|
	v_sub_f32_e64 v6, 1.0, |v2|
	v_cmp_gt_f32_e64 vcc_lo, 0x3f3b4a23, |v2|
	v_cndmask_b32_e64 v1, 0, 32, s0
	v_cndmask_b32_e64 v7, 0, 0x41b17218, s0
	v_ldexp_f32 v1, |v2|, v1
	v_log_f32_e32 v1, v1
	v_mul_f32_e32 v3, 0x3f317217, v1
	v_cmp_gt_f32_e64 s0, 0x7f800000, |v1|
	v_fma_f32 v5, 0x3f317217, v1, -v3
	v_fmamk_f32 v5, v1, 0x3377d1cf, v5
	v_add_f32_e32 v3, v3, v5
	v_add_f32_e64 v5, 0xbeec5b0c, |v2|
	v_cndmask_b32_e64 v1, v1, v3, s0
	v_cndmask_b32_e32 v3, v6, v5, vcc_lo
	v_cndmask_b32_e64 v5, 0, 1, vcc_lo
	v_cmp_gt_f32_e64 s0, 0x3e6d3309, |v2|
	v_sub_f32_e32 v1, v1, v7
	v_cndmask_b32_e64 v3, v3, |v2|, s0
	v_cndmask_b32_e64 v5, v5, 2, s0
	v_xor_b32_e32 v1, 0x80000000, v1
.LBB143_740:
	s_andn2_saveexec_b32 s0, s22
	s_cbranch_execz .LBB143_742
; %bb.741:
	v_sub_f32_e64 v1, 2.0, |v2|
	v_add_f32_e64 v3, 0xbfbb16c3, |v2|
	v_cmp_gt_f32_e64 vcc_lo, 0x3fdda512, |v2|
	v_add_f32_e64 v5, |v2|, -1.0
	v_cndmask_b32_e32 v3, v1, v3, vcc_lo
	v_cndmask_b32_e64 v1, v1, 1.0, vcc_lo
	v_cmp_gt_f32_e64 vcc_lo, 0x3f9d70a4, |v2|
	v_cvt_i32_f32_e32 v1, v1
	v_cndmask_b32_e32 v3, v3, v5, vcc_lo
	v_cndmask_b32_e64 v5, v1, 2, vcc_lo
	v_mov_b32_e32 v1, 0
.LBB143_742:
	s_or_b32 exec_lo, exec_lo, s0
	s_mov_b32 s0, exec_lo
	v_cmpx_lt_i32_e32 0, v5
	s_xor_b32 s0, exec_lo, s0
	s_cbranch_execz .LBB143_750
; %bb.743:
	s_mov_b32 s22, exec_lo
	v_cmpx_lt_i32_e32 1, v5
	s_xor_b32 s22, exec_lo, s22
	s_cbranch_execz .LBB143_747
; %bb.744:
	s_mov_b32 s23, exec_lo
	v_cmpx_eq_u32_e32 2, v5
	s_cbranch_execz .LBB143_746
; %bb.745:
	s_mov_b32 s24, 0x3b52d5db
	v_fmaak_f32 v5, s24, v3, 0x3dd572af
	s_mov_b32 s24, 0x3c5b3c5e
	v_fmaak_f32 v6, s24, v3, 0x3e6a7578
	v_fmaak_f32 v5, v3, v5, 0x3f44efdf
	;; [unrolled: 1-line block ×7, first 2 shown]
	v_fma_f32 v5, v3, v5, 1.0
	v_fmaak_f32 v6, v3, v6, 0xbd9e233f
	v_rcp_f32_e32 v5, v5
	v_mul_f32_e32 v6, v3, v6
	v_mul_f32_e32 v5, v6, v5
	v_fmac_f32_e32 v5, -0.5, v3
	v_add_f32_e32 v1, v1, v5
.LBB143_746:
	s_or_b32 exec_lo, exec_lo, s23
                                        ; implicit-def: $vgpr3
.LBB143_747:
	s_andn2_saveexec_b32 s22, s22
	s_cbranch_execz .LBB143_749
; %bb.748:
	v_mul_f32_e32 v5, v3, v3
	s_mov_b32 s23, 0xb9a3f927
	s_mov_b32 s24, 0x39afe9f7
	v_mul_f32_e32 v6, v3, v5
	v_fmaak_f32 v7, s23, v6, 0x3a66f867
	v_fmaak_f32 v8, s24, v6, 0xba0d3085
	s_mov_b32 s23, 0x39a57b6b
	v_fmaak_f32 v9, s23, v6, 0xbab7f476
	v_fmaak_f32 v7, v6, v7, 0xbb7177fe
	;; [unrolled: 1-line block ×9, first 2 shown]
	v_fmac_f32_e32 v7, v3, v8
	v_fmaak_f32 v3, v6, v9, 0x3ef7b95e
	v_fma_f32 v6, v6, -v7, 0xa2863e55
	v_fma_f32 v3, v5, v3, -v6
	v_add_f32_e32 v3, 0xbdf8cdce, v3
	v_add_f32_e32 v1, v1, v3
.LBB143_749:
	s_or_b32 exec_lo, exec_lo, s22
                                        ; implicit-def: $vgpr5
                                        ; implicit-def: $vgpr3
.LBB143_750:
	s_andn2_saveexec_b32 s0, s0
	s_cbranch_execz .LBB143_754
; %bb.751:
	s_mov_b32 s22, exec_lo
	v_cmpx_eq_u32_e32 0, v5
	s_cbranch_execz .LBB143_753
; %bb.752:
	v_mul_f32_e32 v5, v3, v3
	s_mov_b32 s23, 0x383c2c75
	v_fmaak_f32 v6, s23, v5, 0x38e28445
	s_mov_b32 s23, 0x37d383a2
	v_fmaak_f32 v7, s23, v5, 0x39679767
	v_fmaak_f32 v6, v5, v6, 0x3a05b634
	;; [unrolled: 1-line block ×9, first 2 shown]
	v_mul_f32_e32 v5, v5, v6
	v_fmac_f32_e32 v5, v3, v7
	v_fmac_f32_e32 v5, -0.5, v3
	v_add_f32_e32 v1, v1, v5
.LBB143_753:
	s_or_b32 exec_lo, exec_lo, s22
.LBB143_754:
	s_or_b32 exec_lo, exec_lo, s0
.LBB143_755:
	s_or_b32 exec_lo, exec_lo, s21
.LBB143_756:
	s_andn2_saveexec_b32 s0, s1
	s_cbranch_execz .LBB143_758
; %bb.757:
	v_cmp_gt_f32_e64 s1, 0x800000, |v2|
	s_mov_b32 s21, 0x3e8a8991
	v_fma_f32 v6, |v2|, s21, 0xbecd26ab
	v_cndmask_b32_e64 v1, 0, 32, s1
	v_ldexp_f32 v1, |v2|, v1
	v_log_f32_e32 v1, v1
	v_mul_f32_e32 v3, 0x3f317217, v1
	v_cmp_gt_f32_e64 vcc_lo, 0x7f800000, |v1|
	v_fma_f32 v5, 0x3f317217, v1, -v3
	v_fmamk_f32 v5, v1, 0x3377d1cf, v5
	v_add_f32_e32 v3, v3, v5
	v_fma_f32 v5, |v2|, v6, 0x3f528d33
	v_cndmask_b32_e32 v1, v1, v3, vcc_lo
	v_cndmask_b32_e64 v3, 0, 0x41b17218, s1
	v_fma_f32 v5, |v2|, v5, 0xbf13c468
	v_sub_f32_e32 v1, v1, v3
	v_fma_f32 v1, |v2|, v5, -v1
.LBB143_758:
	s_or_b32 exec_lo, exec_lo, s0
	v_cmp_le_f32_e32 vcc_lo, 0, v2
	s_mov_b32 s1, exec_lo
	v_cmpx_nle_f32_e32 0, v2
	s_xor_b32 s21, exec_lo, s1
	s_cbranch_execz .LBB143_762
; %bb.759:
	v_cmp_gt_f32_e64 s0, 0x4b000000, |v2|
	v_cmp_lt_f32_e64 s1, 0x35000000, |v2|
	s_and_b32 s0, s0, s1
	s_and_saveexec_b32 s22, s0
	s_cbranch_execz .LBB143_761
; %bb.760:
	v_mul_f32_e64 v3, |v2|, 0.5
	s_mov_b32 s1, 0x3d4be544
	v_xor_b32_e32 v0, v0, v2
	v_floor_f32_e32 v5, v3
	v_cmp_neq_f32_e64 s0, 0x7f800000, v3
	v_sub_f32_e32 v5, v3, v5
	v_min_f32_e32 v5, 0x3f7fffff, v5
	v_add_f32_e32 v5, v5, v5
	v_cndmask_b32_e64 v3, 0, v5, s0
	v_cmp_gt_f32_e64 s0, |v2|, 1.0
	v_cndmask_b32_e64 v3, |v2|, v3, s0
	s_mov_b32 s0, 0x3e75aa41
	v_add_f32_e32 v5, v3, v3
	v_rndne_f32_e32 v5, v5
	v_fmac_f32_e32 v3, -0.5, v5
	v_cvt_i32_f32_e32 v5, v5
	v_mul_f32_e32 v6, v3, v3
	v_fmaak_f32 v7, s0, v6, 0xbf1f24be
	v_fmaak_f32 v8, s1, v6, 0x3e642e9d
	v_mul_f32_e32 v9, v3, v6
	v_fmaak_f32 v7, v6, v7, 0x40234736
	v_fmaak_f32 v8, v6, v8, 0xbfaad1da
	;; [unrolled: 1-line block ×4, first 2 shown]
	v_mul_f32_e32 v7, v9, v7
	v_fmaak_f32 v8, v6, v8, 0xc09de9e6
	v_and_b32_e32 v9, 1, v5
	v_lshlrev_b32_e32 v5, 30, v5
	v_fmamk_f32 v3, v3, 0x40490fdb, v7
	v_fma_f32 v6, v6, v8, 1.0
	v_cmp_eq_u32_e64 s0, 0, v9
	v_and_b32_e32 v5, 0x80000000, v5
	v_cndmask_b32_e64 v3, v6, v3, s0
	v_xor3_b32 v0, v0, v5, v3
	v_mul_f32_e32 v0, v2, v0
	v_frexp_mant_f32_e64 v3, |v0|
	v_frexp_exp_i32_f32_e32 v0, v0
	v_rcp_f32_e32 v3, v3
	v_sub_nc_u32_e32 v0, 2, v0
	v_mul_f32_e32 v3, 0x3f490fdb, v3
	v_ldexp_f32 v0, v3, v0
	v_cmp_gt_f32_e64 s0, 0x800000, v0
	v_cndmask_b32_e64 v3, 0, 32, s0
	v_ldexp_f32 v0, v0, v3
	v_log_f32_e32 v0, v0
	v_mul_f32_e32 v3, 0x3f317217, v0
	v_cmp_gt_f32_e64 s1, 0x7f800000, |v0|
	v_fma_f32 v5, 0x3f317217, v0, -v3
	v_fmamk_f32 v5, v0, 0x3377d1cf, v5
	v_add_f32_e32 v3, v3, v5
	v_floor_f32_e32 v5, v2
	v_cndmask_b32_e64 v0, v0, v3, s1
	v_cndmask_b32_e64 v3, 0, 0x41b17218, s0
	v_sub_f32_e32 v5, v2, v5
	v_sub_f32_e32 v0, v0, v3
	v_min_f32_e32 v3, 0x3f7fffff, v5
	v_sub_f32_e32 v0, v0, v1
	v_cmp_neq_f32_e64 s0, 0, v3
	v_cndmask_b32_e64 v1, 0x7f800000, v0, s0
.LBB143_761:
	s_or_b32 exec_lo, exec_lo, s22
.LBB143_762:
	s_andn2_saveexec_b32 s21, s21
; %bb.763:
	v_cmp_eq_f32_e64 s0, 1.0, v2
	v_cmp_eq_f32_e64 s1, 2.0, v2
	s_or_b32 s0, s0, s1
	v_cndmask_b32_e64 v1, v1, 0, s0
; %bb.764:
	s_or_b32 exec_lo, exec_lo, s21
	v_mul_lo_u32 v0, v4, s12
	v_cmp_gt_f32_e64 s0, 0x4b000000, |v2|
	s_and_b32 s1, s5, 0xff
	s_or_b32 vcc_lo, vcc_lo, s0
	v_cmp_class_f32_e64 s0, v2, 0x264
	v_cndmask_b32_e32 v1, 0x7f800000, v1, vcc_lo
	v_ashrrev_i32_e32 v3, 31, v0
	v_add_co_u32 v0, vcc_lo, s8, v0
	s_cmp_lt_i32 s1, 11
	v_cndmask_b32_e64 v5, v1, 0x7f800000, s0
	v_add_co_ci_u32_e64 v1, null, s9, v3, vcc_lo
	v_cmp_u_f32_e32 vcc_lo, v2, v2
	v_cndmask_b32_e32 v2, v5, v2, vcc_lo
	s_cbranch_scc1 .LBB143_772
; %bb.765:
	s_and_b32 s21, 0xffff, s1
	s_cmp_gt_i32 s21, 25
	s_cbranch_scc0 .LBB143_773
; %bb.766:
	s_cmp_gt_i32 s21, 28
	s_cbranch_scc0 .LBB143_774
; %bb.767:
	;; [unrolled: 3-line block ×4, first 2 shown]
	s_mov_b32 s23, 0
	s_mov_b32 s0, -1
	s_cmp_eq_u32 s21, 46
	s_mov_b32 s22, 0
	s_cbranch_scc0 .LBB143_777
; %bb.770:
	v_bfe_u32 v3, v2, 16, 1
	v_cmp_o_f32_e32 vcc_lo, v2, v2
	v_mov_b32_e32 v5, 0x7fc0
	s_mov_b32 s22, -1
	s_mov_b32 s0, 0
	v_add3_u32 v3, v2, v3, 0x7fff
	v_cndmask_b32_sdwa v3, v5, v3, vcc_lo dst_sel:DWORD dst_unused:UNUSED_PAD src0_sel:DWORD src1_sel:WORD_1
	global_store_dword v[0:1], v3, off
	s_branch .LBB143_777
.LBB143_771:
	s_mov_b32 s21, 0
	s_mov_b32 s0, s17
	s_branch .LBB143_888
.LBB143_772:
	s_mov_b32 s21, -1
	s_mov_b32 s22, 0
	s_mov_b32 s0, s17
	s_branch .LBB143_846
.LBB143_773:
	s_mov_b32 s23, -1
	s_mov_b32 s22, 0
	s_mov_b32 s0, s17
	s_branch .LBB143_804
.LBB143_774:
	s_mov_b32 s23, -1
	s_mov_b32 s22, 0
	s_mov_b32 s0, s17
	s_branch .LBB143_787
.LBB143_775:
	s_mov_b32 s23, -1
	s_mov_b32 s22, 0
	s_mov_b32 s0, s17
	s_branch .LBB143_783
.LBB143_776:
	s_mov_b32 s23, -1
	s_mov_b32 s22, 0
	s_mov_b32 s0, s17
.LBB143_777:
	s_and_b32 vcc_lo, exec_lo, s23
	s_cbranch_vccz .LBB143_782
; %bb.778:
	s_cmp_eq_u32 s21, 44
	s_mov_b32 s0, -1
	s_cbranch_scc0 .LBB143_782
; %bb.779:
	v_bfe_u32 v5, v2, 23, 8
	v_mov_b32_e32 v3, 0xff
	s_mov_b32 s22, exec_lo
	v_cmpx_ne_u32_e32 0xff, v5
	s_cbranch_execz .LBB143_781
; %bb.780:
	v_and_b32_e32 v3, 0x400000, v2
	v_and_or_b32 v5, 0x3fffff, v2, v5
	v_cmp_ne_u32_e32 vcc_lo, 0, v3
	v_cmp_ne_u32_e64 s0, 0, v5
	v_lshrrev_b32_e32 v3, 23, v2
	s_and_b32 s0, vcc_lo, s0
	v_cndmask_b32_e64 v5, 0, 1, s0
	v_add_nc_u32_e32 v3, v3, v5
.LBB143_781:
	s_or_b32 exec_lo, exec_lo, s22
	s_mov_b32 s22, -1
	s_mov_b32 s0, 0
	global_store_byte v[0:1], v3, off
.LBB143_782:
	s_mov_b32 s23, 0
.LBB143_783:
	s_and_b32 vcc_lo, exec_lo, s23
	s_cbranch_vccz .LBB143_786
; %bb.784:
	s_cmp_eq_u32 s21, 29
	s_mov_b32 s0, -1
	s_cbranch_scc0 .LBB143_786
; %bb.785:
	v_trunc_f32_e32 v3, v2
	s_mov_b32 s22, -1
	s_mov_b32 s0, 0
	s_mov_b32 s23, 0
	v_mul_f32_e32 v5, 0x2f800000, v3
	v_floor_f32_e32 v5, v5
	v_fmamk_f32 v3, v5, 0xcf800000, v3
	v_cvt_u32_f32_e32 v6, v5
	v_cvt_u32_f32_e32 v5, v3
	global_store_dwordx2 v[0:1], v[5:6], off
	s_branch .LBB143_787
.LBB143_786:
	s_mov_b32 s23, 0
.LBB143_787:
	s_and_b32 vcc_lo, exec_lo, s23
	s_cbranch_vccz .LBB143_803
; %bb.788:
	s_cmp_lt_i32 s21, 27
	s_mov_b32 s22, -1
	s_cbranch_scc1 .LBB143_794
; %bb.789:
	v_cvt_u32_f32_e32 v3, v2
	s_cmp_gt_i32 s21, 27
	s_cbranch_scc0 .LBB143_791
; %bb.790:
	s_mov_b32 s22, 0
	global_store_dword v[0:1], v3, off
.LBB143_791:
	s_andn2_b32 vcc_lo, exec_lo, s22
	s_cbranch_vccnz .LBB143_793
; %bb.792:
	global_store_short v[0:1], v3, off
.LBB143_793:
	s_mov_b32 s22, 0
.LBB143_794:
	s_andn2_b32 vcc_lo, exec_lo, s22
	s_cbranch_vccnz .LBB143_802
; %bb.795:
	v_and_b32_e32 v3, 0x7fffffff, v2
	v_mov_b32_e32 v5, 0x80
	s_mov_b32 s22, exec_lo
	v_cmpx_gt_u32_e32 0x43800000, v3
	s_cbranch_execz .LBB143_801
; %bb.796:
	v_cmp_lt_u32_e32 vcc_lo, 0x3bffffff, v3
	s_mov_b32 s23, 0
                                        ; implicit-def: $vgpr3
	s_and_saveexec_b32 s24, vcc_lo
	s_xor_b32 s24, exec_lo, s24
	s_cbranch_execz .LBB143_903
; %bb.797:
	v_bfe_u32 v3, v2, 20, 1
	s_mov_b32 s23, exec_lo
	v_add3_u32 v3, v2, v3, 0x487ffff
	v_lshrrev_b32_e32 v3, 20, v3
	s_andn2_saveexec_b32 s24, s24
	s_cbranch_execnz .LBB143_904
.LBB143_798:
	s_or_b32 exec_lo, exec_lo, s24
	v_mov_b32_e32 v5, 0
	s_and_saveexec_b32 s24, s23
.LBB143_799:
	v_lshrrev_b32_e32 v5, 24, v2
	v_and_or_b32 v5, 0x80, v5, v3
.LBB143_800:
	s_or_b32 exec_lo, exec_lo, s24
.LBB143_801:
	s_or_b32 exec_lo, exec_lo, s22
	global_store_byte v[0:1], v5, off
.LBB143_802:
	s_mov_b32 s22, -1
.LBB143_803:
	s_mov_b32 s23, 0
.LBB143_804:
	s_and_b32 vcc_lo, exec_lo, s23
	s_cbranch_vccz .LBB143_845
; %bb.805:
	s_cmp_gt_i32 s21, 22
	s_mov_b32 s23, -1
	s_cbranch_scc0 .LBB143_837
; %bb.806:
	s_cmp_lt_i32 s21, 24
	s_mov_b32 s22, -1
	s_cbranch_scc1 .LBB143_826
; %bb.807:
	s_cmp_gt_i32 s21, 24
	s_cbranch_scc0 .LBB143_815
; %bb.808:
	v_and_b32_e32 v3, 0x7fffffff, v2
	v_mov_b32_e32 v5, 0x80
	s_mov_b32 s22, exec_lo
	v_cmpx_gt_u32_e32 0x47800000, v3
	s_cbranch_execz .LBB143_814
; %bb.809:
	v_cmp_lt_u32_e32 vcc_lo, 0x37ffffff, v3
	s_mov_b32 s23, 0
                                        ; implicit-def: $vgpr3
	s_and_saveexec_b32 s24, vcc_lo
	s_xor_b32 s24, exec_lo, s24
	s_cbranch_execz .LBB143_906
; %bb.810:
	v_bfe_u32 v3, v2, 21, 1
	s_mov_b32 s23, exec_lo
	v_add3_u32 v3, v2, v3, 0x88fffff
	v_lshrrev_b32_e32 v3, 21, v3
	s_andn2_saveexec_b32 s24, s24
	s_cbranch_execnz .LBB143_907
.LBB143_811:
	s_or_b32 exec_lo, exec_lo, s24
	v_mov_b32_e32 v5, 0
	s_and_saveexec_b32 s24, s23
.LBB143_812:
	v_lshrrev_b32_e32 v5, 24, v2
	v_and_or_b32 v5, 0x80, v5, v3
.LBB143_813:
	s_or_b32 exec_lo, exec_lo, s24
.LBB143_814:
	s_or_b32 exec_lo, exec_lo, s22
	s_mov_b32 s22, 0
	global_store_byte v[0:1], v5, off
.LBB143_815:
	s_and_b32 vcc_lo, exec_lo, s22
	s_cbranch_vccz .LBB143_825
; %bb.816:
	v_and_b32_e32 v5, 0x7fffffff, v2
	s_mov_b32 s22, exec_lo
                                        ; implicit-def: $vgpr3
	v_cmpx_gt_u32_e32 0x43f00000, v5
	s_xor_b32 s22, exec_lo, s22
	s_cbranch_execz .LBB143_822
; %bb.817:
	s_mov_b32 s23, exec_lo
                                        ; implicit-def: $vgpr3
	v_cmpx_lt_u32_e32 0x3c7fffff, v5
	s_xor_b32 s23, exec_lo, s23
; %bb.818:
	v_bfe_u32 v3, v2, 20, 1
	v_add3_u32 v3, v2, v3, 0x407ffff
	v_and_b32_e32 v5, 0xff00000, v3
	v_lshrrev_b32_e32 v3, 20, v3
	v_cmp_ne_u32_e32 vcc_lo, 0x7f00000, v5
	v_cndmask_b32_e32 v3, 0x7e, v3, vcc_lo
; %bb.819:
	s_andn2_saveexec_b32 s23, s23
; %bb.820:
	v_add_f32_e64 v3, 0x46800000, |v2|
; %bb.821:
	s_or_b32 exec_lo, exec_lo, s23
                                        ; implicit-def: $vgpr5
.LBB143_822:
	s_andn2_saveexec_b32 s22, s22
; %bb.823:
	v_mov_b32_e32 v3, 0x7f
	v_cmp_lt_u32_e32 vcc_lo, 0x7f800000, v5
	v_cndmask_b32_e32 v3, 0x7e, v3, vcc_lo
; %bb.824:
	s_or_b32 exec_lo, exec_lo, s22
	v_lshrrev_b32_e32 v5, 24, v2
	v_and_or_b32 v3, 0x80, v5, v3
	global_store_byte v[0:1], v3, off
.LBB143_825:
	s_mov_b32 s22, 0
.LBB143_826:
	s_andn2_b32 vcc_lo, exec_lo, s22
	s_cbranch_vccnz .LBB143_836
; %bb.827:
	v_and_b32_e32 v5, 0x7fffffff, v2
	s_mov_b32 s22, exec_lo
                                        ; implicit-def: $vgpr3
	v_cmpx_gt_u32_e32 0x47800000, v5
	s_xor_b32 s22, exec_lo, s22
	s_cbranch_execz .LBB143_833
; %bb.828:
	s_mov_b32 s23, exec_lo
                                        ; implicit-def: $vgpr3
	v_cmpx_lt_u32_e32 0x387fffff, v5
	s_xor_b32 s23, exec_lo, s23
; %bb.829:
	v_bfe_u32 v3, v2, 21, 1
	v_add3_u32 v3, v2, v3, 0x80fffff
	v_lshrrev_b32_e32 v3, 21, v3
; %bb.830:
	s_andn2_saveexec_b32 s23, s23
; %bb.831:
	v_add_f32_e64 v3, 0x43000000, |v2|
; %bb.832:
	s_or_b32 exec_lo, exec_lo, s23
                                        ; implicit-def: $vgpr5
.LBB143_833:
	s_andn2_saveexec_b32 s22, s22
; %bb.834:
	v_mov_b32_e32 v3, 0x7f
	v_cmp_lt_u32_e32 vcc_lo, 0x7f800000, v5
	v_cndmask_b32_e32 v3, 0x7c, v3, vcc_lo
; %bb.835:
	s_or_b32 exec_lo, exec_lo, s22
	v_lshrrev_b32_e32 v5, 24, v2
	v_and_or_b32 v3, 0x80, v5, v3
	global_store_byte v[0:1], v3, off
.LBB143_836:
	s_mov_b32 s23, 0
	s_mov_b32 s22, -1
.LBB143_837:
	s_andn2_b32 vcc_lo, exec_lo, s23
	s_cbranch_vccnz .LBB143_845
; %bb.838:
	s_cmp_gt_i32 s21, 14
	s_mov_b32 s23, -1
	s_cbranch_scc0 .LBB143_842
; %bb.839:
	s_cmp_eq_u32 s21, 15
	s_mov_b32 s0, -1
	s_cbranch_scc0 .LBB143_841
; %bb.840:
	v_bfe_u32 v3, v2, 16, 1
	v_cmp_o_f32_e32 vcc_lo, v2, v2
	v_mov_b32_e32 v5, 0x7fc0
	s_mov_b32 s22, -1
	s_mov_b32 s0, 0
	v_add3_u32 v3, v2, v3, 0x7fff
	v_cndmask_b32_sdwa v3, v5, v3, vcc_lo dst_sel:DWORD dst_unused:UNUSED_PAD src0_sel:DWORD src1_sel:WORD_1
	global_store_short v[0:1], v3, off
.LBB143_841:
	s_mov_b32 s23, 0
.LBB143_842:
	s_and_b32 vcc_lo, exec_lo, s23
	s_cbranch_vccz .LBB143_845
; %bb.843:
	s_cmp_eq_u32 s21, 11
	s_mov_b32 s0, -1
	s_cbranch_scc0 .LBB143_845
; %bb.844:
	v_cmp_neq_f32_e32 vcc_lo, 0, v2
	s_mov_b32 s0, 0
	s_mov_b32 s22, -1
	v_cndmask_b32_e64 v3, 0, 1, vcc_lo
	global_store_byte v[0:1], v3, off
.LBB143_845:
	s_mov_b32 s21, 0
.LBB143_846:
	s_and_b32 vcc_lo, exec_lo, s21
	s_cbranch_vccz .LBB143_885
; %bb.847:
	s_and_b32 s1, 0xffff, s1
	s_mov_b32 s21, -1
	s_cmp_lt_i32 s1, 5
	s_cbranch_scc1 .LBB143_868
; %bb.848:
	s_cmp_lt_i32 s1, 8
	s_cbranch_scc1 .LBB143_858
; %bb.849:
	;; [unrolled: 3-line block ×3, first 2 shown]
	s_cmp_gt_i32 s1, 9
	s_cbranch_scc0 .LBB143_852
; %bb.851:
	v_cvt_f64_f32_e32 v[5:6], v2
	v_mov_b32_e32 v7, 0
	s_mov_b32 s21, 0
	v_mov_b32_e32 v8, v7
	global_store_dwordx4 v[0:1], v[5:8], off
.LBB143_852:
	s_andn2_b32 vcc_lo, exec_lo, s21
	s_cbranch_vccnz .LBB143_854
; %bb.853:
	v_mov_b32_e32 v3, 0
	global_store_dwordx2 v[0:1], v[2:3], off
.LBB143_854:
	s_mov_b32 s21, 0
.LBB143_855:
	s_andn2_b32 vcc_lo, exec_lo, s21
	s_cbranch_vccnz .LBB143_857
; %bb.856:
	v_cvt_f16_f32_e32 v3, v2
	v_and_b32_e32 v3, 0xffff, v3
	global_store_dword v[0:1], v3, off
.LBB143_857:
	s_mov_b32 s21, 0
.LBB143_858:
	s_andn2_b32 vcc_lo, exec_lo, s21
	s_cbranch_vccnz .LBB143_867
; %bb.859:
	s_cmp_lt_i32 s1, 6
	s_mov_b32 s21, -1
	s_cbranch_scc1 .LBB143_865
; %bb.860:
	s_cmp_gt_i32 s1, 6
	s_cbranch_scc0 .LBB143_862
; %bb.861:
	v_cvt_f64_f32_e32 v[5:6], v2
	s_mov_b32 s21, 0
	global_store_dwordx2 v[0:1], v[5:6], off
.LBB143_862:
	s_andn2_b32 vcc_lo, exec_lo, s21
	s_cbranch_vccnz .LBB143_864
; %bb.863:
	global_store_dword v[0:1], v2, off
.LBB143_864:
	s_mov_b32 s21, 0
.LBB143_865:
	s_andn2_b32 vcc_lo, exec_lo, s21
	s_cbranch_vccnz .LBB143_867
; %bb.866:
	v_cvt_f16_f32_e32 v3, v2
	global_store_short v[0:1], v3, off
.LBB143_867:
	s_mov_b32 s21, 0
.LBB143_868:
	s_andn2_b32 vcc_lo, exec_lo, s21
	s_cbranch_vccnz .LBB143_884
; %bb.869:
	s_cmp_lt_i32 s1, 2
	s_mov_b32 s21, -1
	s_cbranch_scc1 .LBB143_879
; %bb.870:
	s_cmp_lt_i32 s1, 3
	s_cbranch_scc1 .LBB143_876
; %bb.871:
	s_cmp_gt_i32 s1, 3
	s_cbranch_scc0 .LBB143_873
; %bb.872:
	v_trunc_f32_e32 v3, v2
	s_mov_b32 s21, 0
	v_mul_f32_e64 v5, 0x2f800000, |v3|
	v_floor_f32_e32 v5, v5
	v_fma_f32 v6, 0xcf800000, v5, |v3|
	v_ashrrev_i32_e32 v3, 31, v3
	v_cvt_u32_f32_e32 v5, v5
	v_cvt_u32_f32_e32 v6, v6
	v_xor_b32_e32 v7, v5, v3
	v_xor_b32_e32 v6, v6, v3
	v_sub_co_u32 v5, vcc_lo, v6, v3
	v_sub_co_ci_u32_e64 v6, null, v7, v3, vcc_lo
	global_store_dwordx2 v[0:1], v[5:6], off
.LBB143_873:
	s_andn2_b32 vcc_lo, exec_lo, s21
	s_cbranch_vccnz .LBB143_875
; %bb.874:
	v_cvt_i32_f32_e32 v3, v2
	global_store_dword v[0:1], v3, off
.LBB143_875:
	s_mov_b32 s21, 0
.LBB143_876:
	s_andn2_b32 vcc_lo, exec_lo, s21
	s_cbranch_vccnz .LBB143_878
; %bb.877:
	v_cvt_i32_f32_e32 v3, v2
	global_store_short v[0:1], v3, off
.LBB143_878:
	s_mov_b32 s21, 0
.LBB143_879:
	s_andn2_b32 vcc_lo, exec_lo, s21
	s_cbranch_vccnz .LBB143_884
; %bb.880:
	s_cmp_gt_i32 s1, 0
	s_mov_b32 s1, -1
	s_cbranch_scc0 .LBB143_882
; %bb.881:
	v_cvt_i32_f32_e32 v3, v2
	s_mov_b32 s1, 0
	global_store_byte v[0:1], v3, off
.LBB143_882:
	s_andn2_b32 vcc_lo, exec_lo, s1
	s_cbranch_vccnz .LBB143_884
; %bb.883:
	v_trunc_f32_e32 v2, v2
	v_mul_f32_e64 v3, 0x2f800000, |v2|
	v_floor_f32_e32 v3, v3
	v_fma_f32 v3, 0xcf800000, v3, |v2|
	v_ashrrev_i32_e32 v2, 31, v2
	v_cvt_u32_f32_e32 v3, v3
	v_xor_b32_e32 v3, v3, v2
	v_sub_nc_u32_e32 v2, v3, v2
	global_store_byte v[0:1], v2, off
.LBB143_884:
	s_mov_b32 s22, -1
.LBB143_885:
	s_andn2_b32 vcc_lo, exec_lo, s22
	s_cbranch_vccnz .LBB143_887
; %bb.886:
	v_add_nc_u32_e32 v4, 0x80, v4
	s_mov_b32 s21, -1
	s_branch .LBB143_889
.LBB143_887:
	s_mov_b32 s21, 0
.LBB143_888:
                                        ; implicit-def: $vgpr4
.LBB143_889:
	s_andn2_b32 s1, s17, exec_lo
	s_and_b32 s0, s0, exec_lo
	s_andn2_b32 s22, s16, exec_lo
	s_and_b32 s20, s20, exec_lo
	s_or_b32 s1, s1, s0
	s_or_b32 s0, s22, s20
	s_orn2_b32 s20, s21, exec_lo
.LBB143_890:
	s_or_b32 exec_lo, exec_lo, s19
	s_mov_b32 s21, 0
	s_mov_b32 s22, 0
	;; [unrolled: 1-line block ×3, first 2 shown]
                                        ; implicit-def: $vgpr0_vgpr1
                                        ; implicit-def: $vgpr3
	s_and_saveexec_b32 s19, s20
	s_cbranch_execz .LBB143_975
; %bb.891:
	v_cmp_gt_i32_e32 vcc_lo, s7, v4
	s_mov_b32 s20, 0
	s_mov_b32 s21, s0
	;; [unrolled: 1-line block ×3, first 2 shown]
                                        ; implicit-def: $vgpr0_vgpr1
                                        ; implicit-def: $vgpr3
	s_and_saveexec_b32 s7, vcc_lo
	s_cbranch_execz .LBB143_974
; %bb.892:
	v_mul_lo_u32 v0, v4, s13
	s_and_b32 s20, 0xffff, s3
	s_cmp_lt_i32 s20, 11
	v_ashrrev_i32_e32 v1, 31, v0
	v_add_co_u32 v0, vcc_lo, s10, v0
	v_add_co_ci_u32_e64 v1, null, s11, v1, vcc_lo
	s_cbranch_scc1 .LBB143_899
; %bb.893:
	s_cmp_gt_i32 s20, 25
	s_cbranch_scc0 .LBB143_900
; %bb.894:
	s_cmp_gt_i32 s20, 28
	s_cbranch_scc0 .LBB143_901
	;; [unrolled: 3-line block ×4, first 2 shown]
; %bb.897:
	s_cmp_eq_u32 s20, 46
	s_cbranch_scc0 .LBB143_908
; %bb.898:
	global_load_dword v2, v[0:1], off
	s_mov_b32 s21, 0
	s_mov_b32 s23, -1
	s_waitcnt vmcnt(0)
	v_lshlrev_b32_e32 v3, 16, v2
	s_branch .LBB143_910
.LBB143_899:
	s_mov_b32 s20, -1
	s_mov_b32 s21, s0
                                        ; implicit-def: $vgpr3
	s_branch .LBB143_973
.LBB143_900:
	s_mov_b32 s24, -1
	s_mov_b32 s21, s0
                                        ; implicit-def: $vgpr3
	s_branch .LBB143_939
.LBB143_901:
	s_mov_b32 s24, -1
	s_mov_b32 s21, s0
                                        ; implicit-def: $vgpr3
	s_branch .LBB143_920
.LBB143_902:
	s_mov_b32 s24, -1
	s_mov_b32 s21, s0
                                        ; implicit-def: $vgpr3
	s_branch .LBB143_915
.LBB143_903:
	s_andn2_saveexec_b32 s24, s24
	s_cbranch_execz .LBB143_798
.LBB143_904:
	v_add_f32_e64 v3, 0x46000000, |v2|
	s_andn2_b32 s23, s23, exec_lo
	v_and_b32_e32 v3, 0xff, v3
	v_cmp_ne_u32_e32 vcc_lo, 0, v3
	s_and_b32 s25, vcc_lo, exec_lo
	s_or_b32 s23, s23, s25
	s_or_b32 exec_lo, exec_lo, s24
	v_mov_b32_e32 v5, 0
	s_and_saveexec_b32 s24, s23
	s_cbranch_execnz .LBB143_799
	s_branch .LBB143_800
.LBB143_905:
	s_mov_b32 s24, -1
	s_mov_b32 s21, s0
	s_branch .LBB143_909
.LBB143_906:
	s_andn2_saveexec_b32 s24, s24
	s_cbranch_execz .LBB143_811
.LBB143_907:
	v_add_f32_e64 v3, 0x42800000, |v2|
	s_andn2_b32 s23, s23, exec_lo
	v_and_b32_e32 v3, 0xff, v3
	v_cmp_ne_u32_e32 vcc_lo, 0, v3
	s_and_b32 s25, vcc_lo, exec_lo
	s_or_b32 s23, s23, s25
	s_or_b32 exec_lo, exec_lo, s24
	v_mov_b32_e32 v5, 0
	s_and_saveexec_b32 s24, s23
	s_cbranch_execnz .LBB143_812
	s_branch .LBB143_813
.LBB143_908:
	s_mov_b32 s21, -1
.LBB143_909:
                                        ; implicit-def: $vgpr3
.LBB143_910:
	s_and_b32 vcc_lo, exec_lo, s24
	s_cbranch_vccz .LBB143_914
; %bb.911:
	s_cmp_eq_u32 s20, 44
	s_cbranch_scc0 .LBB143_913
; %bb.912:
	global_load_ubyte v2, v[0:1], off
	s_mov_b32 s21, 0
	s_mov_b32 s23, -1
	s_waitcnt vmcnt(0)
	v_lshlrev_b32_e32 v3, 23, v2
	v_cmp_ne_u32_e32 vcc_lo, 0xff, v2
	v_cndmask_b32_e32 v3, 0x7f800001, v3, vcc_lo
	v_cmp_ne_u32_e32 vcc_lo, 0, v2
	v_cndmask_b32_e32 v3, 0x400000, v3, vcc_lo
	s_branch .LBB143_914
.LBB143_913:
	s_mov_b32 s21, -1
                                        ; implicit-def: $vgpr3
.LBB143_914:
	s_mov_b32 s24, 0
.LBB143_915:
	s_and_b32 vcc_lo, exec_lo, s24
	s_cbranch_vccz .LBB143_919
; %bb.916:
	s_cmp_eq_u32 s20, 29
	s_cbranch_scc0 .LBB143_918
; %bb.917:
	global_load_dwordx2 v[2:3], v[0:1], off
	s_mov_b32 s21, 0
	s_mov_b32 s23, -1
	s_mov_b32 s24, 0
	s_waitcnt vmcnt(0)
	v_ffbh_u32_e32 v5, v3
	v_min_u32_e32 v5, 32, v5
	v_lshlrev_b64 v[2:3], v5, v[2:3]
	v_min_u32_e32 v2, 1, v2
	v_or_b32_e32 v2, v3, v2
	v_sub_nc_u32_e32 v3, 32, v5
	v_cvt_f32_u32_e32 v2, v2
	v_ldexp_f32 v3, v2, v3
	s_branch .LBB143_920
.LBB143_918:
	s_mov_b32 s21, -1
                                        ; implicit-def: $vgpr3
.LBB143_919:
	s_mov_b32 s24, 0
.LBB143_920:
	s_and_b32 vcc_lo, exec_lo, s24
	s_cbranch_vccz .LBB143_938
; %bb.921:
	s_cmp_lt_i32 s20, 27
	s_cbranch_scc1 .LBB143_924
; %bb.922:
	s_cmp_gt_i32 s20, 27
	s_cbranch_scc0 .LBB143_925
; %bb.923:
	global_load_dword v2, v[0:1], off
	s_mov_b32 s23, 0
	s_waitcnt vmcnt(0)
	v_cvt_f32_u32_e32 v3, v2
	s_branch .LBB143_926
.LBB143_924:
	s_mov_b32 s23, -1
                                        ; implicit-def: $vgpr3
	s_branch .LBB143_929
.LBB143_925:
	s_mov_b32 s23, -1
                                        ; implicit-def: $vgpr3
.LBB143_926:
	s_andn2_b32 vcc_lo, exec_lo, s23
	s_cbranch_vccnz .LBB143_928
; %bb.927:
	global_load_ushort v2, v[0:1], off
	s_waitcnt vmcnt(0)
	v_cvt_f32_u32_e32 v3, v2
.LBB143_928:
	s_mov_b32 s23, 0
.LBB143_929:
	s_andn2_b32 vcc_lo, exec_lo, s23
	s_cbranch_vccnz .LBB143_937
; %bb.930:
	global_load_ubyte v2, v[0:1], off
	s_mov_b32 s23, 0
	s_mov_b32 s24, exec_lo
	s_waitcnt vmcnt(0)
	v_cmpx_lt_i16_e32 0x7f, v2
	s_xor_b32 s24, exec_lo, s24
	s_cbranch_execz .LBB143_951
; %bb.931:
	s_mov_b32 s23, -1
	s_mov_b32 s25, exec_lo
	v_cmpx_eq_u16_e32 0x80, v2
; %bb.932:
	s_xor_b32 s23, exec_lo, -1
; %bb.933:
	s_or_b32 exec_lo, exec_lo, s25
	s_and_b32 s23, s23, exec_lo
	s_or_saveexec_b32 s24, s24
	v_mov_b32_e32 v3, 0x7f800001
	s_xor_b32 exec_lo, exec_lo, s24
	s_cbranch_execnz .LBB143_952
.LBB143_934:
	s_or_b32 exec_lo, exec_lo, s24
	s_and_saveexec_b32 s24, s23
	s_cbranch_execz .LBB143_936
.LBB143_935:
	v_and_b32_e32 v3, 0xffff, v2
	v_lshlrev_b32_e32 v2, 24, v2
	v_and_b32_e32 v5, 7, v3
	v_bfe_u32 v8, v3, 3, 4
	v_and_b32_e32 v2, 0x80000000, v2
	v_ffbh_u32_e32 v6, v5
	v_cmp_eq_u32_e32 vcc_lo, 0, v8
	v_min_u32_e32 v6, 32, v6
	v_subrev_nc_u32_e32 v7, 28, v6
	v_sub_nc_u32_e32 v6, 29, v6
	v_lshlrev_b32_e32 v3, v7, v3
	v_cndmask_b32_e32 v6, v8, v6, vcc_lo
	v_and_b32_e32 v3, 7, v3
	v_cndmask_b32_e32 v3, v5, v3, vcc_lo
	v_lshl_add_u32 v5, v6, 23, 0x3b800000
	v_lshlrev_b32_e32 v3, 20, v3
	v_or3_b32 v3, v2, v5, v3
.LBB143_936:
	s_or_b32 exec_lo, exec_lo, s24
.LBB143_937:
	s_mov_b32 s23, -1
.LBB143_938:
	s_mov_b32 s24, 0
.LBB143_939:
	s_and_b32 vcc_lo, exec_lo, s24
	s_cbranch_vccz .LBB143_972
; %bb.940:
	s_cmp_gt_i32 s20, 22
	s_cbranch_scc0 .LBB143_950
; %bb.941:
	s_cmp_lt_i32 s20, 24
	s_cbranch_scc1 .LBB143_953
; %bb.942:
	s_cmp_gt_i32 s20, 24
	s_cbranch_scc0 .LBB143_954
; %bb.943:
	global_load_ubyte v2, v[0:1], off
	s_mov_b32 s23, exec_lo
	s_waitcnt vmcnt(0)
	v_cmpx_lt_i16_e32 0x7f, v2
	s_xor_b32 s23, exec_lo, s23
	s_cbranch_execz .LBB143_966
; %bb.944:
	s_mov_b32 s22, -1
	s_mov_b32 s24, exec_lo
	v_cmpx_eq_u16_e32 0x80, v2
; %bb.945:
	s_xor_b32 s22, exec_lo, -1
; %bb.946:
	s_or_b32 exec_lo, exec_lo, s24
	s_and_b32 s22, s22, exec_lo
	s_or_saveexec_b32 s23, s23
	v_mov_b32_e32 v3, 0x7f800001
	s_xor_b32 exec_lo, exec_lo, s23
	s_cbranch_execnz .LBB143_967
.LBB143_947:
	s_or_b32 exec_lo, exec_lo, s23
	s_and_saveexec_b32 s23, s22
	s_cbranch_execz .LBB143_949
.LBB143_948:
	v_and_b32_e32 v3, 0xffff, v2
	v_lshlrev_b32_e32 v2, 24, v2
	v_and_b32_e32 v5, 3, v3
	v_bfe_u32 v8, v3, 2, 5
	v_and_b32_e32 v2, 0x80000000, v2
	v_ffbh_u32_e32 v6, v5
	v_cmp_eq_u32_e32 vcc_lo, 0, v8
	v_min_u32_e32 v6, 32, v6
	v_subrev_nc_u32_e32 v7, 29, v6
	v_sub_nc_u32_e32 v6, 30, v6
	v_lshlrev_b32_e32 v3, v7, v3
	v_cndmask_b32_e32 v6, v8, v6, vcc_lo
	v_and_b32_e32 v3, 3, v3
	v_cndmask_b32_e32 v3, v5, v3, vcc_lo
	v_lshl_add_u32 v5, v6, 23, 0x37800000
	v_lshlrev_b32_e32 v3, 21, v3
	v_or3_b32 v3, v2, v5, v3
.LBB143_949:
	s_or_b32 exec_lo, exec_lo, s23
	s_mov_b32 s22, 0
	s_branch .LBB143_955
.LBB143_950:
	s_mov_b32 s22, -1
                                        ; implicit-def: $vgpr3
	s_branch .LBB143_961
.LBB143_951:
	s_or_saveexec_b32 s24, s24
	v_mov_b32_e32 v3, 0x7f800001
	s_xor_b32 exec_lo, exec_lo, s24
	s_cbranch_execz .LBB143_934
.LBB143_952:
	v_cmp_ne_u16_e32 vcc_lo, 0, v2
	v_mov_b32_e32 v3, 0
	s_andn2_b32 s23, s23, exec_lo
	s_and_b32 s25, vcc_lo, exec_lo
	s_or_b32 s23, s23, s25
	s_or_b32 exec_lo, exec_lo, s24
	s_and_saveexec_b32 s24, s23
	s_cbranch_execnz .LBB143_935
	s_branch .LBB143_936
.LBB143_953:
	s_mov_b32 s22, -1
                                        ; implicit-def: $vgpr3
	s_branch .LBB143_958
.LBB143_954:
	s_mov_b32 s22, -1
                                        ; implicit-def: $vgpr3
.LBB143_955:
	s_and_b32 vcc_lo, exec_lo, s22
	s_cbranch_vccz .LBB143_957
; %bb.956:
	global_load_ubyte v2, v[0:1], off
	s_waitcnt vmcnt(0)
	v_lshlrev_b32_e32 v2, 24, v2
	v_and_b32_e32 v3, 0x7f000000, v2
	v_ffbh_u32_e32 v5, v3
	v_add_nc_u32_e32 v7, 0x1000000, v3
	v_cmp_ne_u32_e32 vcc_lo, 0, v3
	v_min_u32_e32 v5, 32, v5
	v_sub_nc_u32_e64 v5, v5, 4 clamp
	v_lshlrev_b32_e32 v6, v5, v3
	v_lshlrev_b32_e32 v5, 23, v5
	v_lshrrev_b32_e32 v6, 4, v6
	v_sub_nc_u32_e32 v5, v6, v5
	v_ashrrev_i32_e32 v6, 8, v7
	v_add_nc_u32_e32 v5, 0x3c000000, v5
	v_and_or_b32 v5, 0x7f800000, v6, v5
	v_cndmask_b32_e32 v3, 0, v5, vcc_lo
	v_and_or_b32 v3, 0x80000000, v2, v3
.LBB143_957:
	s_mov_b32 s22, 0
.LBB143_958:
	s_andn2_b32 vcc_lo, exec_lo, s22
	s_cbranch_vccnz .LBB143_960
; %bb.959:
	global_load_ubyte v2, v[0:1], off
	s_waitcnt vmcnt(0)
	v_lshlrev_b32_e32 v3, 25, v2
	v_lshlrev_b16 v2, 8, v2
	v_lshrrev_b32_e32 v5, 4, v3
	v_and_or_b32 v6, 0x7f00, v2, 0.5
	v_cmp_gt_u32_e32 vcc_lo, 0x8000000, v3
	v_bfe_i32 v2, v2, 0, 16
	v_or_b32_e32 v5, 0x70000000, v5
	v_add_f32_e32 v6, -0.5, v6
	v_mul_f32_e32 v5, 0x7800000, v5
	v_cndmask_b32_e32 v3, v5, v6, vcc_lo
	v_and_or_b32 v3, 0x80000000, v2, v3
.LBB143_960:
	s_mov_b32 s22, 0
	s_mov_b32 s23, -1
.LBB143_961:
	s_andn2_b32 vcc_lo, exec_lo, s22
	s_mov_b32 s22, 0
	s_cbranch_vccnz .LBB143_972
; %bb.962:
	s_cmp_gt_i32 s20, 14
	s_cbranch_scc0 .LBB143_965
; %bb.963:
	s_cmp_eq_u32 s20, 15
	s_cbranch_scc0 .LBB143_968
; %bb.964:
	global_load_ushort v2, v[0:1], off
	s_mov_b32 s21, 0
	s_mov_b32 s23, -1
	s_waitcnt vmcnt(0)
	v_lshlrev_b32_e32 v3, 16, v2
	s_branch .LBB143_970
.LBB143_965:
	s_mov_b32 s22, -1
	s_branch .LBB143_969
.LBB143_966:
	s_or_saveexec_b32 s23, s23
	v_mov_b32_e32 v3, 0x7f800001
	s_xor_b32 exec_lo, exec_lo, s23
	s_cbranch_execz .LBB143_947
.LBB143_967:
	v_cmp_ne_u16_e32 vcc_lo, 0, v2
	v_mov_b32_e32 v3, 0
	s_andn2_b32 s22, s22, exec_lo
	s_and_b32 s24, vcc_lo, exec_lo
	s_or_b32 s22, s22, s24
	s_or_b32 exec_lo, exec_lo, s23
	s_and_saveexec_b32 s23, s22
	s_cbranch_execnz .LBB143_948
	s_branch .LBB143_949
.LBB143_968:
	s_mov_b32 s21, -1
.LBB143_969:
                                        ; implicit-def: $vgpr3
.LBB143_970:
	s_and_b32 vcc_lo, exec_lo, s22
	s_mov_b32 s22, 0
	s_cbranch_vccz .LBB143_972
; %bb.971:
	s_cmp_lg_u32 s20, 11
	s_mov_b32 s22, -1
	s_cselect_b32 s20, -1, 0
	s_andn2_b32 s21, s21, exec_lo
	s_and_b32 s20, s20, exec_lo
	s_or_b32 s21, s21, s20
.LBB143_972:
	s_mov_b32 s20, 0
.LBB143_973:
	s_andn2_b32 s25, s0, exec_lo
	s_and_b32 s21, s21, exec_lo
	s_and_b32 s23, s23, exec_lo
	;; [unrolled: 1-line block ×4, first 2 shown]
	s_or_b32 s21, s25, s21
.LBB143_974:
	s_or_b32 exec_lo, exec_lo, s7
	s_andn2_b32 s0, s0, exec_lo
	s_and_b32 s7, s21, exec_lo
	s_and_b32 s23, s23, exec_lo
	;; [unrolled: 1-line block ×4, first 2 shown]
	s_or_b32 s0, s0, s7
.LBB143_975:
	s_or_b32 exec_lo, exec_lo, s19
	s_andn2_b32 s7, s17, exec_lo
	s_and_b32 s1, s1, exec_lo
	s_and_b32 s0, s0, exec_lo
	s_or_b32 s17, s7, s1
	s_andn2_b32 s7, s16, exec_lo
	s_and_b32 s20, s23, exec_lo
	s_and_b32 s19, s22, exec_lo
	;; [unrolled: 1-line block ×3, first 2 shown]
	s_or_b32 s16, s7, s0
.LBB143_976:
	s_or_b32 exec_lo, exec_lo, s18
	s_andn2_b32 s0, s6, exec_lo
	s_and_b32 s6, s17, exec_lo
	s_andn2_b32 s7, s14, exec_lo
	s_and_b32 s14, s16, exec_lo
	s_or_b32 s6, s0, s6
	s_and_b32 s0, s20, exec_lo
	s_and_b32 s17, s19, exec_lo
	;; [unrolled: 1-line block ×3, first 2 shown]
	s_or_b32 s14, s7, s14
	s_or_b32 exec_lo, exec_lo, s15
	s_mov_b32 s7, 0
	s_and_saveexec_b32 s1, s14
	s_cbranch_execz .LBB143_300
.LBB143_977:
	s_mov_b32 s7, exec_lo
	s_andn2_b32 s16, s16, exec_lo
	s_trap 2
	s_or_b32 exec_lo, exec_lo, s1
	s_and_saveexec_b32 s1, s16
	s_xor_b32 s1, exec_lo, s1
	s_cbranch_execnz .LBB143_301
.LBB143_978:
	s_or_b32 exec_lo, exec_lo, s1
	s_and_saveexec_b32 s1, s17
	s_cbranch_execz .LBB143_1024
.LBB143_979:
	s_sext_i32_i16 s14, s3
	s_cmp_lt_i32 s14, 5
	s_cbranch_scc1 .LBB143_984
; %bb.980:
	s_cmp_lt_i32 s14, 8
	s_cbranch_scc1 .LBB143_985
; %bb.981:
	;; [unrolled: 3-line block ×3, first 2 shown]
	s_cmp_gt_i32 s14, 9
	s_cbranch_scc0 .LBB143_987
; %bb.983:
	global_load_dwordx2 v[2:3], v[0:1], off
	s_mov_b32 s14, 0
	s_waitcnt vmcnt(0)
	v_cvt_f32_f64_e32 v3, v[2:3]
	s_branch .LBB143_988
.LBB143_984:
                                        ; implicit-def: $vgpr3
	s_branch .LBB143_1005
.LBB143_985:
                                        ; implicit-def: $vgpr3
	s_branch .LBB143_994
.LBB143_986:
	s_mov_b32 s14, -1
                                        ; implicit-def: $vgpr3
	s_branch .LBB143_991
.LBB143_987:
	s_mov_b32 s14, -1
                                        ; implicit-def: $vgpr3
.LBB143_988:
	s_andn2_b32 vcc_lo, exec_lo, s14
	s_cbranch_vccnz .LBB143_990
; %bb.989:
	global_load_dword v3, v[0:1], off
.LBB143_990:
	s_mov_b32 s14, 0
.LBB143_991:
	s_andn2_b32 vcc_lo, exec_lo, s14
	s_cbranch_vccnz .LBB143_993
; %bb.992:
	global_load_dword v2, v[0:1], off
	s_waitcnt vmcnt(0)
	v_cvt_f32_f16_e32 v3, v2
.LBB143_993:
	s_cbranch_execnz .LBB143_1004
.LBB143_994:
	s_sext_i32_i16 s14, s3
	s_cmp_lt_i32 s14, 6
	s_cbranch_scc1 .LBB143_997
; %bb.995:
	s_cmp_gt_i32 s14, 6
	s_cbranch_scc0 .LBB143_998
; %bb.996:
	global_load_dwordx2 v[2:3], v[0:1], off
	s_mov_b32 s14, 0
	s_waitcnt vmcnt(0)
	v_cvt_f32_f64_e32 v3, v[2:3]
	s_branch .LBB143_999
.LBB143_997:
	s_mov_b32 s14, -1
                                        ; implicit-def: $vgpr3
	s_branch .LBB143_1002
.LBB143_998:
	s_mov_b32 s14, -1
                                        ; implicit-def: $vgpr3
.LBB143_999:
	s_andn2_b32 vcc_lo, exec_lo, s14
	s_cbranch_vccnz .LBB143_1001
; %bb.1000:
	global_load_dword v3, v[0:1], off
.LBB143_1001:
	s_mov_b32 s14, 0
.LBB143_1002:
	s_andn2_b32 vcc_lo, exec_lo, s14
	s_cbranch_vccnz .LBB143_1004
; %bb.1003:
	global_load_ushort v2, v[0:1], off
	s_waitcnt vmcnt(0)
	v_cvt_f32_f16_e32 v3, v2
.LBB143_1004:
	s_cbranch_execnz .LBB143_1023
.LBB143_1005:
	s_sext_i32_i16 s14, s3
	s_cmp_lt_i32 s14, 2
	s_cbranch_scc1 .LBB143_1009
; %bb.1006:
	s_cmp_lt_i32 s14, 3
	s_cbranch_scc1 .LBB143_1010
; %bb.1007:
	s_cmp_gt_i32 s14, 3
	s_cbranch_scc0 .LBB143_1011
; %bb.1008:
	global_load_dwordx2 v[2:3], v[0:1], off
	s_mov_b32 s14, 0
	s_waitcnt vmcnt(0)
	v_xor_b32_e32 v5, v2, v3
	v_ffbh_i32_e32 v6, v3
	v_ashrrev_i32_e32 v5, 31, v5
	v_add_nc_u32_e32 v6, -1, v6
	v_add_nc_u32_e32 v5, 32, v5
	v_min_u32_e32 v5, v6, v5
	v_lshlrev_b64 v[2:3], v5, v[2:3]
	v_min_u32_e32 v2, 1, v2
	v_or_b32_e32 v2, v3, v2
	v_sub_nc_u32_e32 v3, 32, v5
	v_cvt_f32_i32_e32 v2, v2
	v_ldexp_f32 v3, v2, v3
	s_branch .LBB143_1012
.LBB143_1009:
                                        ; implicit-def: $vgpr3
	s_branch .LBB143_1018
.LBB143_1010:
	s_mov_b32 s14, -1
                                        ; implicit-def: $vgpr3
	s_branch .LBB143_1015
.LBB143_1011:
	s_mov_b32 s14, -1
                                        ; implicit-def: $vgpr3
.LBB143_1012:
	s_andn2_b32 vcc_lo, exec_lo, s14
	s_cbranch_vccnz .LBB143_1014
; %bb.1013:
	global_load_dword v2, v[0:1], off
	s_waitcnt vmcnt(0)
	v_cvt_f32_i32_e32 v3, v2
.LBB143_1014:
	s_mov_b32 s14, 0
.LBB143_1015:
	s_andn2_b32 vcc_lo, exec_lo, s14
	s_cbranch_vccnz .LBB143_1017
; %bb.1016:
	global_load_sshort v2, v[0:1], off
	s_waitcnt vmcnt(0)
	v_cvt_f32_i32_e32 v3, v2
.LBB143_1017:
	s_cbranch_execnz .LBB143_1023
.LBB143_1018:
	s_sext_i32_i16 s14, s3
	s_cmp_gt_i32 s14, 0
	s_mov_b32 s14, 0
	s_cbranch_scc0 .LBB143_1020
; %bb.1019:
	global_load_sbyte v2, v[0:1], off
	s_waitcnt vmcnt(0)
	v_cvt_f32_i32_e32 v3, v2
	s_branch .LBB143_1021
.LBB143_1020:
	s_mov_b32 s14, -1
                                        ; implicit-def: $vgpr3
.LBB143_1021:
	s_andn2_b32 vcc_lo, exec_lo, s14
	s_cbranch_vccnz .LBB143_1023
; %bb.1022:
	global_load_ubyte v0, v[0:1], off
	s_waitcnt vmcnt(0)
	v_cvt_f32_ubyte0_e32 v3, v0
.LBB143_1023:
	s_or_b32 s0, s0, exec_lo
.LBB143_1024:
	s_or_b32 exec_lo, exec_lo, s1
	s_mov_b32 s16, 0
	s_mov_b32 s15, 0
                                        ; implicit-def: $sgpr1
                                        ; implicit-def: $vgpr0_vgpr1
                                        ; implicit-def: $vgpr2
	s_and_saveexec_b32 s14, s0
	s_cbranch_execz .LBB143_1070
; %bb.1025:
	s_waitcnt vmcnt(0)
	v_and_b32_e32 v0, 0x7fffffff, v3
	s_mov_b32 s1, exec_lo
                                        ; implicit-def: $vgpr1
	v_cmpx_ngt_f32_e64 0x3c800000, |v3|
	s_xor_b32 s1, exec_lo, s1
	s_cbranch_execz .LBB143_1055
; %bb.1026:
	s_mov_b32 s15, exec_lo
                                        ; implicit-def: $vgpr1
	v_cmpx_nlt_f32_e64 |v3|, 2.0
	s_xor_b32 s15, exec_lo, s15
	s_cbranch_execz .LBB143_1036
; %bb.1027:
	v_cmp_ngt_f32_e64 s0, 0x41000000, |v3|
                                        ; implicit-def: $vgpr1
	s_and_saveexec_b32 s16, s0
	s_xor_b32 s0, exec_lo, s16
	s_cbranch_execz .LBB143_1033
; %bb.1028:
	v_cmp_ngt_f32_e64 s16, 0x5c800000, |v3|
                                        ; implicit-def: $vgpr1
	s_and_saveexec_b32 s17, s16
	s_xor_b32 s16, exec_lo, s17
	s_cbranch_execz .LBB143_1030
; %bb.1029:
	v_cmp_gt_f32_e64 s17, 0x800000, |v3|
	v_cndmask_b32_e64 v1, 0, 32, s17
	v_ldexp_f32 v1, |v3|, v1
	v_log_f32_e32 v1, v1
	v_mul_f32_e32 v2, 0x3f317217, v1
	v_cmp_gt_f32_e64 vcc_lo, 0x7f800000, |v1|
	v_fma_f32 v5, 0x3f317217, v1, -v2
	v_fmamk_f32 v5, v1, 0x3377d1cf, v5
	v_add_f32_e32 v2, v2, v5
	v_cndmask_b32_e32 v1, v1, v2, vcc_lo
	v_cndmask_b32_e64 v2, 0, 0x41b17218, s17
	v_sub_f32_e32 v1, v1, v2
	v_fma_f32 v1, |v3|, v1, -|v3|
.LBB143_1030:
	s_andn2_saveexec_b32 s16, s16
	s_cbranch_execz .LBB143_1032
; %bb.1031:
	v_cmp_gt_f32_e64 s17, 0x800000, |v3|
	v_rcp_f32_e64 v2, |v3|
	s_mov_b32 s18, 0xbad5c4e8
	v_cndmask_b32_e64 v1, 0, 32, s17
	v_ldexp_f32 v1, |v3|, v1
	v_mul_f32_e32 v5, v2, v2
	v_log_f32_e32 v1, v1
	v_fmaak_f32 v7, s18, v5, 0x3a5b3dd2
	v_fmaak_f32 v7, v5, v7, 0xba1c065c
	v_mul_f32_e32 v6, 0x3f317217, v1
	v_fmaak_f32 v7, v5, v7, 0x3a500cfd
	v_cmp_gt_f32_e64 vcc_lo, 0x7f800000, |v1|
	v_fma_f32 v8, 0x3f317217, v1, -v6
	v_fmaak_f32 v7, v5, v7, 0xbb360b61
	v_fmamk_f32 v8, v1, 0x3377d1cf, v8
	v_fmaak_f32 v5, v5, v7, 0x3daaaaab
	v_add_f32_e32 v6, v6, v8
	v_cndmask_b32_e32 v1, v1, v6, vcc_lo
	v_cndmask_b32_e64 v6, 0, 0x41b17218, s17
	v_sub_f32_e32 v6, v1, v6
	v_fmaak_f32 v1, v2, v5, 0x3ed67f1d
	v_add_f32_e64 v2, |v3|, -0.5
	v_add_f32_e32 v5, -1.0, v6
	v_fmac_f32_e32 v1, v2, v5
.LBB143_1032:
	s_or_b32 exec_lo, exec_lo, s16
.LBB143_1033:
	s_andn2_saveexec_b32 s16, s0
	s_cbranch_execz .LBB143_1035
; %bb.1034:
	v_cvt_i32_f32_e32 v1, v0
	s_mov_b32 s0, 0x36f5d7bd
	s_mov_b32 s17, 0x3805ff67
	v_cvt_f32_i32_e32 v2, v1
	v_cmp_lt_i32_e32 vcc_lo, 2, v1
	v_sub_f32_e64 v2, |v3|, v2
	v_add_f32_e32 v5, 2.0, v2
	v_add_f32_e32 v6, 0x40400000, v2
	v_add_f32_e32 v7, 4.0, v2
	v_add_f32_e32 v8, 0x40a00000, v2
	v_cndmask_b32_e32 v5, 1.0, v5, vcc_lo
	v_cmp_lt_i32_e32 vcc_lo, 3, v1
	v_cndmask_b32_e32 v6, 1.0, v6, vcc_lo
	v_cmp_lt_i32_e32 vcc_lo, 4, v1
	v_mul_f32_e32 v5, v5, v6
	v_cndmask_b32_e32 v7, 1.0, v7, vcc_lo
	v_cmp_lt_i32_e32 vcc_lo, 5, v1
	v_add_f32_e32 v6, 0x40c00000, v2
	v_mul_f32_e32 v5, v7, v5
	v_cndmask_b32_e32 v8, 1.0, v8, vcc_lo
	v_cmp_lt_i32_e32 vcc_lo, 6, v1
	v_fmaak_f32 v7, s17, v2, 0x3af135b4
	v_mul_f32_e32 v5, v8, v5
	v_cndmask_b32_e32 v1, 1.0, v6, vcc_lo
	v_mul_f32_e32 v1, v1, v5
	v_fmaak_f32 v5, s0, v2, 0x3a4beed6
	v_cmp_gt_f32_e32 vcc_lo, 0x800000, v1
	v_fmaak_f32 v5, v2, v5, 0x3c98bf54
	v_cndmask_b32_e64 v6, 0, 32, vcc_lo
	v_fmaak_f32 v5, v2, v5, 0x3e300f6e
	v_ldexp_f32 v1, v1, v6
	v_fmaak_f32 v6, v2, v7, 0x3cda40e4
	v_fmaak_f32 v5, v2, v5, 0x3f38d0c5
	v_log_f32_e32 v1, v1
	v_fmaak_f32 v6, v2, v6, 0x3e15dce6
	v_fmaak_f32 v5, v2, v5, 0x3fb22d3b
	;; [unrolled: 1-line block ×3, first 2 shown]
	v_fma_f32 v5, v2, v5, 1.0
	v_mul_f32_e32 v7, 0x3f317217, v1
	v_fmaak_f32 v6, v2, v6, 0x3e5c245a
	v_rcp_f32_e32 v5, v5
	v_cmp_gt_f32_e64 s0, 0x7f800000, |v1|
	v_fma_f32 v8, 0x3f317217, v1, -v7
	v_fmaak_f32 v6, v2, v6, 0xbd9e233f
	v_fmamk_f32 v8, v1, 0x3377d1cf, v8
	v_mul_f32_e32 v6, v2, v6
	v_add_f32_e32 v7, v7, v8
	v_mul_f32_e32 v5, v6, v5
	v_cndmask_b32_e64 v6, 0, 0x41b17218, vcc_lo
	v_cndmask_b32_e64 v1, v1, v7, s0
	v_fmac_f32_e32 v5, 0.5, v2
	v_sub_f32_e32 v1, v1, v6
	v_add_f32_e32 v1, v1, v5
.LBB143_1035:
	s_or_b32 exec_lo, exec_lo, s16
.LBB143_1036:
	s_andn2_saveexec_b32 s15, s15
	s_cbranch_execz .LBB143_1054
; %bb.1037:
	s_mov_b32 s16, exec_lo
                                        ; implicit-def: $vgpr1
                                        ; implicit-def: $vgpr5
                                        ; implicit-def: $vgpr2
	v_cmpx_ge_f32_e64 0x3f666666, |v3|
	s_xor_b32 s16, exec_lo, s16
	s_cbranch_execz .LBB143_1039
; %bb.1038:
	v_cmp_gt_f32_e64 s0, 0x800000, |v3|
	v_sub_f32_e64 v6, 1.0, |v3|
	v_cmp_gt_f32_e64 vcc_lo, 0x3f3b4a23, |v3|
	v_cndmask_b32_e64 v1, 0, 32, s0
	v_cndmask_b32_e64 v7, 0, 0x41b17218, s0
	v_ldexp_f32 v1, |v3|, v1
	v_log_f32_e32 v1, v1
	v_mul_f32_e32 v2, 0x3f317217, v1
	v_cmp_gt_f32_e64 s0, 0x7f800000, |v1|
	v_fma_f32 v5, 0x3f317217, v1, -v2
	v_fmamk_f32 v5, v1, 0x3377d1cf, v5
	v_add_f32_e32 v2, v2, v5
	v_add_f32_e64 v5, 0xbeec5b0c, |v3|
	v_cndmask_b32_e64 v1, v1, v2, s0
	v_cndmask_b32_e32 v2, v6, v5, vcc_lo
	v_cndmask_b32_e64 v5, 0, 1, vcc_lo
	v_cmp_gt_f32_e64 s0, 0x3e6d3309, |v3|
	v_sub_f32_e32 v1, v1, v7
	v_cndmask_b32_e64 v2, v2, |v3|, s0
	v_cndmask_b32_e64 v5, v5, 2, s0
	v_xor_b32_e32 v1, 0x80000000, v1
.LBB143_1039:
	s_andn2_saveexec_b32 s0, s16
	s_cbranch_execz .LBB143_1041
; %bb.1040:
	v_sub_f32_e64 v1, 2.0, |v3|
	v_add_f32_e64 v2, 0xbfbb16c3, |v3|
	v_cmp_gt_f32_e64 vcc_lo, 0x3fdda512, |v3|
	v_add_f32_e64 v5, |v3|, -1.0
	v_cndmask_b32_e32 v2, v1, v2, vcc_lo
	v_cndmask_b32_e64 v1, v1, 1.0, vcc_lo
	v_cmp_gt_f32_e64 vcc_lo, 0x3f9d70a4, |v3|
	v_cvt_i32_f32_e32 v1, v1
	v_cndmask_b32_e32 v2, v2, v5, vcc_lo
	v_cndmask_b32_e64 v5, v1, 2, vcc_lo
	v_mov_b32_e32 v1, 0
.LBB143_1041:
	s_or_b32 exec_lo, exec_lo, s0
	s_mov_b32 s0, exec_lo
	v_cmpx_lt_i32_e32 0, v5
	s_xor_b32 s0, exec_lo, s0
	s_cbranch_execz .LBB143_1049
; %bb.1042:
	s_mov_b32 s16, exec_lo
	v_cmpx_lt_i32_e32 1, v5
	s_xor_b32 s16, exec_lo, s16
	s_cbranch_execz .LBB143_1046
; %bb.1043:
	s_mov_b32 s17, exec_lo
	v_cmpx_eq_u32_e32 2, v5
	s_cbranch_execz .LBB143_1045
; %bb.1044:
	s_mov_b32 s18, 0x3b52d5db
	v_fmaak_f32 v5, s18, v2, 0x3dd572af
	s_mov_b32 s18, 0x3c5b3c5e
	v_fmaak_f32 v6, s18, v2, 0x3e6a7578
	v_fmaak_f32 v5, v2, v5, 0x3f44efdf
	;; [unrolled: 1-line block ×7, first 2 shown]
	v_fma_f32 v5, v2, v5, 1.0
	v_fmaak_f32 v6, v2, v6, 0xbd9e233f
	v_rcp_f32_e32 v5, v5
	v_mul_f32_e32 v6, v2, v6
	v_mul_f32_e32 v5, v6, v5
	v_fmac_f32_e32 v5, -0.5, v2
	v_add_f32_e32 v1, v1, v5
.LBB143_1045:
	s_or_b32 exec_lo, exec_lo, s17
                                        ; implicit-def: $vgpr2
.LBB143_1046:
	s_andn2_saveexec_b32 s16, s16
	s_cbranch_execz .LBB143_1048
; %bb.1047:
	v_mul_f32_e32 v5, v2, v2
	s_mov_b32 s17, 0xb9a3f927
	s_mov_b32 s18, 0x39afe9f7
	v_mul_f32_e32 v6, v2, v5
	v_fmaak_f32 v7, s17, v6, 0x3a66f867
	v_fmaak_f32 v8, s18, v6, 0xba0d3085
	s_mov_b32 s17, 0x39a57b6b
	v_fmaak_f32 v9, s17, v6, 0xbab7f476
	v_fmaak_f32 v7, v6, v7, 0xbb7177fe
	;; [unrolled: 1-line block ×9, first 2 shown]
	v_fmac_f32_e32 v7, v2, v8
	v_fmaak_f32 v2, v6, v9, 0x3ef7b95e
	v_fma_f32 v6, v6, -v7, 0xa2863e55
	v_fma_f32 v2, v5, v2, -v6
	v_add_f32_e32 v2, 0xbdf8cdce, v2
	v_add_f32_e32 v1, v1, v2
.LBB143_1048:
	s_or_b32 exec_lo, exec_lo, s16
                                        ; implicit-def: $vgpr5
                                        ; implicit-def: $vgpr2
.LBB143_1049:
	s_andn2_saveexec_b32 s0, s0
	s_cbranch_execz .LBB143_1053
; %bb.1050:
	s_mov_b32 s16, exec_lo
	v_cmpx_eq_u32_e32 0, v5
	s_cbranch_execz .LBB143_1052
; %bb.1051:
	v_mul_f32_e32 v5, v2, v2
	s_mov_b32 s17, 0x383c2c75
	v_fmaak_f32 v6, s17, v5, 0x38e28445
	s_mov_b32 s17, 0x37d383a2
	v_fmaak_f32 v7, s17, v5, 0x39679767
	v_fmaak_f32 v6, v5, v6, 0x3a05b634
	;; [unrolled: 1-line block ×9, first 2 shown]
	v_mul_f32_e32 v5, v5, v6
	v_fmac_f32_e32 v5, v2, v7
	v_fmac_f32_e32 v5, -0.5, v2
	v_add_f32_e32 v1, v1, v5
.LBB143_1052:
	s_or_b32 exec_lo, exec_lo, s16
.LBB143_1053:
	s_or_b32 exec_lo, exec_lo, s0
.LBB143_1054:
	s_or_b32 exec_lo, exec_lo, s15
.LBB143_1055:
	s_andn2_saveexec_b32 s0, s1
	s_cbranch_execz .LBB143_1057
; %bb.1056:
	v_cmp_gt_f32_e64 s1, 0x800000, |v3|
	s_mov_b32 s15, 0x3e8a8991
	v_fma_f32 v6, |v3|, s15, 0xbecd26ab
	v_cndmask_b32_e64 v1, 0, 32, s1
	v_ldexp_f32 v1, |v3|, v1
	v_log_f32_e32 v1, v1
	v_mul_f32_e32 v2, 0x3f317217, v1
	v_cmp_gt_f32_e64 vcc_lo, 0x7f800000, |v1|
	v_fma_f32 v5, 0x3f317217, v1, -v2
	v_fmamk_f32 v5, v1, 0x3377d1cf, v5
	v_add_f32_e32 v2, v2, v5
	v_fma_f32 v5, |v3|, v6, 0x3f528d33
	v_cndmask_b32_e32 v1, v1, v2, vcc_lo
	v_cndmask_b32_e64 v2, 0, 0x41b17218, s1
	v_fma_f32 v5, |v3|, v5, 0xbf13c468
	v_sub_f32_e32 v1, v1, v2
	v_fma_f32 v1, |v3|, v5, -v1
.LBB143_1057:
	s_or_b32 exec_lo, exec_lo, s0
	v_cmp_le_f32_e32 vcc_lo, 0, v3
	s_mov_b32 s1, exec_lo
	v_cmpx_nle_f32_e32 0, v3
	s_xor_b32 s15, exec_lo, s1
	s_cbranch_execz .LBB143_1061
; %bb.1058:
	v_cmp_gt_f32_e64 s0, 0x4b000000, |v3|
	v_cmp_lt_f32_e64 s1, 0x35000000, |v3|
	s_and_b32 s0, s0, s1
	s_and_saveexec_b32 s16, s0
	s_cbranch_execz .LBB143_1060
; %bb.1059:
	v_mul_f32_e64 v2, |v3|, 0.5
	s_mov_b32 s1, 0x3d4be544
	v_xor_b32_e32 v0, v0, v3
	v_floor_f32_e32 v5, v2
	v_cmp_neq_f32_e64 s0, 0x7f800000, v2
	v_sub_f32_e32 v5, v2, v5
	v_min_f32_e32 v5, 0x3f7fffff, v5
	v_add_f32_e32 v5, v5, v5
	v_cndmask_b32_e64 v2, 0, v5, s0
	v_cmp_gt_f32_e64 s0, |v3|, 1.0
	v_cndmask_b32_e64 v2, |v3|, v2, s0
	s_mov_b32 s0, 0x3e75aa41
	v_add_f32_e32 v5, v2, v2
	v_rndne_f32_e32 v5, v5
	v_fmac_f32_e32 v2, -0.5, v5
	v_cvt_i32_f32_e32 v5, v5
	v_mul_f32_e32 v6, v2, v2
	v_fmaak_f32 v7, s0, v6, 0xbf1f24be
	v_fmaak_f32 v8, s1, v6, 0x3e642e9d
	v_mul_f32_e32 v9, v2, v6
	v_fmaak_f32 v7, v6, v7, 0x40234736
	v_fmaak_f32 v8, v6, v8, 0xbfaad1da
	;; [unrolled: 1-line block ×4, first 2 shown]
	v_mul_f32_e32 v7, v9, v7
	v_fmaak_f32 v8, v6, v8, 0xc09de9e6
	v_and_b32_e32 v9, 1, v5
	v_lshlrev_b32_e32 v5, 30, v5
	v_fmamk_f32 v2, v2, 0x40490fdb, v7
	v_fma_f32 v6, v6, v8, 1.0
	v_cmp_eq_u32_e64 s0, 0, v9
	v_and_b32_e32 v5, 0x80000000, v5
	v_cndmask_b32_e64 v2, v6, v2, s0
	v_xor3_b32 v0, v0, v5, v2
	v_mul_f32_e32 v0, v3, v0
	v_frexp_mant_f32_e64 v2, |v0|
	v_frexp_exp_i32_f32_e32 v0, v0
	v_rcp_f32_e32 v2, v2
	v_sub_nc_u32_e32 v0, 2, v0
	v_mul_f32_e32 v2, 0x3f490fdb, v2
	v_ldexp_f32 v0, v2, v0
	v_cmp_gt_f32_e64 s0, 0x800000, v0
	v_cndmask_b32_e64 v2, 0, 32, s0
	v_ldexp_f32 v0, v0, v2
	v_log_f32_e32 v0, v0
	v_mul_f32_e32 v2, 0x3f317217, v0
	v_cmp_gt_f32_e64 s1, 0x7f800000, |v0|
	v_fma_f32 v5, 0x3f317217, v0, -v2
	v_fmamk_f32 v5, v0, 0x3377d1cf, v5
	v_add_f32_e32 v2, v2, v5
	v_floor_f32_e32 v5, v3
	v_cndmask_b32_e64 v0, v0, v2, s1
	v_cndmask_b32_e64 v2, 0, 0x41b17218, s0
	v_sub_f32_e32 v5, v3, v5
	v_sub_f32_e32 v0, v0, v2
	v_min_f32_e32 v2, 0x3f7fffff, v5
	v_sub_f32_e32 v0, v0, v1
	v_cmp_neq_f32_e64 s0, 0, v2
	v_cndmask_b32_e64 v1, 0x7f800000, v0, s0
.LBB143_1060:
	s_or_b32 exec_lo, exec_lo, s16
.LBB143_1061:
	s_andn2_saveexec_b32 s15, s15
; %bb.1062:
	v_cmp_eq_f32_e64 s0, 1.0, v3
	v_cmp_eq_f32_e64 s1, 2.0, v3
	s_or_b32 s0, s0, s1
	v_cndmask_b32_e64 v1, v1, 0, s0
; %bb.1063:
	s_or_b32 exec_lo, exec_lo, s15
	v_mul_lo_u32 v0, v4, s12
	v_cmp_gt_f32_e64 s0, 0x4b000000, |v3|
	s_and_b32 s1, s5, 0xff
	s_or_b32 vcc_lo, vcc_lo, s0
	v_cmp_class_f32_e64 s0, v3, 0x264
	v_cndmask_b32_e32 v1, 0x7f800000, v1, vcc_lo
	v_ashrrev_i32_e32 v2, 31, v0
	v_add_co_u32 v0, vcc_lo, s8, v0
	s_cmp_lt_i32 s1, 11
	v_cndmask_b32_e64 v4, v1, 0x7f800000, s0
	v_add_co_ci_u32_e64 v1, null, s9, v2, vcc_lo
	v_cmp_u_f32_e32 vcc_lo, v3, v3
	v_cndmask_b32_e32 v2, v4, v3, vcc_lo
	s_cbranch_scc1 .LBB143_1073
; %bb.1064:
	s_and_b32 s15, 0xffff, s1
	s_mov_b32 s16, -1
	s_cmp_gt_i32 s15, 25
	s_mov_b32 s0, s6
	s_cbranch_scc0 .LBB143_1101
; %bb.1065:
	s_cmp_gt_i32 s15, 28
	s_mov_b32 s0, s6
	s_cbranch_scc0 .LBB143_1085
; %bb.1066:
	;; [unrolled: 4-line block ×4, first 2 shown]
	s_cmp_eq_u32 s15, 46
	s_mov_b32 s0, -1
	s_cbranch_scc0 .LBB143_1074
; %bb.1069:
	v_bfe_u32 v3, v2, 16, 1
	v_cmp_o_f32_e32 vcc_lo, v2, v2
	v_mov_b32_e32 v4, 0x7fc0
	s_mov_b32 s0, 0
	s_mov_b32 s16, 0
	v_add3_u32 v3, v2, v3, 0x7fff
	v_cndmask_b32_sdwa v3, v4, v3, vcc_lo dst_sel:DWORD dst_unused:UNUSED_PAD src0_sel:DWORD src1_sel:WORD_1
	global_store_dword v[0:1], v3, off
	s_branch .LBB143_1075
.LBB143_1070:
	s_or_b32 exec_lo, exec_lo, s14
	s_and_saveexec_b32 s0, s6
	s_cbranch_execnz .LBB143_1143
.LBB143_1071:
	s_or_b32 exec_lo, exec_lo, s0
	s_and_saveexec_b32 s0, s16
	s_xor_b32 s0, exec_lo, s0
	s_cbranch_execz .LBB143_1144
.LBB143_1072:
	s_waitcnt vmcnt(0)
	v_cmp_neq_f32_e32 vcc_lo, 0, v2
	v_cndmask_b32_e64 v3, 0, 1, vcc_lo
	global_store_byte v[0:1], v3, off
	s_or_b32 exec_lo, exec_lo, s0
	s_and_saveexec_b32 s0, s15
	s_xor_b32 s0, exec_lo, s0
	s_cbranch_execz .LBB143_1182
	s_branch .LBB143_1145
.LBB143_1073:
	s_mov_b32 s17, 0
	s_mov_b32 s16, -1
	s_mov_b32 s0, s6
	s_branch .LBB143_1142
.LBB143_1074:
	s_mov_b32 s16, 0
.LBB143_1075:
	s_and_b32 vcc_lo, exec_lo, s16
	s_cbranch_vccz .LBB143_1080
; %bb.1076:
	s_cmp_eq_u32 s15, 44
	s_mov_b32 s0, -1
	s_cbranch_scc0 .LBB143_1080
; %bb.1077:
	v_bfe_u32 v4, v2, 23, 8
	v_mov_b32_e32 v3, 0xff
	s_mov_b32 s16, exec_lo
	v_cmpx_ne_u32_e32 0xff, v4
	s_cbranch_execz .LBB143_1079
; %bb.1078:
	v_and_b32_e32 v3, 0x400000, v2
	v_and_or_b32 v4, 0x3fffff, v2, v4
	v_cmp_ne_u32_e32 vcc_lo, 0, v3
	v_cmp_ne_u32_e64 s0, 0, v4
	v_lshrrev_b32_e32 v3, 23, v2
	s_and_b32 s0, vcc_lo, s0
	v_cndmask_b32_e64 v4, 0, 1, s0
	v_add_nc_u32_e32 v3, v3, v4
.LBB143_1079:
	s_or_b32 exec_lo, exec_lo, s16
	s_mov_b32 s0, 0
	global_store_byte v[0:1], v3, off
.LBB143_1080:
	s_mov_b32 s16, 0
.LBB143_1081:
	s_and_b32 vcc_lo, exec_lo, s16
	s_cbranch_vccz .LBB143_1084
; %bb.1082:
	s_cmp_eq_u32 s15, 29
	s_mov_b32 s0, -1
	s_cbranch_scc0 .LBB143_1084
; %bb.1083:
	v_trunc_f32_e32 v3, v2
	s_mov_b32 s0, 0
	s_mov_b32 s16, 0
	v_mul_f32_e32 v4, 0x2f800000, v3
	v_floor_f32_e32 v4, v4
	v_fmamk_f32 v3, v4, 0xcf800000, v3
	v_cvt_u32_f32_e32 v4, v4
	v_cvt_u32_f32_e32 v3, v3
	global_store_dwordx2 v[0:1], v[3:4], off
	s_branch .LBB143_1085
.LBB143_1084:
	s_mov_b32 s16, 0
.LBB143_1085:
	s_and_b32 vcc_lo, exec_lo, s16
	s_cbranch_vccz .LBB143_1100
; %bb.1086:
	s_cmp_lt_i32 s15, 27
	s_mov_b32 s16, -1
	s_cbranch_scc1 .LBB143_1092
; %bb.1087:
	v_cvt_u32_f32_e32 v3, v2
	s_cmp_gt_i32 s15, 27
	s_cbranch_scc0 .LBB143_1089
; %bb.1088:
	s_mov_b32 s16, 0
	global_store_dword v[0:1], v3, off
.LBB143_1089:
	s_andn2_b32 vcc_lo, exec_lo, s16
	s_cbranch_vccnz .LBB143_1091
; %bb.1090:
	global_store_short v[0:1], v3, off
.LBB143_1091:
	s_mov_b32 s16, 0
.LBB143_1092:
	s_andn2_b32 vcc_lo, exec_lo, s16
	s_cbranch_vccnz .LBB143_1100
; %bb.1093:
	v_and_b32_e32 v3, 0x7fffffff, v2
	v_mov_b32_e32 v4, 0x80
	s_mov_b32 s16, exec_lo
	v_cmpx_gt_u32_e32 0x43800000, v3
	s_cbranch_execz .LBB143_1099
; %bb.1094:
	v_cmp_lt_u32_e32 vcc_lo, 0x3bffffff, v3
	s_mov_b32 s17, 0
                                        ; implicit-def: $vgpr3
	s_and_saveexec_b32 s18, vcc_lo
	s_xor_b32 s18, exec_lo, s18
	s_cbranch_execz .LBB143_1197
; %bb.1095:
	v_bfe_u32 v3, v2, 20, 1
	s_mov_b32 s17, exec_lo
	v_add3_u32 v3, v2, v3, 0x487ffff
	v_lshrrev_b32_e32 v3, 20, v3
	s_andn2_saveexec_b32 s18, s18
	s_cbranch_execnz .LBB143_1198
.LBB143_1096:
	s_or_b32 exec_lo, exec_lo, s18
	v_mov_b32_e32 v4, 0
	s_and_saveexec_b32 s18, s17
.LBB143_1097:
	v_lshrrev_b32_e32 v4, 24, v2
	v_and_or_b32 v4, 0x80, v4, v3
.LBB143_1098:
	s_or_b32 exec_lo, exec_lo, s18
.LBB143_1099:
	s_or_b32 exec_lo, exec_lo, s16
	global_store_byte v[0:1], v4, off
.LBB143_1100:
	s_mov_b32 s16, 0
.LBB143_1101:
	s_and_b32 vcc_lo, exec_lo, s16
	s_mov_b32 s16, 0
	s_cbranch_vccz .LBB143_1141
; %bb.1102:
	s_cmp_gt_i32 s15, 22
	s_mov_b32 s17, -1
	s_cbranch_scc0 .LBB143_1134
; %bb.1103:
	s_cmp_lt_i32 s15, 24
	s_cbranch_scc1 .LBB143_1123
; %bb.1104:
	s_cmp_gt_i32 s15, 24
	s_cbranch_scc0 .LBB143_1112
; %bb.1105:
	v_and_b32_e32 v3, 0x7fffffff, v2
	v_mov_b32_e32 v4, 0x80
	s_mov_b32 s17, exec_lo
	v_cmpx_gt_u32_e32 0x47800000, v3
	s_cbranch_execz .LBB143_1111
; %bb.1106:
	v_cmp_lt_u32_e32 vcc_lo, 0x37ffffff, v3
	s_mov_b32 s18, 0
                                        ; implicit-def: $vgpr3
	s_and_saveexec_b32 s19, vcc_lo
	s_xor_b32 s19, exec_lo, s19
	s_cbranch_execz .LBB143_1361
; %bb.1107:
	v_bfe_u32 v3, v2, 21, 1
	s_mov_b32 s18, exec_lo
	v_add3_u32 v3, v2, v3, 0x88fffff
	v_lshrrev_b32_e32 v3, 21, v3
	s_andn2_saveexec_b32 s19, s19
	s_cbranch_execnz .LBB143_1362
.LBB143_1108:
	s_or_b32 exec_lo, exec_lo, s19
	v_mov_b32_e32 v4, 0
	s_and_saveexec_b32 s19, s18
.LBB143_1109:
	v_lshrrev_b32_e32 v4, 24, v2
	v_and_or_b32 v4, 0x80, v4, v3
.LBB143_1110:
	s_or_b32 exec_lo, exec_lo, s19
.LBB143_1111:
	s_or_b32 exec_lo, exec_lo, s17
	s_mov_b32 s17, 0
	global_store_byte v[0:1], v4, off
.LBB143_1112:
	s_and_b32 vcc_lo, exec_lo, s17
	s_cbranch_vccz .LBB143_1122
; %bb.1113:
	v_and_b32_e32 v4, 0x7fffffff, v2
	s_mov_b32 s17, exec_lo
                                        ; implicit-def: $vgpr3
	v_cmpx_gt_u32_e32 0x43f00000, v4
	s_xor_b32 s17, exec_lo, s17
	s_cbranch_execz .LBB143_1119
; %bb.1114:
	s_mov_b32 s18, exec_lo
                                        ; implicit-def: $vgpr3
	v_cmpx_lt_u32_e32 0x3c7fffff, v4
	s_xor_b32 s18, exec_lo, s18
; %bb.1115:
	v_bfe_u32 v3, v2, 20, 1
	v_add3_u32 v3, v2, v3, 0x407ffff
	v_and_b32_e32 v4, 0xff00000, v3
	v_lshrrev_b32_e32 v3, 20, v3
	v_cmp_ne_u32_e32 vcc_lo, 0x7f00000, v4
	v_cndmask_b32_e32 v3, 0x7e, v3, vcc_lo
; %bb.1116:
	s_andn2_saveexec_b32 s18, s18
; %bb.1117:
	v_add_f32_e64 v3, 0x46800000, |v2|
; %bb.1118:
	s_or_b32 exec_lo, exec_lo, s18
                                        ; implicit-def: $vgpr4
.LBB143_1119:
	s_andn2_saveexec_b32 s17, s17
; %bb.1120:
	v_mov_b32_e32 v3, 0x7f
	v_cmp_lt_u32_e32 vcc_lo, 0x7f800000, v4
	v_cndmask_b32_e32 v3, 0x7e, v3, vcc_lo
; %bb.1121:
	s_or_b32 exec_lo, exec_lo, s17
	v_lshrrev_b32_e32 v4, 24, v2
	v_and_or_b32 v3, 0x80, v4, v3
	global_store_byte v[0:1], v3, off
.LBB143_1122:
	s_mov_b32 s17, 0
.LBB143_1123:
	s_andn2_b32 vcc_lo, exec_lo, s17
	s_cbranch_vccnz .LBB143_1133
; %bb.1124:
	v_and_b32_e32 v4, 0x7fffffff, v2
	s_mov_b32 s17, exec_lo
                                        ; implicit-def: $vgpr3
	v_cmpx_gt_u32_e32 0x47800000, v4
	s_xor_b32 s17, exec_lo, s17
	s_cbranch_execz .LBB143_1130
; %bb.1125:
	s_mov_b32 s18, exec_lo
                                        ; implicit-def: $vgpr3
	v_cmpx_lt_u32_e32 0x387fffff, v4
	s_xor_b32 s18, exec_lo, s18
; %bb.1126:
	v_bfe_u32 v3, v2, 21, 1
	v_add3_u32 v3, v2, v3, 0x80fffff
	v_lshrrev_b32_e32 v3, 21, v3
; %bb.1127:
	s_andn2_saveexec_b32 s18, s18
; %bb.1128:
	v_add_f32_e64 v3, 0x43000000, |v2|
; %bb.1129:
	s_or_b32 exec_lo, exec_lo, s18
                                        ; implicit-def: $vgpr4
.LBB143_1130:
	s_andn2_saveexec_b32 s17, s17
; %bb.1131:
	v_mov_b32_e32 v3, 0x7f
	v_cmp_lt_u32_e32 vcc_lo, 0x7f800000, v4
	v_cndmask_b32_e32 v3, 0x7c, v3, vcc_lo
; %bb.1132:
	s_or_b32 exec_lo, exec_lo, s17
	v_lshrrev_b32_e32 v4, 24, v2
	v_and_or_b32 v3, 0x80, v4, v3
	global_store_byte v[0:1], v3, off
.LBB143_1133:
	s_mov_b32 s17, 0
.LBB143_1134:
	s_andn2_b32 vcc_lo, exec_lo, s17
	s_mov_b32 s17, 0
	s_cbranch_vccnz .LBB143_1142
; %bb.1135:
	s_cmp_gt_i32 s15, 14
	s_mov_b32 s17, -1
	s_cbranch_scc0 .LBB143_1139
; %bb.1136:
	s_cmp_eq_u32 s15, 15
	s_mov_b32 s0, -1
	s_cbranch_scc0 .LBB143_1138
; %bb.1137:
	v_bfe_u32 v3, v2, 16, 1
	v_cmp_o_f32_e32 vcc_lo, v2, v2
	v_mov_b32_e32 v4, 0x7fc0
	s_mov_b32 s0, 0
	v_add3_u32 v3, v2, v3, 0x7fff
	v_cndmask_b32_sdwa v3, v4, v3, vcc_lo dst_sel:DWORD dst_unused:UNUSED_PAD src0_sel:DWORD src1_sel:WORD_1
	global_store_short v[0:1], v3, off
.LBB143_1138:
	s_mov_b32 s17, 0
.LBB143_1139:
	s_and_b32 vcc_lo, exec_lo, s17
	s_mov_b32 s17, 0
	s_cbranch_vccz .LBB143_1142
; %bb.1140:
	s_cmp_lg_u32 s15, 11
	s_mov_b32 s17, -1
	s_cselect_b32 s15, -1, 0
	s_andn2_b32 s0, s0, exec_lo
	s_and_b32 s15, s15, exec_lo
	s_or_b32 s0, s0, s15
	s_branch .LBB143_1142
.LBB143_1141:
	s_mov_b32 s17, 0
.LBB143_1142:
	s_andn2_b32 s6, s6, exec_lo
	s_and_b32 s0, s0, exec_lo
	s_and_b32 s15, s16, exec_lo
	;; [unrolled: 1-line block ×3, first 2 shown]
	s_or_b32 s6, s6, s0
	s_or_b32 exec_lo, exec_lo, s14
	s_and_saveexec_b32 s0, s6
	s_cbranch_execz .LBB143_1071
.LBB143_1143:
	s_or_b32 s7, s7, exec_lo
	s_andn2_b32 s16, s16, exec_lo
	s_trap 2
	s_or_b32 exec_lo, exec_lo, s0
	s_and_saveexec_b32 s0, s16
	s_xor_b32 s0, exec_lo, s0
	s_cbranch_execnz .LBB143_1072
.LBB143_1144:
	s_or_b32 exec_lo, exec_lo, s0
	s_and_saveexec_b32 s0, s15
	s_xor_b32 s0, exec_lo, s0
	s_cbranch_execz .LBB143_1182
.LBB143_1145:
	s_sext_i32_i16 s14, s1
	s_mov_b32 s6, -1
	s_cmp_lt_i32 s14, 5
	s_cbranch_scc1 .LBB143_1166
; %bb.1146:
	s_cmp_lt_i32 s14, 8
	s_cbranch_scc1 .LBB143_1156
; %bb.1147:
	;; [unrolled: 3-line block ×3, first 2 shown]
	s_cmp_gt_i32 s14, 9
	s_cbranch_scc0 .LBB143_1150
; %bb.1149:
	s_waitcnt vmcnt(0)
	v_cvt_f64_f32_e32 v[3:4], v2
	v_mov_b32_e32 v5, 0
	s_mov_b32 s6, 0
	v_mov_b32_e32 v6, v5
	global_store_dwordx4 v[0:1], v[3:6], off
.LBB143_1150:
	s_andn2_b32 vcc_lo, exec_lo, s6
	s_cbranch_vccnz .LBB143_1152
; %bb.1151:
	s_waitcnt vmcnt(0)
	v_mov_b32_e32 v3, 0
	global_store_dwordx2 v[0:1], v[2:3], off
.LBB143_1152:
	s_mov_b32 s6, 0
.LBB143_1153:
	s_andn2_b32 vcc_lo, exec_lo, s6
	s_cbranch_vccnz .LBB143_1155
; %bb.1154:
	s_waitcnt vmcnt(0)
	v_cvt_f16_f32_e32 v3, v2
	v_and_b32_e32 v3, 0xffff, v3
	global_store_dword v[0:1], v3, off
.LBB143_1155:
	s_mov_b32 s6, 0
.LBB143_1156:
	s_andn2_b32 vcc_lo, exec_lo, s6
	s_cbranch_vccnz .LBB143_1165
; %bb.1157:
	s_sext_i32_i16 s14, s1
	s_mov_b32 s6, -1
	s_cmp_lt_i32 s14, 6
	s_cbranch_scc1 .LBB143_1163
; %bb.1158:
	s_cmp_gt_i32 s14, 6
	s_cbranch_scc0 .LBB143_1160
; %bb.1159:
	s_waitcnt vmcnt(0)
	v_cvt_f64_f32_e32 v[3:4], v2
	s_mov_b32 s6, 0
	global_store_dwordx2 v[0:1], v[3:4], off
.LBB143_1160:
	s_andn2_b32 vcc_lo, exec_lo, s6
	s_cbranch_vccnz .LBB143_1162
; %bb.1161:
	s_waitcnt vmcnt(0)
	global_store_dword v[0:1], v2, off
.LBB143_1162:
	s_mov_b32 s6, 0
.LBB143_1163:
	s_andn2_b32 vcc_lo, exec_lo, s6
	s_cbranch_vccnz .LBB143_1165
; %bb.1164:
	s_waitcnt vmcnt(0)
	v_cvt_f16_f32_e32 v3, v2
	global_store_short v[0:1], v3, off
.LBB143_1165:
	s_mov_b32 s6, 0
.LBB143_1166:
	s_andn2_b32 vcc_lo, exec_lo, s6
	s_cbranch_vccnz .LBB143_1182
; %bb.1167:
	s_sext_i32_i16 s14, s1
	s_mov_b32 s6, -1
	s_cmp_lt_i32 s14, 2
	s_cbranch_scc1 .LBB143_1177
; %bb.1168:
	s_cmp_lt_i32 s14, 3
	s_cbranch_scc1 .LBB143_1174
; %bb.1169:
	s_cmp_gt_i32 s14, 3
	s_cbranch_scc0 .LBB143_1171
; %bb.1170:
	s_waitcnt vmcnt(0)
	v_trunc_f32_e32 v3, v2
	s_mov_b32 s6, 0
	v_mul_f32_e64 v4, 0x2f800000, |v3|
	v_ashrrev_i32_e32 v6, 31, v3
	v_floor_f32_e32 v4, v4
	v_fma_f32 v5, 0xcf800000, v4, |v3|
	v_cvt_u32_f32_e32 v4, v4
	v_cvt_u32_f32_e32 v3, v5
	v_xor_b32_e32 v4, v4, v6
	v_xor_b32_e32 v3, v3, v6
	v_sub_co_u32 v3, vcc_lo, v3, v6
	v_sub_co_ci_u32_e64 v4, null, v4, v6, vcc_lo
	global_store_dwordx2 v[0:1], v[3:4], off
.LBB143_1171:
	s_andn2_b32 vcc_lo, exec_lo, s6
	s_cbranch_vccnz .LBB143_1173
; %bb.1172:
	s_waitcnt vmcnt(0)
	v_cvt_i32_f32_e32 v3, v2
	global_store_dword v[0:1], v3, off
.LBB143_1173:
	s_mov_b32 s6, 0
.LBB143_1174:
	s_andn2_b32 vcc_lo, exec_lo, s6
	s_cbranch_vccnz .LBB143_1176
; %bb.1175:
	s_waitcnt vmcnt(0)
	v_cvt_i32_f32_e32 v3, v2
	global_store_short v[0:1], v3, off
.LBB143_1176:
	s_mov_b32 s6, 0
.LBB143_1177:
	s_andn2_b32 vcc_lo, exec_lo, s6
	s_cbranch_vccnz .LBB143_1182
; %bb.1178:
	s_sext_i32_i16 s1, s1
	s_cmp_gt_i32 s1, 0
	s_mov_b32 s1, -1
	s_cbranch_scc0 .LBB143_1180
; %bb.1179:
	s_waitcnt vmcnt(0)
	v_cvt_i32_f32_e32 v3, v2
	s_mov_b32 s1, 0
	global_store_byte v[0:1], v3, off
.LBB143_1180:
	s_andn2_b32 vcc_lo, exec_lo, s1
	s_cbranch_vccnz .LBB143_1182
; %bb.1181:
	s_waitcnt vmcnt(0)
	v_trunc_f32_e32 v2, v2
	v_mul_f32_e64 v3, 0x2f800000, |v2|
	v_floor_f32_e32 v3, v3
	v_fma_f32 v3, 0xcf800000, v3, |v2|
	v_ashrrev_i32_e32 v2, 31, v2
	v_cvt_u32_f32_e32 v3, v3
	v_xor_b32_e32 v3, v3, v2
	v_sub_nc_u32_e32 v2, v3, v2
	global_store_byte v[0:1], v2, off
.LBB143_1182:
	s_or_b32 exec_lo, exec_lo, s0
	s_and_b32 s6, s7, exec_lo
                                        ; implicit-def: $vgpr4
.LBB143_1183:
	s_or_saveexec_b32 s7, s4
	s_mov_b32 s0, 0
                                        ; implicit-def: $sgpr4
                                        ; implicit-def: $vgpr0_vgpr1
                                        ; implicit-def: $vgpr2
	s_xor_b32 exec_lo, exec_lo, s7
	s_cbranch_execz .LBB143_2287
; %bb.1184:
	v_mul_lo_u32 v5, s13, v4
	s_and_b32 s4, 0xffff, s3
	s_cmp_lt_i32 s4, 11
	v_ashrrev_i32_e32 v1, 31, v5
	v_add_co_u32 v0, vcc_lo, s10, v5
	v_add_co_ci_u32_e64 v1, null, s11, v1, vcc_lo
	s_cbranch_scc1 .LBB143_1191
; %bb.1185:
	s_cmp_gt_i32 s4, 25
	s_mov_b32 s1, 0
	s_cbranch_scc0 .LBB143_1193
; %bb.1186:
	s_cmp_gt_i32 s4, 28
	s_cbranch_scc0 .LBB143_1194
; %bb.1187:
	s_cmp_gt_i32 s4, 43
	;; [unrolled: 3-line block ×3, first 2 shown]
	s_cbranch_scc0 .LBB143_1196
; %bb.1189:
	s_cmp_eq_u32 s4, 46
	s_mov_b32 s3, 0
	s_cbranch_scc0 .LBB143_1199
; %bb.1190:
	global_load_dword v2, v[0:1], off
	s_mov_b32 s2, -1
	s_waitcnt vmcnt(0)
	v_lshlrev_b32_e32 v2, 16, v2
	s_branch .LBB143_1201
.LBB143_1191:
	s_mov_b32 s14, s6
                                        ; implicit-def: $vgpr2
	s_cbranch_execnz .LBB143_1264
.LBB143_1192:
	s_andn2_b32 vcc_lo, exec_lo, s2
	s_cbranch_vccz .LBB143_1309
	s_branch .LBB143_2285
.LBB143_1193:
                                        ; implicit-def: $vgpr2
	s_cbranch_execnz .LBB143_1229
	s_branch .LBB143_1260
.LBB143_1194:
	s_mov_b32 s3, -1
                                        ; implicit-def: $vgpr2
	s_branch .LBB143_1210
.LBB143_1195:
                                        ; implicit-def: $vgpr2
	s_cbranch_execnz .LBB143_1206
	s_branch .LBB143_1209
.LBB143_1196:
	s_mov_b32 s3, -1
	s_branch .LBB143_1200
.LBB143_1197:
	s_andn2_saveexec_b32 s18, s18
	s_cbranch_execz .LBB143_1096
.LBB143_1198:
	v_add_f32_e64 v3, 0x46000000, |v2|
	s_andn2_b32 s17, s17, exec_lo
	v_and_b32_e32 v3, 0xff, v3
	v_cmp_ne_u32_e32 vcc_lo, 0, v3
	s_and_b32 s19, vcc_lo, exec_lo
	s_or_b32 s17, s17, s19
	s_or_b32 exec_lo, exec_lo, s18
	v_mov_b32_e32 v4, 0
	s_and_saveexec_b32 s18, s17
	s_cbranch_execnz .LBB143_1097
	s_branch .LBB143_1098
.LBB143_1199:
	s_mov_b32 s0, -1
.LBB143_1200:
                                        ; implicit-def: $vgpr2
.LBB143_1201:
	s_and_b32 vcc_lo, exec_lo, s3
	s_cbranch_vccz .LBB143_1204
; %bb.1202:
	s_cmp_eq_u32 s4, 44
	s_cbranch_scc0 .LBB143_1205
; %bb.1203:
	global_load_ubyte v2, v[0:1], off
	s_mov_b32 s0, 0
	s_mov_b32 s2, -1
	s_waitcnt vmcnt(0)
	v_lshlrev_b32_e32 v3, 23, v2
	v_cmp_ne_u32_e32 vcc_lo, 0xff, v2
	v_cndmask_b32_e32 v3, 0x7f800001, v3, vcc_lo
	v_cmp_ne_u32_e32 vcc_lo, 0, v2
	v_cndmask_b32_e32 v2, 0x400000, v3, vcc_lo
.LBB143_1204:
	s_branch .LBB143_1209
.LBB143_1205:
	s_mov_b32 s0, -1
                                        ; implicit-def: $vgpr2
	s_branch .LBB143_1209
.LBB143_1206:
	s_cmp_eq_u32 s4, 29
	s_cbranch_scc0 .LBB143_1208
; %bb.1207:
	global_load_dwordx2 v[2:3], v[0:1], off
	s_mov_b32 s0, 0
	s_mov_b32 s2, -1
	s_mov_b32 s3, 0
	s_waitcnt vmcnt(0)
	v_ffbh_u32_e32 v6, v3
	v_min_u32_e32 v6, 32, v6
	v_lshlrev_b64 v[2:3], v6, v[2:3]
	v_min_u32_e32 v2, 1, v2
	v_or_b32_e32 v2, v3, v2
	v_sub_nc_u32_e32 v3, 32, v6
	v_cvt_f32_u32_e32 v2, v2
	v_ldexp_f32 v2, v2, v3
	s_branch .LBB143_1210
.LBB143_1208:
	s_mov_b32 s0, -1
                                        ; implicit-def: $vgpr2
.LBB143_1209:
	s_mov_b32 s3, 0
.LBB143_1210:
	s_and_b32 vcc_lo, exec_lo, s3
	s_cbranch_vccz .LBB143_1228
; %bb.1211:
	s_cmp_lt_i32 s4, 27
	s_cbranch_scc1 .LBB143_1214
; %bb.1212:
	s_cmp_gt_i32 s4, 27
	s_cbranch_scc0 .LBB143_1215
; %bb.1213:
	global_load_dword v2, v[0:1], off
	s_mov_b32 s2, 0
	s_waitcnt vmcnt(0)
	v_cvt_f32_u32_e32 v2, v2
	s_branch .LBB143_1216
.LBB143_1214:
	s_mov_b32 s2, -1
                                        ; implicit-def: $vgpr2
	s_branch .LBB143_1219
.LBB143_1215:
	s_mov_b32 s2, -1
                                        ; implicit-def: $vgpr2
.LBB143_1216:
	s_andn2_b32 vcc_lo, exec_lo, s2
	s_cbranch_vccnz .LBB143_1218
; %bb.1217:
	global_load_ushort v2, v[0:1], off
	s_waitcnt vmcnt(0)
	v_cvt_f32_u32_e32 v2, v2
.LBB143_1218:
	s_mov_b32 s2, 0
.LBB143_1219:
	s_andn2_b32 vcc_lo, exec_lo, s2
	s_cbranch_vccnz .LBB143_1227
; %bb.1220:
	global_load_ubyte v3, v[0:1], off
	s_mov_b32 s2, 0
	s_mov_b32 s3, exec_lo
	s_waitcnt vmcnt(0)
	v_cmpx_lt_i16_e32 0x7f, v3
	s_xor_b32 s3, exec_lo, s3
	s_cbranch_execz .LBB143_1240
; %bb.1221:
	s_mov_b32 s2, -1
	s_mov_b32 s14, exec_lo
	v_cmpx_eq_u16_e32 0x80, v3
; %bb.1222:
	s_xor_b32 s2, exec_lo, -1
; %bb.1223:
	s_or_b32 exec_lo, exec_lo, s14
	s_and_b32 s2, s2, exec_lo
	s_or_saveexec_b32 s3, s3
	v_mov_b32_e32 v2, 0x7f800001
	s_xor_b32 exec_lo, exec_lo, s3
	s_cbranch_execnz .LBB143_1241
.LBB143_1224:
	s_or_b32 exec_lo, exec_lo, s3
	s_and_saveexec_b32 s3, s2
	s_cbranch_execz .LBB143_1226
.LBB143_1225:
	v_and_b32_e32 v2, 0xffff, v3
	v_lshlrev_b32_e32 v3, 24, v3
	v_and_b32_e32 v6, 7, v2
	v_bfe_u32 v9, v2, 3, 4
	v_and_b32_e32 v3, 0x80000000, v3
	v_ffbh_u32_e32 v7, v6
	v_cmp_eq_u32_e32 vcc_lo, 0, v9
	v_min_u32_e32 v7, 32, v7
	v_subrev_nc_u32_e32 v8, 28, v7
	v_sub_nc_u32_e32 v7, 29, v7
	v_lshlrev_b32_e32 v2, v8, v2
	v_cndmask_b32_e32 v7, v9, v7, vcc_lo
	v_and_b32_e32 v2, 7, v2
	v_cndmask_b32_e32 v2, v6, v2, vcc_lo
	v_lshl_add_u32 v6, v7, 23, 0x3b800000
	v_lshlrev_b32_e32 v2, 20, v2
	v_or3_b32 v2, v3, v6, v2
.LBB143_1226:
	s_or_b32 exec_lo, exec_lo, s3
.LBB143_1227:
	s_mov_b32 s2, -1
.LBB143_1228:
	s_branch .LBB143_1260
.LBB143_1229:
	s_cmp_gt_i32 s4, 22
	s_cbranch_scc0 .LBB143_1239
; %bb.1230:
	s_cmp_lt_i32 s4, 24
	s_cbranch_scc1 .LBB143_1242
; %bb.1231:
	s_cmp_gt_i32 s4, 24
	s_cbranch_scc0 .LBB143_1243
; %bb.1232:
	global_load_ubyte v3, v[0:1], off
	s_mov_b32 s2, exec_lo
	s_waitcnt vmcnt(0)
	v_cmpx_lt_i16_e32 0x7f, v3
	s_xor_b32 s2, exec_lo, s2
	s_cbranch_execz .LBB143_1254
; %bb.1233:
	s_mov_b32 s1, -1
	s_mov_b32 s3, exec_lo
	v_cmpx_eq_u16_e32 0x80, v3
; %bb.1234:
	s_xor_b32 s1, exec_lo, -1
; %bb.1235:
	s_or_b32 exec_lo, exec_lo, s3
	s_and_b32 s1, s1, exec_lo
	s_or_saveexec_b32 s2, s2
	v_mov_b32_e32 v2, 0x7f800001
	s_xor_b32 exec_lo, exec_lo, s2
	s_cbranch_execnz .LBB143_1255
.LBB143_1236:
	s_or_b32 exec_lo, exec_lo, s2
	s_and_saveexec_b32 s2, s1
	s_cbranch_execz .LBB143_1238
.LBB143_1237:
	v_and_b32_e32 v2, 0xffff, v3
	v_lshlrev_b32_e32 v3, 24, v3
	v_and_b32_e32 v6, 3, v2
	v_bfe_u32 v9, v2, 2, 5
	v_and_b32_e32 v3, 0x80000000, v3
	v_ffbh_u32_e32 v7, v6
	v_cmp_eq_u32_e32 vcc_lo, 0, v9
	v_min_u32_e32 v7, 32, v7
	v_subrev_nc_u32_e32 v8, 29, v7
	v_sub_nc_u32_e32 v7, 30, v7
	v_lshlrev_b32_e32 v2, v8, v2
	v_cndmask_b32_e32 v7, v9, v7, vcc_lo
	v_and_b32_e32 v2, 3, v2
	v_cndmask_b32_e32 v2, v6, v2, vcc_lo
	v_lshl_add_u32 v6, v7, 23, 0x37800000
	v_lshlrev_b32_e32 v2, 21, v2
	v_or3_b32 v2, v3, v6, v2
.LBB143_1238:
	s_or_b32 exec_lo, exec_lo, s2
	s_mov_b32 s1, 0
	s_branch .LBB143_1244
.LBB143_1239:
                                        ; implicit-def: $vgpr2
	s_mov_b32 s1, 0
	s_branch .LBB143_1250
.LBB143_1240:
	s_or_saveexec_b32 s3, s3
	v_mov_b32_e32 v2, 0x7f800001
	s_xor_b32 exec_lo, exec_lo, s3
	s_cbranch_execz .LBB143_1224
.LBB143_1241:
	v_cmp_ne_u16_e32 vcc_lo, 0, v3
	v_mov_b32_e32 v2, 0
	s_andn2_b32 s2, s2, exec_lo
	s_and_b32 s14, vcc_lo, exec_lo
	s_or_b32 s2, s2, s14
	s_or_b32 exec_lo, exec_lo, s3
	s_and_saveexec_b32 s3, s2
	s_cbranch_execnz .LBB143_1225
	s_branch .LBB143_1226
.LBB143_1242:
	s_mov_b32 s1, -1
                                        ; implicit-def: $vgpr2
	s_branch .LBB143_1247
.LBB143_1243:
	s_mov_b32 s1, -1
                                        ; implicit-def: $vgpr2
.LBB143_1244:
	s_and_b32 vcc_lo, exec_lo, s1
	s_cbranch_vccz .LBB143_1246
; %bb.1245:
	global_load_ubyte v2, v[0:1], off
	s_waitcnt vmcnt(0)
	v_lshlrev_b32_e32 v2, 24, v2
	v_and_b32_e32 v3, 0x7f000000, v2
	v_ffbh_u32_e32 v6, v3
	v_add_nc_u32_e32 v8, 0x1000000, v3
	v_cmp_ne_u32_e32 vcc_lo, 0, v3
	v_min_u32_e32 v6, 32, v6
	v_sub_nc_u32_e64 v6, v6, 4 clamp
	v_lshlrev_b32_e32 v7, v6, v3
	v_lshlrev_b32_e32 v6, 23, v6
	v_lshrrev_b32_e32 v7, 4, v7
	v_sub_nc_u32_e32 v6, v7, v6
	v_ashrrev_i32_e32 v7, 8, v8
	v_add_nc_u32_e32 v6, 0x3c000000, v6
	v_and_or_b32 v6, 0x7f800000, v7, v6
	v_cndmask_b32_e32 v3, 0, v6, vcc_lo
	v_and_or_b32 v2, 0x80000000, v2, v3
.LBB143_1246:
	s_mov_b32 s1, 0
.LBB143_1247:
	s_andn2_b32 vcc_lo, exec_lo, s1
	s_cbranch_vccnz .LBB143_1249
; %bb.1248:
	global_load_ubyte v2, v[0:1], off
	s_waitcnt vmcnt(0)
	v_lshlrev_b32_e32 v3, 25, v2
	v_lshlrev_b16 v2, 8, v2
	v_lshrrev_b32_e32 v6, 4, v3
	v_and_or_b32 v7, 0x7f00, v2, 0.5
	v_cmp_gt_u32_e32 vcc_lo, 0x8000000, v3
	v_bfe_i32 v2, v2, 0, 16
	v_or_b32_e32 v6, 0x70000000, v6
	v_add_f32_e32 v7, -0.5, v7
	v_mul_f32_e32 v6, 0x7800000, v6
	v_cndmask_b32_e32 v3, v6, v7, vcc_lo
	v_and_or_b32 v2, 0x80000000, v2, v3
.LBB143_1249:
	s_mov_b32 s2, -1
	s_mov_b32 s1, 0
	s_cbranch_execnz .LBB143_1260
.LBB143_1250:
	s_cmp_gt_i32 s4, 14
	s_cbranch_scc0 .LBB143_1253
; %bb.1251:
	s_cmp_eq_u32 s4, 15
	s_cbranch_scc0 .LBB143_1256
; %bb.1252:
	global_load_ushort v2, v[0:1], off
	s_mov_b32 s0, 0
	s_mov_b32 s2, -1
	s_waitcnt vmcnt(0)
	v_lshlrev_b32_e32 v2, 16, v2
	s_branch .LBB143_1258
.LBB143_1253:
	s_mov_b32 s1, -1
	s_branch .LBB143_1257
.LBB143_1254:
	s_or_saveexec_b32 s2, s2
	v_mov_b32_e32 v2, 0x7f800001
	s_xor_b32 exec_lo, exec_lo, s2
	s_cbranch_execz .LBB143_1236
.LBB143_1255:
	v_cmp_ne_u16_e32 vcc_lo, 0, v3
	v_mov_b32_e32 v2, 0
	s_andn2_b32 s1, s1, exec_lo
	s_and_b32 s3, vcc_lo, exec_lo
	s_or_b32 s1, s1, s3
	s_or_b32 exec_lo, exec_lo, s2
	s_and_saveexec_b32 s2, s1
	s_cbranch_execnz .LBB143_1237
	s_branch .LBB143_1238
.LBB143_1256:
	s_mov_b32 s0, -1
.LBB143_1257:
                                        ; implicit-def: $vgpr2
.LBB143_1258:
	s_and_b32 vcc_lo, exec_lo, s1
	s_mov_b32 s1, 0
	s_cbranch_vccz .LBB143_1260
; %bb.1259:
	s_cmp_lg_u32 s4, 11
	s_mov_b32 s1, -1
	s_cselect_b32 s0, -1, 0
.LBB143_1260:
	s_and_b32 vcc_lo, exec_lo, s0
	s_mov_b32 s14, s6
	s_cbranch_vccnz .LBB143_1359
; %bb.1261:
	s_andn2_b32 vcc_lo, exec_lo, s1
	s_cbranch_vccnz .LBB143_1263
.LBB143_1262:
	global_load_ubyte v2, v[0:1], off
	s_mov_b32 s2, -1
	s_waitcnt vmcnt(0)
	v_cmp_ne_u16_e32 vcc_lo, 0, v2
	v_cndmask_b32_e64 v2, 0, 1.0, vcc_lo
.LBB143_1263:
	s_branch .LBB143_1192
.LBB143_1264:
	s_cmp_lt_i32 s4, 5
	s_cbranch_scc1 .LBB143_1269
; %bb.1265:
	s_cmp_lt_i32 s4, 8
	s_cbranch_scc1 .LBB143_1270
; %bb.1266:
	;; [unrolled: 3-line block ×3, first 2 shown]
	s_cmp_gt_i32 s4, 9
	s_cbranch_scc0 .LBB143_1272
; %bb.1268:
	global_load_dwordx2 v[2:3], v[0:1], off
	s_mov_b32 s0, 0
	s_waitcnt vmcnt(0)
	v_cvt_f32_f64_e32 v2, v[2:3]
	s_branch .LBB143_1273
.LBB143_1269:
                                        ; implicit-def: $vgpr2
	s_branch .LBB143_1290
.LBB143_1270:
                                        ; implicit-def: $vgpr2
	s_branch .LBB143_1279
.LBB143_1271:
	s_mov_b32 s0, -1
                                        ; implicit-def: $vgpr2
	s_branch .LBB143_1276
.LBB143_1272:
	s_mov_b32 s0, -1
                                        ; implicit-def: $vgpr2
.LBB143_1273:
	s_andn2_b32 vcc_lo, exec_lo, s0
	s_cbranch_vccnz .LBB143_1275
; %bb.1274:
	global_load_dword v2, v[0:1], off
.LBB143_1275:
	s_mov_b32 s0, 0
.LBB143_1276:
	s_andn2_b32 vcc_lo, exec_lo, s0
	s_cbranch_vccnz .LBB143_1278
; %bb.1277:
	global_load_dword v2, v[0:1], off
	s_waitcnt vmcnt(0)
	v_cvt_f32_f16_e32 v2, v2
.LBB143_1278:
	s_cbranch_execnz .LBB143_1289
.LBB143_1279:
	s_cmp_lt_i32 s4, 6
	s_cbranch_scc1 .LBB143_1282
; %bb.1280:
	s_cmp_gt_i32 s4, 6
	s_cbranch_scc0 .LBB143_1283
; %bb.1281:
	global_load_dwordx2 v[2:3], v[0:1], off
	s_mov_b32 s0, 0
	s_waitcnt vmcnt(0)
	v_cvt_f32_f64_e32 v2, v[2:3]
	s_branch .LBB143_1284
.LBB143_1282:
	s_mov_b32 s0, -1
                                        ; implicit-def: $vgpr2
	s_branch .LBB143_1287
.LBB143_1283:
	s_mov_b32 s0, -1
                                        ; implicit-def: $vgpr2
.LBB143_1284:
	s_andn2_b32 vcc_lo, exec_lo, s0
	s_cbranch_vccnz .LBB143_1286
; %bb.1285:
	global_load_dword v2, v[0:1], off
.LBB143_1286:
	s_mov_b32 s0, 0
.LBB143_1287:
	s_andn2_b32 vcc_lo, exec_lo, s0
	s_cbranch_vccnz .LBB143_1289
; %bb.1288:
	global_load_ushort v2, v[0:1], off
	s_waitcnt vmcnt(0)
	v_cvt_f32_f16_e32 v2, v2
.LBB143_1289:
	s_cbranch_execnz .LBB143_1308
.LBB143_1290:
	s_cmp_lt_i32 s4, 2
	s_cbranch_scc1 .LBB143_1294
; %bb.1291:
	s_cmp_lt_i32 s4, 3
	s_cbranch_scc1 .LBB143_1295
; %bb.1292:
	s_cmp_gt_i32 s4, 3
	s_cbranch_scc0 .LBB143_1296
; %bb.1293:
	global_load_dwordx2 v[2:3], v[0:1], off
	s_mov_b32 s0, 0
	s_waitcnt vmcnt(0)
	v_xor_b32_e32 v6, v2, v3
	v_ffbh_i32_e32 v7, v3
	v_ashrrev_i32_e32 v6, 31, v6
	v_add_nc_u32_e32 v7, -1, v7
	v_add_nc_u32_e32 v6, 32, v6
	v_min_u32_e32 v6, v7, v6
	v_lshlrev_b64 v[2:3], v6, v[2:3]
	v_min_u32_e32 v2, 1, v2
	v_or_b32_e32 v2, v3, v2
	v_sub_nc_u32_e32 v3, 32, v6
	v_cvt_f32_i32_e32 v2, v2
	v_ldexp_f32 v2, v2, v3
	s_branch .LBB143_1297
.LBB143_1294:
                                        ; implicit-def: $vgpr2
	s_branch .LBB143_1303
.LBB143_1295:
	s_mov_b32 s0, -1
                                        ; implicit-def: $vgpr2
	s_branch .LBB143_1300
.LBB143_1296:
	s_mov_b32 s0, -1
                                        ; implicit-def: $vgpr2
.LBB143_1297:
	s_andn2_b32 vcc_lo, exec_lo, s0
	s_cbranch_vccnz .LBB143_1299
; %bb.1298:
	global_load_dword v2, v[0:1], off
	s_waitcnt vmcnt(0)
	v_cvt_f32_i32_e32 v2, v2
.LBB143_1299:
	s_mov_b32 s0, 0
.LBB143_1300:
	s_andn2_b32 vcc_lo, exec_lo, s0
	s_cbranch_vccnz .LBB143_1302
; %bb.1301:
	global_load_sshort v2, v[0:1], off
	s_waitcnt vmcnt(0)
	v_cvt_f32_i32_e32 v2, v2
.LBB143_1302:
	s_cbranch_execnz .LBB143_1308
.LBB143_1303:
	s_cmp_gt_i32 s4, 0
	s_mov_b32 s0, 0
	s_cbranch_scc0 .LBB143_1305
; %bb.1304:
	global_load_sbyte v2, v[0:1], off
	s_waitcnt vmcnt(0)
	v_cvt_f32_i32_e32 v2, v2
	s_branch .LBB143_1306
.LBB143_1305:
	s_mov_b32 s0, -1
                                        ; implicit-def: $vgpr2
.LBB143_1306:
	s_andn2_b32 vcc_lo, exec_lo, s0
	s_cbranch_vccnz .LBB143_1308
; %bb.1307:
	global_load_ubyte v0, v[0:1], off
	s_waitcnt vmcnt(0)
	v_cvt_f32_ubyte0_e32 v2, v0
.LBB143_1308:
.LBB143_1309:
	s_waitcnt vmcnt(0)
	v_and_b32_e32 v0, 0x7fffffff, v2
	s_mov_b32 s1, exec_lo
                                        ; implicit-def: $vgpr3
	v_cmpx_ngt_f32_e64 0x3c800000, |v2|
	s_xor_b32 s1, exec_lo, s1
	s_cbranch_execz .LBB143_1339
; %bb.1310:
	s_mov_b32 s2, exec_lo
                                        ; implicit-def: $vgpr3
	v_cmpx_nlt_f32_e64 |v2|, 2.0
	s_xor_b32 s2, exec_lo, s2
	s_cbranch_execz .LBB143_1320
; %bb.1311:
	v_cmp_ngt_f32_e64 s0, 0x41000000, |v2|
                                        ; implicit-def: $vgpr3
	s_and_saveexec_b32 s3, s0
	s_xor_b32 s0, exec_lo, s3
	s_cbranch_execz .LBB143_1317
; %bb.1312:
	v_cmp_ngt_f32_e64 s3, 0x5c800000, |v2|
                                        ; implicit-def: $vgpr3
	s_and_saveexec_b32 s15, s3
	s_xor_b32 s3, exec_lo, s15
	s_cbranch_execz .LBB143_1314
; %bb.1313:
	v_cmp_gt_f32_e64 s15, 0x800000, |v2|
	v_cndmask_b32_e64 v1, 0, 32, s15
	v_ldexp_f32 v1, |v2|, v1
	v_log_f32_e32 v1, v1
	v_mul_f32_e32 v3, 0x3f317217, v1
	v_cmp_gt_f32_e64 vcc_lo, 0x7f800000, |v1|
	v_fma_f32 v6, 0x3f317217, v1, -v3
	v_fmamk_f32 v6, v1, 0x3377d1cf, v6
	v_add_f32_e32 v3, v3, v6
	v_cndmask_b32_e32 v1, v1, v3, vcc_lo
	v_cndmask_b32_e64 v3, 0, 0x41b17218, s15
	v_sub_f32_e32 v1, v1, v3
	v_fma_f32 v3, |v2|, v1, -|v2|
.LBB143_1314:
	s_andn2_saveexec_b32 s3, s3
	s_cbranch_execz .LBB143_1316
; %bb.1315:
	v_cmp_gt_f32_e64 s15, 0x800000, |v2|
	v_rcp_f32_e64 v3, |v2|
	s_mov_b32 s16, 0xbad5c4e8
	v_cndmask_b32_e64 v1, 0, 32, s15
	v_ldexp_f32 v1, |v2|, v1
	v_mul_f32_e32 v6, v3, v3
	v_log_f32_e32 v1, v1
	v_fmaak_f32 v8, s16, v6, 0x3a5b3dd2
	v_fmaak_f32 v8, v6, v8, 0xba1c065c
	v_mul_f32_e32 v7, 0x3f317217, v1
	v_fmaak_f32 v8, v6, v8, 0x3a500cfd
	v_cmp_gt_f32_e64 vcc_lo, 0x7f800000, |v1|
	v_fma_f32 v9, 0x3f317217, v1, -v7
	v_fmaak_f32 v8, v6, v8, 0xbb360b61
	v_fmamk_f32 v9, v1, 0x3377d1cf, v9
	v_fmaak_f32 v6, v6, v8, 0x3daaaaab
	v_add_f32_e32 v7, v7, v9
	v_fmaak_f32 v3, v3, v6, 0x3ed67f1d
	v_add_f32_e64 v6, |v2|, -0.5
	v_cndmask_b32_e32 v1, v1, v7, vcc_lo
	v_cndmask_b32_e64 v7, 0, 0x41b17218, s15
	v_sub_f32_e32 v1, v1, v7
	v_add_f32_e32 v1, -1.0, v1
	v_fmac_f32_e32 v3, v6, v1
.LBB143_1316:
	s_or_b32 exec_lo, exec_lo, s3
.LBB143_1317:
	s_andn2_saveexec_b32 s3, s0
	s_cbranch_execz .LBB143_1319
; %bb.1318:
	v_cvt_i32_f32_e32 v1, v0
	s_mov_b32 s0, 0x36f5d7bd
	s_mov_b32 s15, 0x3805ff67
	v_cvt_f32_i32_e32 v3, v1
	v_cmp_lt_i32_e32 vcc_lo, 2, v1
	v_sub_f32_e64 v3, |v2|, v3
	v_add_f32_e32 v6, 2.0, v3
	v_add_f32_e32 v7, 0x40400000, v3
	v_add_f32_e32 v8, 4.0, v3
	v_add_f32_e32 v9, 0x40a00000, v3
	v_cndmask_b32_e32 v6, 1.0, v6, vcc_lo
	v_cmp_lt_i32_e32 vcc_lo, 3, v1
	v_cndmask_b32_e32 v7, 1.0, v7, vcc_lo
	v_cmp_lt_i32_e32 vcc_lo, 4, v1
	v_mul_f32_e32 v6, v6, v7
	v_cndmask_b32_e32 v8, 1.0, v8, vcc_lo
	v_cmp_lt_i32_e32 vcc_lo, 5, v1
	v_add_f32_e32 v7, 0x40c00000, v3
	v_mul_f32_e32 v6, v8, v6
	v_cndmask_b32_e32 v9, 1.0, v9, vcc_lo
	v_cmp_lt_i32_e32 vcc_lo, 6, v1
	v_fmaak_f32 v8, s15, v3, 0x3af135b4
	v_mul_f32_e32 v6, v9, v6
	v_cndmask_b32_e32 v1, 1.0, v7, vcc_lo
	v_mul_f32_e32 v1, v1, v6
	v_fmaak_f32 v6, s0, v3, 0x3a4beed6
	v_cmp_gt_f32_e32 vcc_lo, 0x800000, v1
	v_fmaak_f32 v6, v3, v6, 0x3c98bf54
	v_cndmask_b32_e64 v7, 0, 32, vcc_lo
	v_fmaak_f32 v6, v3, v6, 0x3e300f6e
	v_ldexp_f32 v1, v1, v7
	v_fmaak_f32 v7, v3, v8, 0x3cda40e4
	v_fmaak_f32 v6, v3, v6, 0x3f38d0c5
	v_log_f32_e32 v1, v1
	v_fmaak_f32 v7, v3, v7, 0x3e15dce6
	v_fmaak_f32 v6, v3, v6, 0x3fb22d3b
	;; [unrolled: 1-line block ×3, first 2 shown]
	v_fma_f32 v6, v3, v6, 1.0
	v_mul_f32_e32 v8, 0x3f317217, v1
	v_fmaak_f32 v7, v3, v7, 0x3e5c245a
	v_rcp_f32_e32 v6, v6
	v_cmp_gt_f32_e64 s0, 0x7f800000, |v1|
	v_fma_f32 v9, 0x3f317217, v1, -v8
	v_fmaak_f32 v7, v3, v7, 0xbd9e233f
	v_fmamk_f32 v9, v1, 0x3377d1cf, v9
	v_mul_f32_e32 v7, v3, v7
	v_add_f32_e32 v8, v8, v9
	v_mul_f32_e32 v6, v7, v6
	v_cndmask_b32_e64 v7, 0, 0x41b17218, vcc_lo
	v_cndmask_b32_e64 v1, v1, v8, s0
	v_fmac_f32_e32 v6, 0.5, v3
	v_sub_f32_e32 v1, v1, v7
	v_add_f32_e32 v3, v1, v6
.LBB143_1319:
	s_or_b32 exec_lo, exec_lo, s3
.LBB143_1320:
	s_andn2_saveexec_b32 s2, s2
	s_cbranch_execz .LBB143_1338
; %bb.1321:
	s_mov_b32 s3, exec_lo
                                        ; implicit-def: $vgpr3
                                        ; implicit-def: $vgpr6
                                        ; implicit-def: $vgpr1
	v_cmpx_ge_f32_e64 0x3f666666, |v2|
	s_xor_b32 s3, exec_lo, s3
	s_cbranch_execz .LBB143_1323
; %bb.1322:
	v_cmp_gt_f32_e64 s0, 0x800000, |v2|
	v_sub_f32_e64 v7, 1.0, |v2|
	v_cmp_gt_f32_e64 vcc_lo, 0x3f3b4a23, |v2|
	v_cndmask_b32_e64 v1, 0, 32, s0
	v_cndmask_b32_e64 v8, 0, 0x41b17218, s0
	v_ldexp_f32 v1, |v2|, v1
	v_log_f32_e32 v1, v1
	v_mul_f32_e32 v3, 0x3f317217, v1
	v_cmp_gt_f32_e64 s0, 0x7f800000, |v1|
	v_fma_f32 v6, 0x3f317217, v1, -v3
	v_fmamk_f32 v6, v1, 0x3377d1cf, v6
	v_add_f32_e32 v3, v3, v6
	v_add_f32_e64 v6, 0xbeec5b0c, |v2|
	v_cndmask_b32_e64 v1, v1, v3, s0
	v_cndmask_b32_e32 v3, v7, v6, vcc_lo
	v_cndmask_b32_e64 v6, 0, 1, vcc_lo
	v_cmp_gt_f32_e64 s0, 0x3e6d3309, |v2|
	v_sub_f32_e32 v7, v1, v8
	v_cndmask_b32_e64 v1, v3, |v2|, s0
	v_cndmask_b32_e64 v6, v6, 2, s0
	v_xor_b32_e32 v3, 0x80000000, v7
.LBB143_1323:
	s_andn2_saveexec_b32 s0, s3
	s_cbranch_execz .LBB143_1325
; %bb.1324:
	v_sub_f32_e64 v1, 2.0, |v2|
	v_add_f32_e64 v3, 0xbfbb16c3, |v2|
	v_cmp_gt_f32_e64 vcc_lo, 0x3fdda512, |v2|
	v_add_f32_e64 v6, |v2|, -1.0
	v_cndmask_b32_e32 v3, v1, v3, vcc_lo
	v_cndmask_b32_e64 v1, v1, 1.0, vcc_lo
	v_cmp_gt_f32_e64 vcc_lo, 0x3f9d70a4, |v2|
	v_cvt_i32_f32_e32 v7, v1
	v_cndmask_b32_e32 v1, v3, v6, vcc_lo
	v_mov_b32_e32 v3, 0
	v_cndmask_b32_e64 v6, v7, 2, vcc_lo
.LBB143_1325:
	s_or_b32 exec_lo, exec_lo, s0
	s_mov_b32 s0, exec_lo
	v_cmpx_lt_i32_e32 0, v6
	s_xor_b32 s0, exec_lo, s0
	s_cbranch_execz .LBB143_1333
; %bb.1326:
	s_mov_b32 s3, exec_lo
	v_cmpx_lt_i32_e32 1, v6
	s_xor_b32 s3, exec_lo, s3
	s_cbranch_execz .LBB143_1330
; %bb.1327:
	s_mov_b32 s15, exec_lo
	v_cmpx_eq_u32_e32 2, v6
	s_cbranch_execz .LBB143_1329
; %bb.1328:
	s_mov_b32 s16, 0x3b52d5db
	v_fmaak_f32 v6, s16, v1, 0x3dd572af
	s_mov_b32 s16, 0x3c5b3c5e
	v_fmaak_f32 v7, s16, v1, 0x3e6a7578
	v_fmaak_f32 v6, v1, v6, 0x3f44efdf
	;; [unrolled: 1-line block ×7, first 2 shown]
	v_fma_f32 v6, v1, v6, 1.0
	v_fmaak_f32 v7, v1, v7, 0xbd9e233f
	v_rcp_f32_e32 v6, v6
	v_mul_f32_e32 v7, v1, v7
	v_mul_f32_e32 v6, v7, v6
	v_fmac_f32_e32 v6, -0.5, v1
	v_add_f32_e32 v3, v3, v6
.LBB143_1329:
	s_or_b32 exec_lo, exec_lo, s15
                                        ; implicit-def: $vgpr1
.LBB143_1330:
	s_andn2_saveexec_b32 s3, s3
	s_cbranch_execz .LBB143_1332
; %bb.1331:
	v_mul_f32_e32 v6, v1, v1
	s_mov_b32 s15, 0xb9a3f927
	s_mov_b32 s16, 0x39afe9f7
	v_mul_f32_e32 v7, v1, v6
	v_fmaak_f32 v8, s15, v7, 0x3a66f867
	v_fmaak_f32 v9, s16, v7, 0xba0d3085
	s_mov_b32 s15, 0x39a57b6b
	v_fmaak_f32 v10, s15, v7, 0xbab7f476
	v_fmaak_f32 v8, v7, v8, 0xbb7177fe
	;; [unrolled: 1-line block ×9, first 2 shown]
	v_fmac_f32_e32 v8, v1, v9
	v_fmaak_f32 v1, v7, v10, 0x3ef7b95e
	v_fma_f32 v7, v7, -v8, 0xa2863e55
	v_fma_f32 v1, v6, v1, -v7
	v_add_f32_e32 v1, 0xbdf8cdce, v1
	v_add_f32_e32 v3, v3, v1
.LBB143_1332:
	s_or_b32 exec_lo, exec_lo, s3
                                        ; implicit-def: $vgpr6
                                        ; implicit-def: $vgpr1
.LBB143_1333:
	s_andn2_saveexec_b32 s0, s0
	s_cbranch_execz .LBB143_1337
; %bb.1334:
	s_mov_b32 s3, exec_lo
	v_cmpx_eq_u32_e32 0, v6
	s_cbranch_execz .LBB143_1336
; %bb.1335:
	v_mul_f32_e32 v6, v1, v1
	s_mov_b32 s15, 0x383c2c75
	v_fmaak_f32 v7, s15, v6, 0x38e28445
	s_mov_b32 s15, 0x37d383a2
	v_fmaak_f32 v8, s15, v6, 0x39679767
	v_fmaak_f32 v7, v6, v7, 0x3a05b634
	;; [unrolled: 1-line block ×9, first 2 shown]
	v_mul_f32_e32 v6, v6, v7
	v_fmac_f32_e32 v6, v1, v8
	v_fmac_f32_e32 v6, -0.5, v1
	v_add_f32_e32 v3, v3, v6
.LBB143_1336:
	s_or_b32 exec_lo, exec_lo, s3
.LBB143_1337:
	s_or_b32 exec_lo, exec_lo, s0
.LBB143_1338:
	s_or_b32 exec_lo, exec_lo, s2
.LBB143_1339:
	s_andn2_saveexec_b32 s0, s1
	s_cbranch_execz .LBB143_1341
; %bb.1340:
	v_cmp_gt_f32_e64 s1, 0x800000, |v2|
	s_mov_b32 s2, 0x3e8a8991
	v_fma_f32 v7, |v2|, s2, 0xbecd26ab
	v_cndmask_b32_e64 v1, 0, 32, s1
	v_ldexp_f32 v1, |v2|, v1
	v_log_f32_e32 v1, v1
	v_mul_f32_e32 v3, 0x3f317217, v1
	v_cmp_gt_f32_e64 vcc_lo, 0x7f800000, |v1|
	v_fma_f32 v6, 0x3f317217, v1, -v3
	v_fmamk_f32 v6, v1, 0x3377d1cf, v6
	v_add_f32_e32 v3, v3, v6
	v_fma_f32 v6, |v2|, v7, 0x3f528d33
	v_cndmask_b32_e32 v1, v1, v3, vcc_lo
	v_cndmask_b32_e64 v3, 0, 0x41b17218, s1
	v_fma_f32 v6, |v2|, v6, 0xbf13c468
	v_sub_f32_e32 v1, v1, v3
	v_fma_f32 v3, |v2|, v6, -v1
.LBB143_1341:
	s_or_b32 exec_lo, exec_lo, s0
	v_cmp_le_f32_e64 s0, 0, v2
	s_mov_b32 s1, exec_lo
	v_cmpx_nle_f32_e32 0, v2
	s_xor_b32 s2, exec_lo, s1
	s_cbranch_execz .LBB143_1345
; %bb.1342:
	v_cmp_gt_f32_e64 s1, 0x4b000000, |v2|
	v_cmp_lt_f32_e64 s3, 0x35000000, |v2|
	s_and_b32 s1, s1, s3
	s_and_saveexec_b32 s3, s1
	s_cbranch_execz .LBB143_1344
; %bb.1343:
	v_mul_f32_e64 v1, |v2|, 0.5
	v_cmp_gt_f32_e64 s1, |v2|, 1.0
	s_mov_b32 s15, 0x3d4be544
	v_xor_b32_e32 v0, v0, v2
	v_floor_f32_e32 v6, v1
	v_cmp_neq_f32_e32 vcc_lo, 0x7f800000, v1
	v_sub_f32_e32 v6, v1, v6
	v_min_f32_e32 v6, 0x3f7fffff, v6
	v_add_f32_e32 v6, v6, v6
	v_cndmask_b32_e32 v1, 0, v6, vcc_lo
	v_cndmask_b32_e64 v1, |v2|, v1, s1
	s_mov_b32 s1, 0x3e75aa41
	v_add_f32_e32 v6, v1, v1
	v_rndne_f32_e32 v6, v6
	v_fmac_f32_e32 v1, -0.5, v6
	v_cvt_i32_f32_e32 v6, v6
	v_mul_f32_e32 v7, v1, v1
	v_fmaak_f32 v8, s1, v7, 0xbf1f24be
	v_fmaak_f32 v9, s15, v7, 0x3e642e9d
	v_mul_f32_e32 v10, v1, v7
	v_fmaak_f32 v8, v7, v8, 0x40234736
	v_fmaak_f32 v9, v7, v9, 0xbfaad1da
	v_fmaak_f32 v8, v7, v8, 0xc0a55e0e
	v_fmaak_f32 v9, v7, v9, 0x4081e0d3
	v_mul_f32_e32 v8, v10, v8
	v_fmaak_f32 v9, v7, v9, 0xc09de9e6
	v_and_b32_e32 v10, 1, v6
	v_lshlrev_b32_e32 v6, 30, v6
	v_fmamk_f32 v1, v1, 0x40490fdb, v8
	v_fma_f32 v7, v7, v9, 1.0
	v_cmp_eq_u32_e32 vcc_lo, 0, v10
	v_and_b32_e32 v6, 0x80000000, v6
	v_cndmask_b32_e32 v1, v7, v1, vcc_lo
	v_xor3_b32 v0, v0, v6, v1
	v_mul_f32_e32 v0, v2, v0
	v_frexp_mant_f32_e64 v1, |v0|
	v_frexp_exp_i32_f32_e32 v0, v0
	v_rcp_f32_e32 v1, v1
	v_sub_nc_u32_e32 v0, 2, v0
	v_mul_f32_e32 v1, 0x3f490fdb, v1
	v_ldexp_f32 v0, v1, v0
	v_cmp_gt_f32_e32 vcc_lo, 0x800000, v0
	v_cndmask_b32_e64 v1, 0, 32, vcc_lo
	v_ldexp_f32 v0, v0, v1
	v_log_f32_e32 v0, v0
	v_mul_f32_e32 v1, 0x3f317217, v0
	v_cmp_gt_f32_e64 s1, 0x7f800000, |v0|
	v_fma_f32 v6, 0x3f317217, v0, -v1
	v_fmamk_f32 v6, v0, 0x3377d1cf, v6
	v_add_f32_e32 v1, v1, v6
	v_floor_f32_e32 v6, v2
	v_cndmask_b32_e64 v0, v0, v1, s1
	v_cndmask_b32_e64 v1, 0, 0x41b17218, vcc_lo
	v_sub_f32_e32 v6, v2, v6
	v_sub_f32_e32 v0, v0, v1
	v_min_f32_e32 v1, 0x3f7fffff, v6
	v_sub_f32_e32 v0, v0, v3
	v_cmp_neq_f32_e32 vcc_lo, 0, v1
	v_cndmask_b32_e32 v3, 0x7f800000, v0, vcc_lo
.LBB143_1344:
	s_or_b32 exec_lo, exec_lo, s3
.LBB143_1345:
	s_andn2_saveexec_b32 s2, s2
; %bb.1346:
	v_cmp_eq_f32_e32 vcc_lo, 1.0, v2
	v_cmp_eq_f32_e64 s1, 2.0, v2
	s_or_b32 s1, vcc_lo, s1
	v_cndmask_b32_e64 v3, v3, 0, s1
; %bb.1347:
	s_or_b32 exec_lo, exec_lo, s2
	s_lshl_b32 s13, s13, 7
	s_cmp_lt_i32 s4, 11
	v_add_nc_u32_e32 v6, s13, v5
	v_ashrrev_i32_e32 v1, 31, v6
	v_add_co_u32 v0, vcc_lo, s10, v6
	v_add_co_ci_u32_e64 v1, null, s11, v1, vcc_lo
	s_cbranch_scc1 .LBB143_1354
; %bb.1348:
	s_cmp_gt_i32 s4, 25
	s_mov_b32 s2, 0
	s_cbranch_scc0 .LBB143_1356
; %bb.1349:
	s_cmp_gt_i32 s4, 28
	s_cbranch_scc0 .LBB143_1357
; %bb.1350:
	s_cmp_gt_i32 s4, 43
	;; [unrolled: 3-line block ×3, first 2 shown]
	s_cbranch_scc0 .LBB143_1360
; %bb.1352:
	s_cmp_eq_u32 s4, 46
	s_mov_b32 s15, 0
	s_cbranch_scc0 .LBB143_1363
; %bb.1353:
	global_load_dword v5, v[0:1], off
	s_mov_b32 s1, 0
	s_mov_b32 s3, -1
	s_waitcnt vmcnt(0)
	v_lshlrev_b32_e32 v5, 16, v5
	s_branch .LBB143_1365
.LBB143_1354:
	s_mov_b32 s3, 0
                                        ; implicit-def: $vgpr5
	s_cbranch_execnz .LBB143_1430
.LBB143_1355:
	s_andn2_b32 vcc_lo, exec_lo, s3
	s_cbranch_vccnz .LBB143_2285
	s_branch .LBB143_1477
.LBB143_1356:
	s_mov_b32 s3, 0
	s_mov_b32 s1, 0
                                        ; implicit-def: $vgpr5
	s_cbranch_execnz .LBB143_1394
	s_branch .LBB143_1426
.LBB143_1357:
	s_mov_b32 s15, -1
	s_mov_b32 s3, 0
	s_mov_b32 s1, 0
                                        ; implicit-def: $vgpr5
	s_branch .LBB143_1375
.LBB143_1358:
	s_mov_b32 s15, -1
	s_mov_b32 s3, 0
	s_mov_b32 s1, 0
                                        ; implicit-def: $vgpr5
	s_branch .LBB143_1370
.LBB143_1359:
	s_or_b32 s14, s6, exec_lo
	s_trap 2
	s_cbranch_execz .LBB143_1262
	s_branch .LBB143_1263
.LBB143_1360:
	s_mov_b32 s15, -1
	s_mov_b32 s3, 0
	s_mov_b32 s1, 0
	s_branch .LBB143_1364
.LBB143_1361:
	s_andn2_saveexec_b32 s19, s19
	s_cbranch_execz .LBB143_1108
.LBB143_1362:
	v_add_f32_e64 v3, 0x42800000, |v2|
	s_andn2_b32 s18, s18, exec_lo
	v_and_b32_e32 v3, 0xff, v3
	v_cmp_ne_u32_e32 vcc_lo, 0, v3
	s_and_b32 s20, vcc_lo, exec_lo
	s_or_b32 s18, s18, s20
	s_or_b32 exec_lo, exec_lo, s19
	v_mov_b32_e32 v4, 0
	s_and_saveexec_b32 s19, s18
	s_cbranch_execnz .LBB143_1109
	s_branch .LBB143_1110
.LBB143_1363:
	s_mov_b32 s1, -1
	s_mov_b32 s3, 0
.LBB143_1364:
                                        ; implicit-def: $vgpr5
.LBB143_1365:
	s_and_b32 vcc_lo, exec_lo, s15
	s_cbranch_vccz .LBB143_1369
; %bb.1366:
	s_cmp_eq_u32 s4, 44
	s_cbranch_scc0 .LBB143_1368
; %bb.1367:
	global_load_ubyte v5, v[0:1], off
	s_mov_b32 s1, 0
	s_mov_b32 s3, -1
	s_waitcnt vmcnt(0)
	v_lshlrev_b32_e32 v7, 23, v5
	v_cmp_ne_u32_e32 vcc_lo, 0xff, v5
	v_cndmask_b32_e32 v7, 0x7f800001, v7, vcc_lo
	v_cmp_ne_u32_e32 vcc_lo, 0, v5
	v_cndmask_b32_e32 v5, 0x400000, v7, vcc_lo
	s_branch .LBB143_1369
.LBB143_1368:
	s_mov_b32 s1, -1
                                        ; implicit-def: $vgpr5
.LBB143_1369:
	s_mov_b32 s15, 0
.LBB143_1370:
	s_and_b32 vcc_lo, exec_lo, s15
	s_cbranch_vccz .LBB143_1374
; %bb.1371:
	s_cmp_eq_u32 s4, 29
	s_cbranch_scc0 .LBB143_1373
; %bb.1372:
	global_load_dwordx2 v[7:8], v[0:1], off
	s_mov_b32 s1, 0
	s_mov_b32 s3, -1
	s_mov_b32 s15, 0
	s_waitcnt vmcnt(0)
	v_ffbh_u32_e32 v5, v8
	v_min_u32_e32 v5, 32, v5
	v_lshlrev_b64 v[7:8], v5, v[7:8]
	v_sub_nc_u32_e32 v5, 32, v5
	v_min_u32_e32 v7, 1, v7
	v_or_b32_e32 v7, v8, v7
	v_cvt_f32_u32_e32 v7, v7
	v_ldexp_f32 v5, v7, v5
	s_branch .LBB143_1375
.LBB143_1373:
	s_mov_b32 s1, -1
                                        ; implicit-def: $vgpr5
.LBB143_1374:
	s_mov_b32 s15, 0
.LBB143_1375:
	s_and_b32 vcc_lo, exec_lo, s15
	s_cbranch_vccz .LBB143_1393
; %bb.1376:
	s_cmp_lt_i32 s4, 27
	s_cbranch_scc1 .LBB143_1379
; %bb.1377:
	s_cmp_gt_i32 s4, 27
	s_cbranch_scc0 .LBB143_1380
; %bb.1378:
	global_load_dword v5, v[0:1], off
	s_mov_b32 s3, 0
	s_waitcnt vmcnt(0)
	v_cvt_f32_u32_e32 v5, v5
	s_branch .LBB143_1381
.LBB143_1379:
	s_mov_b32 s3, -1
                                        ; implicit-def: $vgpr5
	s_branch .LBB143_1384
.LBB143_1380:
	s_mov_b32 s3, -1
                                        ; implicit-def: $vgpr5
.LBB143_1381:
	s_andn2_b32 vcc_lo, exec_lo, s3
	s_cbranch_vccnz .LBB143_1383
; %bb.1382:
	global_load_ushort v5, v[0:1], off
	s_waitcnt vmcnt(0)
	v_cvt_f32_u32_e32 v5, v5
.LBB143_1383:
	s_mov_b32 s3, 0
.LBB143_1384:
	s_andn2_b32 vcc_lo, exec_lo, s3
	s_cbranch_vccnz .LBB143_1392
; %bb.1385:
	global_load_ubyte v7, v[0:1], off
	s_mov_b32 s3, 0
	s_mov_b32 s15, exec_lo
	s_waitcnt vmcnt(0)
	v_cmpx_lt_i16_e32 0x7f, v7
	s_xor_b32 s15, exec_lo, s15
	s_cbranch_execz .LBB143_1405
; %bb.1386:
	s_mov_b32 s3, -1
	s_mov_b32 s16, exec_lo
	v_cmpx_eq_u16_e32 0x80, v7
; %bb.1387:
	s_xor_b32 s3, exec_lo, -1
; %bb.1388:
	s_or_b32 exec_lo, exec_lo, s16
	s_and_b32 s3, s3, exec_lo
	s_or_saveexec_b32 s15, s15
	v_mov_b32_e32 v5, 0x7f800001
	s_xor_b32 exec_lo, exec_lo, s15
	s_cbranch_execnz .LBB143_1406
.LBB143_1389:
	s_or_b32 exec_lo, exec_lo, s15
	s_and_saveexec_b32 s15, s3
	s_cbranch_execz .LBB143_1391
.LBB143_1390:
	v_and_b32_e32 v5, 0xffff, v7
	v_lshlrev_b32_e32 v7, 24, v7
	v_and_b32_e32 v8, 7, v5
	v_bfe_u32 v11, v5, 3, 4
	v_and_b32_e32 v7, 0x80000000, v7
	v_ffbh_u32_e32 v9, v8
	v_cmp_eq_u32_e32 vcc_lo, 0, v11
	v_min_u32_e32 v9, 32, v9
	v_subrev_nc_u32_e32 v10, 28, v9
	v_sub_nc_u32_e32 v9, 29, v9
	v_lshlrev_b32_e32 v5, v10, v5
	v_cndmask_b32_e32 v9, v11, v9, vcc_lo
	v_and_b32_e32 v5, 7, v5
	v_cndmask_b32_e32 v5, v8, v5, vcc_lo
	v_lshl_add_u32 v8, v9, 23, 0x3b800000
	v_lshlrev_b32_e32 v5, 20, v5
	v_or3_b32 v5, v7, v8, v5
.LBB143_1391:
	s_or_b32 exec_lo, exec_lo, s15
.LBB143_1392:
	s_mov_b32 s3, -1
.LBB143_1393:
	s_branch .LBB143_1426
.LBB143_1394:
	s_cmp_gt_i32 s4, 22
	s_cbranch_scc0 .LBB143_1404
; %bb.1395:
	s_cmp_lt_i32 s4, 24
	s_cbranch_scc1 .LBB143_1407
; %bb.1396:
	s_cmp_gt_i32 s4, 24
	s_cbranch_scc0 .LBB143_1408
; %bb.1397:
	global_load_ubyte v7, v[0:1], off
	s_mov_b32 s3, exec_lo
	s_waitcnt vmcnt(0)
	v_cmpx_lt_i16_e32 0x7f, v7
	s_xor_b32 s3, exec_lo, s3
	s_cbranch_execz .LBB143_1420
; %bb.1398:
	s_mov_b32 s2, -1
	s_mov_b32 s15, exec_lo
	v_cmpx_eq_u16_e32 0x80, v7
; %bb.1399:
	s_xor_b32 s2, exec_lo, -1
; %bb.1400:
	s_or_b32 exec_lo, exec_lo, s15
	s_and_b32 s2, s2, exec_lo
	s_or_saveexec_b32 s3, s3
	v_mov_b32_e32 v5, 0x7f800001
	s_xor_b32 exec_lo, exec_lo, s3
	s_cbranch_execnz .LBB143_1421
.LBB143_1401:
	s_or_b32 exec_lo, exec_lo, s3
	s_and_saveexec_b32 s3, s2
	s_cbranch_execz .LBB143_1403
.LBB143_1402:
	v_and_b32_e32 v5, 0xffff, v7
	v_lshlrev_b32_e32 v7, 24, v7
	v_and_b32_e32 v8, 3, v5
	v_bfe_u32 v11, v5, 2, 5
	v_and_b32_e32 v7, 0x80000000, v7
	v_ffbh_u32_e32 v9, v8
	v_cmp_eq_u32_e32 vcc_lo, 0, v11
	v_min_u32_e32 v9, 32, v9
	v_subrev_nc_u32_e32 v10, 29, v9
	v_sub_nc_u32_e32 v9, 30, v9
	v_lshlrev_b32_e32 v5, v10, v5
	v_cndmask_b32_e32 v9, v11, v9, vcc_lo
	v_and_b32_e32 v5, 3, v5
	v_cndmask_b32_e32 v5, v8, v5, vcc_lo
	v_lshl_add_u32 v8, v9, 23, 0x37800000
	v_lshlrev_b32_e32 v5, 21, v5
	v_or3_b32 v5, v7, v8, v5
.LBB143_1403:
	s_or_b32 exec_lo, exec_lo, s3
	s_mov_b32 s2, 0
	s_branch .LBB143_1409
.LBB143_1404:
	s_mov_b32 s2, -1
                                        ; implicit-def: $vgpr5
	s_branch .LBB143_1415
.LBB143_1405:
	s_or_saveexec_b32 s15, s15
	v_mov_b32_e32 v5, 0x7f800001
	s_xor_b32 exec_lo, exec_lo, s15
	s_cbranch_execz .LBB143_1389
.LBB143_1406:
	v_cmp_ne_u16_e32 vcc_lo, 0, v7
	v_mov_b32_e32 v5, 0
	s_andn2_b32 s3, s3, exec_lo
	s_and_b32 s16, vcc_lo, exec_lo
	s_or_b32 s3, s3, s16
	s_or_b32 exec_lo, exec_lo, s15
	s_and_saveexec_b32 s15, s3
	s_cbranch_execnz .LBB143_1390
	s_branch .LBB143_1391
.LBB143_1407:
	s_mov_b32 s2, -1
                                        ; implicit-def: $vgpr5
	s_branch .LBB143_1412
.LBB143_1408:
	s_mov_b32 s2, -1
                                        ; implicit-def: $vgpr5
.LBB143_1409:
	s_and_b32 vcc_lo, exec_lo, s2
	s_cbranch_vccz .LBB143_1411
; %bb.1410:
	global_load_ubyte v5, v[0:1], off
	s_waitcnt vmcnt(0)
	v_lshlrev_b32_e32 v5, 24, v5
	v_and_b32_e32 v7, 0x7f000000, v5
	v_ffbh_u32_e32 v8, v7
	v_add_nc_u32_e32 v10, 0x1000000, v7
	v_cmp_ne_u32_e32 vcc_lo, 0, v7
	v_min_u32_e32 v8, 32, v8
	v_sub_nc_u32_e64 v8, v8, 4 clamp
	v_lshlrev_b32_e32 v9, v8, v7
	v_lshlrev_b32_e32 v8, 23, v8
	v_lshrrev_b32_e32 v9, 4, v9
	v_sub_nc_u32_e32 v8, v9, v8
	v_ashrrev_i32_e32 v9, 8, v10
	v_add_nc_u32_e32 v8, 0x3c000000, v8
	v_and_or_b32 v8, 0x7f800000, v9, v8
	v_cndmask_b32_e32 v7, 0, v8, vcc_lo
	v_and_or_b32 v5, 0x80000000, v5, v7
.LBB143_1411:
	s_mov_b32 s2, 0
.LBB143_1412:
	s_andn2_b32 vcc_lo, exec_lo, s2
	s_cbranch_vccnz .LBB143_1414
; %bb.1413:
	global_load_ubyte v5, v[0:1], off
	s_waitcnt vmcnt(0)
	v_lshlrev_b32_e32 v7, 25, v5
	v_lshlrev_b16 v5, 8, v5
	v_lshrrev_b32_e32 v8, 4, v7
	v_and_or_b32 v9, 0x7f00, v5, 0.5
	v_cmp_gt_u32_e32 vcc_lo, 0x8000000, v7
	v_bfe_i32 v5, v5, 0, 16
	v_or_b32_e32 v8, 0x70000000, v8
	v_add_f32_e32 v9, -0.5, v9
	v_mul_f32_e32 v8, 0x7800000, v8
	v_cndmask_b32_e32 v7, v8, v9, vcc_lo
	v_and_or_b32 v5, 0x80000000, v5, v7
.LBB143_1414:
	s_mov_b32 s2, 0
	s_mov_b32 s3, -1
.LBB143_1415:
	s_andn2_b32 vcc_lo, exec_lo, s2
	s_mov_b32 s2, 0
	s_cbranch_vccnz .LBB143_1426
; %bb.1416:
	s_cmp_gt_i32 s4, 14
	s_cbranch_scc0 .LBB143_1419
; %bb.1417:
	s_cmp_eq_u32 s4, 15
	s_cbranch_scc0 .LBB143_1422
; %bb.1418:
	global_load_ushort v5, v[0:1], off
	s_mov_b32 s1, 0
	s_mov_b32 s3, -1
	s_waitcnt vmcnt(0)
	v_lshlrev_b32_e32 v5, 16, v5
	s_branch .LBB143_1424
.LBB143_1419:
	s_mov_b32 s2, -1
	s_branch .LBB143_1423
.LBB143_1420:
	s_or_saveexec_b32 s3, s3
	v_mov_b32_e32 v5, 0x7f800001
	s_xor_b32 exec_lo, exec_lo, s3
	s_cbranch_execz .LBB143_1401
.LBB143_1421:
	v_cmp_ne_u16_e32 vcc_lo, 0, v7
	v_mov_b32_e32 v5, 0
	s_andn2_b32 s2, s2, exec_lo
	s_and_b32 s15, vcc_lo, exec_lo
	s_or_b32 s2, s2, s15
	s_or_b32 exec_lo, exec_lo, s3
	s_and_saveexec_b32 s3, s2
	s_cbranch_execnz .LBB143_1402
	s_branch .LBB143_1403
.LBB143_1422:
	s_mov_b32 s1, -1
.LBB143_1423:
                                        ; implicit-def: $vgpr5
.LBB143_1424:
	s_and_b32 vcc_lo, exec_lo, s2
	s_mov_b32 s2, 0
	s_cbranch_vccz .LBB143_1426
; %bb.1425:
	s_cmp_lg_u32 s4, 11
	s_mov_b32 s2, -1
	s_cselect_b32 s1, -1, 0
.LBB143_1426:
	s_and_b32 vcc_lo, exec_lo, s1
	s_cbranch_vccnz .LBB143_1527
; %bb.1427:
	s_andn2_b32 vcc_lo, exec_lo, s2
	s_cbranch_vccnz .LBB143_1429
.LBB143_1428:
	global_load_ubyte v5, v[0:1], off
	s_mov_b32 s3, -1
	s_waitcnt vmcnt(0)
	v_cmp_ne_u16_e32 vcc_lo, 0, v5
	v_cndmask_b32_e64 v5, 0, 1.0, vcc_lo
.LBB143_1429:
	s_branch .LBB143_1355
.LBB143_1430:
	s_cmp_lt_i32 s4, 5
	s_cbranch_scc1 .LBB143_1435
; %bb.1431:
	s_cmp_lt_i32 s4, 8
	s_cbranch_scc1 .LBB143_1436
; %bb.1432:
	;; [unrolled: 3-line block ×3, first 2 shown]
	s_cmp_gt_i32 s4, 9
	s_cbranch_scc0 .LBB143_1438
; %bb.1434:
	global_load_dwordx2 v[7:8], v[0:1], off
	s_mov_b32 s1, 0
	s_waitcnt vmcnt(0)
	v_cvt_f32_f64_e32 v5, v[7:8]
	s_branch .LBB143_1439
.LBB143_1435:
                                        ; implicit-def: $vgpr5
	s_branch .LBB143_1457
.LBB143_1436:
	s_mov_b32 s1, -1
                                        ; implicit-def: $vgpr5
	s_branch .LBB143_1445
.LBB143_1437:
	s_mov_b32 s1, -1
                                        ; implicit-def: $vgpr5
	s_branch .LBB143_1442
.LBB143_1438:
	s_mov_b32 s1, -1
                                        ; implicit-def: $vgpr5
.LBB143_1439:
	s_andn2_b32 vcc_lo, exec_lo, s1
	s_cbranch_vccnz .LBB143_1441
; %bb.1440:
	global_load_dword v5, v[0:1], off
.LBB143_1441:
	s_mov_b32 s1, 0
.LBB143_1442:
	s_andn2_b32 vcc_lo, exec_lo, s1
	s_cbranch_vccnz .LBB143_1444
; %bb.1443:
	global_load_dword v5, v[0:1], off
	s_waitcnt vmcnt(0)
	v_cvt_f32_f16_e32 v5, v5
.LBB143_1444:
	s_mov_b32 s1, 0
.LBB143_1445:
	s_andn2_b32 vcc_lo, exec_lo, s1
	s_cbranch_vccnz .LBB143_1456
; %bb.1446:
	s_cmp_lt_i32 s4, 6
	s_cbranch_scc1 .LBB143_1449
; %bb.1447:
	s_cmp_gt_i32 s4, 6
	s_cbranch_scc0 .LBB143_1450
; %bb.1448:
	global_load_dwordx2 v[7:8], v[0:1], off
	s_mov_b32 s1, 0
	s_waitcnt vmcnt(0)
	v_cvt_f32_f64_e32 v5, v[7:8]
	s_branch .LBB143_1451
.LBB143_1449:
	s_mov_b32 s1, -1
                                        ; implicit-def: $vgpr5
	s_branch .LBB143_1454
.LBB143_1450:
	s_mov_b32 s1, -1
                                        ; implicit-def: $vgpr5
.LBB143_1451:
	s_andn2_b32 vcc_lo, exec_lo, s1
	s_cbranch_vccnz .LBB143_1453
; %bb.1452:
	global_load_dword v5, v[0:1], off
.LBB143_1453:
	s_mov_b32 s1, 0
.LBB143_1454:
	s_andn2_b32 vcc_lo, exec_lo, s1
	s_cbranch_vccnz .LBB143_1456
; %bb.1455:
	global_load_ushort v5, v[0:1], off
	s_waitcnt vmcnt(0)
	v_cvt_f32_f16_e32 v5, v5
.LBB143_1456:
	s_cbranch_execnz .LBB143_1476
.LBB143_1457:
	s_cmp_lt_i32 s4, 2
	s_cbranch_scc1 .LBB143_1461
; %bb.1458:
	s_cmp_lt_i32 s4, 3
	s_cbranch_scc1 .LBB143_1462
; %bb.1459:
	s_cmp_gt_i32 s4, 3
	s_cbranch_scc0 .LBB143_1463
; %bb.1460:
	global_load_dwordx2 v[7:8], v[0:1], off
	s_mov_b32 s1, 0
	s_waitcnt vmcnt(0)
	v_xor_b32_e32 v5, v7, v8
	v_ffbh_i32_e32 v9, v8
	v_ashrrev_i32_e32 v5, 31, v5
	v_add_nc_u32_e32 v9, -1, v9
	v_add_nc_u32_e32 v5, 32, v5
	v_min_u32_e32 v5, v9, v5
	v_lshlrev_b64 v[7:8], v5, v[7:8]
	v_sub_nc_u32_e32 v5, 32, v5
	v_min_u32_e32 v7, 1, v7
	v_or_b32_e32 v7, v8, v7
	v_cvt_f32_i32_e32 v7, v7
	v_ldexp_f32 v5, v7, v5
	s_branch .LBB143_1464
.LBB143_1461:
	s_mov_b32 s1, -1
                                        ; implicit-def: $vgpr5
	s_branch .LBB143_1470
.LBB143_1462:
	s_mov_b32 s1, -1
                                        ; implicit-def: $vgpr5
	s_branch .LBB143_1467
.LBB143_1463:
	s_mov_b32 s1, -1
                                        ; implicit-def: $vgpr5
.LBB143_1464:
	s_andn2_b32 vcc_lo, exec_lo, s1
	s_cbranch_vccnz .LBB143_1466
; %bb.1465:
	global_load_dword v5, v[0:1], off
	s_waitcnt vmcnt(0)
	v_cvt_f32_i32_e32 v5, v5
.LBB143_1466:
	s_mov_b32 s1, 0
.LBB143_1467:
	s_andn2_b32 vcc_lo, exec_lo, s1
	s_cbranch_vccnz .LBB143_1469
; %bb.1468:
	global_load_sshort v5, v[0:1], off
	s_waitcnt vmcnt(0)
	v_cvt_f32_i32_e32 v5, v5
.LBB143_1469:
	s_mov_b32 s1, 0
.LBB143_1470:
	s_andn2_b32 vcc_lo, exec_lo, s1
	s_cbranch_vccnz .LBB143_1476
; %bb.1471:
	s_cmp_gt_i32 s4, 0
	s_mov_b32 s1, 0
	s_cbranch_scc0 .LBB143_1473
; %bb.1472:
	global_load_sbyte v5, v[0:1], off
	s_waitcnt vmcnt(0)
	v_cvt_f32_i32_e32 v5, v5
	s_branch .LBB143_1474
.LBB143_1473:
	s_mov_b32 s1, -1
                                        ; implicit-def: $vgpr5
.LBB143_1474:
	s_andn2_b32 vcc_lo, exec_lo, s1
	s_cbranch_vccnz .LBB143_1476
; %bb.1475:
	global_load_ubyte v0, v[0:1], off
	s_waitcnt vmcnt(0)
	v_cvt_f32_ubyte0_e32 v5, v0
.LBB143_1476:
.LBB143_1477:
	s_waitcnt vmcnt(0)
	v_and_b32_e32 v0, 0x7fffffff, v5
	s_mov_b32 s2, exec_lo
                                        ; implicit-def: $vgpr7
	v_cmpx_ngt_f32_e64 0x3c800000, |v5|
	s_xor_b32 s2, exec_lo, s2
	s_cbranch_execz .LBB143_1507
; %bb.1478:
	s_mov_b32 s3, exec_lo
                                        ; implicit-def: $vgpr7
	v_cmpx_nlt_f32_e64 |v5|, 2.0
	s_xor_b32 s3, exec_lo, s3
	s_cbranch_execz .LBB143_1488
; %bb.1479:
	v_cmp_ngt_f32_e64 s1, 0x41000000, |v5|
                                        ; implicit-def: $vgpr7
	s_and_saveexec_b32 s15, s1
	s_xor_b32 s1, exec_lo, s15
	s_cbranch_execz .LBB143_1485
; %bb.1480:
	v_cmp_ngt_f32_e64 s15, 0x5c800000, |v5|
                                        ; implicit-def: $vgpr7
	s_and_saveexec_b32 s16, s15
	s_xor_b32 s15, exec_lo, s16
	s_cbranch_execz .LBB143_1482
; %bb.1481:
	v_cmp_gt_f32_e64 s16, 0x800000, |v5|
	v_cndmask_b32_e64 v1, 0, 32, s16
	v_ldexp_f32 v1, |v5|, v1
	v_log_f32_e32 v1, v1
	v_mul_f32_e32 v7, 0x3f317217, v1
	v_cmp_gt_f32_e64 vcc_lo, 0x7f800000, |v1|
	v_fma_f32 v8, 0x3f317217, v1, -v7
	v_fmamk_f32 v8, v1, 0x3377d1cf, v8
	v_add_f32_e32 v7, v7, v8
	v_cndmask_b32_e32 v1, v1, v7, vcc_lo
	v_cndmask_b32_e64 v7, 0, 0x41b17218, s16
	v_sub_f32_e32 v1, v1, v7
	v_fma_f32 v7, |v5|, v1, -|v5|
.LBB143_1482:
	s_andn2_saveexec_b32 s15, s15
	s_cbranch_execz .LBB143_1484
; %bb.1483:
	v_cmp_gt_f32_e64 s16, 0x800000, |v5|
	v_rcp_f32_e64 v7, |v5|
	s_mov_b32 s17, 0xbad5c4e8
	v_cndmask_b32_e64 v1, 0, 32, s16
	v_ldexp_f32 v1, |v5|, v1
	v_mul_f32_e32 v8, v7, v7
	v_log_f32_e32 v1, v1
	v_fmaak_f32 v10, s17, v8, 0x3a5b3dd2
	v_fmaak_f32 v10, v8, v10, 0xba1c065c
	v_mul_f32_e32 v9, 0x3f317217, v1
	v_fmaak_f32 v10, v8, v10, 0x3a500cfd
	v_cmp_gt_f32_e64 vcc_lo, 0x7f800000, |v1|
	v_fma_f32 v11, 0x3f317217, v1, -v9
	v_fmaak_f32 v10, v8, v10, 0xbb360b61
	v_fmamk_f32 v11, v1, 0x3377d1cf, v11
	v_fmaak_f32 v8, v8, v10, 0x3daaaaab
	v_add_f32_e32 v9, v9, v11
	v_fmaak_f32 v7, v7, v8, 0x3ed67f1d
	v_add_f32_e64 v8, |v5|, -0.5
	v_cndmask_b32_e32 v1, v1, v9, vcc_lo
	v_cndmask_b32_e64 v9, 0, 0x41b17218, s16
	v_sub_f32_e32 v1, v1, v9
	v_add_f32_e32 v1, -1.0, v1
	v_fmac_f32_e32 v7, v8, v1
.LBB143_1484:
	s_or_b32 exec_lo, exec_lo, s15
.LBB143_1485:
	s_andn2_saveexec_b32 s15, s1
	s_cbranch_execz .LBB143_1487
; %bb.1486:
	v_cvt_i32_f32_e32 v1, v0
	s_mov_b32 s1, 0x36f5d7bd
	s_mov_b32 s16, 0x3805ff67
	v_cvt_f32_i32_e32 v7, v1
	v_cmp_lt_i32_e32 vcc_lo, 2, v1
	v_sub_f32_e64 v7, |v5|, v7
	v_add_f32_e32 v8, 2.0, v7
	v_add_f32_e32 v9, 0x40400000, v7
	v_add_f32_e32 v10, 4.0, v7
	v_add_f32_e32 v11, 0x40a00000, v7
	v_cndmask_b32_e32 v8, 1.0, v8, vcc_lo
	v_cmp_lt_i32_e32 vcc_lo, 3, v1
	v_cndmask_b32_e32 v9, 1.0, v9, vcc_lo
	v_cmp_lt_i32_e32 vcc_lo, 4, v1
	v_mul_f32_e32 v8, v8, v9
	v_cndmask_b32_e32 v10, 1.0, v10, vcc_lo
	v_cmp_lt_i32_e32 vcc_lo, 5, v1
	v_add_f32_e32 v9, 0x40c00000, v7
	v_mul_f32_e32 v8, v10, v8
	v_cndmask_b32_e32 v11, 1.0, v11, vcc_lo
	v_cmp_lt_i32_e32 vcc_lo, 6, v1
	v_fmaak_f32 v10, s16, v7, 0x3af135b4
	v_mul_f32_e32 v8, v11, v8
	v_cndmask_b32_e32 v1, 1.0, v9, vcc_lo
	v_mul_f32_e32 v1, v1, v8
	v_fmaak_f32 v8, s1, v7, 0x3a4beed6
	v_cmp_gt_f32_e32 vcc_lo, 0x800000, v1
	v_fmaak_f32 v8, v7, v8, 0x3c98bf54
	v_cndmask_b32_e64 v9, 0, 32, vcc_lo
	v_fmaak_f32 v8, v7, v8, 0x3e300f6e
	v_ldexp_f32 v1, v1, v9
	v_fmaak_f32 v9, v7, v10, 0x3cda40e4
	v_fmaak_f32 v8, v7, v8, 0x3f38d0c5
	v_log_f32_e32 v1, v1
	v_fmaak_f32 v9, v7, v9, 0x3e15dce6
	v_fmaak_f32 v8, v7, v8, 0x3fb22d3b
	;; [unrolled: 1-line block ×3, first 2 shown]
	v_fma_f32 v8, v7, v8, 1.0
	v_mul_f32_e32 v10, 0x3f317217, v1
	v_fmaak_f32 v9, v7, v9, 0x3e5c245a
	v_rcp_f32_e32 v8, v8
	v_cmp_gt_f32_e64 s1, 0x7f800000, |v1|
	v_fma_f32 v11, 0x3f317217, v1, -v10
	v_fmaak_f32 v9, v7, v9, 0xbd9e233f
	v_fmamk_f32 v11, v1, 0x3377d1cf, v11
	v_mul_f32_e32 v9, v7, v9
	v_add_f32_e32 v10, v10, v11
	v_mul_f32_e32 v8, v9, v8
	v_cndmask_b32_e64 v9, 0, 0x41b17218, vcc_lo
	v_cndmask_b32_e64 v1, v1, v10, s1
	v_fmac_f32_e32 v8, 0.5, v7
	v_sub_f32_e32 v1, v1, v9
	v_add_f32_e32 v7, v1, v8
.LBB143_1487:
	s_or_b32 exec_lo, exec_lo, s15
.LBB143_1488:
	s_andn2_saveexec_b32 s3, s3
	s_cbranch_execz .LBB143_1506
; %bb.1489:
	s_mov_b32 s15, exec_lo
                                        ; implicit-def: $vgpr7
                                        ; implicit-def: $vgpr8
                                        ; implicit-def: $vgpr1
	v_cmpx_ge_f32_e64 0x3f666666, |v5|
	s_xor_b32 s15, exec_lo, s15
	s_cbranch_execz .LBB143_1491
; %bb.1490:
	v_cmp_gt_f32_e64 s1, 0x800000, |v5|
	v_sub_f32_e64 v9, 1.0, |v5|
	v_cmp_gt_f32_e64 vcc_lo, 0x3f3b4a23, |v5|
	v_cndmask_b32_e64 v1, 0, 32, s1
	v_cndmask_b32_e64 v10, 0, 0x41b17218, s1
	v_ldexp_f32 v1, |v5|, v1
	v_log_f32_e32 v1, v1
	v_mul_f32_e32 v7, 0x3f317217, v1
	v_cmp_gt_f32_e64 s1, 0x7f800000, |v1|
	v_fma_f32 v8, 0x3f317217, v1, -v7
	v_fmamk_f32 v8, v1, 0x3377d1cf, v8
	v_add_f32_e32 v7, v7, v8
	v_add_f32_e64 v8, 0xbeec5b0c, |v5|
	v_cndmask_b32_e64 v1, v1, v7, s1
	v_cndmask_b32_e32 v7, v9, v8, vcc_lo
	v_cndmask_b32_e64 v8, 0, 1, vcc_lo
	v_cmp_gt_f32_e64 s1, 0x3e6d3309, |v5|
	v_sub_f32_e32 v9, v1, v10
	v_cndmask_b32_e64 v1, v7, |v5|, s1
	v_cndmask_b32_e64 v8, v8, 2, s1
	v_xor_b32_e32 v7, 0x80000000, v9
.LBB143_1491:
	s_andn2_saveexec_b32 s1, s15
	s_cbranch_execz .LBB143_1493
; %bb.1492:
	v_sub_f32_e64 v1, 2.0, |v5|
	v_add_f32_e64 v7, 0xbfbb16c3, |v5|
	v_cmp_gt_f32_e64 vcc_lo, 0x3fdda512, |v5|
	v_add_f32_e64 v8, |v5|, -1.0
	v_cndmask_b32_e32 v7, v1, v7, vcc_lo
	v_cndmask_b32_e64 v1, v1, 1.0, vcc_lo
	v_cmp_gt_f32_e64 vcc_lo, 0x3f9d70a4, |v5|
	v_cvt_i32_f32_e32 v9, v1
	v_cndmask_b32_e32 v1, v7, v8, vcc_lo
	v_mov_b32_e32 v7, 0
	v_cndmask_b32_e64 v8, v9, 2, vcc_lo
.LBB143_1493:
	s_or_b32 exec_lo, exec_lo, s1
	s_mov_b32 s1, exec_lo
	v_cmpx_lt_i32_e32 0, v8
	s_xor_b32 s1, exec_lo, s1
	s_cbranch_execz .LBB143_1501
; %bb.1494:
	s_mov_b32 s15, exec_lo
	v_cmpx_lt_i32_e32 1, v8
	s_xor_b32 s15, exec_lo, s15
	s_cbranch_execz .LBB143_1498
; %bb.1495:
	s_mov_b32 s16, exec_lo
	v_cmpx_eq_u32_e32 2, v8
	s_cbranch_execz .LBB143_1497
; %bb.1496:
	s_mov_b32 s17, 0x3b52d5db
	v_fmaak_f32 v8, s17, v1, 0x3dd572af
	s_mov_b32 s17, 0x3c5b3c5e
	v_fmaak_f32 v9, s17, v1, 0x3e6a7578
	v_fmaak_f32 v8, v1, v8, 0x3f44efdf
	;; [unrolled: 1-line block ×7, first 2 shown]
	v_fma_f32 v8, v1, v8, 1.0
	v_fmaak_f32 v9, v1, v9, 0xbd9e233f
	v_rcp_f32_e32 v8, v8
	v_mul_f32_e32 v9, v1, v9
	v_mul_f32_e32 v8, v9, v8
	v_fmac_f32_e32 v8, -0.5, v1
	v_add_f32_e32 v7, v7, v8
.LBB143_1497:
	s_or_b32 exec_lo, exec_lo, s16
                                        ; implicit-def: $vgpr1
.LBB143_1498:
	s_andn2_saveexec_b32 s15, s15
	s_cbranch_execz .LBB143_1500
; %bb.1499:
	v_mul_f32_e32 v8, v1, v1
	s_mov_b32 s16, 0xb9a3f927
	s_mov_b32 s17, 0x39afe9f7
	v_mul_f32_e32 v9, v1, v8
	v_fmaak_f32 v10, s16, v9, 0x3a66f867
	v_fmaak_f32 v11, s17, v9, 0xba0d3085
	s_mov_b32 s16, 0x39a57b6b
	v_fmaak_f32 v12, s16, v9, 0xbab7f476
	v_fmaak_f32 v10, v9, v10, 0xbb7177fe
	;; [unrolled: 1-line block ×9, first 2 shown]
	v_fmac_f32_e32 v10, v1, v11
	v_fmaak_f32 v1, v9, v12, 0x3ef7b95e
	v_fma_f32 v9, v9, -v10, 0xa2863e55
	v_fma_f32 v1, v8, v1, -v9
	v_add_f32_e32 v1, 0xbdf8cdce, v1
	v_add_f32_e32 v7, v7, v1
.LBB143_1500:
	s_or_b32 exec_lo, exec_lo, s15
                                        ; implicit-def: $vgpr8
                                        ; implicit-def: $vgpr1
.LBB143_1501:
	s_andn2_saveexec_b32 s1, s1
	s_cbranch_execz .LBB143_1505
; %bb.1502:
	s_mov_b32 s15, exec_lo
	v_cmpx_eq_u32_e32 0, v8
	s_cbranch_execz .LBB143_1504
; %bb.1503:
	v_mul_f32_e32 v8, v1, v1
	s_mov_b32 s16, 0x383c2c75
	v_fmaak_f32 v9, s16, v8, 0x38e28445
	s_mov_b32 s16, 0x37d383a2
	v_fmaak_f32 v10, s16, v8, 0x39679767
	v_fmaak_f32 v9, v8, v9, 0x3a05b634
	;; [unrolled: 1-line block ×9, first 2 shown]
	v_mul_f32_e32 v8, v8, v9
	v_fmac_f32_e32 v8, v1, v10
	v_fmac_f32_e32 v8, -0.5, v1
	v_add_f32_e32 v7, v7, v8
.LBB143_1504:
	s_or_b32 exec_lo, exec_lo, s15
.LBB143_1505:
	s_or_b32 exec_lo, exec_lo, s1
.LBB143_1506:
	s_or_b32 exec_lo, exec_lo, s3
.LBB143_1507:
	s_andn2_saveexec_b32 s1, s2
	s_cbranch_execz .LBB143_1509
; %bb.1508:
	v_cmp_gt_f32_e64 s2, 0x800000, |v5|
	s_mov_b32 s3, 0x3e8a8991
	v_fma_f32 v9, |v5|, s3, 0xbecd26ab
	v_cndmask_b32_e64 v1, 0, 32, s2
	v_ldexp_f32 v1, |v5|, v1
	v_log_f32_e32 v1, v1
	v_mul_f32_e32 v7, 0x3f317217, v1
	v_cmp_gt_f32_e64 vcc_lo, 0x7f800000, |v1|
	v_fma_f32 v8, 0x3f317217, v1, -v7
	v_fmamk_f32 v8, v1, 0x3377d1cf, v8
	v_add_f32_e32 v7, v7, v8
	v_fma_f32 v8, |v5|, v9, 0x3f528d33
	v_cndmask_b32_e32 v1, v1, v7, vcc_lo
	v_cndmask_b32_e64 v7, 0, 0x41b17218, s2
	v_fma_f32 v8, |v5|, v8, 0xbf13c468
	v_sub_f32_e32 v1, v1, v7
	v_fma_f32 v7, |v5|, v8, -v1
.LBB143_1509:
	s_or_b32 exec_lo, exec_lo, s1
	v_cmp_le_f32_e64 s1, 0, v5
	s_mov_b32 s2, exec_lo
	v_cmpx_nle_f32_e32 0, v5
	s_xor_b32 s3, exec_lo, s2
	s_cbranch_execz .LBB143_1513
; %bb.1510:
	v_cmp_gt_f32_e64 s2, 0x4b000000, |v5|
	v_cmp_lt_f32_e64 s15, 0x35000000, |v5|
	s_and_b32 s2, s2, s15
	s_and_saveexec_b32 s15, s2
	s_cbranch_execz .LBB143_1512
; %bb.1511:
	v_mul_f32_e64 v1, |v5|, 0.5
	v_cmp_gt_f32_e64 s2, |v5|, 1.0
	s_mov_b32 s16, 0x3d4be544
	v_xor_b32_e32 v0, v0, v5
	v_floor_f32_e32 v8, v1
	v_cmp_neq_f32_e32 vcc_lo, 0x7f800000, v1
	v_sub_f32_e32 v8, v1, v8
	v_min_f32_e32 v8, 0x3f7fffff, v8
	v_add_f32_e32 v8, v8, v8
	v_cndmask_b32_e32 v1, 0, v8, vcc_lo
	v_cndmask_b32_e64 v1, |v5|, v1, s2
	s_mov_b32 s2, 0x3e75aa41
	v_add_f32_e32 v8, v1, v1
	v_rndne_f32_e32 v8, v8
	v_fmac_f32_e32 v1, -0.5, v8
	v_cvt_i32_f32_e32 v8, v8
	v_mul_f32_e32 v9, v1, v1
	v_fmaak_f32 v10, s2, v9, 0xbf1f24be
	v_fmaak_f32 v11, s16, v9, 0x3e642e9d
	v_mul_f32_e32 v12, v1, v9
	v_fmaak_f32 v10, v9, v10, 0x40234736
	v_fmaak_f32 v11, v9, v11, 0xbfaad1da
	;; [unrolled: 1-line block ×4, first 2 shown]
	v_mul_f32_e32 v10, v12, v10
	v_fmaak_f32 v11, v9, v11, 0xc09de9e6
	v_and_b32_e32 v12, 1, v8
	v_lshlrev_b32_e32 v8, 30, v8
	v_fmamk_f32 v1, v1, 0x40490fdb, v10
	v_fma_f32 v9, v9, v11, 1.0
	v_cmp_eq_u32_e32 vcc_lo, 0, v12
	v_and_b32_e32 v8, 0x80000000, v8
	v_cndmask_b32_e32 v1, v9, v1, vcc_lo
	v_xor3_b32 v0, v0, v8, v1
	v_mul_f32_e32 v0, v5, v0
	v_frexp_mant_f32_e64 v1, |v0|
	v_frexp_exp_i32_f32_e32 v0, v0
	v_rcp_f32_e32 v1, v1
	v_sub_nc_u32_e32 v0, 2, v0
	v_mul_f32_e32 v1, 0x3f490fdb, v1
	v_ldexp_f32 v0, v1, v0
	v_cmp_gt_f32_e32 vcc_lo, 0x800000, v0
	v_cndmask_b32_e64 v1, 0, 32, vcc_lo
	v_ldexp_f32 v0, v0, v1
	v_log_f32_e32 v0, v0
	v_mul_f32_e32 v1, 0x3f317217, v0
	v_cmp_gt_f32_e64 s2, 0x7f800000, |v0|
	v_fma_f32 v8, 0x3f317217, v0, -v1
	v_fmamk_f32 v8, v0, 0x3377d1cf, v8
	v_add_f32_e32 v1, v1, v8
	v_floor_f32_e32 v8, v5
	v_cndmask_b32_e64 v0, v0, v1, s2
	v_cndmask_b32_e64 v1, 0, 0x41b17218, vcc_lo
	v_sub_f32_e32 v8, v5, v8
	v_sub_f32_e32 v0, v0, v1
	v_min_f32_e32 v1, 0x3f7fffff, v8
	v_sub_f32_e32 v0, v0, v7
	v_cmp_neq_f32_e32 vcc_lo, 0, v1
	v_cndmask_b32_e32 v7, 0x7f800000, v0, vcc_lo
.LBB143_1512:
	s_or_b32 exec_lo, exec_lo, s15
.LBB143_1513:
	s_andn2_saveexec_b32 s3, s3
; %bb.1514:
	v_cmp_eq_f32_e32 vcc_lo, 1.0, v5
	v_cmp_eq_f32_e64 s2, 2.0, v5
	s_or_b32 s2, vcc_lo, s2
	v_cndmask_b32_e64 v7, v7, 0, s2
; %bb.1515:
	s_or_b32 exec_lo, exec_lo, s3
	v_add_nc_u32_e32 v8, s13, v6
	s_cmp_lt_i32 s4, 11
	v_ashrrev_i32_e32 v1, 31, v8
	v_add_co_u32 v0, vcc_lo, s10, v8
	v_add_co_ci_u32_e64 v1, null, s11, v1, vcc_lo
	s_cbranch_scc1 .LBB143_1522
; %bb.1516:
	s_cmp_gt_i32 s4, 25
	s_mov_b32 s3, 0
	s_cbranch_scc0 .LBB143_1524
; %bb.1517:
	s_cmp_gt_i32 s4, 28
	s_cbranch_scc0 .LBB143_1525
; %bb.1518:
	s_cmp_gt_i32 s4, 43
	;; [unrolled: 3-line block ×3, first 2 shown]
	s_cbranch_scc0 .LBB143_1528
; %bb.1520:
	s_cmp_eq_u32 s4, 46
	s_mov_b32 s16, 0
	s_cbranch_scc0 .LBB143_1529
; %bb.1521:
	global_load_dword v6, v[0:1], off
	s_mov_b32 s2, 0
	s_mov_b32 s15, -1
	s_waitcnt vmcnt(0)
	v_lshlrev_b32_e32 v6, 16, v6
	s_branch .LBB143_1531
.LBB143_1522:
	s_mov_b32 s15, 0
                                        ; implicit-def: $vgpr6
	s_cbranch_execnz .LBB143_1597
.LBB143_1523:
	s_andn2_b32 vcc_lo, exec_lo, s15
	s_cbranch_vccnz .LBB143_2285
	s_branch .LBB143_1645
.LBB143_1524:
	s_mov_b32 s16, -1
	s_mov_b32 s15, 0
	s_mov_b32 s2, 0
                                        ; implicit-def: $vgpr6
	s_branch .LBB143_1560
.LBB143_1525:
	s_mov_b32 s16, -1
	s_mov_b32 s15, 0
	s_mov_b32 s2, 0
                                        ; implicit-def: $vgpr6
	s_branch .LBB143_1541
.LBB143_1526:
	s_mov_b32 s16, -1
	s_mov_b32 s15, 0
	s_mov_b32 s2, 0
                                        ; implicit-def: $vgpr6
	s_branch .LBB143_1536
.LBB143_1527:
	s_or_b32 s14, s14, exec_lo
	s_trap 2
	s_cbranch_execz .LBB143_1428
	s_branch .LBB143_1429
.LBB143_1528:
	s_mov_b32 s16, -1
	s_mov_b32 s15, 0
	s_mov_b32 s2, 0
	s_branch .LBB143_1530
.LBB143_1529:
	s_mov_b32 s2, -1
	s_mov_b32 s15, 0
.LBB143_1530:
                                        ; implicit-def: $vgpr6
.LBB143_1531:
	s_and_b32 vcc_lo, exec_lo, s16
	s_cbranch_vccz .LBB143_1535
; %bb.1532:
	s_cmp_eq_u32 s4, 44
	s_cbranch_scc0 .LBB143_1534
; %bb.1533:
	global_load_ubyte v6, v[0:1], off
	s_mov_b32 s2, 0
	s_mov_b32 s15, -1
	s_waitcnt vmcnt(0)
	v_lshlrev_b32_e32 v9, 23, v6
	v_cmp_ne_u32_e32 vcc_lo, 0xff, v6
	v_cndmask_b32_e32 v9, 0x7f800001, v9, vcc_lo
	v_cmp_ne_u32_e32 vcc_lo, 0, v6
	v_cndmask_b32_e32 v6, 0x400000, v9, vcc_lo
	s_branch .LBB143_1535
.LBB143_1534:
	s_mov_b32 s2, -1
                                        ; implicit-def: $vgpr6
.LBB143_1535:
	s_mov_b32 s16, 0
.LBB143_1536:
	s_and_b32 vcc_lo, exec_lo, s16
	s_cbranch_vccz .LBB143_1540
; %bb.1537:
	s_cmp_eq_u32 s4, 29
	s_cbranch_scc0 .LBB143_1539
; %bb.1538:
	global_load_dwordx2 v[9:10], v[0:1], off
	s_mov_b32 s2, 0
	s_mov_b32 s15, -1
	s_mov_b32 s16, 0
	s_waitcnt vmcnt(0)
	v_ffbh_u32_e32 v6, v10
	v_min_u32_e32 v6, 32, v6
	v_lshlrev_b64 v[9:10], v6, v[9:10]
	v_sub_nc_u32_e32 v6, 32, v6
	v_min_u32_e32 v9, 1, v9
	v_or_b32_e32 v9, v10, v9
	v_cvt_f32_u32_e32 v9, v9
	v_ldexp_f32 v6, v9, v6
	s_branch .LBB143_1541
.LBB143_1539:
	s_mov_b32 s2, -1
                                        ; implicit-def: $vgpr6
.LBB143_1540:
	s_mov_b32 s16, 0
.LBB143_1541:
	s_and_b32 vcc_lo, exec_lo, s16
	s_cbranch_vccz .LBB143_1559
; %bb.1542:
	s_cmp_lt_i32 s4, 27
	s_cbranch_scc1 .LBB143_1545
; %bb.1543:
	s_cmp_gt_i32 s4, 27
	s_cbranch_scc0 .LBB143_1546
; %bb.1544:
	global_load_dword v6, v[0:1], off
	s_mov_b32 s15, 0
	s_waitcnt vmcnt(0)
	v_cvt_f32_u32_e32 v6, v6
	s_branch .LBB143_1547
.LBB143_1545:
	s_mov_b32 s15, -1
                                        ; implicit-def: $vgpr6
	s_branch .LBB143_1550
.LBB143_1546:
	s_mov_b32 s15, -1
                                        ; implicit-def: $vgpr6
.LBB143_1547:
	s_andn2_b32 vcc_lo, exec_lo, s15
	s_cbranch_vccnz .LBB143_1549
; %bb.1548:
	global_load_ushort v6, v[0:1], off
	s_waitcnt vmcnt(0)
	v_cvt_f32_u32_e32 v6, v6
.LBB143_1549:
	s_mov_b32 s15, 0
.LBB143_1550:
	s_andn2_b32 vcc_lo, exec_lo, s15
	s_cbranch_vccnz .LBB143_1558
; %bb.1551:
	global_load_ubyte v9, v[0:1], off
	s_mov_b32 s15, 0
	s_mov_b32 s16, exec_lo
	s_waitcnt vmcnt(0)
	v_cmpx_lt_i16_e32 0x7f, v9
	s_xor_b32 s16, exec_lo, s16
	s_cbranch_execz .LBB143_1572
; %bb.1552:
	s_mov_b32 s15, -1
	s_mov_b32 s17, exec_lo
	v_cmpx_eq_u16_e32 0x80, v9
; %bb.1553:
	s_xor_b32 s15, exec_lo, -1
; %bb.1554:
	s_or_b32 exec_lo, exec_lo, s17
	s_and_b32 s15, s15, exec_lo
	s_or_saveexec_b32 s16, s16
	v_mov_b32_e32 v6, 0x7f800001
	s_xor_b32 exec_lo, exec_lo, s16
	s_cbranch_execnz .LBB143_1573
.LBB143_1555:
	s_or_b32 exec_lo, exec_lo, s16
	s_and_saveexec_b32 s16, s15
	s_cbranch_execz .LBB143_1557
.LBB143_1556:
	v_and_b32_e32 v6, 0xffff, v9
	v_lshlrev_b32_e32 v9, 24, v9
	v_and_b32_e32 v10, 7, v6
	v_bfe_u32 v13, v6, 3, 4
	v_and_b32_e32 v9, 0x80000000, v9
	v_ffbh_u32_e32 v11, v10
	v_cmp_eq_u32_e32 vcc_lo, 0, v13
	v_min_u32_e32 v11, 32, v11
	v_subrev_nc_u32_e32 v12, 28, v11
	v_sub_nc_u32_e32 v11, 29, v11
	v_lshlrev_b32_e32 v6, v12, v6
	v_cndmask_b32_e32 v11, v13, v11, vcc_lo
	v_and_b32_e32 v6, 7, v6
	v_cndmask_b32_e32 v6, v10, v6, vcc_lo
	v_lshl_add_u32 v10, v11, 23, 0x3b800000
	v_lshlrev_b32_e32 v6, 20, v6
	v_or3_b32 v6, v9, v10, v6
.LBB143_1557:
	s_or_b32 exec_lo, exec_lo, s16
.LBB143_1558:
	s_mov_b32 s15, -1
.LBB143_1559:
	s_mov_b32 s16, 0
.LBB143_1560:
	s_and_b32 vcc_lo, exec_lo, s16
	s_cbranch_vccz .LBB143_1593
; %bb.1561:
	s_cmp_gt_i32 s4, 22
	s_cbranch_scc0 .LBB143_1571
; %bb.1562:
	s_cmp_lt_i32 s4, 24
	s_cbranch_scc1 .LBB143_1574
; %bb.1563:
	s_cmp_gt_i32 s4, 24
	s_cbranch_scc0 .LBB143_1575
; %bb.1564:
	global_load_ubyte v9, v[0:1], off
	s_mov_b32 s15, exec_lo
	s_waitcnt vmcnt(0)
	v_cmpx_lt_i16_e32 0x7f, v9
	s_xor_b32 s15, exec_lo, s15
	s_cbranch_execz .LBB143_1587
; %bb.1565:
	s_mov_b32 s3, -1
	s_mov_b32 s16, exec_lo
	v_cmpx_eq_u16_e32 0x80, v9
; %bb.1566:
	s_xor_b32 s3, exec_lo, -1
; %bb.1567:
	s_or_b32 exec_lo, exec_lo, s16
	s_and_b32 s3, s3, exec_lo
	s_or_saveexec_b32 s15, s15
	v_mov_b32_e32 v6, 0x7f800001
	s_xor_b32 exec_lo, exec_lo, s15
	s_cbranch_execnz .LBB143_1588
.LBB143_1568:
	s_or_b32 exec_lo, exec_lo, s15
	s_and_saveexec_b32 s15, s3
	s_cbranch_execz .LBB143_1570
.LBB143_1569:
	v_and_b32_e32 v6, 0xffff, v9
	v_lshlrev_b32_e32 v9, 24, v9
	v_and_b32_e32 v10, 3, v6
	v_bfe_u32 v13, v6, 2, 5
	v_and_b32_e32 v9, 0x80000000, v9
	v_ffbh_u32_e32 v11, v10
	v_cmp_eq_u32_e32 vcc_lo, 0, v13
	v_min_u32_e32 v11, 32, v11
	v_subrev_nc_u32_e32 v12, 29, v11
	v_sub_nc_u32_e32 v11, 30, v11
	v_lshlrev_b32_e32 v6, v12, v6
	v_cndmask_b32_e32 v11, v13, v11, vcc_lo
	v_and_b32_e32 v6, 3, v6
	v_cndmask_b32_e32 v6, v10, v6, vcc_lo
	v_lshl_add_u32 v10, v11, 23, 0x37800000
	v_lshlrev_b32_e32 v6, 21, v6
	v_or3_b32 v6, v9, v10, v6
.LBB143_1570:
	s_or_b32 exec_lo, exec_lo, s15
	s_mov_b32 s3, 0
	s_branch .LBB143_1576
.LBB143_1571:
	s_mov_b32 s3, -1
                                        ; implicit-def: $vgpr6
	s_branch .LBB143_1582
.LBB143_1572:
	s_or_saveexec_b32 s16, s16
	v_mov_b32_e32 v6, 0x7f800001
	s_xor_b32 exec_lo, exec_lo, s16
	s_cbranch_execz .LBB143_1555
.LBB143_1573:
	v_cmp_ne_u16_e32 vcc_lo, 0, v9
	v_mov_b32_e32 v6, 0
	s_andn2_b32 s15, s15, exec_lo
	s_and_b32 s17, vcc_lo, exec_lo
	s_or_b32 s15, s15, s17
	s_or_b32 exec_lo, exec_lo, s16
	s_and_saveexec_b32 s16, s15
	s_cbranch_execnz .LBB143_1556
	s_branch .LBB143_1557
.LBB143_1574:
	s_mov_b32 s3, -1
                                        ; implicit-def: $vgpr6
	s_branch .LBB143_1579
.LBB143_1575:
	s_mov_b32 s3, -1
                                        ; implicit-def: $vgpr6
.LBB143_1576:
	s_and_b32 vcc_lo, exec_lo, s3
	s_cbranch_vccz .LBB143_1578
; %bb.1577:
	global_load_ubyte v6, v[0:1], off
	s_waitcnt vmcnt(0)
	v_lshlrev_b32_e32 v6, 24, v6
	v_and_b32_e32 v9, 0x7f000000, v6
	v_ffbh_u32_e32 v10, v9
	v_add_nc_u32_e32 v12, 0x1000000, v9
	v_cmp_ne_u32_e32 vcc_lo, 0, v9
	v_min_u32_e32 v10, 32, v10
	v_sub_nc_u32_e64 v10, v10, 4 clamp
	v_lshlrev_b32_e32 v11, v10, v9
	v_lshlrev_b32_e32 v10, 23, v10
	v_lshrrev_b32_e32 v11, 4, v11
	v_sub_nc_u32_e32 v10, v11, v10
	v_ashrrev_i32_e32 v11, 8, v12
	v_add_nc_u32_e32 v10, 0x3c000000, v10
	v_and_or_b32 v10, 0x7f800000, v11, v10
	v_cndmask_b32_e32 v9, 0, v10, vcc_lo
	v_and_or_b32 v6, 0x80000000, v6, v9
.LBB143_1578:
	s_mov_b32 s3, 0
.LBB143_1579:
	s_andn2_b32 vcc_lo, exec_lo, s3
	s_cbranch_vccnz .LBB143_1581
; %bb.1580:
	global_load_ubyte v6, v[0:1], off
	s_waitcnt vmcnt(0)
	v_lshlrev_b32_e32 v9, 25, v6
	v_lshlrev_b16 v6, 8, v6
	v_lshrrev_b32_e32 v10, 4, v9
	v_and_or_b32 v11, 0x7f00, v6, 0.5
	v_cmp_gt_u32_e32 vcc_lo, 0x8000000, v9
	v_bfe_i32 v6, v6, 0, 16
	v_or_b32_e32 v10, 0x70000000, v10
	v_add_f32_e32 v11, -0.5, v11
	v_mul_f32_e32 v10, 0x7800000, v10
	v_cndmask_b32_e32 v9, v10, v11, vcc_lo
	v_and_or_b32 v6, 0x80000000, v6, v9
.LBB143_1581:
	s_mov_b32 s3, 0
	s_mov_b32 s15, -1
.LBB143_1582:
	s_andn2_b32 vcc_lo, exec_lo, s3
	s_mov_b32 s3, 0
	s_cbranch_vccnz .LBB143_1593
; %bb.1583:
	s_cmp_gt_i32 s4, 14
	s_cbranch_scc0 .LBB143_1586
; %bb.1584:
	s_cmp_eq_u32 s4, 15
	s_cbranch_scc0 .LBB143_1589
; %bb.1585:
	global_load_ushort v6, v[0:1], off
	s_mov_b32 s2, 0
	s_mov_b32 s15, -1
	s_waitcnt vmcnt(0)
	v_lshlrev_b32_e32 v6, 16, v6
	s_branch .LBB143_1591
.LBB143_1586:
	s_mov_b32 s3, -1
	s_branch .LBB143_1590
.LBB143_1587:
	s_or_saveexec_b32 s15, s15
	v_mov_b32_e32 v6, 0x7f800001
	s_xor_b32 exec_lo, exec_lo, s15
	s_cbranch_execz .LBB143_1568
.LBB143_1588:
	v_cmp_ne_u16_e32 vcc_lo, 0, v9
	v_mov_b32_e32 v6, 0
	s_andn2_b32 s3, s3, exec_lo
	s_and_b32 s16, vcc_lo, exec_lo
	s_or_b32 s3, s3, s16
	s_or_b32 exec_lo, exec_lo, s15
	s_and_saveexec_b32 s15, s3
	s_cbranch_execnz .LBB143_1569
	s_branch .LBB143_1570
.LBB143_1589:
	s_mov_b32 s2, -1
.LBB143_1590:
                                        ; implicit-def: $vgpr6
.LBB143_1591:
	s_and_b32 vcc_lo, exec_lo, s3
	s_mov_b32 s3, 0
	s_cbranch_vccz .LBB143_1593
; %bb.1592:
	s_cmp_lg_u32 s4, 11
	s_mov_b32 s3, -1
	s_cselect_b32 s2, -1, 0
.LBB143_1593:
	s_and_b32 vcc_lo, exec_lo, s2
	s_cbranch_vccnz .LBB143_1694
; %bb.1594:
	s_andn2_b32 vcc_lo, exec_lo, s3
	s_cbranch_vccnz .LBB143_1596
.LBB143_1595:
	global_load_ubyte v6, v[0:1], off
	s_mov_b32 s15, -1
	s_waitcnt vmcnt(0)
	v_cmp_ne_u16_e32 vcc_lo, 0, v6
	v_cndmask_b32_e64 v6, 0, 1.0, vcc_lo
.LBB143_1596:
	s_branch .LBB143_1523
.LBB143_1597:
	s_cmp_lt_i32 s4, 5
	s_cbranch_scc1 .LBB143_1602
; %bb.1598:
	s_cmp_lt_i32 s4, 8
	s_cbranch_scc1 .LBB143_1603
; %bb.1599:
	;; [unrolled: 3-line block ×3, first 2 shown]
	s_cmp_gt_i32 s4, 9
	s_cbranch_scc0 .LBB143_1605
; %bb.1601:
	global_load_dwordx2 v[9:10], v[0:1], off
	s_mov_b32 s2, 0
	s_waitcnt vmcnt(0)
	v_cvt_f32_f64_e32 v6, v[9:10]
	s_branch .LBB143_1606
.LBB143_1602:
	s_mov_b32 s2, -1
                                        ; implicit-def: $vgpr6
	s_branch .LBB143_1624
.LBB143_1603:
	s_mov_b32 s2, -1
                                        ; implicit-def: $vgpr6
	s_branch .LBB143_1612
.LBB143_1604:
	s_mov_b32 s2, -1
                                        ; implicit-def: $vgpr6
	s_branch .LBB143_1609
.LBB143_1605:
	s_mov_b32 s2, -1
                                        ; implicit-def: $vgpr6
.LBB143_1606:
	s_andn2_b32 vcc_lo, exec_lo, s2
	s_cbranch_vccnz .LBB143_1608
; %bb.1607:
	global_load_dword v6, v[0:1], off
.LBB143_1608:
	s_mov_b32 s2, 0
.LBB143_1609:
	s_andn2_b32 vcc_lo, exec_lo, s2
	s_cbranch_vccnz .LBB143_1611
; %bb.1610:
	global_load_dword v6, v[0:1], off
	s_waitcnt vmcnt(0)
	v_cvt_f32_f16_e32 v6, v6
.LBB143_1611:
	s_mov_b32 s2, 0
.LBB143_1612:
	s_andn2_b32 vcc_lo, exec_lo, s2
	s_cbranch_vccnz .LBB143_1623
; %bb.1613:
	s_cmp_lt_i32 s4, 6
	s_cbranch_scc1 .LBB143_1616
; %bb.1614:
	s_cmp_gt_i32 s4, 6
	s_cbranch_scc0 .LBB143_1617
; %bb.1615:
	global_load_dwordx2 v[9:10], v[0:1], off
	s_mov_b32 s2, 0
	s_waitcnt vmcnt(0)
	v_cvt_f32_f64_e32 v6, v[9:10]
	s_branch .LBB143_1618
.LBB143_1616:
	s_mov_b32 s2, -1
                                        ; implicit-def: $vgpr6
	s_branch .LBB143_1621
.LBB143_1617:
	s_mov_b32 s2, -1
                                        ; implicit-def: $vgpr6
.LBB143_1618:
	s_andn2_b32 vcc_lo, exec_lo, s2
	s_cbranch_vccnz .LBB143_1620
; %bb.1619:
	global_load_dword v6, v[0:1], off
.LBB143_1620:
	s_mov_b32 s2, 0
.LBB143_1621:
	s_andn2_b32 vcc_lo, exec_lo, s2
	s_cbranch_vccnz .LBB143_1623
; %bb.1622:
	global_load_ushort v6, v[0:1], off
	s_waitcnt vmcnt(0)
	v_cvt_f32_f16_e32 v6, v6
.LBB143_1623:
	s_mov_b32 s2, 0
.LBB143_1624:
	s_andn2_b32 vcc_lo, exec_lo, s2
	s_cbranch_vccnz .LBB143_1644
; %bb.1625:
	s_cmp_lt_i32 s4, 2
	s_cbranch_scc1 .LBB143_1629
; %bb.1626:
	s_cmp_lt_i32 s4, 3
	s_cbranch_scc1 .LBB143_1630
; %bb.1627:
	s_cmp_gt_i32 s4, 3
	s_cbranch_scc0 .LBB143_1631
; %bb.1628:
	global_load_dwordx2 v[9:10], v[0:1], off
	s_mov_b32 s2, 0
	s_waitcnt vmcnt(0)
	v_xor_b32_e32 v6, v9, v10
	v_ffbh_i32_e32 v11, v10
	v_ashrrev_i32_e32 v6, 31, v6
	v_add_nc_u32_e32 v11, -1, v11
	v_add_nc_u32_e32 v6, 32, v6
	v_min_u32_e32 v6, v11, v6
	v_lshlrev_b64 v[9:10], v6, v[9:10]
	v_sub_nc_u32_e32 v6, 32, v6
	v_min_u32_e32 v9, 1, v9
	v_or_b32_e32 v9, v10, v9
	v_cvt_f32_i32_e32 v9, v9
	v_ldexp_f32 v6, v9, v6
	s_branch .LBB143_1632
.LBB143_1629:
	s_mov_b32 s2, -1
                                        ; implicit-def: $vgpr6
	s_branch .LBB143_1638
.LBB143_1630:
	s_mov_b32 s2, -1
                                        ; implicit-def: $vgpr6
	s_branch .LBB143_1635
.LBB143_1631:
	s_mov_b32 s2, -1
                                        ; implicit-def: $vgpr6
.LBB143_1632:
	s_andn2_b32 vcc_lo, exec_lo, s2
	s_cbranch_vccnz .LBB143_1634
; %bb.1633:
	global_load_dword v6, v[0:1], off
	s_waitcnt vmcnt(0)
	v_cvt_f32_i32_e32 v6, v6
.LBB143_1634:
	s_mov_b32 s2, 0
.LBB143_1635:
	s_andn2_b32 vcc_lo, exec_lo, s2
	s_cbranch_vccnz .LBB143_1637
; %bb.1636:
	global_load_sshort v6, v[0:1], off
	s_waitcnt vmcnt(0)
	v_cvt_f32_i32_e32 v6, v6
.LBB143_1637:
	s_mov_b32 s2, 0
.LBB143_1638:
	s_andn2_b32 vcc_lo, exec_lo, s2
	s_cbranch_vccnz .LBB143_1644
; %bb.1639:
	s_cmp_gt_i32 s4, 0
	s_mov_b32 s2, 0
	s_cbranch_scc0 .LBB143_1641
; %bb.1640:
	global_load_sbyte v6, v[0:1], off
	s_waitcnt vmcnt(0)
	v_cvt_f32_i32_e32 v6, v6
	s_branch .LBB143_1642
.LBB143_1641:
	s_mov_b32 s2, -1
                                        ; implicit-def: $vgpr6
.LBB143_1642:
	s_andn2_b32 vcc_lo, exec_lo, s2
	s_cbranch_vccnz .LBB143_1644
; %bb.1643:
	global_load_ubyte v0, v[0:1], off
	s_waitcnt vmcnt(0)
	v_cvt_f32_ubyte0_e32 v6, v0
.LBB143_1644:
.LBB143_1645:
	s_waitcnt vmcnt(0)
	v_and_b32_e32 v0, 0x7fffffff, v6
	s_mov_b32 s3, exec_lo
                                        ; implicit-def: $vgpr9
	v_cmpx_ngt_f32_e64 0x3c800000, |v6|
	s_xor_b32 s3, exec_lo, s3
	s_cbranch_execz .LBB143_1675
; %bb.1646:
	s_mov_b32 s15, exec_lo
                                        ; implicit-def: $vgpr9
	v_cmpx_nlt_f32_e64 |v6|, 2.0
	s_xor_b32 s15, exec_lo, s15
	s_cbranch_execz .LBB143_1656
; %bb.1647:
	v_cmp_ngt_f32_e64 s2, 0x41000000, |v6|
                                        ; implicit-def: $vgpr9
	s_and_saveexec_b32 s16, s2
	s_xor_b32 s2, exec_lo, s16
	s_cbranch_execz .LBB143_1653
; %bb.1648:
	v_cmp_ngt_f32_e64 s16, 0x5c800000, |v6|
                                        ; implicit-def: $vgpr9
	s_and_saveexec_b32 s17, s16
	s_xor_b32 s16, exec_lo, s17
	s_cbranch_execz .LBB143_1650
; %bb.1649:
	v_cmp_gt_f32_e64 s17, 0x800000, |v6|
	v_cndmask_b32_e64 v1, 0, 32, s17
	v_ldexp_f32 v1, |v6|, v1
	v_log_f32_e32 v1, v1
	v_mul_f32_e32 v9, 0x3f317217, v1
	v_cmp_gt_f32_e64 vcc_lo, 0x7f800000, |v1|
	v_fma_f32 v10, 0x3f317217, v1, -v9
	v_fmamk_f32 v10, v1, 0x3377d1cf, v10
	v_add_f32_e32 v9, v9, v10
	v_cndmask_b32_e32 v1, v1, v9, vcc_lo
	v_cndmask_b32_e64 v9, 0, 0x41b17218, s17
	v_sub_f32_e32 v1, v1, v9
	v_fma_f32 v9, |v6|, v1, -|v6|
.LBB143_1650:
	s_andn2_saveexec_b32 s16, s16
	s_cbranch_execz .LBB143_1652
; %bb.1651:
	v_cmp_gt_f32_e64 s17, 0x800000, |v6|
	v_rcp_f32_e64 v9, |v6|
	s_mov_b32 s18, 0xbad5c4e8
	v_cndmask_b32_e64 v1, 0, 32, s17
	v_ldexp_f32 v1, |v6|, v1
	v_mul_f32_e32 v10, v9, v9
	v_log_f32_e32 v1, v1
	v_fmaak_f32 v12, s18, v10, 0x3a5b3dd2
	v_fmaak_f32 v12, v10, v12, 0xba1c065c
	v_mul_f32_e32 v11, 0x3f317217, v1
	v_fmaak_f32 v12, v10, v12, 0x3a500cfd
	v_cmp_gt_f32_e64 vcc_lo, 0x7f800000, |v1|
	v_fma_f32 v13, 0x3f317217, v1, -v11
	v_fmaak_f32 v12, v10, v12, 0xbb360b61
	v_fmamk_f32 v13, v1, 0x3377d1cf, v13
	v_fmaak_f32 v10, v10, v12, 0x3daaaaab
	v_add_f32_e32 v11, v11, v13
	v_fmaak_f32 v9, v9, v10, 0x3ed67f1d
	v_add_f32_e64 v10, |v6|, -0.5
	v_cndmask_b32_e32 v1, v1, v11, vcc_lo
	v_cndmask_b32_e64 v11, 0, 0x41b17218, s17
	v_sub_f32_e32 v1, v1, v11
	v_add_f32_e32 v1, -1.0, v1
	v_fmac_f32_e32 v9, v10, v1
.LBB143_1652:
	s_or_b32 exec_lo, exec_lo, s16
.LBB143_1653:
	s_andn2_saveexec_b32 s16, s2
	s_cbranch_execz .LBB143_1655
; %bb.1654:
	v_cvt_i32_f32_e32 v1, v0
	s_mov_b32 s2, 0x36f5d7bd
	s_mov_b32 s17, 0x3805ff67
	v_cvt_f32_i32_e32 v9, v1
	v_cmp_lt_i32_e32 vcc_lo, 2, v1
	v_sub_f32_e64 v9, |v6|, v9
	v_add_f32_e32 v10, 2.0, v9
	v_add_f32_e32 v11, 0x40400000, v9
	v_add_f32_e32 v12, 4.0, v9
	v_add_f32_e32 v13, 0x40a00000, v9
	v_cndmask_b32_e32 v10, 1.0, v10, vcc_lo
	v_cmp_lt_i32_e32 vcc_lo, 3, v1
	v_cndmask_b32_e32 v11, 1.0, v11, vcc_lo
	v_cmp_lt_i32_e32 vcc_lo, 4, v1
	v_mul_f32_e32 v10, v10, v11
	v_cndmask_b32_e32 v12, 1.0, v12, vcc_lo
	v_cmp_lt_i32_e32 vcc_lo, 5, v1
	v_add_f32_e32 v11, 0x40c00000, v9
	v_mul_f32_e32 v10, v12, v10
	v_cndmask_b32_e32 v13, 1.0, v13, vcc_lo
	v_cmp_lt_i32_e32 vcc_lo, 6, v1
	v_fmaak_f32 v12, s17, v9, 0x3af135b4
	v_mul_f32_e32 v10, v13, v10
	v_cndmask_b32_e32 v1, 1.0, v11, vcc_lo
	v_mul_f32_e32 v1, v1, v10
	v_fmaak_f32 v10, s2, v9, 0x3a4beed6
	v_cmp_gt_f32_e32 vcc_lo, 0x800000, v1
	v_fmaak_f32 v10, v9, v10, 0x3c98bf54
	v_cndmask_b32_e64 v11, 0, 32, vcc_lo
	v_fmaak_f32 v10, v9, v10, 0x3e300f6e
	v_ldexp_f32 v1, v1, v11
	v_fmaak_f32 v11, v9, v12, 0x3cda40e4
	v_fmaak_f32 v10, v9, v10, 0x3f38d0c5
	v_log_f32_e32 v1, v1
	v_fmaak_f32 v11, v9, v11, 0x3e15dce6
	v_fmaak_f32 v10, v9, v10, 0x3fb22d3b
	;; [unrolled: 1-line block ×3, first 2 shown]
	v_fma_f32 v10, v9, v10, 1.0
	v_mul_f32_e32 v12, 0x3f317217, v1
	v_fmaak_f32 v11, v9, v11, 0x3e5c245a
	v_rcp_f32_e32 v10, v10
	v_cmp_gt_f32_e64 s2, 0x7f800000, |v1|
	v_fma_f32 v13, 0x3f317217, v1, -v12
	v_fmaak_f32 v11, v9, v11, 0xbd9e233f
	v_fmamk_f32 v13, v1, 0x3377d1cf, v13
	v_mul_f32_e32 v11, v9, v11
	v_add_f32_e32 v12, v12, v13
	v_mul_f32_e32 v10, v11, v10
	v_cndmask_b32_e64 v11, 0, 0x41b17218, vcc_lo
	v_cndmask_b32_e64 v1, v1, v12, s2
	v_fmac_f32_e32 v10, 0.5, v9
	v_sub_f32_e32 v1, v1, v11
	v_add_f32_e32 v9, v1, v10
.LBB143_1655:
	s_or_b32 exec_lo, exec_lo, s16
.LBB143_1656:
	s_andn2_saveexec_b32 s15, s15
	s_cbranch_execz .LBB143_1674
; %bb.1657:
	s_mov_b32 s16, exec_lo
                                        ; implicit-def: $vgpr9
                                        ; implicit-def: $vgpr10
                                        ; implicit-def: $vgpr1
	v_cmpx_ge_f32_e64 0x3f666666, |v6|
	s_xor_b32 s16, exec_lo, s16
	s_cbranch_execz .LBB143_1659
; %bb.1658:
	v_cmp_gt_f32_e64 s2, 0x800000, |v6|
	v_sub_f32_e64 v11, 1.0, |v6|
	v_cmp_gt_f32_e64 vcc_lo, 0x3f3b4a23, |v6|
	v_cndmask_b32_e64 v1, 0, 32, s2
	v_cndmask_b32_e64 v12, 0, 0x41b17218, s2
	v_ldexp_f32 v1, |v6|, v1
	v_log_f32_e32 v1, v1
	v_mul_f32_e32 v9, 0x3f317217, v1
	v_cmp_gt_f32_e64 s2, 0x7f800000, |v1|
	v_fma_f32 v10, 0x3f317217, v1, -v9
	v_fmamk_f32 v10, v1, 0x3377d1cf, v10
	v_add_f32_e32 v9, v9, v10
	v_add_f32_e64 v10, 0xbeec5b0c, |v6|
	v_cndmask_b32_e64 v1, v1, v9, s2
	v_cndmask_b32_e32 v9, v11, v10, vcc_lo
	v_cndmask_b32_e64 v10, 0, 1, vcc_lo
	v_cmp_gt_f32_e64 s2, 0x3e6d3309, |v6|
	v_sub_f32_e32 v11, v1, v12
	v_cndmask_b32_e64 v1, v9, |v6|, s2
	v_cndmask_b32_e64 v10, v10, 2, s2
	v_xor_b32_e32 v9, 0x80000000, v11
.LBB143_1659:
	s_andn2_saveexec_b32 s2, s16
	s_cbranch_execz .LBB143_1661
; %bb.1660:
	v_sub_f32_e64 v1, 2.0, |v6|
	v_add_f32_e64 v9, 0xbfbb16c3, |v6|
	v_cmp_gt_f32_e64 vcc_lo, 0x3fdda512, |v6|
	v_add_f32_e64 v10, |v6|, -1.0
	v_cndmask_b32_e32 v9, v1, v9, vcc_lo
	v_cndmask_b32_e64 v1, v1, 1.0, vcc_lo
	v_cmp_gt_f32_e64 vcc_lo, 0x3f9d70a4, |v6|
	v_cvt_i32_f32_e32 v11, v1
	v_cndmask_b32_e32 v1, v9, v10, vcc_lo
	v_mov_b32_e32 v9, 0
	v_cndmask_b32_e64 v10, v11, 2, vcc_lo
.LBB143_1661:
	s_or_b32 exec_lo, exec_lo, s2
	s_mov_b32 s2, exec_lo
	v_cmpx_lt_i32_e32 0, v10
	s_xor_b32 s2, exec_lo, s2
	s_cbranch_execz .LBB143_1669
; %bb.1662:
	s_mov_b32 s16, exec_lo
	v_cmpx_lt_i32_e32 1, v10
	s_xor_b32 s16, exec_lo, s16
	s_cbranch_execz .LBB143_1666
; %bb.1663:
	s_mov_b32 s17, exec_lo
	v_cmpx_eq_u32_e32 2, v10
	s_cbranch_execz .LBB143_1665
; %bb.1664:
	s_mov_b32 s18, 0x3b52d5db
	v_fmaak_f32 v10, s18, v1, 0x3dd572af
	s_mov_b32 s18, 0x3c5b3c5e
	v_fmaak_f32 v11, s18, v1, 0x3e6a7578
	v_fmaak_f32 v10, v1, v10, 0x3f44efdf
	;; [unrolled: 1-line block ×7, first 2 shown]
	v_fma_f32 v10, v1, v10, 1.0
	v_fmaak_f32 v11, v1, v11, 0xbd9e233f
	v_rcp_f32_e32 v10, v10
	v_mul_f32_e32 v11, v1, v11
	v_mul_f32_e32 v10, v11, v10
	v_fmac_f32_e32 v10, -0.5, v1
	v_add_f32_e32 v9, v9, v10
.LBB143_1665:
	s_or_b32 exec_lo, exec_lo, s17
                                        ; implicit-def: $vgpr1
.LBB143_1666:
	s_andn2_saveexec_b32 s16, s16
	s_cbranch_execz .LBB143_1668
; %bb.1667:
	v_mul_f32_e32 v10, v1, v1
	s_mov_b32 s17, 0xb9a3f927
	s_mov_b32 s18, 0x39afe9f7
	v_mul_f32_e32 v11, v1, v10
	v_fmaak_f32 v12, s17, v11, 0x3a66f867
	v_fmaak_f32 v13, s18, v11, 0xba0d3085
	s_mov_b32 s17, 0x39a57b6b
	v_fmaak_f32 v14, s17, v11, 0xbab7f476
	v_fmaak_f32 v12, v11, v12, 0xbb7177fe
	;; [unrolled: 1-line block ×9, first 2 shown]
	v_fmac_f32_e32 v12, v1, v13
	v_fmaak_f32 v1, v11, v14, 0x3ef7b95e
	v_fma_f32 v11, v11, -v12, 0xa2863e55
	v_fma_f32 v1, v10, v1, -v11
	v_add_f32_e32 v1, 0xbdf8cdce, v1
	v_add_f32_e32 v9, v9, v1
.LBB143_1668:
	s_or_b32 exec_lo, exec_lo, s16
                                        ; implicit-def: $vgpr10
                                        ; implicit-def: $vgpr1
.LBB143_1669:
	s_andn2_saveexec_b32 s2, s2
	s_cbranch_execz .LBB143_1673
; %bb.1670:
	s_mov_b32 s16, exec_lo
	v_cmpx_eq_u32_e32 0, v10
	s_cbranch_execz .LBB143_1672
; %bb.1671:
	v_mul_f32_e32 v10, v1, v1
	s_mov_b32 s17, 0x383c2c75
	v_fmaak_f32 v11, s17, v10, 0x38e28445
	s_mov_b32 s17, 0x37d383a2
	v_fmaak_f32 v12, s17, v10, 0x39679767
	v_fmaak_f32 v11, v10, v11, 0x3a05b634
	;; [unrolled: 1-line block ×9, first 2 shown]
	v_mul_f32_e32 v10, v10, v11
	v_fmac_f32_e32 v10, v1, v12
	v_fmac_f32_e32 v10, -0.5, v1
	v_add_f32_e32 v9, v9, v10
.LBB143_1672:
	s_or_b32 exec_lo, exec_lo, s16
.LBB143_1673:
	s_or_b32 exec_lo, exec_lo, s2
.LBB143_1674:
	s_or_b32 exec_lo, exec_lo, s15
.LBB143_1675:
	s_andn2_saveexec_b32 s2, s3
	s_cbranch_execz .LBB143_1677
; %bb.1676:
	v_cmp_gt_f32_e64 s3, 0x800000, |v6|
	s_mov_b32 s15, 0x3e8a8991
	v_fma_f32 v11, |v6|, s15, 0xbecd26ab
	v_cndmask_b32_e64 v1, 0, 32, s3
	v_ldexp_f32 v1, |v6|, v1
	v_log_f32_e32 v1, v1
	v_mul_f32_e32 v9, 0x3f317217, v1
	v_cmp_gt_f32_e64 vcc_lo, 0x7f800000, |v1|
	v_fma_f32 v10, 0x3f317217, v1, -v9
	v_fmamk_f32 v10, v1, 0x3377d1cf, v10
	v_add_f32_e32 v9, v9, v10
	v_fma_f32 v10, |v6|, v11, 0x3f528d33
	v_cndmask_b32_e32 v1, v1, v9, vcc_lo
	v_cndmask_b32_e64 v9, 0, 0x41b17218, s3
	v_fma_f32 v10, |v6|, v10, 0xbf13c468
	v_sub_f32_e32 v1, v1, v9
	v_fma_f32 v9, |v6|, v10, -v1
.LBB143_1677:
	s_or_b32 exec_lo, exec_lo, s2
	v_cmp_le_f32_e64 s2, 0, v6
	s_mov_b32 s3, exec_lo
	v_cmpx_nle_f32_e32 0, v6
	s_xor_b32 s15, exec_lo, s3
	s_cbranch_execz .LBB143_1681
; %bb.1678:
	v_cmp_gt_f32_e64 s3, 0x4b000000, |v6|
	v_cmp_lt_f32_e64 s16, 0x35000000, |v6|
	s_and_b32 s3, s3, s16
	s_and_saveexec_b32 s16, s3
	s_cbranch_execz .LBB143_1680
; %bb.1679:
	v_mul_f32_e64 v1, |v6|, 0.5
	v_cmp_gt_f32_e64 s3, |v6|, 1.0
	s_mov_b32 s17, 0x3d4be544
	v_xor_b32_e32 v0, v0, v6
	v_floor_f32_e32 v10, v1
	v_cmp_neq_f32_e32 vcc_lo, 0x7f800000, v1
	v_sub_f32_e32 v10, v1, v10
	v_min_f32_e32 v10, 0x3f7fffff, v10
	v_add_f32_e32 v10, v10, v10
	v_cndmask_b32_e32 v1, 0, v10, vcc_lo
	v_cndmask_b32_e64 v1, |v6|, v1, s3
	s_mov_b32 s3, 0x3e75aa41
	v_add_f32_e32 v10, v1, v1
	v_rndne_f32_e32 v10, v10
	v_fmac_f32_e32 v1, -0.5, v10
	v_cvt_i32_f32_e32 v10, v10
	v_mul_f32_e32 v11, v1, v1
	v_fmaak_f32 v12, s3, v11, 0xbf1f24be
	v_fmaak_f32 v13, s17, v11, 0x3e642e9d
	v_mul_f32_e32 v14, v1, v11
	v_fmaak_f32 v12, v11, v12, 0x40234736
	v_fmaak_f32 v13, v11, v13, 0xbfaad1da
	;; [unrolled: 1-line block ×4, first 2 shown]
	v_mul_f32_e32 v12, v14, v12
	v_fmaak_f32 v13, v11, v13, 0xc09de9e6
	v_and_b32_e32 v14, 1, v10
	v_lshlrev_b32_e32 v10, 30, v10
	v_fmamk_f32 v1, v1, 0x40490fdb, v12
	v_fma_f32 v11, v11, v13, 1.0
	v_cmp_eq_u32_e32 vcc_lo, 0, v14
	v_and_b32_e32 v10, 0x80000000, v10
	v_cndmask_b32_e32 v1, v11, v1, vcc_lo
	v_xor3_b32 v0, v0, v10, v1
	v_mul_f32_e32 v0, v6, v0
	v_frexp_mant_f32_e64 v1, |v0|
	v_frexp_exp_i32_f32_e32 v0, v0
	v_rcp_f32_e32 v1, v1
	v_sub_nc_u32_e32 v0, 2, v0
	v_mul_f32_e32 v1, 0x3f490fdb, v1
	v_ldexp_f32 v0, v1, v0
	v_cmp_gt_f32_e32 vcc_lo, 0x800000, v0
	v_cndmask_b32_e64 v1, 0, 32, vcc_lo
	v_ldexp_f32 v0, v0, v1
	v_log_f32_e32 v0, v0
	v_mul_f32_e32 v1, 0x3f317217, v0
	v_cmp_gt_f32_e64 s3, 0x7f800000, |v0|
	v_fma_f32 v10, 0x3f317217, v0, -v1
	v_fmamk_f32 v10, v0, 0x3377d1cf, v10
	v_add_f32_e32 v1, v1, v10
	v_floor_f32_e32 v10, v6
	v_cndmask_b32_e64 v0, v0, v1, s3
	v_cndmask_b32_e64 v1, 0, 0x41b17218, vcc_lo
	v_sub_f32_e32 v10, v6, v10
	v_sub_f32_e32 v0, v0, v1
	v_min_f32_e32 v1, 0x3f7fffff, v10
	v_sub_f32_e32 v0, v0, v9
	v_cmp_neq_f32_e32 vcc_lo, 0, v1
	v_cndmask_b32_e32 v9, 0x7f800000, v0, vcc_lo
.LBB143_1680:
	s_or_b32 exec_lo, exec_lo, s16
.LBB143_1681:
	s_andn2_saveexec_b32 s15, s15
; %bb.1682:
	v_cmp_eq_f32_e32 vcc_lo, 1.0, v6
	v_cmp_eq_f32_e64 s3, 2.0, v6
	s_or_b32 s3, vcc_lo, s3
	v_cndmask_b32_e64 v9, v9, 0, s3
; %bb.1683:
	s_or_b32 exec_lo, exec_lo, s15
	v_add_nc_u32_e32 v0, s13, v8
	s_cmp_lt_i32 s4, 11
	v_ashrrev_i32_e32 v1, 31, v0
	v_add_co_u32 v0, vcc_lo, s10, v0
	v_add_co_ci_u32_e64 v1, null, s11, v1, vcc_lo
	s_cbranch_scc1 .LBB143_1690
; %bb.1684:
	s_cmp_gt_i32 s4, 25
	s_mov_b32 s10, 0
	s_cbranch_scc0 .LBB143_1691
; %bb.1685:
	s_cmp_gt_i32 s4, 28
	s_cbranch_scc0 .LBB143_1692
; %bb.1686:
	s_cmp_gt_i32 s4, 43
	;; [unrolled: 3-line block ×3, first 2 shown]
	s_cbranch_scc0 .LBB143_1695
; %bb.1688:
	s_cmp_eq_u32 s4, 46
	s_mov_b32 s13, 0
	s_cbranch_scc0 .LBB143_1696
; %bb.1689:
	global_load_dword v8, v[0:1], off
	s_mov_b32 s3, 0
	s_mov_b32 s11, -1
	s_waitcnt vmcnt(0)
	v_lshlrev_b32_e32 v8, 16, v8
	s_branch .LBB143_1698
.LBB143_1690:
	s_mov_b32 s3, -1
	s_mov_b32 s11, 0
                                        ; implicit-def: $vgpr8
	s_branch .LBB143_1764
.LBB143_1691:
	s_mov_b32 s13, -1
	s_mov_b32 s11, 0
	s_mov_b32 s3, 0
                                        ; implicit-def: $vgpr8
	s_branch .LBB143_1727
.LBB143_1692:
	s_mov_b32 s13, -1
	s_mov_b32 s11, 0
	s_mov_b32 s3, 0
                                        ; implicit-def: $vgpr8
	s_branch .LBB143_1708
.LBB143_1693:
	s_mov_b32 s13, -1
	s_mov_b32 s11, 0
	s_mov_b32 s3, 0
                                        ; implicit-def: $vgpr8
	s_branch .LBB143_1703
.LBB143_1694:
	s_or_b32 s14, s14, exec_lo
	s_trap 2
	s_cbranch_execz .LBB143_1595
	s_branch .LBB143_1596
.LBB143_1695:
	s_mov_b32 s13, -1
	s_mov_b32 s11, 0
	s_mov_b32 s3, 0
	s_branch .LBB143_1697
.LBB143_1696:
	s_mov_b32 s3, -1
	s_mov_b32 s11, 0
.LBB143_1697:
                                        ; implicit-def: $vgpr8
.LBB143_1698:
	s_and_b32 vcc_lo, exec_lo, s13
	s_cbranch_vccz .LBB143_1702
; %bb.1699:
	s_cmp_eq_u32 s4, 44
	s_cbranch_scc0 .LBB143_1701
; %bb.1700:
	global_load_ubyte v8, v[0:1], off
	s_mov_b32 s3, 0
	s_mov_b32 s11, -1
	s_waitcnt vmcnt(0)
	v_lshlrev_b32_e32 v10, 23, v8
	v_cmp_ne_u32_e32 vcc_lo, 0xff, v8
	v_cndmask_b32_e32 v10, 0x7f800001, v10, vcc_lo
	v_cmp_ne_u32_e32 vcc_lo, 0, v8
	v_cndmask_b32_e32 v8, 0x400000, v10, vcc_lo
	s_branch .LBB143_1702
.LBB143_1701:
	s_mov_b32 s3, -1
                                        ; implicit-def: $vgpr8
.LBB143_1702:
	s_mov_b32 s13, 0
.LBB143_1703:
	s_and_b32 vcc_lo, exec_lo, s13
	s_cbranch_vccz .LBB143_1707
; %bb.1704:
	s_cmp_eq_u32 s4, 29
	s_cbranch_scc0 .LBB143_1706
; %bb.1705:
	global_load_dwordx2 v[10:11], v[0:1], off
	s_mov_b32 s3, 0
	s_mov_b32 s11, -1
	s_mov_b32 s13, 0
	s_waitcnt vmcnt(0)
	v_ffbh_u32_e32 v8, v11
	v_min_u32_e32 v8, 32, v8
	v_lshlrev_b64 v[10:11], v8, v[10:11]
	v_sub_nc_u32_e32 v8, 32, v8
	v_min_u32_e32 v10, 1, v10
	v_or_b32_e32 v10, v11, v10
	v_cvt_f32_u32_e32 v10, v10
	v_ldexp_f32 v8, v10, v8
	s_branch .LBB143_1708
.LBB143_1706:
	s_mov_b32 s3, -1
                                        ; implicit-def: $vgpr8
.LBB143_1707:
	s_mov_b32 s13, 0
.LBB143_1708:
	s_and_b32 vcc_lo, exec_lo, s13
	s_cbranch_vccz .LBB143_1726
; %bb.1709:
	s_cmp_lt_i32 s4, 27
	s_cbranch_scc1 .LBB143_1712
; %bb.1710:
	s_cmp_gt_i32 s4, 27
	s_cbranch_scc0 .LBB143_1713
; %bb.1711:
	global_load_dword v8, v[0:1], off
	s_mov_b32 s11, 0
	s_waitcnt vmcnt(0)
	v_cvt_f32_u32_e32 v8, v8
	s_branch .LBB143_1714
.LBB143_1712:
	s_mov_b32 s11, -1
                                        ; implicit-def: $vgpr8
	s_branch .LBB143_1717
.LBB143_1713:
	s_mov_b32 s11, -1
                                        ; implicit-def: $vgpr8
.LBB143_1714:
	s_andn2_b32 vcc_lo, exec_lo, s11
	s_cbranch_vccnz .LBB143_1716
; %bb.1715:
	global_load_ushort v8, v[0:1], off
	s_waitcnt vmcnt(0)
	v_cvt_f32_u32_e32 v8, v8
.LBB143_1716:
	s_mov_b32 s11, 0
.LBB143_1717:
	s_andn2_b32 vcc_lo, exec_lo, s11
	s_cbranch_vccnz .LBB143_1725
; %bb.1718:
	global_load_ubyte v10, v[0:1], off
	s_mov_b32 s11, 0
	s_mov_b32 s13, exec_lo
	s_waitcnt vmcnt(0)
	v_cmpx_lt_i16_e32 0x7f, v10
	s_xor_b32 s13, exec_lo, s13
	s_cbranch_execz .LBB143_1739
; %bb.1719:
	s_mov_b32 s11, -1
	s_mov_b32 s15, exec_lo
	v_cmpx_eq_u16_e32 0x80, v10
; %bb.1720:
	s_xor_b32 s11, exec_lo, -1
; %bb.1721:
	s_or_b32 exec_lo, exec_lo, s15
	s_and_b32 s11, s11, exec_lo
	s_or_saveexec_b32 s13, s13
	v_mov_b32_e32 v8, 0x7f800001
	s_xor_b32 exec_lo, exec_lo, s13
	s_cbranch_execnz .LBB143_1740
.LBB143_1722:
	s_or_b32 exec_lo, exec_lo, s13
	s_and_saveexec_b32 s13, s11
	s_cbranch_execz .LBB143_1724
.LBB143_1723:
	v_and_b32_e32 v8, 0xffff, v10
	v_lshlrev_b32_e32 v10, 24, v10
	v_and_b32_e32 v11, 7, v8
	v_bfe_u32 v14, v8, 3, 4
	v_and_b32_e32 v10, 0x80000000, v10
	v_ffbh_u32_e32 v12, v11
	v_cmp_eq_u32_e32 vcc_lo, 0, v14
	v_min_u32_e32 v12, 32, v12
	v_subrev_nc_u32_e32 v13, 28, v12
	v_sub_nc_u32_e32 v12, 29, v12
	v_lshlrev_b32_e32 v8, v13, v8
	v_cndmask_b32_e32 v12, v14, v12, vcc_lo
	v_and_b32_e32 v8, 7, v8
	v_cndmask_b32_e32 v8, v11, v8, vcc_lo
	v_lshl_add_u32 v11, v12, 23, 0x3b800000
	v_lshlrev_b32_e32 v8, 20, v8
	v_or3_b32 v8, v10, v11, v8
.LBB143_1724:
	s_or_b32 exec_lo, exec_lo, s13
.LBB143_1725:
	s_mov_b32 s11, -1
.LBB143_1726:
	s_mov_b32 s13, 0
.LBB143_1727:
	s_and_b32 vcc_lo, exec_lo, s13
	s_cbranch_vccz .LBB143_1760
; %bb.1728:
	s_cmp_gt_i32 s4, 22
	s_cbranch_scc0 .LBB143_1738
; %bb.1729:
	s_cmp_lt_i32 s4, 24
	s_cbranch_scc1 .LBB143_1741
; %bb.1730:
	s_cmp_gt_i32 s4, 24
	s_cbranch_scc0 .LBB143_1742
; %bb.1731:
	global_load_ubyte v10, v[0:1], off
	s_mov_b32 s11, exec_lo
	s_waitcnt vmcnt(0)
	v_cmpx_lt_i16_e32 0x7f, v10
	s_xor_b32 s11, exec_lo, s11
	s_cbranch_execz .LBB143_1754
; %bb.1732:
	s_mov_b32 s10, -1
	s_mov_b32 s13, exec_lo
	v_cmpx_eq_u16_e32 0x80, v10
; %bb.1733:
	s_xor_b32 s10, exec_lo, -1
; %bb.1734:
	s_or_b32 exec_lo, exec_lo, s13
	s_and_b32 s10, s10, exec_lo
	s_or_saveexec_b32 s11, s11
	v_mov_b32_e32 v8, 0x7f800001
	s_xor_b32 exec_lo, exec_lo, s11
	s_cbranch_execnz .LBB143_1755
.LBB143_1735:
	s_or_b32 exec_lo, exec_lo, s11
	s_and_saveexec_b32 s11, s10
	s_cbranch_execz .LBB143_1737
.LBB143_1736:
	v_and_b32_e32 v8, 0xffff, v10
	v_lshlrev_b32_e32 v10, 24, v10
	v_and_b32_e32 v11, 3, v8
	v_bfe_u32 v14, v8, 2, 5
	v_and_b32_e32 v10, 0x80000000, v10
	v_ffbh_u32_e32 v12, v11
	v_cmp_eq_u32_e32 vcc_lo, 0, v14
	v_min_u32_e32 v12, 32, v12
	v_subrev_nc_u32_e32 v13, 29, v12
	v_sub_nc_u32_e32 v12, 30, v12
	v_lshlrev_b32_e32 v8, v13, v8
	v_cndmask_b32_e32 v12, v14, v12, vcc_lo
	v_and_b32_e32 v8, 3, v8
	v_cndmask_b32_e32 v8, v11, v8, vcc_lo
	v_lshl_add_u32 v11, v12, 23, 0x37800000
	v_lshlrev_b32_e32 v8, 21, v8
	v_or3_b32 v8, v10, v11, v8
.LBB143_1737:
	s_or_b32 exec_lo, exec_lo, s11
	s_mov_b32 s10, 0
	s_branch .LBB143_1743
.LBB143_1738:
	s_mov_b32 s10, -1
                                        ; implicit-def: $vgpr8
	s_branch .LBB143_1749
.LBB143_1739:
	s_or_saveexec_b32 s13, s13
	v_mov_b32_e32 v8, 0x7f800001
	s_xor_b32 exec_lo, exec_lo, s13
	s_cbranch_execz .LBB143_1722
.LBB143_1740:
	v_cmp_ne_u16_e32 vcc_lo, 0, v10
	v_mov_b32_e32 v8, 0
	s_andn2_b32 s11, s11, exec_lo
	s_and_b32 s15, vcc_lo, exec_lo
	s_or_b32 s11, s11, s15
	s_or_b32 exec_lo, exec_lo, s13
	s_and_saveexec_b32 s13, s11
	s_cbranch_execnz .LBB143_1723
	s_branch .LBB143_1724
.LBB143_1741:
	s_mov_b32 s10, -1
                                        ; implicit-def: $vgpr8
	s_branch .LBB143_1746
.LBB143_1742:
	s_mov_b32 s10, -1
                                        ; implicit-def: $vgpr8
.LBB143_1743:
	s_and_b32 vcc_lo, exec_lo, s10
	s_cbranch_vccz .LBB143_1745
; %bb.1744:
	global_load_ubyte v8, v[0:1], off
	s_waitcnt vmcnt(0)
	v_lshlrev_b32_e32 v8, 24, v8
	v_and_b32_e32 v10, 0x7f000000, v8
	v_ffbh_u32_e32 v11, v10
	v_add_nc_u32_e32 v13, 0x1000000, v10
	v_cmp_ne_u32_e32 vcc_lo, 0, v10
	v_min_u32_e32 v11, 32, v11
	v_sub_nc_u32_e64 v11, v11, 4 clamp
	v_lshlrev_b32_e32 v12, v11, v10
	v_lshlrev_b32_e32 v11, 23, v11
	v_lshrrev_b32_e32 v12, 4, v12
	v_sub_nc_u32_e32 v11, v12, v11
	v_ashrrev_i32_e32 v12, 8, v13
	v_add_nc_u32_e32 v11, 0x3c000000, v11
	v_and_or_b32 v11, 0x7f800000, v12, v11
	v_cndmask_b32_e32 v10, 0, v11, vcc_lo
	v_and_or_b32 v8, 0x80000000, v8, v10
.LBB143_1745:
	s_mov_b32 s10, 0
.LBB143_1746:
	s_andn2_b32 vcc_lo, exec_lo, s10
	s_cbranch_vccnz .LBB143_1748
; %bb.1747:
	global_load_ubyte v8, v[0:1], off
	s_waitcnt vmcnt(0)
	v_lshlrev_b32_e32 v10, 25, v8
	v_lshlrev_b16 v8, 8, v8
	v_lshrrev_b32_e32 v11, 4, v10
	v_and_or_b32 v12, 0x7f00, v8, 0.5
	v_cmp_gt_u32_e32 vcc_lo, 0x8000000, v10
	v_bfe_i32 v8, v8, 0, 16
	v_or_b32_e32 v11, 0x70000000, v11
	v_add_f32_e32 v12, -0.5, v12
	v_mul_f32_e32 v11, 0x7800000, v11
	v_cndmask_b32_e32 v10, v11, v12, vcc_lo
	v_and_or_b32 v8, 0x80000000, v8, v10
.LBB143_1748:
	s_mov_b32 s10, 0
	s_mov_b32 s11, -1
.LBB143_1749:
	s_andn2_b32 vcc_lo, exec_lo, s10
	s_mov_b32 s10, 0
	s_cbranch_vccnz .LBB143_1760
; %bb.1750:
	s_cmp_gt_i32 s4, 14
	s_cbranch_scc0 .LBB143_1753
; %bb.1751:
	s_cmp_eq_u32 s4, 15
	s_cbranch_scc0 .LBB143_1756
; %bb.1752:
	global_load_ushort v8, v[0:1], off
	s_mov_b32 s3, 0
	s_mov_b32 s11, -1
	s_waitcnt vmcnt(0)
	v_lshlrev_b32_e32 v8, 16, v8
	s_branch .LBB143_1758
.LBB143_1753:
	s_mov_b32 s10, -1
	s_branch .LBB143_1757
.LBB143_1754:
	s_or_saveexec_b32 s11, s11
	v_mov_b32_e32 v8, 0x7f800001
	s_xor_b32 exec_lo, exec_lo, s11
	s_cbranch_execz .LBB143_1735
.LBB143_1755:
	v_cmp_ne_u16_e32 vcc_lo, 0, v10
	v_mov_b32_e32 v8, 0
	s_andn2_b32 s10, s10, exec_lo
	s_and_b32 s13, vcc_lo, exec_lo
	s_or_b32 s10, s10, s13
	s_or_b32 exec_lo, exec_lo, s11
	s_and_saveexec_b32 s11, s10
	s_cbranch_execnz .LBB143_1736
	s_branch .LBB143_1737
.LBB143_1756:
	s_mov_b32 s3, -1
.LBB143_1757:
                                        ; implicit-def: $vgpr8
.LBB143_1758:
	s_and_b32 vcc_lo, exec_lo, s10
	s_mov_b32 s10, 0
	s_cbranch_vccz .LBB143_1760
; %bb.1759:
	s_cmp_lg_u32 s4, 11
	s_mov_b32 s10, -1
	s_cselect_b32 s3, -1, 0
.LBB143_1760:
	s_and_b32 vcc_lo, exec_lo, s3
	s_cbranch_vccnz .LBB143_2331
; %bb.1761:
	s_andn2_b32 vcc_lo, exec_lo, s10
	s_cbranch_vccnz .LBB143_1763
.LBB143_1762:
	global_load_ubyte v8, v[0:1], off
	s_mov_b32 s11, -1
	s_waitcnt vmcnt(0)
	v_cmp_ne_u16_e32 vcc_lo, 0, v8
	v_cndmask_b32_e64 v8, 0, 1.0, vcc_lo
.LBB143_1763:
	s_mov_b32 s3, 0
.LBB143_1764:
	s_and_b32 vcc_lo, exec_lo, s3
	s_cbranch_vccz .LBB143_1813
; %bb.1765:
	s_cmp_lt_i32 s4, 5
	s_cbranch_scc1 .LBB143_1770
; %bb.1766:
	s_cmp_lt_i32 s4, 8
	s_cbranch_scc1 .LBB143_1771
	;; [unrolled: 3-line block ×3, first 2 shown]
; %bb.1768:
	s_cmp_gt_i32 s4, 9
	s_cbranch_scc0 .LBB143_1773
; %bb.1769:
	global_load_dwordx2 v[10:11], v[0:1], off
	s_mov_b32 s3, 0
	s_waitcnt vmcnt(0)
	v_cvt_f32_f64_e32 v8, v[10:11]
	s_branch .LBB143_1774
.LBB143_1770:
	s_mov_b32 s3, -1
                                        ; implicit-def: $vgpr8
	s_branch .LBB143_1792
.LBB143_1771:
	s_mov_b32 s3, -1
                                        ; implicit-def: $vgpr8
	s_branch .LBB143_1780
.LBB143_1772:
	s_mov_b32 s3, -1
                                        ; implicit-def: $vgpr8
	s_branch .LBB143_1777
.LBB143_1773:
	s_mov_b32 s3, -1
                                        ; implicit-def: $vgpr8
.LBB143_1774:
	s_andn2_b32 vcc_lo, exec_lo, s3
	s_cbranch_vccnz .LBB143_1776
; %bb.1775:
	global_load_dword v8, v[0:1], off
.LBB143_1776:
	s_mov_b32 s3, 0
.LBB143_1777:
	s_andn2_b32 vcc_lo, exec_lo, s3
	s_cbranch_vccnz .LBB143_1779
; %bb.1778:
	global_load_dword v8, v[0:1], off
	s_waitcnt vmcnt(0)
	v_cvt_f32_f16_e32 v8, v8
.LBB143_1779:
	s_mov_b32 s3, 0
.LBB143_1780:
	s_andn2_b32 vcc_lo, exec_lo, s3
	s_cbranch_vccnz .LBB143_1791
; %bb.1781:
	s_cmp_lt_i32 s4, 6
	s_cbranch_scc1 .LBB143_1784
; %bb.1782:
	s_cmp_gt_i32 s4, 6
	s_cbranch_scc0 .LBB143_1785
; %bb.1783:
	global_load_dwordx2 v[10:11], v[0:1], off
	s_mov_b32 s3, 0
	s_waitcnt vmcnt(0)
	v_cvt_f32_f64_e32 v8, v[10:11]
	s_branch .LBB143_1786
.LBB143_1784:
	s_mov_b32 s3, -1
                                        ; implicit-def: $vgpr8
	s_branch .LBB143_1789
.LBB143_1785:
	s_mov_b32 s3, -1
                                        ; implicit-def: $vgpr8
.LBB143_1786:
	s_andn2_b32 vcc_lo, exec_lo, s3
	s_cbranch_vccnz .LBB143_1788
; %bb.1787:
	global_load_dword v8, v[0:1], off
.LBB143_1788:
	s_mov_b32 s3, 0
.LBB143_1789:
	s_andn2_b32 vcc_lo, exec_lo, s3
	s_cbranch_vccnz .LBB143_1791
; %bb.1790:
	global_load_ushort v8, v[0:1], off
	s_waitcnt vmcnt(0)
	v_cvt_f32_f16_e32 v8, v8
.LBB143_1791:
	s_mov_b32 s3, 0
.LBB143_1792:
	s_andn2_b32 vcc_lo, exec_lo, s3
	s_cbranch_vccnz .LBB143_1812
; %bb.1793:
	s_cmp_lt_i32 s4, 2
	s_cbranch_scc1 .LBB143_1797
; %bb.1794:
	s_cmp_lt_i32 s4, 3
	s_cbranch_scc1 .LBB143_1798
; %bb.1795:
	s_cmp_gt_i32 s4, 3
	s_cbranch_scc0 .LBB143_1799
; %bb.1796:
	global_load_dwordx2 v[10:11], v[0:1], off
	s_mov_b32 s3, 0
	s_waitcnt vmcnt(0)
	v_xor_b32_e32 v8, v10, v11
	v_ffbh_i32_e32 v12, v11
	v_ashrrev_i32_e32 v8, 31, v8
	v_add_nc_u32_e32 v12, -1, v12
	v_add_nc_u32_e32 v8, 32, v8
	v_min_u32_e32 v8, v12, v8
	v_lshlrev_b64 v[10:11], v8, v[10:11]
	v_sub_nc_u32_e32 v8, 32, v8
	v_min_u32_e32 v10, 1, v10
	v_or_b32_e32 v10, v11, v10
	v_cvt_f32_i32_e32 v10, v10
	v_ldexp_f32 v8, v10, v8
	s_branch .LBB143_1800
.LBB143_1797:
	s_mov_b32 s3, -1
                                        ; implicit-def: $vgpr8
	s_branch .LBB143_1806
.LBB143_1798:
	s_mov_b32 s3, -1
                                        ; implicit-def: $vgpr8
	s_branch .LBB143_1803
.LBB143_1799:
	s_mov_b32 s3, -1
                                        ; implicit-def: $vgpr8
.LBB143_1800:
	s_andn2_b32 vcc_lo, exec_lo, s3
	s_cbranch_vccnz .LBB143_1802
; %bb.1801:
	global_load_dword v8, v[0:1], off
	s_waitcnt vmcnt(0)
	v_cvt_f32_i32_e32 v8, v8
.LBB143_1802:
	s_mov_b32 s3, 0
.LBB143_1803:
	s_andn2_b32 vcc_lo, exec_lo, s3
	s_cbranch_vccnz .LBB143_1805
; %bb.1804:
	global_load_sshort v8, v[0:1], off
	s_waitcnt vmcnt(0)
	v_cvt_f32_i32_e32 v8, v8
.LBB143_1805:
	s_mov_b32 s3, 0
.LBB143_1806:
	s_andn2_b32 vcc_lo, exec_lo, s3
	s_cbranch_vccnz .LBB143_1812
; %bb.1807:
	s_cmp_gt_i32 s4, 0
	s_mov_b32 s3, 0
	s_cbranch_scc0 .LBB143_1809
; %bb.1808:
	global_load_sbyte v8, v[0:1], off
	s_waitcnt vmcnt(0)
	v_cvt_f32_i32_e32 v8, v8
	s_branch .LBB143_1810
.LBB143_1809:
	s_mov_b32 s3, -1
                                        ; implicit-def: $vgpr8
.LBB143_1810:
	s_andn2_b32 vcc_lo, exec_lo, s3
	s_cbranch_vccnz .LBB143_1812
; %bb.1811:
	global_load_ubyte v0, v[0:1], off
	s_waitcnt vmcnt(0)
	v_cvt_f32_ubyte0_e32 v8, v0
.LBB143_1812:
	s_mov_b32 s11, -1
.LBB143_1813:
	s_andn2_b32 vcc_lo, exec_lo, s11
	s_cbranch_vccnz .LBB143_2285
; %bb.1814:
	s_waitcnt vmcnt(0)
	v_and_b32_e32 v0, 0x7fffffff, v8
	s_mov_b32 s4, exec_lo
                                        ; implicit-def: $vgpr10
	v_cmpx_ngt_f32_e64 0x3c800000, |v8|
	s_xor_b32 s4, exec_lo, s4
	s_cbranch_execz .LBB143_1844
; %bb.1815:
	s_mov_b32 s10, exec_lo
                                        ; implicit-def: $vgpr10
	v_cmpx_nlt_f32_e64 |v8|, 2.0
	s_xor_b32 s10, exec_lo, s10
	s_cbranch_execz .LBB143_1825
; %bb.1816:
	v_cmp_ngt_f32_e64 s3, 0x41000000, |v8|
                                        ; implicit-def: $vgpr10
	s_and_saveexec_b32 s11, s3
	s_xor_b32 s3, exec_lo, s11
	s_cbranch_execz .LBB143_1822
; %bb.1817:
	v_cmp_ngt_f32_e64 s11, 0x5c800000, |v8|
                                        ; implicit-def: $vgpr10
	s_and_saveexec_b32 s13, s11
	s_xor_b32 s11, exec_lo, s13
	s_cbranch_execz .LBB143_1819
; %bb.1818:
	v_cmp_gt_f32_e64 s13, 0x800000, |v8|
	v_cndmask_b32_e64 v1, 0, 32, s13
	v_ldexp_f32 v1, |v8|, v1
	v_log_f32_e32 v1, v1
	v_mul_f32_e32 v10, 0x3f317217, v1
	v_cmp_gt_f32_e64 vcc_lo, 0x7f800000, |v1|
	v_fma_f32 v11, 0x3f317217, v1, -v10
	v_fmamk_f32 v11, v1, 0x3377d1cf, v11
	v_add_f32_e32 v10, v10, v11
	v_cndmask_b32_e32 v1, v1, v10, vcc_lo
	v_cndmask_b32_e64 v10, 0, 0x41b17218, s13
	v_sub_f32_e32 v1, v1, v10
	v_fma_f32 v10, |v8|, v1, -|v8|
.LBB143_1819:
	s_andn2_saveexec_b32 s11, s11
	s_cbranch_execz .LBB143_1821
; %bb.1820:
	v_cmp_gt_f32_e64 s13, 0x800000, |v8|
	v_rcp_f32_e64 v10, |v8|
	s_mov_b32 s15, 0xbad5c4e8
	v_cndmask_b32_e64 v1, 0, 32, s13
	v_ldexp_f32 v1, |v8|, v1
	v_mul_f32_e32 v11, v10, v10
	v_log_f32_e32 v1, v1
	v_fmaak_f32 v13, s15, v11, 0x3a5b3dd2
	v_fmaak_f32 v13, v11, v13, 0xba1c065c
	v_mul_f32_e32 v12, 0x3f317217, v1
	v_fmaak_f32 v13, v11, v13, 0x3a500cfd
	v_cmp_gt_f32_e64 vcc_lo, 0x7f800000, |v1|
	v_fma_f32 v14, 0x3f317217, v1, -v12
	v_fmaak_f32 v13, v11, v13, 0xbb360b61
	v_fmamk_f32 v14, v1, 0x3377d1cf, v14
	v_fmaak_f32 v11, v11, v13, 0x3daaaaab
	v_add_f32_e32 v12, v12, v14
	v_fmaak_f32 v10, v10, v11, 0x3ed67f1d
	v_add_f32_e64 v11, |v8|, -0.5
	v_cndmask_b32_e32 v1, v1, v12, vcc_lo
	v_cndmask_b32_e64 v12, 0, 0x41b17218, s13
	v_sub_f32_e32 v1, v1, v12
	v_add_f32_e32 v1, -1.0, v1
	v_fmac_f32_e32 v10, v11, v1
.LBB143_1821:
	s_or_b32 exec_lo, exec_lo, s11
.LBB143_1822:
	s_andn2_saveexec_b32 s11, s3
	s_cbranch_execz .LBB143_1824
; %bb.1823:
	v_cvt_i32_f32_e32 v1, v0
	s_mov_b32 s3, 0x36f5d7bd
	s_mov_b32 s13, 0x3805ff67
	v_cvt_f32_i32_e32 v10, v1
	v_cmp_lt_i32_e32 vcc_lo, 2, v1
	v_sub_f32_e64 v10, |v8|, v10
	v_add_f32_e32 v11, 2.0, v10
	v_add_f32_e32 v12, 0x40400000, v10
	v_add_f32_e32 v13, 4.0, v10
	v_add_f32_e32 v14, 0x40a00000, v10
	v_cndmask_b32_e32 v11, 1.0, v11, vcc_lo
	v_cmp_lt_i32_e32 vcc_lo, 3, v1
	v_cndmask_b32_e32 v12, 1.0, v12, vcc_lo
	v_cmp_lt_i32_e32 vcc_lo, 4, v1
	v_mul_f32_e32 v11, v11, v12
	v_cndmask_b32_e32 v13, 1.0, v13, vcc_lo
	v_cmp_lt_i32_e32 vcc_lo, 5, v1
	v_add_f32_e32 v12, 0x40c00000, v10
	v_mul_f32_e32 v11, v13, v11
	v_cndmask_b32_e32 v14, 1.0, v14, vcc_lo
	v_cmp_lt_i32_e32 vcc_lo, 6, v1
	v_fmaak_f32 v13, s13, v10, 0x3af135b4
	v_mul_f32_e32 v11, v14, v11
	v_cndmask_b32_e32 v1, 1.0, v12, vcc_lo
	v_mul_f32_e32 v1, v1, v11
	v_fmaak_f32 v11, s3, v10, 0x3a4beed6
	v_cmp_gt_f32_e32 vcc_lo, 0x800000, v1
	v_fmaak_f32 v11, v10, v11, 0x3c98bf54
	v_cndmask_b32_e64 v12, 0, 32, vcc_lo
	v_fmaak_f32 v11, v10, v11, 0x3e300f6e
	v_ldexp_f32 v1, v1, v12
	v_fmaak_f32 v12, v10, v13, 0x3cda40e4
	v_fmaak_f32 v11, v10, v11, 0x3f38d0c5
	v_log_f32_e32 v1, v1
	v_fmaak_f32 v12, v10, v12, 0x3e15dce6
	v_fmaak_f32 v11, v10, v11, 0x3fb22d3b
	;; [unrolled: 1-line block ×3, first 2 shown]
	v_fma_f32 v11, v10, v11, 1.0
	v_mul_f32_e32 v13, 0x3f317217, v1
	v_fmaak_f32 v12, v10, v12, 0x3e5c245a
	v_rcp_f32_e32 v11, v11
	v_cmp_gt_f32_e64 s3, 0x7f800000, |v1|
	v_fma_f32 v14, 0x3f317217, v1, -v13
	v_fmaak_f32 v12, v10, v12, 0xbd9e233f
	v_fmamk_f32 v14, v1, 0x3377d1cf, v14
	v_mul_f32_e32 v12, v10, v12
	v_add_f32_e32 v13, v13, v14
	v_mul_f32_e32 v11, v12, v11
	v_cndmask_b32_e64 v12, 0, 0x41b17218, vcc_lo
	v_cndmask_b32_e64 v1, v1, v13, s3
	v_fmac_f32_e32 v11, 0.5, v10
	v_sub_f32_e32 v1, v1, v12
	v_add_f32_e32 v10, v1, v11
.LBB143_1824:
	s_or_b32 exec_lo, exec_lo, s11
.LBB143_1825:
	s_andn2_saveexec_b32 s10, s10
	s_cbranch_execz .LBB143_1843
; %bb.1826:
	s_mov_b32 s11, exec_lo
                                        ; implicit-def: $vgpr10
                                        ; implicit-def: $vgpr11
                                        ; implicit-def: $vgpr1
	v_cmpx_ge_f32_e64 0x3f666666, |v8|
	s_xor_b32 s11, exec_lo, s11
	s_cbranch_execz .LBB143_1828
; %bb.1827:
	v_cmp_gt_f32_e64 s3, 0x800000, |v8|
	v_sub_f32_e64 v12, 1.0, |v8|
	v_cmp_gt_f32_e64 vcc_lo, 0x3f3b4a23, |v8|
	v_cndmask_b32_e64 v1, 0, 32, s3
	v_cndmask_b32_e64 v13, 0, 0x41b17218, s3
	v_ldexp_f32 v1, |v8|, v1
	v_log_f32_e32 v1, v1
	v_mul_f32_e32 v10, 0x3f317217, v1
	v_cmp_gt_f32_e64 s3, 0x7f800000, |v1|
	v_fma_f32 v11, 0x3f317217, v1, -v10
	v_fmamk_f32 v11, v1, 0x3377d1cf, v11
	v_add_f32_e32 v10, v10, v11
	v_add_f32_e64 v11, 0xbeec5b0c, |v8|
	v_cndmask_b32_e64 v1, v1, v10, s3
	v_cndmask_b32_e32 v10, v12, v11, vcc_lo
	v_cndmask_b32_e64 v11, 0, 1, vcc_lo
	v_cmp_gt_f32_e64 s3, 0x3e6d3309, |v8|
	v_sub_f32_e32 v12, v1, v13
	v_cndmask_b32_e64 v1, v10, |v8|, s3
	v_cndmask_b32_e64 v11, v11, 2, s3
	v_xor_b32_e32 v10, 0x80000000, v12
.LBB143_1828:
	s_andn2_saveexec_b32 s3, s11
	s_cbranch_execz .LBB143_1830
; %bb.1829:
	v_sub_f32_e64 v1, 2.0, |v8|
	v_add_f32_e64 v10, 0xbfbb16c3, |v8|
	v_cmp_gt_f32_e64 vcc_lo, 0x3fdda512, |v8|
	v_add_f32_e64 v11, |v8|, -1.0
	v_cndmask_b32_e32 v10, v1, v10, vcc_lo
	v_cndmask_b32_e64 v1, v1, 1.0, vcc_lo
	v_cmp_gt_f32_e64 vcc_lo, 0x3f9d70a4, |v8|
	v_cvt_i32_f32_e32 v12, v1
	v_cndmask_b32_e32 v1, v10, v11, vcc_lo
	v_mov_b32_e32 v10, 0
	v_cndmask_b32_e64 v11, v12, 2, vcc_lo
.LBB143_1830:
	s_or_b32 exec_lo, exec_lo, s3
	s_mov_b32 s3, exec_lo
	v_cmpx_lt_i32_e32 0, v11
	s_xor_b32 s3, exec_lo, s3
	s_cbranch_execz .LBB143_1838
; %bb.1831:
	s_mov_b32 s11, exec_lo
	v_cmpx_lt_i32_e32 1, v11
	s_xor_b32 s11, exec_lo, s11
	s_cbranch_execz .LBB143_1835
; %bb.1832:
	s_mov_b32 s13, exec_lo
	v_cmpx_eq_u32_e32 2, v11
	s_cbranch_execz .LBB143_1834
; %bb.1833:
	s_mov_b32 s15, 0x3b52d5db
	v_fmaak_f32 v11, s15, v1, 0x3dd572af
	s_mov_b32 s15, 0x3c5b3c5e
	v_fmaak_f32 v12, s15, v1, 0x3e6a7578
	v_fmaak_f32 v11, v1, v11, 0x3f44efdf
	;; [unrolled: 1-line block ×7, first 2 shown]
	v_fma_f32 v11, v1, v11, 1.0
	v_fmaak_f32 v12, v1, v12, 0xbd9e233f
	v_rcp_f32_e32 v11, v11
	v_mul_f32_e32 v12, v1, v12
	v_mul_f32_e32 v11, v12, v11
	v_fmac_f32_e32 v11, -0.5, v1
	v_add_f32_e32 v10, v10, v11
.LBB143_1834:
	s_or_b32 exec_lo, exec_lo, s13
                                        ; implicit-def: $vgpr1
.LBB143_1835:
	s_andn2_saveexec_b32 s11, s11
	s_cbranch_execz .LBB143_1837
; %bb.1836:
	v_mul_f32_e32 v11, v1, v1
	s_mov_b32 s13, 0xb9a3f927
	s_mov_b32 s15, 0x39afe9f7
	v_mul_f32_e32 v12, v1, v11
	v_fmaak_f32 v13, s13, v12, 0x3a66f867
	v_fmaak_f32 v14, s15, v12, 0xba0d3085
	s_mov_b32 s13, 0x39a57b6b
	v_fmaak_f32 v15, s13, v12, 0xbab7f476
	v_fmaak_f32 v13, v12, v13, 0xbb7177fe
	;; [unrolled: 1-line block ×9, first 2 shown]
	v_fmac_f32_e32 v13, v1, v14
	v_fmaak_f32 v1, v12, v15, 0x3ef7b95e
	v_fma_f32 v12, v12, -v13, 0xa2863e55
	v_fma_f32 v1, v11, v1, -v12
	v_add_f32_e32 v1, 0xbdf8cdce, v1
	v_add_f32_e32 v10, v10, v1
.LBB143_1837:
	s_or_b32 exec_lo, exec_lo, s11
                                        ; implicit-def: $vgpr11
                                        ; implicit-def: $vgpr1
.LBB143_1838:
	s_andn2_saveexec_b32 s3, s3
	s_cbranch_execz .LBB143_1842
; %bb.1839:
	s_mov_b32 s11, exec_lo
	v_cmpx_eq_u32_e32 0, v11
	s_cbranch_execz .LBB143_1841
; %bb.1840:
	v_mul_f32_e32 v11, v1, v1
	s_mov_b32 s13, 0x383c2c75
	v_fmaak_f32 v12, s13, v11, 0x38e28445
	s_mov_b32 s13, 0x37d383a2
	v_fmaak_f32 v13, s13, v11, 0x39679767
	v_fmaak_f32 v12, v11, v12, 0x3a05b634
	;; [unrolled: 1-line block ×9, first 2 shown]
	v_mul_f32_e32 v11, v11, v12
	v_fmac_f32_e32 v11, v1, v13
	v_fmac_f32_e32 v11, -0.5, v1
	v_add_f32_e32 v10, v10, v11
.LBB143_1841:
	s_or_b32 exec_lo, exec_lo, s11
.LBB143_1842:
	s_or_b32 exec_lo, exec_lo, s3
.LBB143_1843:
	s_or_b32 exec_lo, exec_lo, s10
.LBB143_1844:
	s_andn2_saveexec_b32 s3, s4
	s_cbranch_execz .LBB143_1846
; %bb.1845:
	v_cmp_gt_f32_e64 s4, 0x800000, |v8|
	s_mov_b32 s10, 0x3e8a8991
	v_fma_f32 v12, |v8|, s10, 0xbecd26ab
	v_cndmask_b32_e64 v1, 0, 32, s4
	v_ldexp_f32 v1, |v8|, v1
	v_log_f32_e32 v1, v1
	v_mul_f32_e32 v10, 0x3f317217, v1
	v_cmp_gt_f32_e64 vcc_lo, 0x7f800000, |v1|
	v_fma_f32 v11, 0x3f317217, v1, -v10
	v_fmamk_f32 v11, v1, 0x3377d1cf, v11
	v_add_f32_e32 v10, v10, v11
	v_fma_f32 v11, |v8|, v12, 0x3f528d33
	v_cndmask_b32_e32 v1, v1, v10, vcc_lo
	v_cndmask_b32_e64 v10, 0, 0x41b17218, s4
	v_fma_f32 v11, |v8|, v11, 0xbf13c468
	v_sub_f32_e32 v1, v1, v10
	v_fma_f32 v10, |v8|, v11, -v1
.LBB143_1846:
	s_or_b32 exec_lo, exec_lo, s3
	v_cmp_le_f32_e64 s3, 0, v8
	s_mov_b32 s4, exec_lo
	v_cmpx_nle_f32_e32 0, v8
	s_xor_b32 s10, exec_lo, s4
	s_cbranch_execz .LBB143_1850
; %bb.1847:
	v_cmp_gt_f32_e64 s4, 0x4b000000, |v8|
	v_cmp_lt_f32_e64 s11, 0x35000000, |v8|
	s_and_b32 s4, s4, s11
	s_and_saveexec_b32 s11, s4
	s_cbranch_execz .LBB143_1849
; %bb.1848:
	v_mul_f32_e64 v1, |v8|, 0.5
	v_cmp_gt_f32_e64 s4, |v8|, 1.0
	s_mov_b32 s13, 0x3d4be544
	v_xor_b32_e32 v0, v0, v8
	v_floor_f32_e32 v11, v1
	v_cmp_neq_f32_e32 vcc_lo, 0x7f800000, v1
	v_sub_f32_e32 v11, v1, v11
	v_min_f32_e32 v11, 0x3f7fffff, v11
	v_add_f32_e32 v11, v11, v11
	v_cndmask_b32_e32 v1, 0, v11, vcc_lo
	v_cndmask_b32_e64 v1, |v8|, v1, s4
	s_mov_b32 s4, 0x3e75aa41
	v_add_f32_e32 v11, v1, v1
	v_rndne_f32_e32 v11, v11
	v_fmac_f32_e32 v1, -0.5, v11
	v_cvt_i32_f32_e32 v11, v11
	v_mul_f32_e32 v12, v1, v1
	v_fmaak_f32 v13, s4, v12, 0xbf1f24be
	v_fmaak_f32 v14, s13, v12, 0x3e642e9d
	v_mul_f32_e32 v15, v1, v12
	v_fmaak_f32 v13, v12, v13, 0x40234736
	v_fmaak_f32 v14, v12, v14, 0xbfaad1da
	;; [unrolled: 1-line block ×4, first 2 shown]
	v_mul_f32_e32 v13, v15, v13
	v_fmaak_f32 v14, v12, v14, 0xc09de9e6
	v_and_b32_e32 v15, 1, v11
	v_lshlrev_b32_e32 v11, 30, v11
	v_fmamk_f32 v1, v1, 0x40490fdb, v13
	v_fma_f32 v12, v12, v14, 1.0
	v_cmp_eq_u32_e32 vcc_lo, 0, v15
	v_and_b32_e32 v11, 0x80000000, v11
	v_cndmask_b32_e32 v1, v12, v1, vcc_lo
	v_xor3_b32 v0, v0, v11, v1
	v_mul_f32_e32 v0, v8, v0
	v_frexp_mant_f32_e64 v1, |v0|
	v_frexp_exp_i32_f32_e32 v0, v0
	v_rcp_f32_e32 v1, v1
	v_sub_nc_u32_e32 v0, 2, v0
	v_mul_f32_e32 v1, 0x3f490fdb, v1
	v_ldexp_f32 v0, v1, v0
	v_cmp_gt_f32_e32 vcc_lo, 0x800000, v0
	v_cndmask_b32_e64 v1, 0, 32, vcc_lo
	v_ldexp_f32 v0, v0, v1
	v_log_f32_e32 v0, v0
	v_mul_f32_e32 v1, 0x3f317217, v0
	v_cmp_gt_f32_e64 s4, 0x7f800000, |v0|
	v_fma_f32 v11, 0x3f317217, v0, -v1
	v_fmamk_f32 v11, v0, 0x3377d1cf, v11
	v_add_f32_e32 v1, v1, v11
	v_floor_f32_e32 v11, v8
	v_cndmask_b32_e64 v0, v0, v1, s4
	v_cndmask_b32_e64 v1, 0, 0x41b17218, vcc_lo
	v_sub_f32_e32 v11, v8, v11
	v_sub_f32_e32 v0, v0, v1
	v_min_f32_e32 v1, 0x3f7fffff, v11
	v_sub_f32_e32 v0, v0, v10
	v_cmp_neq_f32_e32 vcc_lo, 0, v1
	v_cndmask_b32_e32 v10, 0x7f800000, v0, vcc_lo
.LBB143_1849:
	s_or_b32 exec_lo, exec_lo, s11
.LBB143_1850:
	s_andn2_saveexec_b32 s10, s10
; %bb.1851:
	v_cmp_eq_f32_e32 vcc_lo, 1.0, v8
	v_cmp_eq_f32_e64 s4, 2.0, v8
	s_or_b32 s4, vcc_lo, s4
	v_cndmask_b32_e64 v10, v10, 0, s4
; %bb.1852:
	s_or_b32 exec_lo, exec_lo, s10
	v_cmp_gt_f32_e64 s4, 0x4b000000, |v2|
	v_mul_lo_u32 v4, s12, v4
	s_or_b32 vcc_lo, s0, s4
	v_cmp_class_f32_e64 s0, v2, 0x264
	v_cndmask_b32_e32 v0, 0x7f800000, v3, vcc_lo
	s_and_b32 s4, s5, 0xff
	v_ashrrev_i32_e32 v1, 31, v4
	s_cmp_lt_i32 s4, 11
	v_cndmask_b32_e64 v3, v0, 0x7f800000, s0
	v_add_co_u32 v0, vcc_lo, s8, v4
	v_add_co_ci_u32_e64 v1, null, s9, v1, vcc_lo
	v_cmp_u_f32_e32 vcc_lo, v2, v2
	v_cndmask_b32_e32 v2, v3, v2, vcc_lo
	s_cbranch_scc1 .LBB143_1930
; %bb.1853:
	s_and_b32 s5, 0xffff, s4
	s_mov_b32 s13, -1
	s_mov_b32 s10, 0
	s_cmp_gt_i32 s5, 25
	s_mov_b32 s11, 0
	s_mov_b32 s0, 0
	s_cbranch_scc0 .LBB143_1886
; %bb.1854:
	s_cmp_gt_i32 s5, 28
	s_cbranch_scc0 .LBB143_1869
; %bb.1855:
	s_cmp_gt_i32 s5, 43
	;; [unrolled: 3-line block ×3, first 2 shown]
	s_cbranch_scc0 .LBB143_1859
; %bb.1857:
	s_mov_b32 s0, -1
	s_mov_b32 s13, 0
	s_cmp_eq_u32 s5, 46
	s_cbranch_scc0 .LBB143_1859
; %bb.1858:
	v_bfe_u32 v3, v2, 16, 1
	v_cmp_o_f32_e32 vcc_lo, v2, v2
	v_mov_b32_e32 v11, 0x7fc0
	s_mov_b32 s0, 0
	s_mov_b32 s11, -1
	v_add3_u32 v3, v2, v3, 0x7fff
	v_cndmask_b32_sdwa v3, v11, v3, vcc_lo dst_sel:DWORD dst_unused:UNUSED_PAD src0_sel:DWORD src1_sel:WORD_1
	global_store_dword v[0:1], v3, off
.LBB143_1859:
	s_and_b32 vcc_lo, exec_lo, s13
	s_cbranch_vccz .LBB143_1864
; %bb.1860:
	s_cmp_eq_u32 s5, 44
	s_mov_b32 s0, -1
	s_cbranch_scc0 .LBB143_1864
; %bb.1861:
	v_bfe_u32 v11, v2, 23, 8
	v_mov_b32_e32 v3, 0xff
	s_mov_b32 s11, exec_lo
	v_cmpx_ne_u32_e32 0xff, v11
	s_cbranch_execz .LBB143_1863
; %bb.1862:
	v_and_b32_e32 v3, 0x400000, v2
	v_and_or_b32 v11, 0x3fffff, v2, v11
	v_cmp_ne_u32_e32 vcc_lo, 0, v3
	v_cmp_ne_u32_e64 s0, 0, v11
	v_lshrrev_b32_e32 v3, 23, v2
	s_and_b32 s0, vcc_lo, s0
	v_cndmask_b32_e64 v11, 0, 1, s0
	v_add_nc_u32_e32 v3, v3, v11
.LBB143_1863:
	s_or_b32 exec_lo, exec_lo, s11
	s_mov_b32 s0, 0
	s_mov_b32 s11, -1
	global_store_byte v[0:1], v3, off
.LBB143_1864:
	s_mov_b32 s13, 0
.LBB143_1865:
	s_and_b32 vcc_lo, exec_lo, s13
	s_cbranch_vccz .LBB143_1868
; %bb.1866:
	s_cmp_eq_u32 s5, 29
	s_mov_b32 s0, -1
	s_cbranch_scc0 .LBB143_1868
; %bb.1867:
	v_trunc_f32_e32 v3, v2
	s_mov_b32 s0, 0
	s_mov_b32 s11, -1
	v_mul_f32_e32 v11, 0x2f800000, v3
	v_floor_f32_e32 v11, v11
	v_fmamk_f32 v3, v11, 0xcf800000, v3
	v_cvt_u32_f32_e32 v12, v11
	v_cvt_u32_f32_e32 v11, v3
	global_store_dwordx2 v[0:1], v[11:12], off
.LBB143_1868:
	s_mov_b32 s13, 0
.LBB143_1869:
	s_and_b32 vcc_lo, exec_lo, s13
	s_cbranch_vccz .LBB143_1885
; %bb.1870:
	s_cmp_lt_i32 s5, 27
	s_mov_b32 s11, -1
	s_cbranch_scc1 .LBB143_1876
; %bb.1871:
	v_cvt_u32_f32_e32 v3, v2
	s_cmp_gt_i32 s5, 27
	s_cbranch_scc0 .LBB143_1873
; %bb.1872:
	s_mov_b32 s11, 0
	global_store_dword v[0:1], v3, off
.LBB143_1873:
	s_andn2_b32 vcc_lo, exec_lo, s11
	s_cbranch_vccnz .LBB143_1875
; %bb.1874:
	global_store_short v[0:1], v3, off
.LBB143_1875:
	s_mov_b32 s11, 0
.LBB143_1876:
	s_andn2_b32 vcc_lo, exec_lo, s11
	s_cbranch_vccnz .LBB143_1884
; %bb.1877:
	v_and_b32_e32 v3, 0x7fffffff, v2
	v_mov_b32_e32 v11, 0x80
	s_mov_b32 s11, exec_lo
	v_cmpx_gt_u32_e32 0x43800000, v3
	s_cbranch_execz .LBB143_1883
; %bb.1878:
	v_cmp_lt_u32_e32 vcc_lo, 0x3bffffff, v3
	s_mov_b32 s13, 0
                                        ; implicit-def: $vgpr3
	s_and_saveexec_b32 s15, vcc_lo
	s_xor_b32 s15, exec_lo, s15
	s_cbranch_execz .LBB143_2332
; %bb.1879:
	v_bfe_u32 v3, v2, 20, 1
	s_mov_b32 s13, exec_lo
	v_add3_u32 v3, v2, v3, 0x487ffff
	v_lshrrev_b32_e32 v3, 20, v3
	s_andn2_saveexec_b32 s15, s15
	s_cbranch_execnz .LBB143_2333
.LBB143_1880:
	s_or_b32 exec_lo, exec_lo, s15
	v_mov_b32_e32 v11, 0
	s_and_saveexec_b32 s15, s13
.LBB143_1881:
	v_lshrrev_b32_e32 v11, 24, v2
	v_and_or_b32 v11, 0x80, v11, v3
.LBB143_1882:
	s_or_b32 exec_lo, exec_lo, s15
.LBB143_1883:
	s_or_b32 exec_lo, exec_lo, s11
	global_store_byte v[0:1], v11, off
.LBB143_1884:
	s_mov_b32 s11, -1
.LBB143_1885:
	s_mov_b32 s13, 0
.LBB143_1886:
	s_and_b32 vcc_lo, exec_lo, s13
	s_cbranch_vccz .LBB143_1926
; %bb.1887:
	s_cmp_gt_i32 s5, 22
	s_mov_b32 s10, -1
	s_cbranch_scc0 .LBB143_1919
; %bb.1888:
	s_cmp_lt_i32 s5, 24
	s_cbranch_scc1 .LBB143_1908
; %bb.1889:
	s_cmp_gt_i32 s5, 24
	s_cbranch_scc0 .LBB143_1897
; %bb.1890:
	v_and_b32_e32 v3, 0x7fffffff, v2
	v_mov_b32_e32 v11, 0x80
	s_mov_b32 s10, exec_lo
	v_cmpx_gt_u32_e32 0x47800000, v3
	s_cbranch_execz .LBB143_1896
; %bb.1891:
	v_cmp_lt_u32_e32 vcc_lo, 0x37ffffff, v3
	s_mov_b32 s11, 0
                                        ; implicit-def: $vgpr3
	s_and_saveexec_b32 s13, vcc_lo
	s_xor_b32 s13, exec_lo, s13
	s_cbranch_execz .LBB143_2335
; %bb.1892:
	v_bfe_u32 v3, v2, 21, 1
	s_mov_b32 s11, exec_lo
	v_add3_u32 v3, v2, v3, 0x88fffff
	v_lshrrev_b32_e32 v3, 21, v3
	s_andn2_saveexec_b32 s13, s13
	s_cbranch_execnz .LBB143_2336
.LBB143_1893:
	s_or_b32 exec_lo, exec_lo, s13
	v_mov_b32_e32 v11, 0
	s_and_saveexec_b32 s13, s11
.LBB143_1894:
	v_lshrrev_b32_e32 v11, 24, v2
	v_and_or_b32 v11, 0x80, v11, v3
.LBB143_1895:
	s_or_b32 exec_lo, exec_lo, s13
.LBB143_1896:
	s_or_b32 exec_lo, exec_lo, s10
	s_mov_b32 s10, 0
	global_store_byte v[0:1], v11, off
.LBB143_1897:
	s_and_b32 vcc_lo, exec_lo, s10
	s_cbranch_vccz .LBB143_1907
; %bb.1898:
	v_and_b32_e32 v11, 0x7fffffff, v2
	s_mov_b32 s10, exec_lo
                                        ; implicit-def: $vgpr3
	v_cmpx_gt_u32_e32 0x43f00000, v11
	s_xor_b32 s10, exec_lo, s10
	s_cbranch_execz .LBB143_1904
; %bb.1899:
	s_mov_b32 s11, exec_lo
                                        ; implicit-def: $vgpr3
	v_cmpx_lt_u32_e32 0x3c7fffff, v11
	s_xor_b32 s11, exec_lo, s11
; %bb.1900:
	v_bfe_u32 v3, v2, 20, 1
	v_add3_u32 v3, v2, v3, 0x407ffff
	v_and_b32_e32 v11, 0xff00000, v3
	v_lshrrev_b32_e32 v3, 20, v3
	v_cmp_ne_u32_e32 vcc_lo, 0x7f00000, v11
	v_cndmask_b32_e32 v3, 0x7e, v3, vcc_lo
; %bb.1901:
	s_andn2_saveexec_b32 s11, s11
; %bb.1902:
	v_add_f32_e64 v3, 0x46800000, |v2|
; %bb.1903:
	s_or_b32 exec_lo, exec_lo, s11
                                        ; implicit-def: $vgpr11
.LBB143_1904:
	s_andn2_saveexec_b32 s10, s10
; %bb.1905:
	v_mov_b32_e32 v3, 0x7f
	v_cmp_lt_u32_e32 vcc_lo, 0x7f800000, v11
	v_cndmask_b32_e32 v3, 0x7e, v3, vcc_lo
; %bb.1906:
	s_or_b32 exec_lo, exec_lo, s10
	v_lshrrev_b32_e32 v11, 24, v2
	v_and_or_b32 v3, 0x80, v11, v3
	global_store_byte v[0:1], v3, off
.LBB143_1907:
	s_mov_b32 s10, 0
.LBB143_1908:
	s_andn2_b32 vcc_lo, exec_lo, s10
	s_cbranch_vccnz .LBB143_1918
; %bb.1909:
	v_and_b32_e32 v11, 0x7fffffff, v2
	s_mov_b32 s10, exec_lo
                                        ; implicit-def: $vgpr3
	v_cmpx_gt_u32_e32 0x47800000, v11
	s_xor_b32 s10, exec_lo, s10
	s_cbranch_execz .LBB143_1915
; %bb.1910:
	s_mov_b32 s11, exec_lo
                                        ; implicit-def: $vgpr3
	v_cmpx_lt_u32_e32 0x387fffff, v11
	s_xor_b32 s11, exec_lo, s11
; %bb.1911:
	v_bfe_u32 v3, v2, 21, 1
	v_add3_u32 v3, v2, v3, 0x80fffff
	v_lshrrev_b32_e32 v3, 21, v3
; %bb.1912:
	s_andn2_saveexec_b32 s11, s11
; %bb.1913:
	v_add_f32_e64 v3, 0x43000000, |v2|
; %bb.1914:
	s_or_b32 exec_lo, exec_lo, s11
                                        ; implicit-def: $vgpr11
.LBB143_1915:
	s_andn2_saveexec_b32 s10, s10
; %bb.1916:
	v_mov_b32_e32 v3, 0x7f
	v_cmp_lt_u32_e32 vcc_lo, 0x7f800000, v11
	v_cndmask_b32_e32 v3, 0x7c, v3, vcc_lo
; %bb.1917:
	s_or_b32 exec_lo, exec_lo, s10
	v_lshrrev_b32_e32 v11, 24, v2
	v_and_or_b32 v3, 0x80, v11, v3
	global_store_byte v[0:1], v3, off
.LBB143_1918:
	s_mov_b32 s10, 0
	s_mov_b32 s11, -1
.LBB143_1919:
	s_andn2_b32 vcc_lo, exec_lo, s10
	s_mov_b32 s10, 0
	s_cbranch_vccnz .LBB143_1926
; %bb.1920:
	s_cmp_gt_i32 s5, 14
	s_mov_b32 s10, -1
	s_cbranch_scc0 .LBB143_1924
; %bb.1921:
	s_cmp_eq_u32 s5, 15
	s_mov_b32 s0, -1
	s_cbranch_scc0 .LBB143_1923
; %bb.1922:
	v_bfe_u32 v3, v2, 16, 1
	v_cmp_o_f32_e32 vcc_lo, v2, v2
	v_mov_b32_e32 v11, 0x7fc0
	s_mov_b32 s0, 0
	s_mov_b32 s11, -1
	v_add3_u32 v3, v2, v3, 0x7fff
	v_cndmask_b32_sdwa v3, v11, v3, vcc_lo dst_sel:DWORD dst_unused:UNUSED_PAD src0_sel:DWORD src1_sel:WORD_1
	global_store_short v[0:1], v3, off
.LBB143_1923:
	s_mov_b32 s10, 0
.LBB143_1924:
	s_and_b32 vcc_lo, exec_lo, s10
	s_mov_b32 s10, 0
	s_cbranch_vccz .LBB143_1926
; %bb.1925:
	s_cmp_lg_u32 s5, 11
	s_mov_b32 s10, -1
	s_cselect_b32 s0, -1, 0
.LBB143_1926:
	s_and_b32 vcc_lo, exec_lo, s0
	s_cbranch_vccnz .LBB143_2334
; %bb.1927:
	s_andn2_b32 vcc_lo, exec_lo, s10
	s_cbranch_vccnz .LBB143_1929
.LBB143_1928:
	v_cmp_neq_f32_e32 vcc_lo, 0, v2
	s_mov_b32 s11, -1
	v_cndmask_b32_e64 v3, 0, 1, vcc_lo
	global_store_byte v[0:1], v3, off
.LBB143_1929:
	s_mov_b32 s0, 0
	s_branch .LBB143_1931
.LBB143_1930:
	s_mov_b32 s0, -1
	s_mov_b32 s11, 0
.LBB143_1931:
	s_and_b32 vcc_lo, exec_lo, s0
	s_cbranch_vccz .LBB143_1970
; %bb.1932:
	s_and_b32 s0, 0xffff, s4
	s_mov_b32 s5, -1
	s_cmp_lt_i32 s0, 5
	s_cbranch_scc1 .LBB143_1953
; %bb.1933:
	s_cmp_lt_i32 s0, 8
	s_cbranch_scc1 .LBB143_1943
; %bb.1934:
	;; [unrolled: 3-line block ×3, first 2 shown]
	s_cmp_gt_i32 s0, 9
	s_cbranch_scc0 .LBB143_1937
; %bb.1936:
	v_cvt_f64_f32_e32 v[11:12], v2
	v_mov_b32_e32 v13, 0
	s_mov_b32 s5, 0
	v_mov_b32_e32 v14, v13
	global_store_dwordx4 v[0:1], v[11:14], off
.LBB143_1937:
	s_andn2_b32 vcc_lo, exec_lo, s5
	s_cbranch_vccnz .LBB143_1939
; %bb.1938:
	v_mov_b32_e32 v3, 0
	global_store_dwordx2 v[0:1], v[2:3], off
.LBB143_1939:
	s_mov_b32 s5, 0
.LBB143_1940:
	s_andn2_b32 vcc_lo, exec_lo, s5
	s_cbranch_vccnz .LBB143_1942
; %bb.1941:
	v_cvt_f16_f32_e32 v3, v2
	v_and_b32_e32 v3, 0xffff, v3
	global_store_dword v[0:1], v3, off
.LBB143_1942:
	s_mov_b32 s5, 0
.LBB143_1943:
	s_andn2_b32 vcc_lo, exec_lo, s5
	s_cbranch_vccnz .LBB143_1952
; %bb.1944:
	s_cmp_lt_i32 s0, 6
	s_mov_b32 s5, -1
	s_cbranch_scc1 .LBB143_1950
; %bb.1945:
	s_cmp_gt_i32 s0, 6
	s_cbranch_scc0 .LBB143_1947
; %bb.1946:
	v_cvt_f64_f32_e32 v[11:12], v2
	s_mov_b32 s5, 0
	global_store_dwordx2 v[0:1], v[11:12], off
.LBB143_1947:
	s_andn2_b32 vcc_lo, exec_lo, s5
	s_cbranch_vccnz .LBB143_1949
; %bb.1948:
	global_store_dword v[0:1], v2, off
.LBB143_1949:
	s_mov_b32 s5, 0
.LBB143_1950:
	s_andn2_b32 vcc_lo, exec_lo, s5
	s_cbranch_vccnz .LBB143_1952
; %bb.1951:
	v_cvt_f16_f32_e32 v3, v2
	global_store_short v[0:1], v3, off
.LBB143_1952:
	s_mov_b32 s5, 0
.LBB143_1953:
	s_andn2_b32 vcc_lo, exec_lo, s5
	s_cbranch_vccnz .LBB143_1969
; %bb.1954:
	s_cmp_lt_i32 s0, 2
	s_mov_b32 s5, -1
	s_cbranch_scc1 .LBB143_1964
; %bb.1955:
	s_cmp_lt_i32 s0, 3
	s_cbranch_scc1 .LBB143_1961
; %bb.1956:
	s_cmp_gt_i32 s0, 3
	s_cbranch_scc0 .LBB143_1958
; %bb.1957:
	v_trunc_f32_e32 v3, v2
	s_mov_b32 s5, 0
	v_mul_f32_e64 v11, 0x2f800000, |v3|
	v_floor_f32_e32 v11, v11
	v_fma_f32 v12, 0xcf800000, v11, |v3|
	v_ashrrev_i32_e32 v3, 31, v3
	v_cvt_u32_f32_e32 v11, v11
	v_cvt_u32_f32_e32 v12, v12
	v_xor_b32_e32 v13, v11, v3
	v_xor_b32_e32 v12, v12, v3
	v_sub_co_u32 v11, vcc_lo, v12, v3
	v_sub_co_ci_u32_e64 v12, null, v13, v3, vcc_lo
	global_store_dwordx2 v[0:1], v[11:12], off
.LBB143_1958:
	s_andn2_b32 vcc_lo, exec_lo, s5
	s_cbranch_vccnz .LBB143_1960
; %bb.1959:
	v_cvt_i32_f32_e32 v3, v2
	global_store_dword v[0:1], v3, off
.LBB143_1960:
	s_mov_b32 s5, 0
.LBB143_1961:
	s_andn2_b32 vcc_lo, exec_lo, s5
	s_cbranch_vccnz .LBB143_1963
; %bb.1962:
	v_cvt_i32_f32_e32 v3, v2
	global_store_short v[0:1], v3, off
.LBB143_1963:
	s_mov_b32 s5, 0
.LBB143_1964:
	s_andn2_b32 vcc_lo, exec_lo, s5
	s_cbranch_vccnz .LBB143_1969
; %bb.1965:
	s_cmp_gt_i32 s0, 0
	s_mov_b32 s0, -1
	s_cbranch_scc0 .LBB143_1967
; %bb.1966:
	v_cvt_i32_f32_e32 v3, v2
	s_mov_b32 s0, 0
	global_store_byte v[0:1], v3, off
.LBB143_1967:
	s_andn2_b32 vcc_lo, exec_lo, s0
	s_cbranch_vccnz .LBB143_1969
; %bb.1968:
	v_trunc_f32_e32 v2, v2
	v_mul_f32_e64 v3, 0x2f800000, |v2|
	v_floor_f32_e32 v3, v3
	v_fma_f32 v3, 0xcf800000, v3, |v2|
	v_ashrrev_i32_e32 v2, 31, v2
	v_cvt_u32_f32_e32 v3, v3
	v_xor_b32_e32 v3, v3, v2
	v_sub_nc_u32_e32 v2, v3, v2
	global_store_byte v[0:1], v2, off
.LBB143_1969:
	s_mov_b32 s11, -1
.LBB143_1970:
	s_andn2_b32 vcc_lo, exec_lo, s11
	s_cbranch_vccnz .LBB143_2285
; %bb.1971:
	v_cmp_gt_f32_e64 s0, 0x4b000000, |v5|
	s_or_b32 vcc_lo, s1, s0
	s_lshl_b32 s1, s12, 7
	v_cndmask_b32_e32 v0, 0x7f800000, v7, vcc_lo
	v_cmp_class_f32_e64 s0, v5, 0x264
	v_add_nc_u32_e32 v4, s1, v4
	v_cmp_u_f32_e32 vcc_lo, v5, v5
	s_cmp_lt_i32 s4, 11
	v_cndmask_b32_e64 v0, v0, 0x7f800000, s0
	v_ashrrev_i32_e32 v1, 31, v4
	v_cndmask_b32_e32 v2, v0, v5, vcc_lo
	v_add_co_u32 v0, vcc_lo, s8, v4
	v_add_co_ci_u32_e64 v1, null, s9, v1, vcc_lo
	s_cbranch_scc1 .LBB143_2049
; %bb.1972:
	s_and_b32 s5, 0xffff, s4
	s_mov_b32 s12, -1
	s_mov_b32 s10, 0
	s_cmp_gt_i32 s5, 25
	s_mov_b32 s11, 0
	s_mov_b32 s0, 0
	s_cbranch_scc0 .LBB143_2005
; %bb.1973:
	s_cmp_gt_i32 s5, 28
	s_cbranch_scc0 .LBB143_1988
; %bb.1974:
	s_cmp_gt_i32 s5, 43
	;; [unrolled: 3-line block ×3, first 2 shown]
	s_cbranch_scc0 .LBB143_1978
; %bb.1976:
	s_mov_b32 s0, -1
	s_mov_b32 s12, 0
	s_cmp_eq_u32 s5, 46
	s_cbranch_scc0 .LBB143_1978
; %bb.1977:
	v_bfe_u32 v3, v2, 16, 1
	v_cmp_o_f32_e32 vcc_lo, v2, v2
	v_mov_b32_e32 v5, 0x7fc0
	s_mov_b32 s0, 0
	s_mov_b32 s11, -1
	v_add3_u32 v3, v2, v3, 0x7fff
	v_cndmask_b32_sdwa v3, v5, v3, vcc_lo dst_sel:DWORD dst_unused:UNUSED_PAD src0_sel:DWORD src1_sel:WORD_1
	global_store_dword v[0:1], v3, off
.LBB143_1978:
	s_and_b32 vcc_lo, exec_lo, s12
	s_cbranch_vccz .LBB143_1983
; %bb.1979:
	s_cmp_eq_u32 s5, 44
	s_mov_b32 s0, -1
	s_cbranch_scc0 .LBB143_1983
; %bb.1980:
	v_bfe_u32 v5, v2, 23, 8
	v_mov_b32_e32 v3, 0xff
	s_mov_b32 s11, exec_lo
	v_cmpx_ne_u32_e32 0xff, v5
	s_cbranch_execz .LBB143_1982
; %bb.1981:
	v_and_b32_e32 v3, 0x400000, v2
	v_and_or_b32 v5, 0x3fffff, v2, v5
	v_cmp_ne_u32_e32 vcc_lo, 0, v3
	v_cmp_ne_u32_e64 s0, 0, v5
	v_lshrrev_b32_e32 v3, 23, v2
	s_and_b32 s0, vcc_lo, s0
	v_cndmask_b32_e64 v5, 0, 1, s0
	v_add_nc_u32_e32 v3, v3, v5
.LBB143_1982:
	s_or_b32 exec_lo, exec_lo, s11
	s_mov_b32 s0, 0
	s_mov_b32 s11, -1
	global_store_byte v[0:1], v3, off
.LBB143_1983:
	s_mov_b32 s12, 0
.LBB143_1984:
	s_and_b32 vcc_lo, exec_lo, s12
	s_cbranch_vccz .LBB143_1987
; %bb.1985:
	s_cmp_eq_u32 s5, 29
	s_mov_b32 s0, -1
	s_cbranch_scc0 .LBB143_1987
; %bb.1986:
	v_trunc_f32_e32 v3, v2
	s_mov_b32 s0, 0
	s_mov_b32 s11, -1
	v_mul_f32_e32 v5, 0x2f800000, v3
	v_floor_f32_e32 v5, v5
	v_fmamk_f32 v3, v5, 0xcf800000, v3
	v_cvt_u32_f32_e32 v12, v5
	v_cvt_u32_f32_e32 v11, v3
	global_store_dwordx2 v[0:1], v[11:12], off
.LBB143_1987:
	s_mov_b32 s12, 0
.LBB143_1988:
	s_and_b32 vcc_lo, exec_lo, s12
	s_cbranch_vccz .LBB143_2004
; %bb.1989:
	s_cmp_lt_i32 s5, 27
	s_mov_b32 s11, -1
	s_cbranch_scc1 .LBB143_1995
; %bb.1990:
	v_cvt_u32_f32_e32 v3, v2
	s_cmp_gt_i32 s5, 27
	s_cbranch_scc0 .LBB143_1992
; %bb.1991:
	s_mov_b32 s11, 0
	global_store_dword v[0:1], v3, off
.LBB143_1992:
	s_andn2_b32 vcc_lo, exec_lo, s11
	s_cbranch_vccnz .LBB143_1994
; %bb.1993:
	global_store_short v[0:1], v3, off
.LBB143_1994:
	s_mov_b32 s11, 0
.LBB143_1995:
	s_andn2_b32 vcc_lo, exec_lo, s11
	s_cbranch_vccnz .LBB143_2003
; %bb.1996:
	v_and_b32_e32 v3, 0x7fffffff, v2
	v_mov_b32_e32 v5, 0x80
	s_mov_b32 s11, exec_lo
	v_cmpx_gt_u32_e32 0x43800000, v3
	s_cbranch_execz .LBB143_2002
; %bb.1997:
	v_cmp_lt_u32_e32 vcc_lo, 0x3bffffff, v3
	s_mov_b32 s12, 0
                                        ; implicit-def: $vgpr3
	s_and_saveexec_b32 s13, vcc_lo
	s_xor_b32 s13, exec_lo, s13
	s_cbranch_execz .LBB143_2337
; %bb.1998:
	v_bfe_u32 v3, v2, 20, 1
	s_mov_b32 s12, exec_lo
	v_add3_u32 v3, v2, v3, 0x487ffff
	v_lshrrev_b32_e32 v3, 20, v3
	s_andn2_saveexec_b32 s13, s13
	s_cbranch_execnz .LBB143_2338
.LBB143_1999:
	s_or_b32 exec_lo, exec_lo, s13
	v_mov_b32_e32 v5, 0
	s_and_saveexec_b32 s13, s12
.LBB143_2000:
	v_lshrrev_b32_e32 v5, 24, v2
	v_and_or_b32 v5, 0x80, v5, v3
.LBB143_2001:
	s_or_b32 exec_lo, exec_lo, s13
.LBB143_2002:
	s_or_b32 exec_lo, exec_lo, s11
	global_store_byte v[0:1], v5, off
.LBB143_2003:
	s_mov_b32 s11, -1
.LBB143_2004:
	s_mov_b32 s12, 0
.LBB143_2005:
	s_and_b32 vcc_lo, exec_lo, s12
	s_cbranch_vccz .LBB143_2045
; %bb.2006:
	s_cmp_gt_i32 s5, 22
	s_mov_b32 s10, -1
	s_cbranch_scc0 .LBB143_2038
; %bb.2007:
	s_cmp_lt_i32 s5, 24
	s_cbranch_scc1 .LBB143_2027
; %bb.2008:
	s_cmp_gt_i32 s5, 24
	s_cbranch_scc0 .LBB143_2016
; %bb.2009:
	v_and_b32_e32 v3, 0x7fffffff, v2
	v_mov_b32_e32 v5, 0x80
	s_mov_b32 s10, exec_lo
	v_cmpx_gt_u32_e32 0x47800000, v3
	s_cbranch_execz .LBB143_2015
; %bb.2010:
	v_cmp_lt_u32_e32 vcc_lo, 0x37ffffff, v3
	s_mov_b32 s11, 0
                                        ; implicit-def: $vgpr3
	s_and_saveexec_b32 s12, vcc_lo
	s_xor_b32 s12, exec_lo, s12
	s_cbranch_execz .LBB143_2340
; %bb.2011:
	v_bfe_u32 v3, v2, 21, 1
	s_mov_b32 s11, exec_lo
	v_add3_u32 v3, v2, v3, 0x88fffff
	v_lshrrev_b32_e32 v3, 21, v3
	s_andn2_saveexec_b32 s12, s12
	s_cbranch_execnz .LBB143_2341
.LBB143_2012:
	s_or_b32 exec_lo, exec_lo, s12
	v_mov_b32_e32 v5, 0
	s_and_saveexec_b32 s12, s11
.LBB143_2013:
	v_lshrrev_b32_e32 v5, 24, v2
	v_and_or_b32 v5, 0x80, v5, v3
.LBB143_2014:
	s_or_b32 exec_lo, exec_lo, s12
.LBB143_2015:
	s_or_b32 exec_lo, exec_lo, s10
	s_mov_b32 s10, 0
	global_store_byte v[0:1], v5, off
.LBB143_2016:
	s_and_b32 vcc_lo, exec_lo, s10
	s_cbranch_vccz .LBB143_2026
; %bb.2017:
	v_and_b32_e32 v5, 0x7fffffff, v2
	s_mov_b32 s10, exec_lo
                                        ; implicit-def: $vgpr3
	v_cmpx_gt_u32_e32 0x43f00000, v5
	s_xor_b32 s10, exec_lo, s10
	s_cbranch_execz .LBB143_2023
; %bb.2018:
	s_mov_b32 s11, exec_lo
                                        ; implicit-def: $vgpr3
	v_cmpx_lt_u32_e32 0x3c7fffff, v5
	s_xor_b32 s11, exec_lo, s11
; %bb.2019:
	v_bfe_u32 v3, v2, 20, 1
	v_add3_u32 v3, v2, v3, 0x407ffff
	v_and_b32_e32 v5, 0xff00000, v3
	v_lshrrev_b32_e32 v3, 20, v3
	v_cmp_ne_u32_e32 vcc_lo, 0x7f00000, v5
	v_cndmask_b32_e32 v3, 0x7e, v3, vcc_lo
; %bb.2020:
	s_andn2_saveexec_b32 s11, s11
; %bb.2021:
	v_add_f32_e64 v3, 0x46800000, |v2|
; %bb.2022:
	s_or_b32 exec_lo, exec_lo, s11
                                        ; implicit-def: $vgpr5
.LBB143_2023:
	s_andn2_saveexec_b32 s10, s10
; %bb.2024:
	v_mov_b32_e32 v3, 0x7f
	v_cmp_lt_u32_e32 vcc_lo, 0x7f800000, v5
	v_cndmask_b32_e32 v3, 0x7e, v3, vcc_lo
; %bb.2025:
	s_or_b32 exec_lo, exec_lo, s10
	v_lshrrev_b32_e32 v5, 24, v2
	v_and_or_b32 v3, 0x80, v5, v3
	global_store_byte v[0:1], v3, off
.LBB143_2026:
	s_mov_b32 s10, 0
.LBB143_2027:
	s_andn2_b32 vcc_lo, exec_lo, s10
	s_cbranch_vccnz .LBB143_2037
; %bb.2028:
	v_and_b32_e32 v5, 0x7fffffff, v2
	s_mov_b32 s10, exec_lo
                                        ; implicit-def: $vgpr3
	v_cmpx_gt_u32_e32 0x47800000, v5
	s_xor_b32 s10, exec_lo, s10
	s_cbranch_execz .LBB143_2034
; %bb.2029:
	s_mov_b32 s11, exec_lo
                                        ; implicit-def: $vgpr3
	v_cmpx_lt_u32_e32 0x387fffff, v5
	s_xor_b32 s11, exec_lo, s11
; %bb.2030:
	v_bfe_u32 v3, v2, 21, 1
	v_add3_u32 v3, v2, v3, 0x80fffff
	v_lshrrev_b32_e32 v3, 21, v3
; %bb.2031:
	s_andn2_saveexec_b32 s11, s11
; %bb.2032:
	v_add_f32_e64 v3, 0x43000000, |v2|
; %bb.2033:
	s_or_b32 exec_lo, exec_lo, s11
                                        ; implicit-def: $vgpr5
.LBB143_2034:
	s_andn2_saveexec_b32 s10, s10
; %bb.2035:
	v_mov_b32_e32 v3, 0x7f
	v_cmp_lt_u32_e32 vcc_lo, 0x7f800000, v5
	v_cndmask_b32_e32 v3, 0x7c, v3, vcc_lo
; %bb.2036:
	s_or_b32 exec_lo, exec_lo, s10
	v_lshrrev_b32_e32 v5, 24, v2
	v_and_or_b32 v3, 0x80, v5, v3
	global_store_byte v[0:1], v3, off
.LBB143_2037:
	s_mov_b32 s10, 0
	s_mov_b32 s11, -1
.LBB143_2038:
	s_andn2_b32 vcc_lo, exec_lo, s10
	s_mov_b32 s10, 0
	s_cbranch_vccnz .LBB143_2045
; %bb.2039:
	s_cmp_gt_i32 s5, 14
	s_mov_b32 s10, -1
	s_cbranch_scc0 .LBB143_2043
; %bb.2040:
	s_cmp_eq_u32 s5, 15
	s_mov_b32 s0, -1
	s_cbranch_scc0 .LBB143_2042
; %bb.2041:
	v_bfe_u32 v3, v2, 16, 1
	v_cmp_o_f32_e32 vcc_lo, v2, v2
	v_mov_b32_e32 v5, 0x7fc0
	s_mov_b32 s0, 0
	s_mov_b32 s11, -1
	v_add3_u32 v3, v2, v3, 0x7fff
	v_cndmask_b32_sdwa v3, v5, v3, vcc_lo dst_sel:DWORD dst_unused:UNUSED_PAD src0_sel:DWORD src1_sel:WORD_1
	global_store_short v[0:1], v3, off
.LBB143_2042:
	s_mov_b32 s10, 0
.LBB143_2043:
	s_and_b32 vcc_lo, exec_lo, s10
	s_mov_b32 s10, 0
	s_cbranch_vccz .LBB143_2045
; %bb.2044:
	s_cmp_lg_u32 s5, 11
	s_mov_b32 s10, -1
	s_cselect_b32 s0, -1, 0
.LBB143_2045:
	s_and_b32 vcc_lo, exec_lo, s0
	s_cbranch_vccnz .LBB143_2339
; %bb.2046:
	s_andn2_b32 vcc_lo, exec_lo, s10
	s_cbranch_vccnz .LBB143_2048
.LBB143_2047:
	v_cmp_neq_f32_e32 vcc_lo, 0, v2
	s_mov_b32 s11, -1
	v_cndmask_b32_e64 v3, 0, 1, vcc_lo
	global_store_byte v[0:1], v3, off
.LBB143_2048:
	s_mov_b32 s0, 0
	s_branch .LBB143_2050
.LBB143_2049:
	s_mov_b32 s0, -1
	s_mov_b32 s11, 0
.LBB143_2050:
	s_and_b32 vcc_lo, exec_lo, s0
	s_cbranch_vccz .LBB143_2089
; %bb.2051:
	s_and_b32 s0, 0xffff, s4
	s_mov_b32 s5, -1
	s_cmp_lt_i32 s0, 5
	s_cbranch_scc1 .LBB143_2072
; %bb.2052:
	s_cmp_lt_i32 s0, 8
	s_cbranch_scc1 .LBB143_2062
; %bb.2053:
	;; [unrolled: 3-line block ×3, first 2 shown]
	s_cmp_gt_i32 s0, 9
	s_cbranch_scc0 .LBB143_2056
; %bb.2055:
	v_cvt_f64_f32_e32 v[11:12], v2
	v_mov_b32_e32 v13, 0
	s_mov_b32 s5, 0
	v_mov_b32_e32 v14, v13
	global_store_dwordx4 v[0:1], v[11:14], off
.LBB143_2056:
	s_andn2_b32 vcc_lo, exec_lo, s5
	s_cbranch_vccnz .LBB143_2058
; %bb.2057:
	v_mov_b32_e32 v3, 0
	global_store_dwordx2 v[0:1], v[2:3], off
.LBB143_2058:
	s_mov_b32 s5, 0
.LBB143_2059:
	s_andn2_b32 vcc_lo, exec_lo, s5
	s_cbranch_vccnz .LBB143_2061
; %bb.2060:
	v_cvt_f16_f32_e32 v3, v2
	v_and_b32_e32 v3, 0xffff, v3
	global_store_dword v[0:1], v3, off
.LBB143_2061:
	s_mov_b32 s5, 0
.LBB143_2062:
	s_andn2_b32 vcc_lo, exec_lo, s5
	s_cbranch_vccnz .LBB143_2071
; %bb.2063:
	s_cmp_lt_i32 s0, 6
	s_mov_b32 s5, -1
	s_cbranch_scc1 .LBB143_2069
; %bb.2064:
	s_cmp_gt_i32 s0, 6
	s_cbranch_scc0 .LBB143_2066
; %bb.2065:
	v_cvt_f64_f32_e32 v[11:12], v2
	s_mov_b32 s5, 0
	global_store_dwordx2 v[0:1], v[11:12], off
.LBB143_2066:
	s_andn2_b32 vcc_lo, exec_lo, s5
	s_cbranch_vccnz .LBB143_2068
; %bb.2067:
	global_store_dword v[0:1], v2, off
.LBB143_2068:
	s_mov_b32 s5, 0
.LBB143_2069:
	s_andn2_b32 vcc_lo, exec_lo, s5
	s_cbranch_vccnz .LBB143_2071
; %bb.2070:
	v_cvt_f16_f32_e32 v3, v2
	global_store_short v[0:1], v3, off
.LBB143_2071:
	s_mov_b32 s5, 0
.LBB143_2072:
	s_andn2_b32 vcc_lo, exec_lo, s5
	s_cbranch_vccnz .LBB143_2088
; %bb.2073:
	s_cmp_lt_i32 s0, 2
	s_mov_b32 s5, -1
	s_cbranch_scc1 .LBB143_2083
; %bb.2074:
	s_cmp_lt_i32 s0, 3
	s_cbranch_scc1 .LBB143_2080
; %bb.2075:
	s_cmp_gt_i32 s0, 3
	s_cbranch_scc0 .LBB143_2077
; %bb.2076:
	v_trunc_f32_e32 v3, v2
	s_mov_b32 s5, 0
	v_mul_f32_e64 v5, 0x2f800000, |v3|
	v_floor_f32_e32 v5, v5
	v_fma_f32 v7, 0xcf800000, v5, |v3|
	v_ashrrev_i32_e32 v3, 31, v3
	v_cvt_u32_f32_e32 v5, v5
	v_cvt_u32_f32_e32 v7, v7
	v_xor_b32_e32 v5, v5, v3
	v_xor_b32_e32 v7, v7, v3
	v_sub_co_u32 v11, vcc_lo, v7, v3
	v_sub_co_ci_u32_e64 v12, null, v5, v3, vcc_lo
	global_store_dwordx2 v[0:1], v[11:12], off
.LBB143_2077:
	s_andn2_b32 vcc_lo, exec_lo, s5
	s_cbranch_vccnz .LBB143_2079
; %bb.2078:
	v_cvt_i32_f32_e32 v3, v2
	global_store_dword v[0:1], v3, off
.LBB143_2079:
	s_mov_b32 s5, 0
.LBB143_2080:
	s_andn2_b32 vcc_lo, exec_lo, s5
	s_cbranch_vccnz .LBB143_2082
; %bb.2081:
	v_cvt_i32_f32_e32 v3, v2
	global_store_short v[0:1], v3, off
.LBB143_2082:
	s_mov_b32 s5, 0
.LBB143_2083:
	s_andn2_b32 vcc_lo, exec_lo, s5
	s_cbranch_vccnz .LBB143_2088
; %bb.2084:
	s_cmp_gt_i32 s0, 0
	s_mov_b32 s0, -1
	s_cbranch_scc0 .LBB143_2086
; %bb.2085:
	v_cvt_i32_f32_e32 v3, v2
	s_mov_b32 s0, 0
	global_store_byte v[0:1], v3, off
.LBB143_2086:
	s_andn2_b32 vcc_lo, exec_lo, s0
	s_cbranch_vccnz .LBB143_2088
; %bb.2087:
	v_trunc_f32_e32 v2, v2
	v_mul_f32_e64 v3, 0x2f800000, |v2|
	v_floor_f32_e32 v3, v3
	v_fma_f32 v3, 0xcf800000, v3, |v2|
	v_ashrrev_i32_e32 v2, 31, v2
	v_cvt_u32_f32_e32 v3, v3
	v_xor_b32_e32 v3, v3, v2
	v_sub_nc_u32_e32 v2, v3, v2
	global_store_byte v[0:1], v2, off
.LBB143_2088:
	s_mov_b32 s11, -1
.LBB143_2089:
	s_andn2_b32 vcc_lo, exec_lo, s11
	s_cbranch_vccnz .LBB143_2285
; %bb.2090:
	v_cmp_gt_f32_e64 s0, 0x4b000000, |v6|
	v_add_nc_u32_e32 v4, s1, v4
	s_or_b32 vcc_lo, s2, s0
	v_cmp_class_f32_e64 s0, v6, 0x264
	v_cndmask_b32_e32 v0, 0x7f800000, v9, vcc_lo
	v_cmp_u_f32_e32 vcc_lo, v6, v6
	v_ashrrev_i32_e32 v1, 31, v4
	s_cmp_lt_i32 s4, 11
	v_cndmask_b32_e64 v0, v0, 0x7f800000, s0
	v_cndmask_b32_e32 v2, v0, v6, vcc_lo
	v_add_co_u32 v0, vcc_lo, s8, v4
	v_add_co_ci_u32_e64 v1, null, s9, v1, vcc_lo
	s_cbranch_scc1 .LBB143_2168
; %bb.2091:
	s_and_b32 s2, 0xffff, s4
	s_mov_b32 s11, -1
	s_mov_b32 s5, 0
	s_cmp_gt_i32 s2, 25
	s_mov_b32 s10, 0
	s_mov_b32 s0, 0
	s_cbranch_scc0 .LBB143_2124
; %bb.2092:
	s_cmp_gt_i32 s2, 28
	s_cbranch_scc0 .LBB143_2107
; %bb.2093:
	s_cmp_gt_i32 s2, 43
	;; [unrolled: 3-line block ×3, first 2 shown]
	s_cbranch_scc0 .LBB143_2097
; %bb.2095:
	s_mov_b32 s0, -1
	s_mov_b32 s11, 0
	s_cmp_eq_u32 s2, 46
	s_cbranch_scc0 .LBB143_2097
; %bb.2096:
	v_bfe_u32 v3, v2, 16, 1
	v_cmp_o_f32_e32 vcc_lo, v2, v2
	v_mov_b32_e32 v5, 0x7fc0
	s_mov_b32 s0, 0
	s_mov_b32 s10, -1
	v_add3_u32 v3, v2, v3, 0x7fff
	v_cndmask_b32_sdwa v3, v5, v3, vcc_lo dst_sel:DWORD dst_unused:UNUSED_PAD src0_sel:DWORD src1_sel:WORD_1
	global_store_dword v[0:1], v3, off
.LBB143_2097:
	s_and_b32 vcc_lo, exec_lo, s11
	s_cbranch_vccz .LBB143_2102
; %bb.2098:
	s_cmp_eq_u32 s2, 44
	s_mov_b32 s0, -1
	s_cbranch_scc0 .LBB143_2102
; %bb.2099:
	v_bfe_u32 v5, v2, 23, 8
	v_mov_b32_e32 v3, 0xff
	s_mov_b32 s10, exec_lo
	v_cmpx_ne_u32_e32 0xff, v5
	s_cbranch_execz .LBB143_2101
; %bb.2100:
	v_and_b32_e32 v3, 0x400000, v2
	v_and_or_b32 v5, 0x3fffff, v2, v5
	v_cmp_ne_u32_e32 vcc_lo, 0, v3
	v_cmp_ne_u32_e64 s0, 0, v5
	v_lshrrev_b32_e32 v3, 23, v2
	s_and_b32 s0, vcc_lo, s0
	v_cndmask_b32_e64 v5, 0, 1, s0
	v_add_nc_u32_e32 v3, v3, v5
.LBB143_2101:
	s_or_b32 exec_lo, exec_lo, s10
	s_mov_b32 s0, 0
	s_mov_b32 s10, -1
	global_store_byte v[0:1], v3, off
.LBB143_2102:
	s_mov_b32 s11, 0
.LBB143_2103:
	s_and_b32 vcc_lo, exec_lo, s11
	s_cbranch_vccz .LBB143_2106
; %bb.2104:
	s_cmp_eq_u32 s2, 29
	s_mov_b32 s0, -1
	s_cbranch_scc0 .LBB143_2106
; %bb.2105:
	v_trunc_f32_e32 v3, v2
	s_mov_b32 s0, 0
	s_mov_b32 s10, -1
	v_mul_f32_e32 v5, 0x2f800000, v3
	v_floor_f32_e32 v5, v5
	v_fmamk_f32 v3, v5, 0xcf800000, v3
	v_cvt_u32_f32_e32 v6, v5
	v_cvt_u32_f32_e32 v5, v3
	global_store_dwordx2 v[0:1], v[5:6], off
.LBB143_2106:
	s_mov_b32 s11, 0
.LBB143_2107:
	s_and_b32 vcc_lo, exec_lo, s11
	s_cbranch_vccz .LBB143_2123
; %bb.2108:
	s_cmp_lt_i32 s2, 27
	s_mov_b32 s10, -1
	s_cbranch_scc1 .LBB143_2114
; %bb.2109:
	v_cvt_u32_f32_e32 v3, v2
	s_cmp_gt_i32 s2, 27
	s_cbranch_scc0 .LBB143_2111
; %bb.2110:
	s_mov_b32 s10, 0
	global_store_dword v[0:1], v3, off
.LBB143_2111:
	s_andn2_b32 vcc_lo, exec_lo, s10
	s_cbranch_vccnz .LBB143_2113
; %bb.2112:
	global_store_short v[0:1], v3, off
.LBB143_2113:
	s_mov_b32 s10, 0
.LBB143_2114:
	s_andn2_b32 vcc_lo, exec_lo, s10
	s_cbranch_vccnz .LBB143_2122
; %bb.2115:
	v_and_b32_e32 v3, 0x7fffffff, v2
	v_mov_b32_e32 v5, 0x80
	s_mov_b32 s10, exec_lo
	v_cmpx_gt_u32_e32 0x43800000, v3
	s_cbranch_execz .LBB143_2121
; %bb.2116:
	v_cmp_lt_u32_e32 vcc_lo, 0x3bffffff, v3
	s_mov_b32 s11, 0
                                        ; implicit-def: $vgpr3
	s_and_saveexec_b32 s12, vcc_lo
	s_xor_b32 s12, exec_lo, s12
	s_cbranch_execz .LBB143_2342
; %bb.2117:
	v_bfe_u32 v3, v2, 20, 1
	s_mov_b32 s11, exec_lo
	v_add3_u32 v3, v2, v3, 0x487ffff
	v_lshrrev_b32_e32 v3, 20, v3
	s_andn2_saveexec_b32 s12, s12
	s_cbranch_execnz .LBB143_2343
.LBB143_2118:
	s_or_b32 exec_lo, exec_lo, s12
	v_mov_b32_e32 v5, 0
	s_and_saveexec_b32 s12, s11
.LBB143_2119:
	v_lshrrev_b32_e32 v5, 24, v2
	v_and_or_b32 v5, 0x80, v5, v3
.LBB143_2120:
	s_or_b32 exec_lo, exec_lo, s12
.LBB143_2121:
	s_or_b32 exec_lo, exec_lo, s10
	global_store_byte v[0:1], v5, off
.LBB143_2122:
	s_mov_b32 s10, -1
.LBB143_2123:
	s_mov_b32 s11, 0
.LBB143_2124:
	s_and_b32 vcc_lo, exec_lo, s11
	s_cbranch_vccz .LBB143_2164
; %bb.2125:
	s_cmp_gt_i32 s2, 22
	s_mov_b32 s5, -1
	s_cbranch_scc0 .LBB143_2157
; %bb.2126:
	s_cmp_lt_i32 s2, 24
	s_cbranch_scc1 .LBB143_2146
; %bb.2127:
	s_cmp_gt_i32 s2, 24
	s_cbranch_scc0 .LBB143_2135
; %bb.2128:
	v_and_b32_e32 v3, 0x7fffffff, v2
	v_mov_b32_e32 v5, 0x80
	s_mov_b32 s5, exec_lo
	v_cmpx_gt_u32_e32 0x47800000, v3
	s_cbranch_execz .LBB143_2134
; %bb.2129:
	v_cmp_lt_u32_e32 vcc_lo, 0x37ffffff, v3
	s_mov_b32 s10, 0
                                        ; implicit-def: $vgpr3
	s_and_saveexec_b32 s11, vcc_lo
	s_xor_b32 s11, exec_lo, s11
	s_cbranch_execz .LBB143_2345
; %bb.2130:
	v_bfe_u32 v3, v2, 21, 1
	s_mov_b32 s10, exec_lo
	v_add3_u32 v3, v2, v3, 0x88fffff
	v_lshrrev_b32_e32 v3, 21, v3
	s_andn2_saveexec_b32 s11, s11
	s_cbranch_execnz .LBB143_2346
.LBB143_2131:
	s_or_b32 exec_lo, exec_lo, s11
	v_mov_b32_e32 v5, 0
	s_and_saveexec_b32 s11, s10
.LBB143_2132:
	v_lshrrev_b32_e32 v5, 24, v2
	v_and_or_b32 v5, 0x80, v5, v3
.LBB143_2133:
	s_or_b32 exec_lo, exec_lo, s11
.LBB143_2134:
	s_or_b32 exec_lo, exec_lo, s5
	s_mov_b32 s5, 0
	global_store_byte v[0:1], v5, off
.LBB143_2135:
	s_and_b32 vcc_lo, exec_lo, s5
	s_cbranch_vccz .LBB143_2145
; %bb.2136:
	v_and_b32_e32 v5, 0x7fffffff, v2
	s_mov_b32 s5, exec_lo
                                        ; implicit-def: $vgpr3
	v_cmpx_gt_u32_e32 0x43f00000, v5
	s_xor_b32 s5, exec_lo, s5
	s_cbranch_execz .LBB143_2142
; %bb.2137:
	s_mov_b32 s10, exec_lo
                                        ; implicit-def: $vgpr3
	v_cmpx_lt_u32_e32 0x3c7fffff, v5
	s_xor_b32 s10, exec_lo, s10
; %bb.2138:
	v_bfe_u32 v3, v2, 20, 1
	v_add3_u32 v3, v2, v3, 0x407ffff
	v_and_b32_e32 v5, 0xff00000, v3
	v_lshrrev_b32_e32 v3, 20, v3
	v_cmp_ne_u32_e32 vcc_lo, 0x7f00000, v5
	v_cndmask_b32_e32 v3, 0x7e, v3, vcc_lo
; %bb.2139:
	s_andn2_saveexec_b32 s10, s10
; %bb.2140:
	v_add_f32_e64 v3, 0x46800000, |v2|
; %bb.2141:
	s_or_b32 exec_lo, exec_lo, s10
                                        ; implicit-def: $vgpr5
.LBB143_2142:
	s_andn2_saveexec_b32 s5, s5
; %bb.2143:
	v_mov_b32_e32 v3, 0x7f
	v_cmp_lt_u32_e32 vcc_lo, 0x7f800000, v5
	v_cndmask_b32_e32 v3, 0x7e, v3, vcc_lo
; %bb.2144:
	s_or_b32 exec_lo, exec_lo, s5
	v_lshrrev_b32_e32 v5, 24, v2
	v_and_or_b32 v3, 0x80, v5, v3
	global_store_byte v[0:1], v3, off
.LBB143_2145:
	s_mov_b32 s5, 0
.LBB143_2146:
	s_andn2_b32 vcc_lo, exec_lo, s5
	s_cbranch_vccnz .LBB143_2156
; %bb.2147:
	v_and_b32_e32 v5, 0x7fffffff, v2
	s_mov_b32 s5, exec_lo
                                        ; implicit-def: $vgpr3
	v_cmpx_gt_u32_e32 0x47800000, v5
	s_xor_b32 s5, exec_lo, s5
	s_cbranch_execz .LBB143_2153
; %bb.2148:
	s_mov_b32 s10, exec_lo
                                        ; implicit-def: $vgpr3
	v_cmpx_lt_u32_e32 0x387fffff, v5
	s_xor_b32 s10, exec_lo, s10
; %bb.2149:
	v_bfe_u32 v3, v2, 21, 1
	v_add3_u32 v3, v2, v3, 0x80fffff
	v_lshrrev_b32_e32 v3, 21, v3
; %bb.2150:
	s_andn2_saveexec_b32 s10, s10
; %bb.2151:
	v_add_f32_e64 v3, 0x43000000, |v2|
; %bb.2152:
	s_or_b32 exec_lo, exec_lo, s10
                                        ; implicit-def: $vgpr5
.LBB143_2153:
	s_andn2_saveexec_b32 s5, s5
; %bb.2154:
	v_mov_b32_e32 v3, 0x7f
	v_cmp_lt_u32_e32 vcc_lo, 0x7f800000, v5
	v_cndmask_b32_e32 v3, 0x7c, v3, vcc_lo
; %bb.2155:
	s_or_b32 exec_lo, exec_lo, s5
	v_lshrrev_b32_e32 v5, 24, v2
	v_and_or_b32 v3, 0x80, v5, v3
	global_store_byte v[0:1], v3, off
.LBB143_2156:
	s_mov_b32 s5, 0
	s_mov_b32 s10, -1
.LBB143_2157:
	s_andn2_b32 vcc_lo, exec_lo, s5
	s_mov_b32 s5, 0
	s_cbranch_vccnz .LBB143_2164
; %bb.2158:
	s_cmp_gt_i32 s2, 14
	s_mov_b32 s5, -1
	s_cbranch_scc0 .LBB143_2162
; %bb.2159:
	s_cmp_eq_u32 s2, 15
	s_mov_b32 s0, -1
	s_cbranch_scc0 .LBB143_2161
; %bb.2160:
	v_bfe_u32 v3, v2, 16, 1
	v_cmp_o_f32_e32 vcc_lo, v2, v2
	v_mov_b32_e32 v5, 0x7fc0
	s_mov_b32 s0, 0
	s_mov_b32 s10, -1
	v_add3_u32 v3, v2, v3, 0x7fff
	v_cndmask_b32_sdwa v3, v5, v3, vcc_lo dst_sel:DWORD dst_unused:UNUSED_PAD src0_sel:DWORD src1_sel:WORD_1
	global_store_short v[0:1], v3, off
.LBB143_2161:
	s_mov_b32 s5, 0
.LBB143_2162:
	s_and_b32 vcc_lo, exec_lo, s5
	s_mov_b32 s5, 0
	s_cbranch_vccz .LBB143_2164
; %bb.2163:
	s_cmp_lg_u32 s2, 11
	s_mov_b32 s5, -1
	s_cselect_b32 s0, -1, 0
.LBB143_2164:
	s_and_b32 vcc_lo, exec_lo, s0
	s_cbranch_vccnz .LBB143_2344
; %bb.2165:
	s_andn2_b32 vcc_lo, exec_lo, s5
	s_cbranch_vccnz .LBB143_2167
.LBB143_2166:
	v_cmp_neq_f32_e32 vcc_lo, 0, v2
	s_mov_b32 s10, -1
	v_cndmask_b32_e64 v3, 0, 1, vcc_lo
	global_store_byte v[0:1], v3, off
.LBB143_2167:
	s_mov_b32 s0, 0
	s_branch .LBB143_2169
.LBB143_2168:
	s_mov_b32 s0, -1
	s_mov_b32 s10, 0
.LBB143_2169:
	s_and_b32 vcc_lo, exec_lo, s0
	s_cbranch_vccz .LBB143_2208
; %bb.2170:
	s_and_b32 s0, 0xffff, s4
	s_mov_b32 s2, -1
	s_cmp_lt_i32 s0, 5
	s_cbranch_scc1 .LBB143_2191
; %bb.2171:
	s_cmp_lt_i32 s0, 8
	s_cbranch_scc1 .LBB143_2181
; %bb.2172:
	;; [unrolled: 3-line block ×3, first 2 shown]
	s_cmp_gt_i32 s0, 9
	s_cbranch_scc0 .LBB143_2175
; %bb.2174:
	v_cvt_f64_f32_e32 v[11:12], v2
	v_mov_b32_e32 v13, 0
	s_mov_b32 s2, 0
	v_mov_b32_e32 v14, v13
	global_store_dwordx4 v[0:1], v[11:14], off
.LBB143_2175:
	s_andn2_b32 vcc_lo, exec_lo, s2
	s_cbranch_vccnz .LBB143_2177
; %bb.2176:
	v_mov_b32_e32 v3, 0
	global_store_dwordx2 v[0:1], v[2:3], off
.LBB143_2177:
	s_mov_b32 s2, 0
.LBB143_2178:
	s_andn2_b32 vcc_lo, exec_lo, s2
	s_cbranch_vccnz .LBB143_2180
; %bb.2179:
	v_cvt_f16_f32_e32 v3, v2
	v_and_b32_e32 v3, 0xffff, v3
	global_store_dword v[0:1], v3, off
.LBB143_2180:
	s_mov_b32 s2, 0
.LBB143_2181:
	s_andn2_b32 vcc_lo, exec_lo, s2
	s_cbranch_vccnz .LBB143_2190
; %bb.2182:
	s_cmp_lt_i32 s0, 6
	s_mov_b32 s2, -1
	s_cbranch_scc1 .LBB143_2188
; %bb.2183:
	s_cmp_gt_i32 s0, 6
	s_cbranch_scc0 .LBB143_2185
; %bb.2184:
	v_cvt_f64_f32_e32 v[5:6], v2
	s_mov_b32 s2, 0
	global_store_dwordx2 v[0:1], v[5:6], off
.LBB143_2185:
	s_andn2_b32 vcc_lo, exec_lo, s2
	s_cbranch_vccnz .LBB143_2187
; %bb.2186:
	global_store_dword v[0:1], v2, off
.LBB143_2187:
	s_mov_b32 s2, 0
.LBB143_2188:
	s_andn2_b32 vcc_lo, exec_lo, s2
	s_cbranch_vccnz .LBB143_2190
; %bb.2189:
	v_cvt_f16_f32_e32 v3, v2
	global_store_short v[0:1], v3, off
.LBB143_2190:
	s_mov_b32 s2, 0
.LBB143_2191:
	s_andn2_b32 vcc_lo, exec_lo, s2
	s_cbranch_vccnz .LBB143_2207
; %bb.2192:
	s_cmp_lt_i32 s0, 2
	s_mov_b32 s2, -1
	s_cbranch_scc1 .LBB143_2202
; %bb.2193:
	s_cmp_lt_i32 s0, 3
	s_cbranch_scc1 .LBB143_2199
; %bb.2194:
	s_cmp_gt_i32 s0, 3
	s_cbranch_scc0 .LBB143_2196
; %bb.2195:
	v_trunc_f32_e32 v3, v2
	s_mov_b32 s2, 0
	v_mul_f32_e64 v5, 0x2f800000, |v3|
	v_floor_f32_e32 v5, v5
	v_fma_f32 v6, 0xcf800000, v5, |v3|
	v_ashrrev_i32_e32 v3, 31, v3
	v_cvt_u32_f32_e32 v5, v5
	v_cvt_u32_f32_e32 v6, v6
	v_xor_b32_e32 v7, v5, v3
	v_xor_b32_e32 v6, v6, v3
	v_sub_co_u32 v5, vcc_lo, v6, v3
	v_sub_co_ci_u32_e64 v6, null, v7, v3, vcc_lo
	global_store_dwordx2 v[0:1], v[5:6], off
.LBB143_2196:
	s_andn2_b32 vcc_lo, exec_lo, s2
	s_cbranch_vccnz .LBB143_2198
; %bb.2197:
	v_cvt_i32_f32_e32 v3, v2
	global_store_dword v[0:1], v3, off
.LBB143_2198:
	s_mov_b32 s2, 0
.LBB143_2199:
	s_andn2_b32 vcc_lo, exec_lo, s2
	s_cbranch_vccnz .LBB143_2201
; %bb.2200:
	v_cvt_i32_f32_e32 v3, v2
	global_store_short v[0:1], v3, off
.LBB143_2201:
	s_mov_b32 s2, 0
.LBB143_2202:
	s_andn2_b32 vcc_lo, exec_lo, s2
	s_cbranch_vccnz .LBB143_2207
; %bb.2203:
	s_cmp_gt_i32 s0, 0
	s_mov_b32 s0, -1
	s_cbranch_scc0 .LBB143_2205
; %bb.2204:
	v_cvt_i32_f32_e32 v3, v2
	s_mov_b32 s0, 0
	global_store_byte v[0:1], v3, off
.LBB143_2205:
	s_andn2_b32 vcc_lo, exec_lo, s0
	s_cbranch_vccnz .LBB143_2207
; %bb.2206:
	v_trunc_f32_e32 v2, v2
	v_mul_f32_e64 v3, 0x2f800000, |v2|
	v_floor_f32_e32 v3, v3
	v_fma_f32 v3, 0xcf800000, v3, |v2|
	v_ashrrev_i32_e32 v2, 31, v2
	v_cvt_u32_f32_e32 v3, v3
	v_xor_b32_e32 v3, v3, v2
	v_sub_nc_u32_e32 v2, v3, v2
	global_store_byte v[0:1], v2, off
.LBB143_2207:
	s_mov_b32 s10, -1
.LBB143_2208:
	s_andn2_b32 vcc_lo, exec_lo, s10
	s_cbranch_vccnz .LBB143_2285
; %bb.2209:
	v_cmp_gt_f32_e64 s0, 0x4b000000, |v8|
	v_add_nc_u32_e32 v1, s1, v4
	s_or_b32 vcc_lo, s3, s0
	v_cmp_class_f32_e64 s0, v8, 0x264
	v_cndmask_b32_e32 v0, 0x7f800000, v10, vcc_lo
	v_cmp_u_f32_e32 vcc_lo, v8, v8
	v_ashrrev_i32_e32 v3, 31, v1
	s_cmp_lt_i32 s4, 11
	v_cndmask_b32_e64 v0, v0, 0x7f800000, s0
	v_cndmask_b32_e32 v2, v0, v8, vcc_lo
	v_add_co_u32 v0, vcc_lo, s8, v1
	v_add_co_ci_u32_e64 v1, null, s9, v3, vcc_lo
	s_cbranch_scc1 .LBB143_2330
; %bb.2210:
	s_and_b32 s1, 0xffff, s4
	s_mov_b32 s3, -1
	s_mov_b32 s2, 0
	s_cmp_gt_i32 s1, 25
	s_mov_b32 s0, 0
	s_cbranch_scc0 .LBB143_2243
; %bb.2211:
	s_cmp_gt_i32 s1, 28
	s_cbranch_scc0 .LBB143_2227
; %bb.2212:
	s_cmp_gt_i32 s1, 43
	;; [unrolled: 3-line block ×3, first 2 shown]
	s_cbranch_scc0 .LBB143_2217
; %bb.2214:
	s_cmp_eq_u32 s1, 46
	s_mov_b32 s0, -1
	s_cbranch_scc0 .LBB143_2216
; %bb.2215:
	v_bfe_u32 v3, v2, 16, 1
	v_cmp_o_f32_e32 vcc_lo, v2, v2
	v_mov_b32_e32 v4, 0x7fc0
	s_mov_b32 s0, 0
	v_add3_u32 v3, v2, v3, 0x7fff
	v_cndmask_b32_sdwa v3, v4, v3, vcc_lo dst_sel:DWORD dst_unused:UNUSED_PAD src0_sel:DWORD src1_sel:WORD_1
	global_store_dword v[0:1], v3, off
.LBB143_2216:
	s_mov_b32 s3, 0
.LBB143_2217:
	s_and_b32 vcc_lo, exec_lo, s3
	s_cbranch_vccz .LBB143_2222
; %bb.2218:
	s_cmp_eq_u32 s1, 44
	s_mov_b32 s0, -1
	s_cbranch_scc0 .LBB143_2222
; %bb.2219:
	v_bfe_u32 v4, v2, 23, 8
	v_mov_b32_e32 v3, 0xff
	s_mov_b32 s3, exec_lo
	v_cmpx_ne_u32_e32 0xff, v4
	s_cbranch_execz .LBB143_2221
; %bb.2220:
	v_and_b32_e32 v3, 0x400000, v2
	v_and_or_b32 v4, 0x3fffff, v2, v4
	v_cmp_ne_u32_e32 vcc_lo, 0, v3
	v_cmp_ne_u32_e64 s0, 0, v4
	v_lshrrev_b32_e32 v3, 23, v2
	s_and_b32 s0, vcc_lo, s0
	v_cndmask_b32_e64 v4, 0, 1, s0
	v_add_nc_u32_e32 v3, v3, v4
.LBB143_2221:
	s_or_b32 exec_lo, exec_lo, s3
	s_mov_b32 s0, 0
	global_store_byte v[0:1], v3, off
.LBB143_2222:
	s_mov_b32 s3, 0
.LBB143_2223:
	s_and_b32 vcc_lo, exec_lo, s3
	s_cbranch_vccz .LBB143_2226
; %bb.2224:
	s_cmp_eq_u32 s1, 29
	s_mov_b32 s0, -1
	s_cbranch_scc0 .LBB143_2226
; %bb.2225:
	v_trunc_f32_e32 v3, v2
	s_mov_b32 s0, 0
	v_mul_f32_e32 v4, 0x2f800000, v3
	v_floor_f32_e32 v4, v4
	v_fmamk_f32 v3, v4, 0xcf800000, v3
	v_cvt_u32_f32_e32 v4, v4
	v_cvt_u32_f32_e32 v3, v3
	global_store_dwordx2 v[0:1], v[3:4], off
.LBB143_2226:
	s_mov_b32 s3, 0
.LBB143_2227:
	s_and_b32 vcc_lo, exec_lo, s3
	s_cbranch_vccz .LBB143_2242
; %bb.2228:
	s_cmp_lt_i32 s1, 27
	s_mov_b32 s3, -1
	s_cbranch_scc1 .LBB143_2234
; %bb.2229:
	v_cvt_u32_f32_e32 v3, v2
	s_cmp_gt_i32 s1, 27
	s_cbranch_scc0 .LBB143_2231
; %bb.2230:
	s_mov_b32 s3, 0
	global_store_dword v[0:1], v3, off
.LBB143_2231:
	s_andn2_b32 vcc_lo, exec_lo, s3
	s_cbranch_vccnz .LBB143_2233
; %bb.2232:
	global_store_short v[0:1], v3, off
.LBB143_2233:
	s_mov_b32 s3, 0
.LBB143_2234:
	s_andn2_b32 vcc_lo, exec_lo, s3
	s_cbranch_vccnz .LBB143_2242
; %bb.2235:
	v_and_b32_e32 v3, 0x7fffffff, v2
	v_mov_b32_e32 v4, 0x80
	s_mov_b32 s3, exec_lo
	v_cmpx_gt_u32_e32 0x43800000, v3
	s_cbranch_execz .LBB143_2241
; %bb.2236:
	v_cmp_lt_u32_e32 vcc_lo, 0x3bffffff, v3
	s_mov_b32 s5, 0
                                        ; implicit-def: $vgpr3
	s_and_saveexec_b32 s8, vcc_lo
	s_xor_b32 s8, exec_lo, s8
	s_cbranch_execz .LBB143_2347
; %bb.2237:
	v_bfe_u32 v3, v2, 20, 1
	s_mov_b32 s5, exec_lo
	v_add3_u32 v3, v2, v3, 0x487ffff
	v_lshrrev_b32_e32 v3, 20, v3
	s_andn2_saveexec_b32 s8, s8
	s_cbranch_execnz .LBB143_2348
.LBB143_2238:
	s_or_b32 exec_lo, exec_lo, s8
	v_mov_b32_e32 v4, 0
	s_and_saveexec_b32 s8, s5
.LBB143_2239:
	v_lshrrev_b32_e32 v4, 24, v2
	v_and_or_b32 v4, 0x80, v4, v3
.LBB143_2240:
	s_or_b32 exec_lo, exec_lo, s8
.LBB143_2241:
	s_or_b32 exec_lo, exec_lo, s3
	global_store_byte v[0:1], v4, off
.LBB143_2242:
	s_mov_b32 s3, 0
.LBB143_2243:
	s_and_b32 vcc_lo, exec_lo, s3
	s_cbranch_vccz .LBB143_2283
; %bb.2244:
	s_cmp_gt_i32 s1, 22
	s_mov_b32 s2, -1
	s_cbranch_scc0 .LBB143_2276
; %bb.2245:
	s_cmp_lt_i32 s1, 24
	s_cbranch_scc1 .LBB143_2265
; %bb.2246:
	s_cmp_gt_i32 s1, 24
	s_cbranch_scc0 .LBB143_2254
; %bb.2247:
	v_and_b32_e32 v3, 0x7fffffff, v2
	v_mov_b32_e32 v4, 0x80
	s_mov_b32 s2, exec_lo
	v_cmpx_gt_u32_e32 0x47800000, v3
	s_cbranch_execz .LBB143_2253
; %bb.2248:
	v_cmp_lt_u32_e32 vcc_lo, 0x37ffffff, v3
	s_mov_b32 s3, 0
                                        ; implicit-def: $vgpr3
	s_and_saveexec_b32 s5, vcc_lo
	s_xor_b32 s5, exec_lo, s5
	s_cbranch_execz .LBB143_2350
; %bb.2249:
	v_bfe_u32 v3, v2, 21, 1
	s_mov_b32 s3, exec_lo
	v_add3_u32 v3, v2, v3, 0x88fffff
	v_lshrrev_b32_e32 v3, 21, v3
	s_andn2_saveexec_b32 s5, s5
	s_cbranch_execnz .LBB143_2351
.LBB143_2250:
	s_or_b32 exec_lo, exec_lo, s5
	v_mov_b32_e32 v4, 0
	s_and_saveexec_b32 s5, s3
.LBB143_2251:
	v_lshrrev_b32_e32 v4, 24, v2
	v_and_or_b32 v4, 0x80, v4, v3
.LBB143_2252:
	s_or_b32 exec_lo, exec_lo, s5
.LBB143_2253:
	s_or_b32 exec_lo, exec_lo, s2
	s_mov_b32 s2, 0
	global_store_byte v[0:1], v4, off
.LBB143_2254:
	s_and_b32 vcc_lo, exec_lo, s2
	s_cbranch_vccz .LBB143_2264
; %bb.2255:
	v_and_b32_e32 v4, 0x7fffffff, v2
	s_mov_b32 s2, exec_lo
                                        ; implicit-def: $vgpr3
	v_cmpx_gt_u32_e32 0x43f00000, v4
	s_xor_b32 s2, exec_lo, s2
	s_cbranch_execz .LBB143_2261
; %bb.2256:
	s_mov_b32 s3, exec_lo
                                        ; implicit-def: $vgpr3
	v_cmpx_lt_u32_e32 0x3c7fffff, v4
	s_xor_b32 s3, exec_lo, s3
; %bb.2257:
	v_bfe_u32 v3, v2, 20, 1
	v_add3_u32 v3, v2, v3, 0x407ffff
	v_and_b32_e32 v4, 0xff00000, v3
	v_lshrrev_b32_e32 v3, 20, v3
	v_cmp_ne_u32_e32 vcc_lo, 0x7f00000, v4
	v_cndmask_b32_e32 v3, 0x7e, v3, vcc_lo
; %bb.2258:
	s_andn2_saveexec_b32 s3, s3
; %bb.2259:
	v_add_f32_e64 v3, 0x46800000, |v2|
; %bb.2260:
	s_or_b32 exec_lo, exec_lo, s3
                                        ; implicit-def: $vgpr4
.LBB143_2261:
	s_andn2_saveexec_b32 s2, s2
; %bb.2262:
	v_mov_b32_e32 v3, 0x7f
	v_cmp_lt_u32_e32 vcc_lo, 0x7f800000, v4
	v_cndmask_b32_e32 v3, 0x7e, v3, vcc_lo
; %bb.2263:
	s_or_b32 exec_lo, exec_lo, s2
	v_lshrrev_b32_e32 v4, 24, v2
	v_and_or_b32 v3, 0x80, v4, v3
	global_store_byte v[0:1], v3, off
.LBB143_2264:
	s_mov_b32 s2, 0
.LBB143_2265:
	s_andn2_b32 vcc_lo, exec_lo, s2
	s_cbranch_vccnz .LBB143_2275
; %bb.2266:
	v_and_b32_e32 v4, 0x7fffffff, v2
	s_mov_b32 s2, exec_lo
                                        ; implicit-def: $vgpr3
	v_cmpx_gt_u32_e32 0x47800000, v4
	s_xor_b32 s2, exec_lo, s2
	s_cbranch_execz .LBB143_2272
; %bb.2267:
	s_mov_b32 s3, exec_lo
                                        ; implicit-def: $vgpr3
	v_cmpx_lt_u32_e32 0x387fffff, v4
	s_xor_b32 s3, exec_lo, s3
; %bb.2268:
	v_bfe_u32 v3, v2, 21, 1
	v_add3_u32 v3, v2, v3, 0x80fffff
	v_lshrrev_b32_e32 v3, 21, v3
; %bb.2269:
	s_andn2_saveexec_b32 s3, s3
; %bb.2270:
	v_add_f32_e64 v3, 0x43000000, |v2|
; %bb.2271:
	s_or_b32 exec_lo, exec_lo, s3
                                        ; implicit-def: $vgpr4
.LBB143_2272:
	s_andn2_saveexec_b32 s2, s2
; %bb.2273:
	v_mov_b32_e32 v3, 0x7f
	v_cmp_lt_u32_e32 vcc_lo, 0x7f800000, v4
	v_cndmask_b32_e32 v3, 0x7c, v3, vcc_lo
; %bb.2274:
	s_or_b32 exec_lo, exec_lo, s2
	v_lshrrev_b32_e32 v4, 24, v2
	v_and_or_b32 v3, 0x80, v4, v3
	global_store_byte v[0:1], v3, off
.LBB143_2275:
	s_mov_b32 s2, 0
.LBB143_2276:
	s_andn2_b32 vcc_lo, exec_lo, s2
	s_mov_b32 s2, 0
	s_cbranch_vccnz .LBB143_2283
; %bb.2277:
	s_cmp_gt_i32 s1, 14
	s_mov_b32 s2, -1
	s_cbranch_scc0 .LBB143_2281
; %bb.2278:
	s_cmp_eq_u32 s1, 15
	s_mov_b32 s0, -1
	s_cbranch_scc0 .LBB143_2280
; %bb.2279:
	v_bfe_u32 v3, v2, 16, 1
	v_cmp_o_f32_e32 vcc_lo, v2, v2
	v_mov_b32_e32 v4, 0x7fc0
	s_mov_b32 s0, 0
	v_add3_u32 v3, v2, v3, 0x7fff
	v_cndmask_b32_sdwa v3, v4, v3, vcc_lo dst_sel:DWORD dst_unused:UNUSED_PAD src0_sel:DWORD src1_sel:WORD_1
	global_store_short v[0:1], v3, off
.LBB143_2280:
	s_mov_b32 s2, 0
.LBB143_2281:
	s_and_b32 vcc_lo, exec_lo, s2
	s_mov_b32 s2, 0
	s_cbranch_vccz .LBB143_2283
; %bb.2282:
	s_cmp_lg_u32 s1, 11
	s_mov_b32 s2, -1
	s_cselect_b32 s0, -1, 0
.LBB143_2283:
	s_and_b32 vcc_lo, exec_lo, s0
	s_cbranch_vccnz .LBB143_2349
.LBB143_2284:
	s_mov_b32 s0, 0
	s_branch .LBB143_2286
.LBB143_2285:
	s_mov_b32 s0, 0
	s_mov_b32 s2, 0
                                        ; implicit-def: $sgpr4
                                        ; implicit-def: $vgpr0_vgpr1
                                        ; implicit-def: $vgpr2
.LBB143_2286:
	s_andn2_b32 s1, s6, exec_lo
	s_and_b32 s3, s14, exec_lo
	s_and_b32 s0, s0, exec_lo
	;; [unrolled: 1-line block ×3, first 2 shown]
	s_or_b32 s6, s1, s3
.LBB143_2287:
	s_or_b32 exec_lo, exec_lo, s7
	s_and_saveexec_b32 s1, s6
	s_cbranch_execz .LBB143_2290
; %bb.2288:
	; divergent unreachable
	s_or_b32 exec_lo, exec_lo, s1
	s_and_saveexec_b32 s1, s2
	s_xor_b32 s1, exec_lo, s1
	s_cbranch_execnz .LBB143_2291
.LBB143_2289:
	s_or_b32 exec_lo, exec_lo, s1
	s_and_saveexec_b32 s1, s0
	s_cbranch_execnz .LBB143_2292
	s_branch .LBB143_2329
.LBB143_2290:
	s_or_b32 exec_lo, exec_lo, s1
	s_and_saveexec_b32 s1, s2
	s_xor_b32 s1, exec_lo, s1
	s_cbranch_execz .LBB143_2289
.LBB143_2291:
	s_waitcnt vmcnt(0)
	v_cmp_neq_f32_e32 vcc_lo, 0, v2
	v_cndmask_b32_e64 v3, 0, 1, vcc_lo
	global_store_byte v[0:1], v3, off
	s_or_b32 exec_lo, exec_lo, s1
	s_and_saveexec_b32 s1, s0
	s_cbranch_execz .LBB143_2329
.LBB143_2292:
	s_sext_i32_i16 s1, s4
	s_mov_b32 s0, -1
	s_cmp_lt_i32 s1, 5
	s_cbranch_scc1 .LBB143_2313
; %bb.2293:
	s_cmp_lt_i32 s1, 8
	s_cbranch_scc1 .LBB143_2303
; %bb.2294:
	;; [unrolled: 3-line block ×3, first 2 shown]
	s_cmp_gt_i32 s1, 9
	s_cbranch_scc0 .LBB143_2297
; %bb.2296:
	s_waitcnt vmcnt(0)
	v_cvt_f64_f32_e32 v[3:4], v2
	v_mov_b32_e32 v5, 0
	s_mov_b32 s0, 0
	v_mov_b32_e32 v6, v5
	global_store_dwordx4 v[0:1], v[3:6], off
.LBB143_2297:
	s_andn2_b32 vcc_lo, exec_lo, s0
	s_cbranch_vccnz .LBB143_2299
; %bb.2298:
	s_waitcnt vmcnt(0)
	v_mov_b32_e32 v3, 0
	global_store_dwordx2 v[0:1], v[2:3], off
.LBB143_2299:
	s_mov_b32 s0, 0
.LBB143_2300:
	s_andn2_b32 vcc_lo, exec_lo, s0
	s_cbranch_vccnz .LBB143_2302
; %bb.2301:
	s_waitcnt vmcnt(0)
	v_cvt_f16_f32_e32 v3, v2
	v_and_b32_e32 v3, 0xffff, v3
	global_store_dword v[0:1], v3, off
.LBB143_2302:
	s_mov_b32 s0, 0
.LBB143_2303:
	s_andn2_b32 vcc_lo, exec_lo, s0
	s_cbranch_vccnz .LBB143_2312
; %bb.2304:
	s_sext_i32_i16 s1, s4
	s_mov_b32 s0, -1
	s_cmp_lt_i32 s1, 6
	s_cbranch_scc1 .LBB143_2310
; %bb.2305:
	s_cmp_gt_i32 s1, 6
	s_cbranch_scc0 .LBB143_2307
; %bb.2306:
	s_waitcnt vmcnt(0)
	v_cvt_f64_f32_e32 v[3:4], v2
	s_mov_b32 s0, 0
	global_store_dwordx2 v[0:1], v[3:4], off
.LBB143_2307:
	s_andn2_b32 vcc_lo, exec_lo, s0
	s_cbranch_vccnz .LBB143_2309
; %bb.2308:
	s_waitcnt vmcnt(0)
	global_store_dword v[0:1], v2, off
.LBB143_2309:
	s_mov_b32 s0, 0
.LBB143_2310:
	s_andn2_b32 vcc_lo, exec_lo, s0
	s_cbranch_vccnz .LBB143_2312
; %bb.2311:
	s_waitcnt vmcnt(0)
	v_cvt_f16_f32_e32 v3, v2
	global_store_short v[0:1], v3, off
.LBB143_2312:
	s_mov_b32 s0, 0
.LBB143_2313:
	s_andn2_b32 vcc_lo, exec_lo, s0
	s_cbranch_vccnz .LBB143_2329
; %bb.2314:
	s_sext_i32_i16 s1, s4
	s_mov_b32 s0, -1
	s_cmp_lt_i32 s1, 2
	s_cbranch_scc1 .LBB143_2324
; %bb.2315:
	s_cmp_lt_i32 s1, 3
	s_cbranch_scc1 .LBB143_2321
; %bb.2316:
	s_cmp_gt_i32 s1, 3
	s_cbranch_scc0 .LBB143_2318
; %bb.2317:
	s_waitcnt vmcnt(0)
	v_trunc_f32_e32 v3, v2
	s_mov_b32 s0, 0
	v_mul_f32_e64 v4, 0x2f800000, |v3|
	v_ashrrev_i32_e32 v6, 31, v3
	v_floor_f32_e32 v4, v4
	v_fma_f32 v5, 0xcf800000, v4, |v3|
	v_cvt_u32_f32_e32 v4, v4
	v_cvt_u32_f32_e32 v3, v5
	v_xor_b32_e32 v4, v4, v6
	v_xor_b32_e32 v3, v3, v6
	v_sub_co_u32 v3, vcc_lo, v3, v6
	v_sub_co_ci_u32_e64 v4, null, v4, v6, vcc_lo
	global_store_dwordx2 v[0:1], v[3:4], off
.LBB143_2318:
	s_andn2_b32 vcc_lo, exec_lo, s0
	s_cbranch_vccnz .LBB143_2320
; %bb.2319:
	s_waitcnt vmcnt(0)
	v_cvt_i32_f32_e32 v3, v2
	global_store_dword v[0:1], v3, off
.LBB143_2320:
	s_mov_b32 s0, 0
.LBB143_2321:
	s_andn2_b32 vcc_lo, exec_lo, s0
	s_cbranch_vccnz .LBB143_2323
; %bb.2322:
	s_waitcnt vmcnt(0)
	v_cvt_i32_f32_e32 v3, v2
	global_store_short v[0:1], v3, off
.LBB143_2323:
	s_mov_b32 s0, 0
.LBB143_2324:
	s_andn2_b32 vcc_lo, exec_lo, s0
	s_cbranch_vccnz .LBB143_2329
; %bb.2325:
	s_sext_i32_i16 s0, s4
	s_cmp_gt_i32 s0, 0
	s_mov_b32 s0, -1
	s_cbranch_scc0 .LBB143_2327
; %bb.2326:
	s_waitcnt vmcnt(0)
	v_cvt_i32_f32_e32 v3, v2
	s_mov_b32 s0, 0
	global_store_byte v[0:1], v3, off
.LBB143_2327:
	s_andn2_b32 vcc_lo, exec_lo, s0
	s_cbranch_vccnz .LBB143_2329
; %bb.2328:
	s_waitcnt vmcnt(0)
	v_trunc_f32_e32 v2, v2
	v_mul_f32_e64 v3, 0x2f800000, |v2|
	v_floor_f32_e32 v3, v3
	v_fma_f32 v3, 0xcf800000, v3, |v2|
	v_ashrrev_i32_e32 v2, 31, v2
	v_cvt_u32_f32_e32 v3, v3
	v_xor_b32_e32 v3, v3, v2
	v_sub_nc_u32_e32 v2, v3, v2
	global_store_byte v[0:1], v2, off
	s_endpgm
.LBB143_2329:
	s_endpgm
.LBB143_2330:
	s_mov_b32 s2, 0
	s_mov_b32 s0, -1
	s_branch .LBB143_2286
.LBB143_2331:
	s_or_b32 s14, s14, exec_lo
	s_trap 2
	s_cbranch_execz .LBB143_1762
	s_branch .LBB143_1763
.LBB143_2332:
	s_andn2_saveexec_b32 s15, s15
	s_cbranch_execz .LBB143_1880
.LBB143_2333:
	v_add_f32_e64 v3, 0x46000000, |v2|
	s_andn2_b32 s13, s13, exec_lo
	v_and_b32_e32 v3, 0xff, v3
	v_cmp_ne_u32_e32 vcc_lo, 0, v3
	s_and_b32 s16, vcc_lo, exec_lo
	s_or_b32 s13, s13, s16
	s_or_b32 exec_lo, exec_lo, s15
	v_mov_b32_e32 v11, 0
	s_and_saveexec_b32 s15, s13
	s_cbranch_execnz .LBB143_1881
	s_branch .LBB143_1882
.LBB143_2334:
	s_or_b32 s14, s14, exec_lo
	s_trap 2
	s_cbranch_execz .LBB143_1928
	s_branch .LBB143_1929
.LBB143_2335:
	s_andn2_saveexec_b32 s13, s13
	s_cbranch_execz .LBB143_1893
.LBB143_2336:
	v_add_f32_e64 v3, 0x42800000, |v2|
	s_andn2_b32 s11, s11, exec_lo
	v_and_b32_e32 v3, 0xff, v3
	v_cmp_ne_u32_e32 vcc_lo, 0, v3
	s_and_b32 s15, vcc_lo, exec_lo
	s_or_b32 s11, s11, s15
	s_or_b32 exec_lo, exec_lo, s13
	v_mov_b32_e32 v11, 0
	s_and_saveexec_b32 s13, s11
	s_cbranch_execnz .LBB143_1894
	s_branch .LBB143_1895
.LBB143_2337:
	s_andn2_saveexec_b32 s13, s13
	s_cbranch_execz .LBB143_1999
.LBB143_2338:
	v_add_f32_e64 v3, 0x46000000, |v2|
	s_andn2_b32 s12, s12, exec_lo
	v_and_b32_e32 v3, 0xff, v3
	v_cmp_ne_u32_e32 vcc_lo, 0, v3
	s_and_b32 s15, vcc_lo, exec_lo
	s_or_b32 s12, s12, s15
	s_or_b32 exec_lo, exec_lo, s13
	v_mov_b32_e32 v5, 0
	s_and_saveexec_b32 s13, s12
	s_cbranch_execnz .LBB143_2000
	s_branch .LBB143_2001
.LBB143_2339:
	s_or_b32 s14, s14, exec_lo
	s_trap 2
	s_cbranch_execz .LBB143_2047
	s_branch .LBB143_2048
.LBB143_2340:
	s_andn2_saveexec_b32 s12, s12
	s_cbranch_execz .LBB143_2012
.LBB143_2341:
	v_add_f32_e64 v3, 0x42800000, |v2|
	s_andn2_b32 s11, s11, exec_lo
	v_and_b32_e32 v3, 0xff, v3
	v_cmp_ne_u32_e32 vcc_lo, 0, v3
	s_and_b32 s13, vcc_lo, exec_lo
	s_or_b32 s11, s11, s13
	s_or_b32 exec_lo, exec_lo, s12
	v_mov_b32_e32 v5, 0
	s_and_saveexec_b32 s12, s11
	s_cbranch_execnz .LBB143_2013
	s_branch .LBB143_2014
.LBB143_2342:
	s_andn2_saveexec_b32 s12, s12
	s_cbranch_execz .LBB143_2118
.LBB143_2343:
	v_add_f32_e64 v3, 0x46000000, |v2|
	s_andn2_b32 s11, s11, exec_lo
	v_and_b32_e32 v3, 0xff, v3
	v_cmp_ne_u32_e32 vcc_lo, 0, v3
	s_and_b32 s13, vcc_lo, exec_lo
	s_or_b32 s11, s11, s13
	s_or_b32 exec_lo, exec_lo, s12
	v_mov_b32_e32 v5, 0
	s_and_saveexec_b32 s12, s11
	s_cbranch_execnz .LBB143_2119
	s_branch .LBB143_2120
.LBB143_2344:
	s_or_b32 s14, s14, exec_lo
	s_trap 2
	s_cbranch_execz .LBB143_2166
	s_branch .LBB143_2167
.LBB143_2345:
	s_andn2_saveexec_b32 s11, s11
	s_cbranch_execz .LBB143_2131
.LBB143_2346:
	v_add_f32_e64 v3, 0x42800000, |v2|
	s_andn2_b32 s10, s10, exec_lo
	v_and_b32_e32 v3, 0xff, v3
	v_cmp_ne_u32_e32 vcc_lo, 0, v3
	s_and_b32 s12, vcc_lo, exec_lo
	s_or_b32 s10, s10, s12
	s_or_b32 exec_lo, exec_lo, s11
	v_mov_b32_e32 v5, 0
	s_and_saveexec_b32 s11, s10
	s_cbranch_execnz .LBB143_2132
	s_branch .LBB143_2133
.LBB143_2347:
	s_andn2_saveexec_b32 s8, s8
	s_cbranch_execz .LBB143_2238
.LBB143_2348:
	v_add_f32_e64 v3, 0x46000000, |v2|
	s_andn2_b32 s5, s5, exec_lo
	v_and_b32_e32 v3, 0xff, v3
	v_cmp_ne_u32_e32 vcc_lo, 0, v3
	s_and_b32 s9, vcc_lo, exec_lo
	s_or_b32 s5, s5, s9
	s_or_b32 exec_lo, exec_lo, s8
	v_mov_b32_e32 v4, 0
	s_and_saveexec_b32 s8, s5
	s_cbranch_execnz .LBB143_2239
	s_branch .LBB143_2240
.LBB143_2349:
	s_mov_b32 s2, 0
	s_or_b32 s14, s14, exec_lo
	s_trap 2
	s_branch .LBB143_2284
.LBB143_2350:
	s_andn2_saveexec_b32 s5, s5
	s_cbranch_execz .LBB143_2250
.LBB143_2351:
	v_add_f32_e64 v3, 0x42800000, |v2|
	s_andn2_b32 s3, s3, exec_lo
	v_and_b32_e32 v3, 0xff, v3
	v_cmp_ne_u32_e32 vcc_lo, 0, v3
	s_and_b32 s8, vcc_lo, exec_lo
	s_or_b32 s3, s3, s8
	s_or_b32 exec_lo, exec_lo, s5
	v_mov_b32_e32 v4, 0
	s_and_saveexec_b32 s5, s3
	s_cbranch_execnz .LBB143_2251
	s_branch .LBB143_2252
	.section	.rodata,"a",@progbits
	.p2align	6, 0x0
	.amdhsa_kernel _ZN2at6native32elementwise_kernel_manual_unrollILi128ELi4EZNS0_15gpu_kernel_implIZZZNS0_18lgamma_kernel_cudaERNS_18TensorIteratorBaseEENKUlvE_clEvENKUlvE0_clEvEUlfE_EEvS4_RKT_EUlibE_EEviT1_
		.amdhsa_group_segment_fixed_size 0
		.amdhsa_private_segment_fixed_size 0
		.amdhsa_kernarg_size 40
		.amdhsa_user_sgpr_count 6
		.amdhsa_user_sgpr_private_segment_buffer 1
		.amdhsa_user_sgpr_dispatch_ptr 0
		.amdhsa_user_sgpr_queue_ptr 0
		.amdhsa_user_sgpr_kernarg_segment_ptr 1
		.amdhsa_user_sgpr_dispatch_id 0
		.amdhsa_user_sgpr_flat_scratch_init 0
		.amdhsa_user_sgpr_private_segment_size 0
		.amdhsa_wavefront_size32 1
		.amdhsa_uses_dynamic_stack 0
		.amdhsa_system_sgpr_private_segment_wavefront_offset 0
		.amdhsa_system_sgpr_workgroup_id_x 1
		.amdhsa_system_sgpr_workgroup_id_y 0
		.amdhsa_system_sgpr_workgroup_id_z 0
		.amdhsa_system_sgpr_workgroup_info 0
		.amdhsa_system_vgpr_workitem_id 0
		.amdhsa_next_free_vgpr 16
		.amdhsa_next_free_sgpr 26
		.amdhsa_reserve_vcc 1
		.amdhsa_reserve_flat_scratch 0
		.amdhsa_float_round_mode_32 0
		.amdhsa_float_round_mode_16_64 0
		.amdhsa_float_denorm_mode_32 3
		.amdhsa_float_denorm_mode_16_64 3
		.amdhsa_dx10_clamp 1
		.amdhsa_ieee_mode 1
		.amdhsa_fp16_overflow 0
		.amdhsa_workgroup_processor_mode 1
		.amdhsa_memory_ordered 1
		.amdhsa_forward_progress 1
		.amdhsa_shared_vgpr_count 0
		.amdhsa_exception_fp_ieee_invalid_op 0
		.amdhsa_exception_fp_denorm_src 0
		.amdhsa_exception_fp_ieee_div_zero 0
		.amdhsa_exception_fp_ieee_overflow 0
		.amdhsa_exception_fp_ieee_underflow 0
		.amdhsa_exception_fp_ieee_inexact 0
		.amdhsa_exception_int_div_zero 0
	.end_amdhsa_kernel
	.section	.text._ZN2at6native32elementwise_kernel_manual_unrollILi128ELi4EZNS0_15gpu_kernel_implIZZZNS0_18lgamma_kernel_cudaERNS_18TensorIteratorBaseEENKUlvE_clEvENKUlvE0_clEvEUlfE_EEvS4_RKT_EUlibE_EEviT1_,"axG",@progbits,_ZN2at6native32elementwise_kernel_manual_unrollILi128ELi4EZNS0_15gpu_kernel_implIZZZNS0_18lgamma_kernel_cudaERNS_18TensorIteratorBaseEENKUlvE_clEvENKUlvE0_clEvEUlfE_EEvS4_RKT_EUlibE_EEviT1_,comdat
.Lfunc_end143:
	.size	_ZN2at6native32elementwise_kernel_manual_unrollILi128ELi4EZNS0_15gpu_kernel_implIZZZNS0_18lgamma_kernel_cudaERNS_18TensorIteratorBaseEENKUlvE_clEvENKUlvE0_clEvEUlfE_EEvS4_RKT_EUlibE_EEviT1_, .Lfunc_end143-_ZN2at6native32elementwise_kernel_manual_unrollILi128ELi4EZNS0_15gpu_kernel_implIZZZNS0_18lgamma_kernel_cudaERNS_18TensorIteratorBaseEENKUlvE_clEvENKUlvE0_clEvEUlfE_EEvS4_RKT_EUlibE_EEviT1_
                                        ; -- End function
	.set _ZN2at6native32elementwise_kernel_manual_unrollILi128ELi4EZNS0_15gpu_kernel_implIZZZNS0_18lgamma_kernel_cudaERNS_18TensorIteratorBaseEENKUlvE_clEvENKUlvE0_clEvEUlfE_EEvS4_RKT_EUlibE_EEviT1_.num_vgpr, 16
	.set _ZN2at6native32elementwise_kernel_manual_unrollILi128ELi4EZNS0_15gpu_kernel_implIZZZNS0_18lgamma_kernel_cudaERNS_18TensorIteratorBaseEENKUlvE_clEvENKUlvE0_clEvEUlfE_EEvS4_RKT_EUlibE_EEviT1_.num_agpr, 0
	.set _ZN2at6native32elementwise_kernel_manual_unrollILi128ELi4EZNS0_15gpu_kernel_implIZZZNS0_18lgamma_kernel_cudaERNS_18TensorIteratorBaseEENKUlvE_clEvENKUlvE0_clEvEUlfE_EEvS4_RKT_EUlibE_EEviT1_.numbered_sgpr, 26
	.set _ZN2at6native32elementwise_kernel_manual_unrollILi128ELi4EZNS0_15gpu_kernel_implIZZZNS0_18lgamma_kernel_cudaERNS_18TensorIteratorBaseEENKUlvE_clEvENKUlvE0_clEvEUlfE_EEvS4_RKT_EUlibE_EEviT1_.num_named_barrier, 0
	.set _ZN2at6native32elementwise_kernel_manual_unrollILi128ELi4EZNS0_15gpu_kernel_implIZZZNS0_18lgamma_kernel_cudaERNS_18TensorIteratorBaseEENKUlvE_clEvENKUlvE0_clEvEUlfE_EEvS4_RKT_EUlibE_EEviT1_.private_seg_size, 0
	.set _ZN2at6native32elementwise_kernel_manual_unrollILi128ELi4EZNS0_15gpu_kernel_implIZZZNS0_18lgamma_kernel_cudaERNS_18TensorIteratorBaseEENKUlvE_clEvENKUlvE0_clEvEUlfE_EEvS4_RKT_EUlibE_EEviT1_.uses_vcc, 1
	.set _ZN2at6native32elementwise_kernel_manual_unrollILi128ELi4EZNS0_15gpu_kernel_implIZZZNS0_18lgamma_kernel_cudaERNS_18TensorIteratorBaseEENKUlvE_clEvENKUlvE0_clEvEUlfE_EEvS4_RKT_EUlibE_EEviT1_.uses_flat_scratch, 0
	.set _ZN2at6native32elementwise_kernel_manual_unrollILi128ELi4EZNS0_15gpu_kernel_implIZZZNS0_18lgamma_kernel_cudaERNS_18TensorIteratorBaseEENKUlvE_clEvENKUlvE0_clEvEUlfE_EEvS4_RKT_EUlibE_EEviT1_.has_dyn_sized_stack, 0
	.set _ZN2at6native32elementwise_kernel_manual_unrollILi128ELi4EZNS0_15gpu_kernel_implIZZZNS0_18lgamma_kernel_cudaERNS_18TensorIteratorBaseEENKUlvE_clEvENKUlvE0_clEvEUlfE_EEvS4_RKT_EUlibE_EEviT1_.has_recursion, 0
	.set _ZN2at6native32elementwise_kernel_manual_unrollILi128ELi4EZNS0_15gpu_kernel_implIZZZNS0_18lgamma_kernel_cudaERNS_18TensorIteratorBaseEENKUlvE_clEvENKUlvE0_clEvEUlfE_EEvS4_RKT_EUlibE_EEviT1_.has_indirect_call, 0
	.section	.AMDGPU.csdata,"",@progbits
; Kernel info:
; codeLenInByte = 49320
; TotalNumSgprs: 28
; NumVgprs: 16
; ScratchSize: 0
; MemoryBound: 1
; FloatMode: 240
; IeeeMode: 1
; LDSByteSize: 0 bytes/workgroup (compile time only)
; SGPRBlocks: 0
; VGPRBlocks: 1
; NumSGPRsForWavesPerEU: 28
; NumVGPRsForWavesPerEU: 16
; Occupancy: 16
; WaveLimiterHint : 0
; COMPUTE_PGM_RSRC2:SCRATCH_EN: 0
; COMPUTE_PGM_RSRC2:USER_SGPR: 6
; COMPUTE_PGM_RSRC2:TRAP_HANDLER: 0
; COMPUTE_PGM_RSRC2:TGID_X_EN: 1
; COMPUTE_PGM_RSRC2:TGID_Y_EN: 0
; COMPUTE_PGM_RSRC2:TGID_Z_EN: 0
; COMPUTE_PGM_RSRC2:TIDIG_COMP_CNT: 0
	.section	.text._ZN2at6native32elementwise_kernel_manual_unrollILi128ELi4EZNS0_15gpu_kernel_implIZZZNS0_18lgamma_kernel_cudaERNS_18TensorIteratorBaseEENKUlvE_clEvENKUlvE0_clEvEUlfE_EEvS4_RKT_EUlibE0_EEviT1_,"axG",@progbits,_ZN2at6native32elementwise_kernel_manual_unrollILi128ELi4EZNS0_15gpu_kernel_implIZZZNS0_18lgamma_kernel_cudaERNS_18TensorIteratorBaseEENKUlvE_clEvENKUlvE0_clEvEUlfE_EEvS4_RKT_EUlibE0_EEviT1_,comdat
	.globl	_ZN2at6native32elementwise_kernel_manual_unrollILi128ELi4EZNS0_15gpu_kernel_implIZZZNS0_18lgamma_kernel_cudaERNS_18TensorIteratorBaseEENKUlvE_clEvENKUlvE0_clEvEUlfE_EEvS4_RKT_EUlibE0_EEviT1_ ; -- Begin function _ZN2at6native32elementwise_kernel_manual_unrollILi128ELi4EZNS0_15gpu_kernel_implIZZZNS0_18lgamma_kernel_cudaERNS_18TensorIteratorBaseEENKUlvE_clEvENKUlvE0_clEvEUlfE_EEvS4_RKT_EUlibE0_EEviT1_
	.p2align	8
	.type	_ZN2at6native32elementwise_kernel_manual_unrollILi128ELi4EZNS0_15gpu_kernel_implIZZZNS0_18lgamma_kernel_cudaERNS_18TensorIteratorBaseEENKUlvE_clEvENKUlvE0_clEvEUlfE_EEvS4_RKT_EUlibE0_EEviT1_,@function
_ZN2at6native32elementwise_kernel_manual_unrollILi128ELi4EZNS0_15gpu_kernel_implIZZZNS0_18lgamma_kernel_cudaERNS_18TensorIteratorBaseEENKUlvE_clEvENKUlvE0_clEvEUlfE_EEvS4_RKT_EUlibE0_EEviT1_: ; @_ZN2at6native32elementwise_kernel_manual_unrollILi128ELi4EZNS0_15gpu_kernel_implIZZZNS0_18lgamma_kernel_cudaERNS_18TensorIteratorBaseEENKUlvE_clEvENKUlvE0_clEvEUlfE_EEvS4_RKT_EUlibE0_EEviT1_
; %bb.0:
	s_clause 0x1
	s_load_dword s24, s[4:5], 0x8
	s_load_dword s33, s[4:5], 0x0
	v_lshl_or_b32 v8, s6, 9, v0
	s_add_u32 s2, s4, 8
	s_addc_u32 s3, s5, 0
	s_mov_b32 s1, -1
	s_mov_b32 s26, 0
	v_or_b32_e32 v15, 0x180, v8
	s_mov_b32 s12, 0
	s_mov_b32 s0, exec_lo
	s_waitcnt lgkmcnt(0)
	s_add_i32 s25, s24, -1
	s_cmp_gt_u32 s25, 1
	s_cselect_b32 s27, -1, 0
	v_cmpx_le_i32_e64 s33, v15
	s_xor_b32 s28, exec_lo, s0
	s_cbranch_execz .LBB144_1241
; %bb.1:
	v_mov_b32_e32 v0, 0
	s_clause 0x3
	s_load_dwordx4 s[16:19], s[2:3], 0x4
	s_load_dwordx2 s[6:7], s[2:3], 0x14
	s_load_dwordx4 s[12:15], s[2:3], 0xc4
	s_load_dwordx4 s[8:11], s[2:3], 0x148
	s_cmp_lg_u32 s24, 0
	s_mov_b32 s39, 0
	s_cselect_b32 s34, -1, 0
	global_load_ushort v0, v0, s[2:3] offset:345
	s_add_u32 s20, s2, 0xc4
	s_addc_u32 s21, s3, 0
	s_min_u32 s35, s25, 15
	s_cmp_gt_u32 s24, 1
	s_mov_b32 s37, 0
	s_cselect_b32 s31, -1, 0
	s_mov_b32 s36, 0
	s_mov_b32 s38, exec_lo
	s_waitcnt vmcnt(0)
	v_readfirstlane_b32 s29, v0
	s_and_b32 s0, 0xffff, s29
	s_lshr_b32 s30, s0, 8
	v_cmpx_gt_i32_e64 s33, v8
	s_cbranch_execz .LBB144_304
; %bb.2:
	s_andn2_b32 vcc_lo, exec_lo, s27
	s_cbranch_vccnz .LBB144_7
; %bb.3:
	s_andn2_b32 vcc_lo, exec_lo, s34
	s_cbranch_vccnz .LBB144_8
; %bb.4:
	s_add_i32 s37, s35, 1
	s_cmp_eq_u32 s25, 2
	s_cbranch_scc1 .LBB144_9
; %bb.5:
	v_mov_b32_e32 v2, 0
	v_mov_b32_e32 v0, 0
	;; [unrolled: 1-line block ×3, first 2 shown]
	s_and_b32 s36, s37, 28
	s_mov_b32 s40, 0
	s_mov_b64 s[0:1], s[2:3]
	s_mov_b64 s[22:23], s[20:21]
.LBB144_6:                              ; =>This Inner Loop Header: Depth=1
	s_clause 0x1
	s_load_dwordx8 s[44:51], s[0:1], 0x4
	s_load_dwordx4 s[60:63], s[0:1], 0x24
	s_load_dwordx8 s[52:59], s[22:23], 0x0
	s_add_u32 s0, s0, 48
	s_addc_u32 s1, s1, 0
	s_add_i32 s40, s40, 4
	s_add_u32 s22, s22, 32
	s_addc_u32 s23, s23, 0
	s_cmp_lg_u32 s36, s40
	s_waitcnt lgkmcnt(0)
	v_mul_hi_u32 v3, s45, v1
	v_add_nc_u32_e32 v3, v1, v3
	v_lshrrev_b32_e32 v3, s46, v3
	v_mul_hi_u32 v4, s48, v3
	v_mul_lo_u32 v6, v3, s44
	v_add_nc_u32_e32 v4, v3, v4
	v_sub_nc_u32_e32 v1, v1, v6
	v_lshrrev_b32_e32 v4, s49, v4
	v_mul_lo_u32 v6, v1, s52
	v_mul_lo_u32 v9, v1, s53
	v_mul_hi_u32 v5, s51, v4
	v_add_nc_u32_e32 v5, v4, v5
	v_lshrrev_b32_e32 v5, s60, v5
	v_mul_hi_u32 v7, s62, v5
	v_mul_lo_u32 v10, v5, s50
	v_add_nc_u32_e32 v1, v5, v7
	v_mul_lo_u32 v7, v4, s47
	v_sub_nc_u32_e32 v4, v4, v10
	v_lshrrev_b32_e32 v1, s63, v1
	v_mul_lo_u32 v10, v4, s56
	v_mul_lo_u32 v4, v4, s57
	v_sub_nc_u32_e32 v3, v3, v7
	v_mul_lo_u32 v11, v1, s61
	v_mul_lo_u32 v7, v3, s54
	;; [unrolled: 1-line block ×3, first 2 shown]
	v_sub_nc_u32_e32 v5, v5, v11
	v_add3_u32 v0, v6, v0, v7
	v_mul_lo_u32 v11, v5, s58
	v_mul_lo_u32 v5, v5, s59
	v_add3_u32 v2, v9, v2, v3
	v_add3_u32 v0, v10, v0, v11
	;; [unrolled: 1-line block ×3, first 2 shown]
	s_cbranch_scc1 .LBB144_6
	s_branch .LBB144_10
.LBB144_7:
                                        ; implicit-def: $vgpr0
                                        ; implicit-def: $vgpr2
	s_branch .LBB144_14
.LBB144_8:
	v_mov_b32_e32 v0, 0
	v_mov_b32_e32 v2, 0
	s_branch .LBB144_13
.LBB144_9:
	v_mov_b32_e32 v0, 0
	v_mov_b32_e32 v2, 0
	;; [unrolled: 1-line block ×3, first 2 shown]
.LBB144_10:
	s_and_b32 s37, s37, 3
	s_cmp_eq_u32 s37, 0
	s_cbranch_scc1 .LBB144_13
; %bb.11:
	s_lshl_b32 s0, s36, 3
	s_mul_i32 s22, s36, 12
	s_add_u32 s0, s2, s0
	s_addc_u32 s1, s3, 0
	s_add_u32 s0, s0, 0xc4
	s_addc_u32 s1, s1, 0
	;; [unrolled: 2-line block ×3, first 2 shown]
	.p2align	6
.LBB144_12:                             ; =>This Inner Loop Header: Depth=1
	s_clause 0x1
	s_load_dwordx2 s[40:41], s[22:23], 0x4
	s_load_dword s36, s[22:23], 0xc
	s_load_dwordx2 s[42:43], s[0:1], 0x0
	s_add_u32 s22, s22, 12
	s_addc_u32 s23, s23, 0
	s_add_u32 s0, s0, 8
	s_addc_u32 s1, s1, 0
	s_add_i32 s37, s37, -1
	s_cmp_lg_u32 s37, 0
	s_waitcnt lgkmcnt(0)
	v_mul_hi_u32 v3, s41, v1
	v_add_nc_u32_e32 v3, v1, v3
	v_lshrrev_b32_e32 v4, s36, v3
	v_mul_lo_u32 v3, v4, s40
	v_sub_nc_u32_e32 v3, v1, v3
	v_mad_u64_u32 v[0:1], null, v3, s42, v[0:1]
	v_mad_u64_u32 v[2:3], null, v3, s43, v[2:3]
	v_mov_b32_e32 v1, v4
	s_cbranch_scc1 .LBB144_12
.LBB144_13:
	s_cbranch_execnz .LBB144_16
.LBB144_14:
	s_waitcnt lgkmcnt(0)
	v_mul_hi_u32 v0, s17, v8
	s_andn2_b32 vcc_lo, exec_lo, s31
	v_add_nc_u32_e32 v0, v8, v0
	v_lshrrev_b32_e32 v1, s18, v0
	v_mul_lo_u32 v0, v1, s16
	v_sub_nc_u32_e32 v2, v8, v0
	v_mul_lo_u32 v0, v2, s12
	v_mul_lo_u32 v2, v2, s13
	s_cbranch_vccnz .LBB144_16
; %bb.15:
	v_mul_hi_u32 v3, s6, v1
	v_add_nc_u32_e32 v3, v1, v3
	v_lshrrev_b32_e32 v3, s7, v3
	v_mul_lo_u32 v3, v3, s19
	v_sub_nc_u32_e32 v3, v1, v3
	v_mad_u64_u32 v[0:1], null, v3, s14, v[0:1]
	v_mad_u64_u32 v[2:3], null, v3, s15, v[2:3]
.LBB144_16:
	s_waitcnt lgkmcnt(0)
	v_add_co_u32 v1, s0, s10, v2
	v_add_co_ci_u32_e64 v2, null, s11, 0, s0
	s_and_b32 s0, 0xffff, s30
	s_cmp_lt_i32 s0, 11
	s_cbranch_scc1 .LBB144_23
; %bb.17:
	s_cmp_gt_i32 s0, 25
	s_cbranch_scc0 .LBB144_70
; %bb.18:
	s_cmp_gt_i32 s0, 28
	s_cbranch_scc0 .LBB144_73
	;; [unrolled: 3-line block ×4, first 2 shown]
; %bb.21:
	s_cmp_eq_u32 s0, 46
	s_mov_b32 s23, 0
	s_cbranch_scc0 .LBB144_79
; %bb.22:
	global_load_dword v3, v[1:2], off
	s_mov_b32 s1, -1
	s_mov_b32 s22, 0
	s_waitcnt vmcnt(0)
	v_lshlrev_b32_e32 v3, 16, v3
	s_branch .LBB144_81
.LBB144_23:
	s_mov_b32 s22, 0
	s_mov_b32 s1, 0
                                        ; implicit-def: $vgpr3
	s_cbranch_execnz .LBB144_254
.LBB144_24:
	s_andn2_b32 vcc_lo, exec_lo, s1
	s_cbranch_vccnz .LBB144_301
.LBB144_25:
	s_waitcnt vmcnt(0)
	v_and_b32_e32 v1, 0x7fffffff, v3
	s_mov_b32 s1, exec_lo
                                        ; implicit-def: $vgpr2
	v_cmpx_ngt_f32_e64 0x3c800000, |v3|
	s_xor_b32 s1, exec_lo, s1
	s_cbranch_execz .LBB144_55
; %bb.26:
	s_mov_b32 s23, exec_lo
                                        ; implicit-def: $vgpr2
	v_cmpx_nlt_f32_e64 |v3|, 2.0
	s_xor_b32 s23, exec_lo, s23
	s_cbranch_execz .LBB144_36
; %bb.27:
	v_cmp_ngt_f32_e64 s0, 0x41000000, |v3|
                                        ; implicit-def: $vgpr2
	s_and_saveexec_b32 s36, s0
	s_xor_b32 s0, exec_lo, s36
	s_cbranch_execz .LBB144_33
; %bb.28:
	v_cmp_ngt_f32_e64 s36, 0x5c800000, |v3|
                                        ; implicit-def: $vgpr2
	s_and_saveexec_b32 s37, s36
	s_xor_b32 s36, exec_lo, s37
	s_cbranch_execz .LBB144_30
; %bb.29:
	v_cmp_gt_f32_e64 s37, 0x800000, |v3|
	v_cndmask_b32_e64 v2, 0, 32, s37
	v_ldexp_f32 v2, |v3|, v2
	v_log_f32_e32 v2, v2
	v_mul_f32_e32 v4, 0x3f317217, v2
	v_cmp_gt_f32_e64 vcc_lo, 0x7f800000, |v2|
	v_fma_f32 v5, 0x3f317217, v2, -v4
	v_fmamk_f32 v5, v2, 0x3377d1cf, v5
	v_add_f32_e32 v4, v4, v5
	v_cndmask_b32_e32 v2, v2, v4, vcc_lo
	v_cndmask_b32_e64 v4, 0, 0x41b17218, s37
	v_sub_f32_e32 v2, v2, v4
	v_fma_f32 v2, |v3|, v2, -|v3|
.LBB144_30:
	s_andn2_saveexec_b32 s36, s36
	s_cbranch_execz .LBB144_32
; %bb.31:
	v_cmp_gt_f32_e64 s37, 0x800000, |v3|
	v_rcp_f32_e64 v4, |v3|
	s_mov_b32 s40, 0xbad5c4e8
	v_cndmask_b32_e64 v2, 0, 32, s37
	v_ldexp_f32 v2, |v3|, v2
	v_mul_f32_e32 v5, v4, v4
	v_log_f32_e32 v2, v2
	v_fmaak_f32 v7, s40, v5, 0x3a5b3dd2
	v_fmaak_f32 v7, v5, v7, 0xba1c065c
	v_mul_f32_e32 v6, 0x3f317217, v2
	v_fmaak_f32 v7, v5, v7, 0x3a500cfd
	v_cmp_gt_f32_e64 vcc_lo, 0x7f800000, |v2|
	v_fma_f32 v9, 0x3f317217, v2, -v6
	v_fmaak_f32 v7, v5, v7, 0xbb360b61
	v_fmamk_f32 v9, v2, 0x3377d1cf, v9
	v_fmaak_f32 v5, v5, v7, 0x3daaaaab
	v_add_f32_e32 v6, v6, v9
	v_cndmask_b32_e32 v2, v2, v6, vcc_lo
	v_cndmask_b32_e64 v6, 0, 0x41b17218, s37
	v_sub_f32_e32 v6, v2, v6
	v_fmaak_f32 v2, v4, v5, 0x3ed67f1d
	v_add_f32_e64 v4, |v3|, -0.5
	v_add_f32_e32 v5, -1.0, v6
	v_fmac_f32_e32 v2, v4, v5
.LBB144_32:
	s_or_b32 exec_lo, exec_lo, s36
.LBB144_33:
	s_andn2_saveexec_b32 s36, s0
	s_cbranch_execz .LBB144_35
; %bb.34:
	v_cvt_i32_f32_e32 v2, v1
	s_mov_b32 s0, 0x36f5d7bd
	s_mov_b32 s37, 0x3805ff67
	v_cvt_f32_i32_e32 v4, v2
	v_cmp_lt_i32_e32 vcc_lo, 2, v2
	v_sub_f32_e64 v4, |v3|, v4
	v_add_f32_e32 v5, 2.0, v4
	v_add_f32_e32 v6, 0x40400000, v4
	v_add_f32_e32 v7, 4.0, v4
	v_add_f32_e32 v9, 0x40a00000, v4
	v_cndmask_b32_e32 v5, 1.0, v5, vcc_lo
	v_cmp_lt_i32_e32 vcc_lo, 3, v2
	v_cndmask_b32_e32 v6, 1.0, v6, vcc_lo
	v_cmp_lt_i32_e32 vcc_lo, 4, v2
	v_mul_f32_e32 v5, v5, v6
	v_cndmask_b32_e32 v7, 1.0, v7, vcc_lo
	v_cmp_lt_i32_e32 vcc_lo, 5, v2
	v_add_f32_e32 v6, 0x40c00000, v4
	v_mul_f32_e32 v5, v7, v5
	v_cndmask_b32_e32 v9, 1.0, v9, vcc_lo
	v_cmp_lt_i32_e32 vcc_lo, 6, v2
	v_fmaak_f32 v7, s37, v4, 0x3af135b4
	v_mul_f32_e32 v5, v9, v5
	v_cndmask_b32_e32 v2, 1.0, v6, vcc_lo
	v_mul_f32_e32 v2, v2, v5
	v_fmaak_f32 v5, s0, v4, 0x3a4beed6
	v_cmp_gt_f32_e32 vcc_lo, 0x800000, v2
	v_fmaak_f32 v5, v4, v5, 0x3c98bf54
	v_cndmask_b32_e64 v6, 0, 32, vcc_lo
	v_fmaak_f32 v5, v4, v5, 0x3e300f6e
	v_ldexp_f32 v2, v2, v6
	v_fmaak_f32 v6, v4, v7, 0x3cda40e4
	v_fmaak_f32 v5, v4, v5, 0x3f38d0c5
	v_log_f32_e32 v2, v2
	v_fmaak_f32 v6, v4, v6, 0x3e15dce6
	v_fmaak_f32 v5, v4, v5, 0x3fb22d3b
	;; [unrolled: 1-line block ×3, first 2 shown]
	v_fma_f32 v5, v4, v5, 1.0
	v_mul_f32_e32 v7, 0x3f317217, v2
	v_fmaak_f32 v6, v4, v6, 0x3e5c245a
	v_rcp_f32_e32 v5, v5
	v_cmp_gt_f32_e64 s0, 0x7f800000, |v2|
	v_fma_f32 v9, 0x3f317217, v2, -v7
	v_fmaak_f32 v6, v4, v6, 0xbd9e233f
	v_fmamk_f32 v9, v2, 0x3377d1cf, v9
	v_mul_f32_e32 v6, v4, v6
	v_add_f32_e32 v7, v7, v9
	v_mul_f32_e32 v5, v6, v5
	v_cndmask_b32_e64 v6, 0, 0x41b17218, vcc_lo
	v_cndmask_b32_e64 v2, v2, v7, s0
	v_fmac_f32_e32 v5, 0.5, v4
	v_sub_f32_e32 v2, v2, v6
	v_add_f32_e32 v2, v2, v5
.LBB144_35:
	s_or_b32 exec_lo, exec_lo, s36
.LBB144_36:
	s_andn2_saveexec_b32 s23, s23
	s_cbranch_execz .LBB144_54
; %bb.37:
	s_mov_b32 s36, exec_lo
                                        ; implicit-def: $vgpr2
                                        ; implicit-def: $vgpr5
                                        ; implicit-def: $vgpr4
	v_cmpx_ge_f32_e64 0x3f666666, |v3|
	s_xor_b32 s36, exec_lo, s36
	s_cbranch_execz .LBB144_39
; %bb.38:
	v_cmp_gt_f32_e64 s0, 0x800000, |v3|
	v_sub_f32_e64 v6, 1.0, |v3|
	v_cmp_gt_f32_e64 vcc_lo, 0x3f3b4a23, |v3|
	v_cndmask_b32_e64 v2, 0, 32, s0
	v_cndmask_b32_e64 v7, 0, 0x41b17218, s0
	v_ldexp_f32 v2, |v3|, v2
	v_log_f32_e32 v2, v2
	v_mul_f32_e32 v4, 0x3f317217, v2
	v_cmp_gt_f32_e64 s0, 0x7f800000, |v2|
	v_fma_f32 v5, 0x3f317217, v2, -v4
	v_fmamk_f32 v5, v2, 0x3377d1cf, v5
	v_add_f32_e32 v4, v4, v5
	v_add_f32_e64 v5, 0xbeec5b0c, |v3|
	v_cndmask_b32_e64 v2, v2, v4, s0
	v_cndmask_b32_e32 v4, v6, v5, vcc_lo
	v_cndmask_b32_e64 v5, 0, 1, vcc_lo
	v_cmp_gt_f32_e64 s0, 0x3e6d3309, |v3|
	v_sub_f32_e32 v2, v2, v7
	v_cndmask_b32_e64 v4, v4, |v3|, s0
	v_cndmask_b32_e64 v5, v5, 2, s0
	v_xor_b32_e32 v2, 0x80000000, v2
.LBB144_39:
	s_andn2_saveexec_b32 s0, s36
	s_cbranch_execz .LBB144_41
; %bb.40:
	v_sub_f32_e64 v2, 2.0, |v3|
	v_add_f32_e64 v4, 0xbfbb16c3, |v3|
	v_cmp_gt_f32_e64 vcc_lo, 0x3fdda512, |v3|
	v_add_f32_e64 v5, |v3|, -1.0
	v_cndmask_b32_e32 v4, v2, v4, vcc_lo
	v_cndmask_b32_e64 v2, v2, 1.0, vcc_lo
	v_cmp_gt_f32_e64 vcc_lo, 0x3f9d70a4, |v3|
	v_cvt_i32_f32_e32 v2, v2
	v_cndmask_b32_e32 v4, v4, v5, vcc_lo
	v_cndmask_b32_e64 v5, v2, 2, vcc_lo
	v_mov_b32_e32 v2, 0
.LBB144_41:
	s_or_b32 exec_lo, exec_lo, s0
	s_mov_b32 s0, exec_lo
	v_cmpx_lt_i32_e32 0, v5
	s_xor_b32 s0, exec_lo, s0
	s_cbranch_execz .LBB144_49
; %bb.42:
	s_mov_b32 s36, exec_lo
	v_cmpx_lt_i32_e32 1, v5
	s_xor_b32 s36, exec_lo, s36
	s_cbranch_execz .LBB144_46
; %bb.43:
	s_mov_b32 s37, exec_lo
	v_cmpx_eq_u32_e32 2, v5
	s_cbranch_execz .LBB144_45
; %bb.44:
	s_mov_b32 s40, 0x3b52d5db
	v_fmaak_f32 v5, s40, v4, 0x3dd572af
	s_mov_b32 s40, 0x3c5b3c5e
	v_fmaak_f32 v6, s40, v4, 0x3e6a7578
	v_fmaak_f32 v5, v4, v5, 0x3f44efdf
	;; [unrolled: 1-line block ×7, first 2 shown]
	v_fma_f32 v5, v4, v5, 1.0
	v_fmaak_f32 v6, v4, v6, 0xbd9e233f
	v_rcp_f32_e32 v5, v5
	v_mul_f32_e32 v6, v4, v6
	v_mul_f32_e32 v5, v6, v5
	v_fmac_f32_e32 v5, -0.5, v4
	v_add_f32_e32 v2, v2, v5
.LBB144_45:
	s_or_b32 exec_lo, exec_lo, s37
                                        ; implicit-def: $vgpr4
.LBB144_46:
	s_andn2_saveexec_b32 s36, s36
	s_cbranch_execz .LBB144_48
; %bb.47:
	v_mul_f32_e32 v5, v4, v4
	s_mov_b32 s37, 0xb9a3f927
	s_mov_b32 s40, 0x39afe9f7
	v_mul_f32_e32 v6, v4, v5
	v_fmaak_f32 v7, s37, v6, 0x3a66f867
	v_fmaak_f32 v9, s40, v6, 0xba0d3085
	s_mov_b32 s37, 0x39a57b6b
	v_fmaak_f32 v10, s37, v6, 0xbab7f476
	v_fmaak_f32 v7, v6, v7, 0xbb7177fe
	v_fmaak_f32 v9, v6, v9, 0x3b141699
	v_fmaak_f32 v10, v6, v10, 0x3bc7e707
	v_fmaak_f32 v7, v6, v7, 0x3c93373d
	v_fmaak_f32 v9, v6, v9, 0xbc28fcfe
	v_fmaak_f32 v10, v6, v10, 0xbd064d47
	v_fmaak_f32 v7, v6, v7, 0xbe17213c
	v_fmaak_f32 v9, v6, v9, 0x3d845a15
	v_fmac_f32_e32 v7, v4, v9
	v_fmaak_f32 v4, v6, v10, 0x3ef7b95e
	v_fma_f32 v6, v6, -v7, 0xa2863e55
	v_fma_f32 v4, v5, v4, -v6
	v_add_f32_e32 v4, 0xbdf8cdce, v4
	v_add_f32_e32 v2, v2, v4
.LBB144_48:
	s_or_b32 exec_lo, exec_lo, s36
                                        ; implicit-def: $vgpr5
                                        ; implicit-def: $vgpr4
.LBB144_49:
	s_andn2_saveexec_b32 s0, s0
	s_cbranch_execz .LBB144_53
; %bb.50:
	s_mov_b32 s36, exec_lo
	v_cmpx_eq_u32_e32 0, v5
	s_cbranch_execz .LBB144_52
; %bb.51:
	v_mul_f32_e32 v5, v4, v4
	s_mov_b32 s37, 0x383c2c75
	v_fmaak_f32 v6, s37, v5, 0x38e28445
	s_mov_b32 s37, 0x37d383a2
	v_fmaak_f32 v7, s37, v5, 0x39679767
	v_fmaak_f32 v6, v5, v6, 0x3a05b634
	;; [unrolled: 1-line block ×9, first 2 shown]
	v_mul_f32_e32 v5, v5, v6
	v_fmac_f32_e32 v5, v4, v7
	v_fmac_f32_e32 v5, -0.5, v4
	v_add_f32_e32 v2, v2, v5
.LBB144_52:
	s_or_b32 exec_lo, exec_lo, s36
.LBB144_53:
	s_or_b32 exec_lo, exec_lo, s0
.LBB144_54:
	s_or_b32 exec_lo, exec_lo, s23
.LBB144_55:
	s_andn2_saveexec_b32 s0, s1
	s_cbranch_execz .LBB144_57
; %bb.56:
	v_cmp_gt_f32_e64 s1, 0x800000, |v3|
	s_mov_b32 s23, 0x3e8a8991
	v_fma_f32 v6, |v3|, s23, 0xbecd26ab
	v_cndmask_b32_e64 v2, 0, 32, s1
	v_ldexp_f32 v2, |v3|, v2
	v_log_f32_e32 v2, v2
	v_mul_f32_e32 v4, 0x3f317217, v2
	v_cmp_gt_f32_e64 vcc_lo, 0x7f800000, |v2|
	v_fma_f32 v5, 0x3f317217, v2, -v4
	v_fmamk_f32 v5, v2, 0x3377d1cf, v5
	v_add_f32_e32 v4, v4, v5
	v_fma_f32 v5, |v3|, v6, 0x3f528d33
	v_cndmask_b32_e32 v2, v2, v4, vcc_lo
	v_cndmask_b32_e64 v4, 0, 0x41b17218, s1
	v_fma_f32 v5, |v3|, v5, 0xbf13c468
	v_sub_f32_e32 v2, v2, v4
	v_fma_f32 v2, |v3|, v5, -v2
.LBB144_57:
	s_or_b32 exec_lo, exec_lo, s0
	v_cmp_le_f32_e32 vcc_lo, 0, v3
	s_mov_b32 s1, exec_lo
	v_cmpx_nle_f32_e32 0, v3
	s_xor_b32 s23, exec_lo, s1
	s_cbranch_execz .LBB144_61
; %bb.58:
	v_cmp_gt_f32_e64 s0, 0x4b000000, |v3|
	v_cmp_lt_f32_e64 s1, 0x35000000, |v3|
	s_and_b32 s0, s0, s1
	s_and_saveexec_b32 s36, s0
	s_cbranch_execz .LBB144_60
; %bb.59:
	v_mul_f32_e64 v4, |v3|, 0.5
	s_mov_b32 s1, 0x3d4be544
	v_xor_b32_e32 v1, v1, v3
	v_floor_f32_e32 v5, v4
	v_cmp_neq_f32_e64 s0, 0x7f800000, v4
	v_sub_f32_e32 v5, v4, v5
	v_min_f32_e32 v5, 0x3f7fffff, v5
	v_add_f32_e32 v5, v5, v5
	v_cndmask_b32_e64 v4, 0, v5, s0
	v_cmp_gt_f32_e64 s0, |v3|, 1.0
	v_cndmask_b32_e64 v4, |v3|, v4, s0
	s_mov_b32 s0, 0x3e75aa41
	v_add_f32_e32 v5, v4, v4
	v_rndne_f32_e32 v5, v5
	v_fmac_f32_e32 v4, -0.5, v5
	v_cvt_i32_f32_e32 v5, v5
	v_mul_f32_e32 v6, v4, v4
	v_fmaak_f32 v7, s0, v6, 0xbf1f24be
	v_fmaak_f32 v9, s1, v6, 0x3e642e9d
	v_mul_f32_e32 v10, v4, v6
	v_fmaak_f32 v7, v6, v7, 0x40234736
	v_fmaak_f32 v9, v6, v9, 0xbfaad1da
	;; [unrolled: 1-line block ×4, first 2 shown]
	v_mul_f32_e32 v7, v10, v7
	v_fmaak_f32 v9, v6, v9, 0xc09de9e6
	v_and_b32_e32 v10, 1, v5
	v_lshlrev_b32_e32 v5, 30, v5
	v_fmamk_f32 v4, v4, 0x40490fdb, v7
	v_fma_f32 v6, v6, v9, 1.0
	v_cmp_eq_u32_e64 s0, 0, v10
	v_and_b32_e32 v5, 0x80000000, v5
	v_cndmask_b32_e64 v4, v6, v4, s0
	v_xor3_b32 v1, v1, v5, v4
	v_mul_f32_e32 v1, v3, v1
	v_frexp_mant_f32_e64 v4, |v1|
	v_frexp_exp_i32_f32_e32 v1, v1
	v_rcp_f32_e32 v4, v4
	v_sub_nc_u32_e32 v1, 2, v1
	v_mul_f32_e32 v4, 0x3f490fdb, v4
	v_ldexp_f32 v1, v4, v1
	v_cmp_gt_f32_e64 s0, 0x800000, v1
	v_cndmask_b32_e64 v4, 0, 32, s0
	v_ldexp_f32 v1, v1, v4
	v_log_f32_e32 v1, v1
	v_mul_f32_e32 v4, 0x3f317217, v1
	v_cmp_gt_f32_e64 s1, 0x7f800000, |v1|
	v_fma_f32 v5, 0x3f317217, v1, -v4
	v_fmamk_f32 v5, v1, 0x3377d1cf, v5
	v_add_f32_e32 v4, v4, v5
	v_floor_f32_e32 v5, v3
	v_cndmask_b32_e64 v1, v1, v4, s1
	v_cndmask_b32_e64 v4, 0, 0x41b17218, s0
	v_sub_f32_e32 v5, v3, v5
	v_sub_f32_e32 v1, v1, v4
	v_min_f32_e32 v4, 0x3f7fffff, v5
	v_sub_f32_e32 v1, v1, v2
	v_cmp_neq_f32_e64 s0, 0, v4
	v_cndmask_b32_e64 v2, 0x7f800000, v1, s0
.LBB144_60:
	s_or_b32 exec_lo, exec_lo, s36
.LBB144_61:
	s_andn2_saveexec_b32 s23, s23
; %bb.62:
	v_cmp_eq_f32_e64 s0, 1.0, v3
	v_cmp_eq_f32_e64 s1, 2.0, v3
	s_or_b32 s0, s0, s1
	v_cndmask_b32_e64 v2, v2, 0, s0
; %bb.63:
	s_or_b32 exec_lo, exec_lo, s23
	v_cmp_gt_f32_e64 s0, 0x4b000000, |v3|
	s_and_b32 s1, s29, 0xff
	s_or_b32 vcc_lo, vcc_lo, s0
	v_cmp_class_f32_e64 s0, v3, 0x264
	v_cndmask_b32_e32 v1, 0x7f800000, v2, vcc_lo
	v_cmp_u_f32_e32 vcc_lo, v3, v3
	s_cmp_lt_i32 s1, 11
	v_cndmask_b32_e64 v2, v1, 0x7f800000, s0
	v_add_co_u32 v0, s0, s8, v0
	v_add_co_ci_u32_e64 v1, null, s9, 0, s0
	v_cndmask_b32_e32 v2, v2, v3, vcc_lo
	s_cbranch_scc1 .LBB144_71
; %bb.64:
	s_and_b32 s23, 0xffff, s1
	s_cmp_gt_i32 s23, 25
	s_cbranch_scc0 .LBB144_74
; %bb.65:
	s_cmp_gt_i32 s23, 28
	s_cbranch_scc0 .LBB144_76
; %bb.66:
	;; [unrolled: 3-line block ×4, first 2 shown]
	s_mov_b32 s37, 0
	s_mov_b32 s0, -1
	s_cmp_eq_u32 s23, 46
	s_mov_b32 s36, 0
	s_cbranch_scc0 .LBB144_85
; %bb.69:
	v_bfe_u32 v3, v2, 16, 1
	v_cmp_o_f32_e32 vcc_lo, v2, v2
	v_mov_b32_e32 v4, 0x7fc0
	s_mov_b32 s36, -1
	s_mov_b32 s0, 0
	v_add3_u32 v3, v2, v3, 0x7fff
	v_cndmask_b32_sdwa v3, v4, v3, vcc_lo dst_sel:DWORD dst_unused:UNUSED_PAD src0_sel:DWORD src1_sel:WORD_1
	global_store_dword v[0:1], v3, off
	s_branch .LBB144_85
.LBB144_70:
	s_mov_b32 s22, 0
	s_mov_b32 s1, 0
                                        ; implicit-def: $vgpr3
	s_cbranch_execnz .LBB144_219
	s_branch .LBB144_253
.LBB144_71:
	s_mov_b32 s0, 0
	s_mov_b32 s36, 0
	s_cbranch_execnz .LBB144_154
.LBB144_72:
	s_andn2_b32 vcc_lo, exec_lo, s36
	s_cbranch_vccz .LBB144_192
	s_branch .LBB144_302
.LBB144_73:
	s_mov_b32 s23, -1
	s_mov_b32 s22, 0
	s_mov_b32 s1, 0
                                        ; implicit-def: $vgpr3
	s_branch .LBB144_200
.LBB144_74:
	s_mov_b32 s37, -1
	s_mov_b32 s0, 0
	s_mov_b32 s36, 0
	s_branch .LBB144_112
.LBB144_75:
	s_mov_b32 s23, -1
	s_mov_b32 s22, 0
	s_mov_b32 s1, 0
                                        ; implicit-def: $vgpr3
	s_branch .LBB144_195
.LBB144_76:
	s_mov_b32 s37, -1
	s_mov_b32 s0, 0
	s_mov_b32 s36, 0
	s_branch .LBB144_95
.LBB144_77:
	s_mov_b32 s23, -1
	s_mov_b32 s22, 0
	s_branch .LBB144_80
.LBB144_78:
	s_mov_b32 s37, -1
	s_mov_b32 s0, 0
	s_mov_b32 s36, 0
	s_branch .LBB144_91
.LBB144_79:
	s_mov_b32 s22, -1
.LBB144_80:
	s_mov_b32 s1, 0
                                        ; implicit-def: $vgpr3
.LBB144_81:
	s_and_b32 vcc_lo, exec_lo, s23
	s_cbranch_vccz .LBB144_194
; %bb.82:
	s_cmp_eq_u32 s0, 44
	s_cbranch_scc0 .LBB144_193
; %bb.83:
	global_load_ubyte v3, v[1:2], off
	s_mov_b32 s22, 0
	s_mov_b32 s1, -1
	s_waitcnt vmcnt(0)
	v_lshlrev_b32_e32 v4, 23, v3
	v_cmp_ne_u32_e32 vcc_lo, 0xff, v3
	v_cndmask_b32_e32 v4, 0x7f800001, v4, vcc_lo
	v_cmp_ne_u32_e32 vcc_lo, 0, v3
	v_cndmask_b32_e32 v3, 0x400000, v4, vcc_lo
	s_branch .LBB144_194
.LBB144_84:
	s_mov_b32 s37, -1
	s_mov_b32 s0, 0
	s_mov_b32 s36, 0
.LBB144_85:
	s_and_b32 vcc_lo, exec_lo, s37
	s_cbranch_vccz .LBB144_90
; %bb.86:
	s_cmp_eq_u32 s23, 44
	s_mov_b32 s0, -1
	s_cbranch_scc0 .LBB144_90
; %bb.87:
	v_bfe_u32 v4, v2, 23, 8
	v_mov_b32_e32 v3, 0xff
	s_mov_b32 s36, exec_lo
	v_cmpx_ne_u32_e32 0xff, v4
	s_cbranch_execz .LBB144_89
; %bb.88:
	v_and_b32_e32 v3, 0x400000, v2
	v_and_or_b32 v4, 0x3fffff, v2, v4
	v_cmp_ne_u32_e32 vcc_lo, 0, v3
	v_cmp_ne_u32_e64 s0, 0, v4
	v_lshrrev_b32_e32 v3, 23, v2
	s_and_b32 s0, vcc_lo, s0
	v_cndmask_b32_e64 v4, 0, 1, s0
	v_add_nc_u32_e32 v3, v3, v4
.LBB144_89:
	s_or_b32 exec_lo, exec_lo, s36
	s_mov_b32 s36, -1
	s_mov_b32 s0, 0
	global_store_byte v[0:1], v3, off
.LBB144_90:
	s_mov_b32 s37, 0
.LBB144_91:
	s_and_b32 vcc_lo, exec_lo, s37
	s_cbranch_vccz .LBB144_94
; %bb.92:
	s_cmp_eq_u32 s23, 29
	s_mov_b32 s0, -1
	s_cbranch_scc0 .LBB144_94
; %bb.93:
	v_trunc_f32_e32 v3, v2
	s_mov_b32 s36, -1
	s_mov_b32 s0, 0
	s_mov_b32 s37, 0
	v_mul_f32_e32 v4, 0x2f800000, v3
	v_floor_f32_e32 v4, v4
	v_fmamk_f32 v3, v4, 0xcf800000, v3
	v_cvt_u32_f32_e32 v4, v4
	v_cvt_u32_f32_e32 v3, v3
	global_store_dwordx2 v[0:1], v[3:4], off
	s_branch .LBB144_95
.LBB144_94:
	s_mov_b32 s37, 0
.LBB144_95:
	s_and_b32 vcc_lo, exec_lo, s37
	s_cbranch_vccz .LBB144_111
; %bb.96:
	s_cmp_lt_i32 s23, 27
	s_mov_b32 s36, -1
	s_cbranch_scc1 .LBB144_102
; %bb.97:
	v_cvt_u32_f32_e32 v3, v2
	s_cmp_gt_i32 s23, 27
	s_cbranch_scc0 .LBB144_99
; %bb.98:
	s_mov_b32 s36, 0
	global_store_dword v[0:1], v3, off
.LBB144_99:
	s_andn2_b32 vcc_lo, exec_lo, s36
	s_cbranch_vccnz .LBB144_101
; %bb.100:
	global_store_short v[0:1], v3, off
.LBB144_101:
	s_mov_b32 s36, 0
.LBB144_102:
	s_andn2_b32 vcc_lo, exec_lo, s36
	s_cbranch_vccnz .LBB144_110
; %bb.103:
	v_and_b32_e32 v3, 0x7fffffff, v2
	v_mov_b32_e32 v4, 0x80
	s_mov_b32 s36, exec_lo
	v_cmpx_gt_u32_e32 0x43800000, v3
	s_cbranch_execz .LBB144_109
; %bb.104:
	v_cmp_lt_u32_e32 vcc_lo, 0x3bffffff, v3
	s_mov_b32 s37, 0
                                        ; implicit-def: $vgpr3
	s_and_saveexec_b32 s40, vcc_lo
	s_xor_b32 s40, exec_lo, s40
	s_cbranch_execz .LBB144_383
; %bb.105:
	v_bfe_u32 v3, v2, 20, 1
	s_mov_b32 s37, exec_lo
	v_add3_u32 v3, v2, v3, 0x487ffff
	v_lshrrev_b32_e32 v3, 20, v3
	s_andn2_saveexec_b32 s40, s40
	s_cbranch_execnz .LBB144_384
.LBB144_106:
	s_or_b32 exec_lo, exec_lo, s40
	v_mov_b32_e32 v4, 0
	s_and_saveexec_b32 s40, s37
.LBB144_107:
	v_lshrrev_b32_e32 v4, 24, v2
	v_and_or_b32 v4, 0x80, v4, v3
.LBB144_108:
	s_or_b32 exec_lo, exec_lo, s40
.LBB144_109:
	s_or_b32 exec_lo, exec_lo, s36
	global_store_byte v[0:1], v4, off
.LBB144_110:
	s_mov_b32 s36, -1
.LBB144_111:
	s_mov_b32 s37, 0
.LBB144_112:
	s_and_b32 vcc_lo, exec_lo, s37
	s_cbranch_vccz .LBB144_153
; %bb.113:
	s_cmp_gt_i32 s23, 22
	s_mov_b32 s37, -1
	s_cbranch_scc0 .LBB144_145
; %bb.114:
	s_cmp_lt_i32 s23, 24
	s_mov_b32 s36, -1
	s_cbranch_scc1 .LBB144_134
; %bb.115:
	s_cmp_gt_i32 s23, 24
	s_cbranch_scc0 .LBB144_123
; %bb.116:
	v_and_b32_e32 v3, 0x7fffffff, v2
	v_mov_b32_e32 v4, 0x80
	s_mov_b32 s36, exec_lo
	v_cmpx_gt_u32_e32 0x47800000, v3
	s_cbranch_execz .LBB144_122
; %bb.117:
	v_cmp_lt_u32_e32 vcc_lo, 0x37ffffff, v3
	s_mov_b32 s37, 0
                                        ; implicit-def: $vgpr3
	s_and_saveexec_b32 s40, vcc_lo
	s_xor_b32 s40, exec_lo, s40
	s_cbranch_execz .LBB144_387
; %bb.118:
	v_bfe_u32 v3, v2, 21, 1
	s_mov_b32 s37, exec_lo
	v_add3_u32 v3, v2, v3, 0x88fffff
	v_lshrrev_b32_e32 v3, 21, v3
	s_andn2_saveexec_b32 s40, s40
	s_cbranch_execnz .LBB144_388
.LBB144_119:
	s_or_b32 exec_lo, exec_lo, s40
	v_mov_b32_e32 v4, 0
	s_and_saveexec_b32 s40, s37
.LBB144_120:
	v_lshrrev_b32_e32 v4, 24, v2
	v_and_or_b32 v4, 0x80, v4, v3
.LBB144_121:
	s_or_b32 exec_lo, exec_lo, s40
.LBB144_122:
	s_or_b32 exec_lo, exec_lo, s36
	s_mov_b32 s36, 0
	global_store_byte v[0:1], v4, off
.LBB144_123:
	s_and_b32 vcc_lo, exec_lo, s36
	s_cbranch_vccz .LBB144_133
; %bb.124:
	v_and_b32_e32 v4, 0x7fffffff, v2
	s_mov_b32 s36, exec_lo
                                        ; implicit-def: $vgpr3
	v_cmpx_gt_u32_e32 0x43f00000, v4
	s_xor_b32 s36, exec_lo, s36
	s_cbranch_execz .LBB144_130
; %bb.125:
	s_mov_b32 s37, exec_lo
                                        ; implicit-def: $vgpr3
	v_cmpx_lt_u32_e32 0x3c7fffff, v4
	s_xor_b32 s37, exec_lo, s37
; %bb.126:
	v_bfe_u32 v3, v2, 20, 1
	v_add3_u32 v3, v2, v3, 0x407ffff
	v_and_b32_e32 v4, 0xff00000, v3
	v_lshrrev_b32_e32 v3, 20, v3
	v_cmp_ne_u32_e32 vcc_lo, 0x7f00000, v4
	v_cndmask_b32_e32 v3, 0x7e, v3, vcc_lo
; %bb.127:
	s_andn2_saveexec_b32 s37, s37
; %bb.128:
	v_add_f32_e64 v3, 0x46800000, |v2|
; %bb.129:
	s_or_b32 exec_lo, exec_lo, s37
                                        ; implicit-def: $vgpr4
.LBB144_130:
	s_andn2_saveexec_b32 s36, s36
; %bb.131:
	v_mov_b32_e32 v3, 0x7f
	v_cmp_lt_u32_e32 vcc_lo, 0x7f800000, v4
	v_cndmask_b32_e32 v3, 0x7e, v3, vcc_lo
; %bb.132:
	s_or_b32 exec_lo, exec_lo, s36
	v_lshrrev_b32_e32 v4, 24, v2
	v_and_or_b32 v3, 0x80, v4, v3
	global_store_byte v[0:1], v3, off
.LBB144_133:
	s_mov_b32 s36, 0
.LBB144_134:
	s_andn2_b32 vcc_lo, exec_lo, s36
	s_cbranch_vccnz .LBB144_144
; %bb.135:
	v_and_b32_e32 v4, 0x7fffffff, v2
	s_mov_b32 s36, exec_lo
                                        ; implicit-def: $vgpr3
	v_cmpx_gt_u32_e32 0x47800000, v4
	s_xor_b32 s36, exec_lo, s36
	s_cbranch_execz .LBB144_141
; %bb.136:
	s_mov_b32 s37, exec_lo
                                        ; implicit-def: $vgpr3
	v_cmpx_lt_u32_e32 0x387fffff, v4
	s_xor_b32 s37, exec_lo, s37
; %bb.137:
	v_bfe_u32 v3, v2, 21, 1
	v_add3_u32 v3, v2, v3, 0x80fffff
	v_lshrrev_b32_e32 v3, 21, v3
; %bb.138:
	s_andn2_saveexec_b32 s37, s37
; %bb.139:
	v_add_f32_e64 v3, 0x43000000, |v2|
; %bb.140:
	s_or_b32 exec_lo, exec_lo, s37
                                        ; implicit-def: $vgpr4
.LBB144_141:
	s_andn2_saveexec_b32 s36, s36
; %bb.142:
	v_mov_b32_e32 v3, 0x7f
	v_cmp_lt_u32_e32 vcc_lo, 0x7f800000, v4
	v_cndmask_b32_e32 v3, 0x7c, v3, vcc_lo
; %bb.143:
	s_or_b32 exec_lo, exec_lo, s36
	v_lshrrev_b32_e32 v4, 24, v2
	v_and_or_b32 v3, 0x80, v4, v3
	global_store_byte v[0:1], v3, off
.LBB144_144:
	s_mov_b32 s37, 0
	s_mov_b32 s36, -1
.LBB144_145:
	s_andn2_b32 vcc_lo, exec_lo, s37
	s_cbranch_vccnz .LBB144_153
; %bb.146:
	s_cmp_gt_i32 s23, 14
	s_mov_b32 s37, -1
	s_cbranch_scc0 .LBB144_150
; %bb.147:
	s_cmp_eq_u32 s23, 15
	s_mov_b32 s0, -1
	s_cbranch_scc0 .LBB144_149
; %bb.148:
	v_bfe_u32 v3, v2, 16, 1
	v_cmp_o_f32_e32 vcc_lo, v2, v2
	v_mov_b32_e32 v4, 0x7fc0
	s_mov_b32 s36, -1
	s_mov_b32 s0, 0
	v_add3_u32 v3, v2, v3, 0x7fff
	v_cndmask_b32_sdwa v3, v4, v3, vcc_lo dst_sel:DWORD dst_unused:UNUSED_PAD src0_sel:DWORD src1_sel:WORD_1
	global_store_short v[0:1], v3, off
.LBB144_149:
	s_mov_b32 s37, 0
.LBB144_150:
	s_and_b32 vcc_lo, exec_lo, s37
	s_cbranch_vccz .LBB144_153
; %bb.151:
	s_cmp_eq_u32 s23, 11
	s_mov_b32 s0, -1
	s_cbranch_scc0 .LBB144_153
; %bb.152:
	v_cmp_neq_f32_e32 vcc_lo, 0, v2
	s_mov_b32 s0, 0
	s_mov_b32 s36, -1
	v_cndmask_b32_e64 v3, 0, 1, vcc_lo
	global_store_byte v[0:1], v3, off
.LBB144_153:
	s_branch .LBB144_72
.LBB144_154:
	s_and_b32 s1, 0xffff, s1
	s_mov_b32 s23, -1
	s_cmp_lt_i32 s1, 5
	s_cbranch_scc1 .LBB144_175
; %bb.155:
	s_cmp_lt_i32 s1, 8
	s_cbranch_scc1 .LBB144_165
; %bb.156:
	;; [unrolled: 3-line block ×3, first 2 shown]
	s_cmp_gt_i32 s1, 9
	s_cbranch_scc0 .LBB144_159
; %bb.158:
	v_cvt_f64_f32_e32 v[3:4], v2
	v_mov_b32_e32 v5, 0
	s_mov_b32 s23, 0
	v_mov_b32_e32 v6, v5
	global_store_dwordx4 v[0:1], v[3:6], off
.LBB144_159:
	s_andn2_b32 vcc_lo, exec_lo, s23
	s_cbranch_vccnz .LBB144_161
; %bb.160:
	v_mov_b32_e32 v3, 0
	global_store_dwordx2 v[0:1], v[2:3], off
.LBB144_161:
	s_mov_b32 s23, 0
.LBB144_162:
	s_andn2_b32 vcc_lo, exec_lo, s23
	s_cbranch_vccnz .LBB144_164
; %bb.163:
	v_cvt_f16_f32_e32 v3, v2
	v_and_b32_e32 v3, 0xffff, v3
	global_store_dword v[0:1], v3, off
.LBB144_164:
	s_mov_b32 s23, 0
.LBB144_165:
	s_andn2_b32 vcc_lo, exec_lo, s23
	s_cbranch_vccnz .LBB144_174
; %bb.166:
	s_cmp_lt_i32 s1, 6
	s_mov_b32 s23, -1
	s_cbranch_scc1 .LBB144_172
; %bb.167:
	s_cmp_gt_i32 s1, 6
	s_cbranch_scc0 .LBB144_169
; %bb.168:
	v_cvt_f64_f32_e32 v[3:4], v2
	s_mov_b32 s23, 0
	global_store_dwordx2 v[0:1], v[3:4], off
.LBB144_169:
	s_andn2_b32 vcc_lo, exec_lo, s23
	s_cbranch_vccnz .LBB144_171
; %bb.170:
	global_store_dword v[0:1], v2, off
.LBB144_171:
	s_mov_b32 s23, 0
.LBB144_172:
	s_andn2_b32 vcc_lo, exec_lo, s23
	s_cbranch_vccnz .LBB144_174
; %bb.173:
	v_cvt_f16_f32_e32 v3, v2
	global_store_short v[0:1], v3, off
.LBB144_174:
	s_mov_b32 s23, 0
.LBB144_175:
	s_andn2_b32 vcc_lo, exec_lo, s23
	s_cbranch_vccnz .LBB144_191
; %bb.176:
	s_cmp_lt_i32 s1, 2
	s_mov_b32 s23, -1
	s_cbranch_scc1 .LBB144_186
; %bb.177:
	s_cmp_lt_i32 s1, 3
	s_cbranch_scc1 .LBB144_183
; %bb.178:
	s_cmp_gt_i32 s1, 3
	s_cbranch_scc0 .LBB144_180
; %bb.179:
	v_trunc_f32_e32 v3, v2
	s_mov_b32 s23, 0
	v_mul_f32_e64 v4, 0x2f800000, |v3|
	v_ashrrev_i32_e32 v6, 31, v3
	v_floor_f32_e32 v4, v4
	v_fma_f32 v5, 0xcf800000, v4, |v3|
	v_cvt_u32_f32_e32 v4, v4
	v_cvt_u32_f32_e32 v3, v5
	v_xor_b32_e32 v4, v4, v6
	v_xor_b32_e32 v3, v3, v6
	v_sub_co_u32 v3, vcc_lo, v3, v6
	v_sub_co_ci_u32_e64 v4, null, v4, v6, vcc_lo
	global_store_dwordx2 v[0:1], v[3:4], off
.LBB144_180:
	s_andn2_b32 vcc_lo, exec_lo, s23
	s_cbranch_vccnz .LBB144_182
; %bb.181:
	v_cvt_i32_f32_e32 v3, v2
	global_store_dword v[0:1], v3, off
.LBB144_182:
	s_mov_b32 s23, 0
.LBB144_183:
	s_andn2_b32 vcc_lo, exec_lo, s23
	s_cbranch_vccnz .LBB144_185
; %bb.184:
	v_cvt_i32_f32_e32 v3, v2
	global_store_short v[0:1], v3, off
.LBB144_185:
	s_mov_b32 s23, 0
.LBB144_186:
	s_andn2_b32 vcc_lo, exec_lo, s23
	s_cbranch_vccnz .LBB144_191
; %bb.187:
	s_cmp_gt_i32 s1, 0
	s_mov_b32 s1, -1
	s_cbranch_scc0 .LBB144_189
; %bb.188:
	v_cvt_i32_f32_e32 v3, v2
	s_mov_b32 s1, 0
	global_store_byte v[0:1], v3, off
.LBB144_189:
	s_andn2_b32 vcc_lo, exec_lo, s1
	s_cbranch_vccnz .LBB144_191
; %bb.190:
	v_trunc_f32_e32 v2, v2
	v_mul_f32_e64 v3, 0x2f800000, |v2|
	v_floor_f32_e32 v3, v3
	v_fma_f32 v3, 0xcf800000, v3, |v2|
	v_ashrrev_i32_e32 v2, 31, v2
	v_cvt_u32_f32_e32 v3, v3
	v_xor_b32_e32 v3, v3, v2
	v_sub_nc_u32_e32 v2, v3, v2
	global_store_byte v[0:1], v2, off
.LBB144_191:
.LBB144_192:
	v_add_nc_u32_e32 v8, 0x80, v8
	s_mov_b32 s1, -1
	s_branch .LBB144_303
.LBB144_193:
	s_mov_b32 s22, -1
                                        ; implicit-def: $vgpr3
.LBB144_194:
	s_mov_b32 s23, 0
.LBB144_195:
	s_and_b32 vcc_lo, exec_lo, s23
	s_cbranch_vccz .LBB144_199
; %bb.196:
	s_cmp_eq_u32 s0, 29
	s_cbranch_scc0 .LBB144_198
; %bb.197:
	global_load_dwordx2 v[3:4], v[1:2], off
	s_mov_b32 s1, -1
	s_mov_b32 s22, 0
	s_mov_b32 s23, 0
	s_waitcnt vmcnt(0)
	v_ffbh_u32_e32 v5, v4
	v_min_u32_e32 v5, 32, v5
	v_lshlrev_b64 v[3:4], v5, v[3:4]
	v_min_u32_e32 v3, 1, v3
	v_or_b32_e32 v3, v4, v3
	v_sub_nc_u32_e32 v4, 32, v5
	v_cvt_f32_u32_e32 v3, v3
	v_ldexp_f32 v3, v3, v4
	s_branch .LBB144_200
.LBB144_198:
	s_mov_b32 s22, -1
                                        ; implicit-def: $vgpr3
.LBB144_199:
	s_mov_b32 s23, 0
.LBB144_200:
	s_and_b32 vcc_lo, exec_lo, s23
	s_cbranch_vccz .LBB144_218
; %bb.201:
	s_cmp_lt_i32 s0, 27
	s_cbranch_scc1 .LBB144_204
; %bb.202:
	s_cmp_gt_i32 s0, 27
	s_cbranch_scc0 .LBB144_205
; %bb.203:
	global_load_dword v3, v[1:2], off
	s_mov_b32 s1, 0
	s_waitcnt vmcnt(0)
	v_cvt_f32_u32_e32 v3, v3
	s_branch .LBB144_206
.LBB144_204:
	s_mov_b32 s1, -1
                                        ; implicit-def: $vgpr3
	s_branch .LBB144_209
.LBB144_205:
	s_mov_b32 s1, -1
                                        ; implicit-def: $vgpr3
.LBB144_206:
	s_andn2_b32 vcc_lo, exec_lo, s1
	s_cbranch_vccnz .LBB144_208
; %bb.207:
	global_load_ushort v3, v[1:2], off
	s_waitcnt vmcnt(0)
	v_cvt_f32_u32_e32 v3, v3
.LBB144_208:
	s_mov_b32 s1, 0
.LBB144_209:
	s_andn2_b32 vcc_lo, exec_lo, s1
	s_cbranch_vccnz .LBB144_217
; %bb.210:
	global_load_ubyte v4, v[1:2], off
	s_mov_b32 s1, 0
	s_mov_b32 s23, exec_lo
	s_waitcnt vmcnt(0)
	v_cmpx_lt_i16_e32 0x7f, v4
	s_xor_b32 s23, exec_lo, s23
	s_cbranch_execz .LBB144_230
; %bb.211:
	s_mov_b32 s1, -1
	s_mov_b32 s36, exec_lo
	v_cmpx_eq_u16_e32 0x80, v4
; %bb.212:
	s_xor_b32 s1, exec_lo, -1
; %bb.213:
	s_or_b32 exec_lo, exec_lo, s36
	s_and_b32 s1, s1, exec_lo
	s_or_saveexec_b32 s23, s23
	v_mov_b32_e32 v3, 0x7f800001
	s_xor_b32 exec_lo, exec_lo, s23
	s_cbranch_execnz .LBB144_231
.LBB144_214:
	s_or_b32 exec_lo, exec_lo, s23
	s_and_saveexec_b32 s23, s1
	s_cbranch_execz .LBB144_216
.LBB144_215:
	v_and_b32_e32 v3, 0xffff, v4
	v_lshlrev_b32_e32 v4, 24, v4
	v_and_b32_e32 v5, 7, v3
	v_bfe_u32 v9, v3, 3, 4
	v_and_b32_e32 v4, 0x80000000, v4
	v_ffbh_u32_e32 v6, v5
	v_cmp_eq_u32_e32 vcc_lo, 0, v9
	v_min_u32_e32 v6, 32, v6
	v_subrev_nc_u32_e32 v7, 28, v6
	v_sub_nc_u32_e32 v6, 29, v6
	v_lshlrev_b32_e32 v3, v7, v3
	v_cndmask_b32_e32 v6, v9, v6, vcc_lo
	v_and_b32_e32 v3, 7, v3
	v_cndmask_b32_e32 v3, v5, v3, vcc_lo
	v_lshl_add_u32 v5, v6, 23, 0x3b800000
	v_lshlrev_b32_e32 v3, 20, v3
	v_or3_b32 v3, v4, v5, v3
.LBB144_216:
	s_or_b32 exec_lo, exec_lo, s23
.LBB144_217:
	s_mov_b32 s1, -1
.LBB144_218:
	s_branch .LBB144_253
.LBB144_219:
	s_cmp_gt_i32 s0, 22
	s_cbranch_scc0 .LBB144_229
; %bb.220:
	s_cmp_lt_i32 s0, 24
	s_cbranch_scc1 .LBB144_232
; %bb.221:
	s_cmp_gt_i32 s0, 24
	s_cbranch_scc0 .LBB144_233
; %bb.222:
	global_load_ubyte v4, v[1:2], off
	s_mov_b32 s1, 0
	s_mov_b32 s23, exec_lo
	s_waitcnt vmcnt(0)
	v_cmpx_lt_i16_e32 0x7f, v4
	s_xor_b32 s23, exec_lo, s23
	s_cbranch_execz .LBB144_245
; %bb.223:
	s_mov_b32 s1, -1
	s_mov_b32 s36, exec_lo
	v_cmpx_eq_u16_e32 0x80, v4
; %bb.224:
	s_xor_b32 s1, exec_lo, -1
; %bb.225:
	s_or_b32 exec_lo, exec_lo, s36
	s_and_b32 s1, s1, exec_lo
	s_or_saveexec_b32 s23, s23
	v_mov_b32_e32 v3, 0x7f800001
	s_xor_b32 exec_lo, exec_lo, s23
	s_cbranch_execnz .LBB144_246
.LBB144_226:
	s_or_b32 exec_lo, exec_lo, s23
	s_and_saveexec_b32 s23, s1
	s_cbranch_execz .LBB144_228
.LBB144_227:
	v_and_b32_e32 v3, 0xffff, v4
	v_lshlrev_b32_e32 v4, 24, v4
	v_and_b32_e32 v5, 3, v3
	v_bfe_u32 v9, v3, 2, 5
	v_and_b32_e32 v4, 0x80000000, v4
	v_ffbh_u32_e32 v6, v5
	v_cmp_eq_u32_e32 vcc_lo, 0, v9
	v_min_u32_e32 v6, 32, v6
	v_subrev_nc_u32_e32 v7, 29, v6
	v_sub_nc_u32_e32 v6, 30, v6
	v_lshlrev_b32_e32 v3, v7, v3
	v_cndmask_b32_e32 v6, v9, v6, vcc_lo
	v_and_b32_e32 v3, 3, v3
	v_cndmask_b32_e32 v3, v5, v3, vcc_lo
	v_lshl_add_u32 v5, v6, 23, 0x37800000
	v_lshlrev_b32_e32 v3, 21, v3
	v_or3_b32 v3, v4, v5, v3
.LBB144_228:
	s_or_b32 exec_lo, exec_lo, s23
	s_mov_b32 s1, 0
	s_branch .LBB144_234
.LBB144_229:
	s_mov_b32 s23, -1
                                        ; implicit-def: $vgpr3
	s_branch .LBB144_240
.LBB144_230:
	s_or_saveexec_b32 s23, s23
	v_mov_b32_e32 v3, 0x7f800001
	s_xor_b32 exec_lo, exec_lo, s23
	s_cbranch_execz .LBB144_214
.LBB144_231:
	v_cmp_ne_u16_e32 vcc_lo, 0, v4
	v_mov_b32_e32 v3, 0
	s_andn2_b32 s1, s1, exec_lo
	s_and_b32 s36, vcc_lo, exec_lo
	s_or_b32 s1, s1, s36
	s_or_b32 exec_lo, exec_lo, s23
	s_and_saveexec_b32 s23, s1
	s_cbranch_execnz .LBB144_215
	s_branch .LBB144_216
.LBB144_232:
	s_mov_b32 s1, -1
                                        ; implicit-def: $vgpr3
	s_branch .LBB144_237
.LBB144_233:
	s_mov_b32 s1, -1
                                        ; implicit-def: $vgpr3
.LBB144_234:
	s_and_b32 vcc_lo, exec_lo, s1
	s_cbranch_vccz .LBB144_236
; %bb.235:
	global_load_ubyte v3, v[1:2], off
	s_waitcnt vmcnt(0)
	v_lshlrev_b32_e32 v3, 24, v3
	v_and_b32_e32 v4, 0x7f000000, v3
	v_ffbh_u32_e32 v5, v4
	v_add_nc_u32_e32 v7, 0x1000000, v4
	v_cmp_ne_u32_e32 vcc_lo, 0, v4
	v_min_u32_e32 v5, 32, v5
	v_sub_nc_u32_e64 v5, v5, 4 clamp
	v_lshlrev_b32_e32 v6, v5, v4
	v_lshlrev_b32_e32 v5, 23, v5
	v_lshrrev_b32_e32 v6, 4, v6
	v_sub_nc_u32_e32 v5, v6, v5
	v_ashrrev_i32_e32 v6, 8, v7
	v_add_nc_u32_e32 v5, 0x3c000000, v5
	v_and_or_b32 v5, 0x7f800000, v6, v5
	v_cndmask_b32_e32 v4, 0, v5, vcc_lo
	v_and_or_b32 v3, 0x80000000, v3, v4
.LBB144_236:
	s_mov_b32 s1, 0
.LBB144_237:
	s_andn2_b32 vcc_lo, exec_lo, s1
	s_cbranch_vccnz .LBB144_239
; %bb.238:
	global_load_ubyte v3, v[1:2], off
	s_waitcnt vmcnt(0)
	v_lshlrev_b32_e32 v4, 25, v3
	v_lshlrev_b16 v3, 8, v3
	v_lshrrev_b32_e32 v5, 4, v4
	v_and_or_b32 v6, 0x7f00, v3, 0.5
	v_cmp_gt_u32_e32 vcc_lo, 0x8000000, v4
	v_bfe_i32 v3, v3, 0, 16
	v_or_b32_e32 v5, 0x70000000, v5
	v_add_f32_e32 v6, -0.5, v6
	v_mul_f32_e32 v5, 0x7800000, v5
	v_cndmask_b32_e32 v4, v5, v6, vcc_lo
	v_and_or_b32 v3, 0x80000000, v3, v4
.LBB144_239:
	s_mov_b32 s23, 0
	s_mov_b32 s1, -1
.LBB144_240:
	s_andn2_b32 vcc_lo, exec_lo, s23
	s_cbranch_vccnz .LBB144_253
; %bb.241:
	s_cmp_gt_i32 s0, 14
	s_cbranch_scc0 .LBB144_244
; %bb.242:
	s_cmp_eq_u32 s0, 15
	s_cbranch_scc0 .LBB144_247
; %bb.243:
	global_load_ushort v3, v[1:2], off
	s_mov_b32 s1, -1
	s_mov_b32 s22, 0
	s_waitcnt vmcnt(0)
	v_lshlrev_b32_e32 v3, 16, v3
	s_branch .LBB144_248
.LBB144_244:
	s_mov_b32 s23, -1
                                        ; implicit-def: $vgpr3
	s_branch .LBB144_249
.LBB144_245:
	s_or_saveexec_b32 s23, s23
	v_mov_b32_e32 v3, 0x7f800001
	s_xor_b32 exec_lo, exec_lo, s23
	s_cbranch_execz .LBB144_226
.LBB144_246:
	v_cmp_ne_u16_e32 vcc_lo, 0, v4
	v_mov_b32_e32 v3, 0
	s_andn2_b32 s1, s1, exec_lo
	s_and_b32 s36, vcc_lo, exec_lo
	s_or_b32 s1, s1, s36
	s_or_b32 exec_lo, exec_lo, s23
	s_and_saveexec_b32 s23, s1
	s_cbranch_execnz .LBB144_227
	s_branch .LBB144_228
.LBB144_247:
	s_mov_b32 s22, -1
                                        ; implicit-def: $vgpr3
.LBB144_248:
	s_mov_b32 s23, 0
.LBB144_249:
	s_and_b32 vcc_lo, exec_lo, s23
	s_cbranch_vccz .LBB144_253
; %bb.250:
	s_cmp_eq_u32 s0, 11
	s_cbranch_scc0 .LBB144_252
; %bb.251:
	global_load_ubyte v3, v[1:2], off
	s_mov_b32 s22, 0
	s_mov_b32 s1, -1
	s_waitcnt vmcnt(0)
	v_cmp_ne_u16_e32 vcc_lo, 0, v3
	v_cndmask_b32_e64 v3, 0, 1.0, vcc_lo
	s_branch .LBB144_253
.LBB144_252:
	s_mov_b32 s22, -1
                                        ; implicit-def: $vgpr3
.LBB144_253:
	s_branch .LBB144_24
.LBB144_254:
	s_cmp_lt_i32 s0, 5
	s_cbranch_scc1 .LBB144_259
; %bb.255:
	s_cmp_lt_i32 s0, 8
	s_cbranch_scc1 .LBB144_260
; %bb.256:
	;; [unrolled: 3-line block ×3, first 2 shown]
	s_cmp_gt_i32 s0, 9
	s_cbranch_scc0 .LBB144_262
; %bb.258:
	global_load_dwordx2 v[3:4], v[1:2], off
	s_mov_b32 s1, 0
	s_waitcnt vmcnt(0)
	v_cvt_f32_f64_e32 v3, v[3:4]
	s_branch .LBB144_263
.LBB144_259:
                                        ; implicit-def: $vgpr3
	s_branch .LBB144_281
.LBB144_260:
	s_mov_b32 s1, -1
                                        ; implicit-def: $vgpr3
	s_branch .LBB144_269
.LBB144_261:
	s_mov_b32 s1, -1
                                        ; implicit-def: $vgpr3
	s_branch .LBB144_266
.LBB144_262:
	s_mov_b32 s1, -1
                                        ; implicit-def: $vgpr3
.LBB144_263:
	s_andn2_b32 vcc_lo, exec_lo, s1
	s_cbranch_vccnz .LBB144_265
; %bb.264:
	global_load_dword v3, v[1:2], off
.LBB144_265:
	s_mov_b32 s1, 0
.LBB144_266:
	s_andn2_b32 vcc_lo, exec_lo, s1
	s_cbranch_vccnz .LBB144_268
; %bb.267:
	global_load_dword v3, v[1:2], off
	s_waitcnt vmcnt(0)
	v_cvt_f32_f16_e32 v3, v3
.LBB144_268:
	s_mov_b32 s1, 0
.LBB144_269:
	s_andn2_b32 vcc_lo, exec_lo, s1
	s_cbranch_vccnz .LBB144_280
; %bb.270:
	s_cmp_lt_i32 s0, 6
	s_cbranch_scc1 .LBB144_273
; %bb.271:
	s_cmp_gt_i32 s0, 6
	s_cbranch_scc0 .LBB144_274
; %bb.272:
	global_load_dwordx2 v[3:4], v[1:2], off
	s_mov_b32 s1, 0
	s_waitcnt vmcnt(0)
	v_cvt_f32_f64_e32 v3, v[3:4]
	s_branch .LBB144_275
.LBB144_273:
	s_mov_b32 s1, -1
                                        ; implicit-def: $vgpr3
	s_branch .LBB144_278
.LBB144_274:
	s_mov_b32 s1, -1
                                        ; implicit-def: $vgpr3
.LBB144_275:
	s_andn2_b32 vcc_lo, exec_lo, s1
	s_cbranch_vccnz .LBB144_277
; %bb.276:
	global_load_dword v3, v[1:2], off
.LBB144_277:
	s_mov_b32 s1, 0
.LBB144_278:
	s_andn2_b32 vcc_lo, exec_lo, s1
	s_cbranch_vccnz .LBB144_280
; %bb.279:
	global_load_ushort v3, v[1:2], off
	s_waitcnt vmcnt(0)
	v_cvt_f32_f16_e32 v3, v3
.LBB144_280:
	s_cbranch_execnz .LBB144_300
.LBB144_281:
	s_cmp_lt_i32 s0, 2
	s_cbranch_scc1 .LBB144_285
; %bb.282:
	s_cmp_lt_i32 s0, 3
	s_cbranch_scc1 .LBB144_286
; %bb.283:
	s_cmp_gt_i32 s0, 3
	s_cbranch_scc0 .LBB144_287
; %bb.284:
	global_load_dwordx2 v[3:4], v[1:2], off
	s_mov_b32 s1, 0
	s_waitcnt vmcnt(0)
	v_xor_b32_e32 v5, v3, v4
	v_ffbh_i32_e32 v6, v4
	v_ashrrev_i32_e32 v5, 31, v5
	v_add_nc_u32_e32 v6, -1, v6
	v_add_nc_u32_e32 v5, 32, v5
	v_min_u32_e32 v5, v6, v5
	v_lshlrev_b64 v[3:4], v5, v[3:4]
	v_min_u32_e32 v3, 1, v3
	v_or_b32_e32 v3, v4, v3
	v_sub_nc_u32_e32 v4, 32, v5
	v_cvt_f32_i32_e32 v3, v3
	v_ldexp_f32 v3, v3, v4
	s_branch .LBB144_288
.LBB144_285:
	s_mov_b32 s1, -1
                                        ; implicit-def: $vgpr3
	s_branch .LBB144_294
.LBB144_286:
	s_mov_b32 s1, -1
                                        ; implicit-def: $vgpr3
	s_branch .LBB144_291
.LBB144_287:
	s_mov_b32 s1, -1
                                        ; implicit-def: $vgpr3
.LBB144_288:
	s_andn2_b32 vcc_lo, exec_lo, s1
	s_cbranch_vccnz .LBB144_290
; %bb.289:
	global_load_dword v3, v[1:2], off
	s_waitcnt vmcnt(0)
	v_cvt_f32_i32_e32 v3, v3
.LBB144_290:
	s_mov_b32 s1, 0
.LBB144_291:
	s_andn2_b32 vcc_lo, exec_lo, s1
	s_cbranch_vccnz .LBB144_293
; %bb.292:
	global_load_sshort v3, v[1:2], off
	s_waitcnt vmcnt(0)
	v_cvt_f32_i32_e32 v3, v3
.LBB144_293:
	s_mov_b32 s1, 0
.LBB144_294:
	s_andn2_b32 vcc_lo, exec_lo, s1
	s_cbranch_vccnz .LBB144_300
; %bb.295:
	s_cmp_gt_i32 s0, 0
	s_mov_b32 s0, 0
	s_cbranch_scc0 .LBB144_297
; %bb.296:
	global_load_sbyte v3, v[1:2], off
	s_waitcnt vmcnt(0)
	v_cvt_f32_i32_e32 v3, v3
	s_branch .LBB144_298
.LBB144_297:
	s_mov_b32 s0, -1
                                        ; implicit-def: $vgpr3
.LBB144_298:
	s_andn2_b32 vcc_lo, exec_lo, s0
	s_cbranch_vccnz .LBB144_300
; %bb.299:
	global_load_ubyte v1, v[1:2], off
	s_waitcnt vmcnt(0)
	v_cvt_f32_ubyte0_e32 v3, v1
.LBB144_300:
	s_branch .LBB144_25
.LBB144_301:
	s_mov_b32 s0, 0
.LBB144_302:
	s_mov_b32 s1, 0
                                        ; implicit-def: $vgpr8
.LBB144_303:
	s_and_b32 s36, s0, exec_lo
	s_and_b32 s37, s22, exec_lo
	s_orn2_b32 s1, s1, exec_lo
.LBB144_304:
	s_or_b32 exec_lo, exec_lo, s38
	s_mov_b32 s22, 0
	s_mov_b32 s0, 0
                                        ; implicit-def: $vgpr1_vgpr2
                                        ; implicit-def: $vgpr0
                                        ; implicit-def: $vgpr4
	s_and_saveexec_b32 s38, s1
	s_cbranch_execz .LBB144_311
; %bb.305:
	s_mov_b32 s0, -1
	s_mov_b32 s39, s37
	s_mov_b32 s40, s36
	s_mov_b32 s41, exec_lo
	v_cmpx_gt_i32_e64 s33, v8
	s_cbranch_execz .LBB144_619
; %bb.306:
	s_andn2_b32 vcc_lo, exec_lo, s27
	s_cbranch_vccnz .LBB144_314
; %bb.307:
	s_andn2_b32 vcc_lo, exec_lo, s34
	s_cbranch_vccnz .LBB144_315
; %bb.308:
	s_add_i32 s40, s35, 1
	s_cmp_eq_u32 s25, 2
	s_cbranch_scc1 .LBB144_316
; %bb.309:
	v_mov_b32_e32 v2, 0
	v_mov_b32_e32 v0, 0
	;; [unrolled: 1-line block ×3, first 2 shown]
	s_and_b32 s39, s40, 28
	s_mov_b32 s42, 0
	s_mov_b64 s[0:1], s[2:3]
	s_mov_b64 s[22:23], s[20:21]
.LBB144_310:                            ; =>This Inner Loop Header: Depth=1
	s_clause 0x1
	s_load_dwordx8 s[44:51], s[0:1], 0x4
	s_load_dwordx4 s[60:63], s[0:1], 0x24
	s_load_dwordx8 s[52:59], s[22:23], 0x0
	s_add_u32 s0, s0, 48
	s_addc_u32 s1, s1, 0
	s_add_i32 s42, s42, 4
	s_add_u32 s22, s22, 32
	s_addc_u32 s23, s23, 0
	s_cmp_eq_u32 s39, s42
	s_waitcnt vmcnt(0) lgkmcnt(0)
	v_mul_hi_u32 v3, s45, v1
	v_add_nc_u32_e32 v3, v1, v3
	v_lshrrev_b32_e32 v3, s46, v3
	v_mul_hi_u32 v4, s48, v3
	v_mul_lo_u32 v6, v3, s44
	v_add_nc_u32_e32 v4, v3, v4
	v_sub_nc_u32_e32 v1, v1, v6
	v_lshrrev_b32_e32 v4, s49, v4
	v_mul_lo_u32 v6, v1, s52
	v_mul_lo_u32 v9, v1, s53
	v_mul_hi_u32 v5, s51, v4
	v_add_nc_u32_e32 v5, v4, v5
	v_lshrrev_b32_e32 v5, s60, v5
	v_mul_hi_u32 v7, s62, v5
	v_mul_lo_u32 v10, v5, s50
	v_add_nc_u32_e32 v1, v5, v7
	v_mul_lo_u32 v7, v4, s47
	v_sub_nc_u32_e32 v4, v4, v10
	v_lshrrev_b32_e32 v1, s63, v1
	v_mul_lo_u32 v10, v4, s56
	v_mul_lo_u32 v4, v4, s57
	v_sub_nc_u32_e32 v3, v3, v7
	v_mul_lo_u32 v11, v1, s61
	v_mul_lo_u32 v7, v3, s54
	;; [unrolled: 1-line block ×3, first 2 shown]
	v_sub_nc_u32_e32 v5, v5, v11
	v_add3_u32 v0, v6, v0, v7
	v_mul_lo_u32 v11, v5, s58
	v_mul_lo_u32 v5, v5, s59
	v_add3_u32 v2, v9, v2, v3
	v_add3_u32 v0, v10, v0, v11
	;; [unrolled: 1-line block ×3, first 2 shown]
	s_cbranch_scc0 .LBB144_310
	s_branch .LBB144_317
.LBB144_311:
	s_or_b32 exec_lo, exec_lo, s38
	s_waitcnt lgkmcnt(0)
	s_mov_b32 s6, 0
	s_and_saveexec_b32 s1, s37
	s_cbranch_execnz .LBB144_1035
.LBB144_312:
	s_or_b32 exec_lo, exec_lo, s1
	s_and_saveexec_b32 s1, s39
	s_xor_b32 s1, exec_lo, s1
	s_cbranch_execz .LBB144_1036
.LBB144_313:
	global_load_ubyte v3, v[1:2], off
	s_or_b32 s0, s0, exec_lo
	s_waitcnt vmcnt(0)
	v_cmp_ne_u16_e32 vcc_lo, 0, v3
	v_cndmask_b32_e64 v4, 0, 1.0, vcc_lo
	s_or_b32 exec_lo, exec_lo, s1
	s_and_saveexec_b32 s1, s22
	s_cbranch_execz .LBB144_1082
	s_branch .LBB144_1037
.LBB144_314:
                                        ; implicit-def: $vgpr0
                                        ; implicit-def: $vgpr2
	s_andn2_b32 vcc_lo, exec_lo, s0
	s_cbranch_vccz .LBB144_321
	s_branch .LBB144_323
.LBB144_315:
	v_mov_b32_e32 v0, 0
	v_mov_b32_e32 v2, 0
	s_branch .LBB144_320
.LBB144_316:
	v_mov_b32_e32 v0, 0
	v_mov_b32_e32 v2, 0
	;; [unrolled: 1-line block ×3, first 2 shown]
	s_mov_b32 s39, 0
.LBB144_317:
	s_and_b32 s40, s40, 3
	s_cmp_eq_u32 s40, 0
	s_cbranch_scc1 .LBB144_320
; %bb.318:
	s_lshl_b32 s0, s39, 3
	s_mul_i32 s22, s39, 12
	s_add_u32 s0, s2, s0
	s_addc_u32 s1, s3, 0
	s_add_u32 s0, s0, 0xc4
	s_addc_u32 s1, s1, 0
	;; [unrolled: 2-line block ×3, first 2 shown]
	.p2align	6
.LBB144_319:                            ; =>This Inner Loop Header: Depth=1
	s_clause 0x1
	s_load_dwordx2 s[42:43], s[22:23], 0x4
	s_load_dword s39, s[22:23], 0xc
	s_load_dwordx2 s[44:45], s[0:1], 0x0
	s_add_u32 s22, s22, 12
	s_addc_u32 s23, s23, 0
	s_add_u32 s0, s0, 8
	s_addc_u32 s1, s1, 0
	s_add_i32 s40, s40, -1
	s_cmp_lg_u32 s40, 0
	s_waitcnt vmcnt(0) lgkmcnt(0)
	v_mul_hi_u32 v3, s43, v1
	v_add_nc_u32_e32 v3, v1, v3
	v_lshrrev_b32_e32 v4, s39, v3
	v_mul_lo_u32 v3, v4, s42
	v_sub_nc_u32_e32 v3, v1, v3
	v_mad_u64_u32 v[0:1], null, v3, s44, v[0:1]
	v_mad_u64_u32 v[2:3], null, v3, s45, v[2:3]
	v_mov_b32_e32 v1, v4
	s_cbranch_scc1 .LBB144_319
.LBB144_320:
	s_cbranch_execnz .LBB144_323
.LBB144_321:
	s_waitcnt lgkmcnt(0)
	v_mul_hi_u32 v0, s17, v8
	s_andn2_b32 vcc_lo, exec_lo, s31
	v_add_nc_u32_e32 v0, v8, v0
	v_lshrrev_b32_e32 v1, s18, v0
	v_mul_lo_u32 v0, v1, s16
	v_sub_nc_u32_e32 v2, v8, v0
	v_mul_lo_u32 v0, v2, s12
	v_mul_lo_u32 v2, v2, s13
	s_cbranch_vccnz .LBB144_323
; %bb.322:
	s_waitcnt vmcnt(0)
	v_mul_hi_u32 v3, s6, v1
	v_add_nc_u32_e32 v3, v1, v3
	v_lshrrev_b32_e32 v3, s7, v3
	v_mul_lo_u32 v3, v3, s19
	v_sub_nc_u32_e32 v3, v1, v3
	v_mad_u64_u32 v[0:1], null, v3, s14, v[0:1]
	v_mad_u64_u32 v[2:3], null, v3, s15, v[2:3]
.LBB144_323:
	s_waitcnt lgkmcnt(0)
	v_add_co_u32 v1, s0, s10, v2
	v_add_co_ci_u32_e64 v2, null, s11, 0, s0
	s_and_b32 s0, 0xffff, s30
	s_cmp_lt_i32 s0, 11
	s_cbranch_scc1 .LBB144_330
; %bb.324:
	s_cmp_gt_i32 s0, 25
	s_cbranch_scc0 .LBB144_377
; %bb.325:
	s_cmp_gt_i32 s0, 28
	s_cbranch_scc0 .LBB144_379
	;; [unrolled: 3-line block ×4, first 2 shown]
; %bb.328:
	s_cmp_eq_u32 s0, 46
	s_mov_b32 s23, 0
	s_cbranch_scc0 .LBB144_389
; %bb.329:
	global_load_dword v3, v[1:2], off
	s_mov_b32 s1, -1
	s_mov_b32 s22, 0
	s_waitcnt vmcnt(0)
	v_lshlrev_b32_e32 v3, 16, v3
	s_branch .LBB144_391
.LBB144_330:
	s_mov_b32 s1, 0
	s_mov_b32 s22, s37
                                        ; implicit-def: $vgpr3
	s_cbranch_execnz .LBB144_568
.LBB144_331:
	s_andn2_b32 vcc_lo, exec_lo, s1
	s_cbranch_vccnz .LBB144_616
.LBB144_332:
	s_waitcnt vmcnt(0)
	v_and_b32_e32 v1, 0x7fffffff, v3
	s_mov_b32 s1, exec_lo
                                        ; implicit-def: $vgpr2
	v_cmpx_ngt_f32_e64 0x3c800000, |v3|
	s_xor_b32 s1, exec_lo, s1
	s_cbranch_execz .LBB144_362
; %bb.333:
	s_mov_b32 s23, exec_lo
                                        ; implicit-def: $vgpr2
	v_cmpx_nlt_f32_e64 |v3|, 2.0
	s_xor_b32 s23, exec_lo, s23
	s_cbranch_execz .LBB144_343
; %bb.334:
	v_cmp_ngt_f32_e64 s0, 0x41000000, |v3|
                                        ; implicit-def: $vgpr2
	s_and_saveexec_b32 s39, s0
	s_xor_b32 s0, exec_lo, s39
	s_cbranch_execz .LBB144_340
; %bb.335:
	v_cmp_ngt_f32_e64 s39, 0x5c800000, |v3|
                                        ; implicit-def: $vgpr2
	s_and_saveexec_b32 s40, s39
	s_xor_b32 s39, exec_lo, s40
	s_cbranch_execz .LBB144_337
; %bb.336:
	v_cmp_gt_f32_e64 s40, 0x800000, |v3|
	v_cndmask_b32_e64 v2, 0, 32, s40
	v_ldexp_f32 v2, |v3|, v2
	v_log_f32_e32 v2, v2
	v_mul_f32_e32 v4, 0x3f317217, v2
	v_cmp_gt_f32_e64 vcc_lo, 0x7f800000, |v2|
	v_fma_f32 v5, 0x3f317217, v2, -v4
	v_fmamk_f32 v5, v2, 0x3377d1cf, v5
	v_add_f32_e32 v4, v4, v5
	v_cndmask_b32_e32 v2, v2, v4, vcc_lo
	v_cndmask_b32_e64 v4, 0, 0x41b17218, s40
	v_sub_f32_e32 v2, v2, v4
	v_fma_f32 v2, |v3|, v2, -|v3|
.LBB144_337:
	s_andn2_saveexec_b32 s39, s39
	s_cbranch_execz .LBB144_339
; %bb.338:
	v_cmp_gt_f32_e64 s40, 0x800000, |v3|
	v_rcp_f32_e64 v4, |v3|
	s_mov_b32 s42, 0xbad5c4e8
	v_cndmask_b32_e64 v2, 0, 32, s40
	v_ldexp_f32 v2, |v3|, v2
	v_mul_f32_e32 v5, v4, v4
	v_log_f32_e32 v2, v2
	v_fmaak_f32 v7, s42, v5, 0x3a5b3dd2
	v_fmaak_f32 v7, v5, v7, 0xba1c065c
	v_mul_f32_e32 v6, 0x3f317217, v2
	v_fmaak_f32 v7, v5, v7, 0x3a500cfd
	v_cmp_gt_f32_e64 vcc_lo, 0x7f800000, |v2|
	v_fma_f32 v9, 0x3f317217, v2, -v6
	v_fmaak_f32 v7, v5, v7, 0xbb360b61
	v_fmamk_f32 v9, v2, 0x3377d1cf, v9
	v_fmaak_f32 v5, v5, v7, 0x3daaaaab
	v_add_f32_e32 v6, v6, v9
	v_cndmask_b32_e32 v2, v2, v6, vcc_lo
	v_cndmask_b32_e64 v6, 0, 0x41b17218, s40
	v_sub_f32_e32 v6, v2, v6
	v_fmaak_f32 v2, v4, v5, 0x3ed67f1d
	v_add_f32_e64 v4, |v3|, -0.5
	v_add_f32_e32 v5, -1.0, v6
	v_fmac_f32_e32 v2, v4, v5
.LBB144_339:
	s_or_b32 exec_lo, exec_lo, s39
.LBB144_340:
	s_andn2_saveexec_b32 s39, s0
	s_cbranch_execz .LBB144_342
; %bb.341:
	v_cvt_i32_f32_e32 v2, v1
	s_mov_b32 s0, 0x36f5d7bd
	s_mov_b32 s40, 0x3805ff67
	v_cvt_f32_i32_e32 v4, v2
	v_cmp_lt_i32_e32 vcc_lo, 2, v2
	v_sub_f32_e64 v4, |v3|, v4
	v_add_f32_e32 v5, 2.0, v4
	v_add_f32_e32 v6, 0x40400000, v4
	v_add_f32_e32 v7, 4.0, v4
	v_add_f32_e32 v9, 0x40a00000, v4
	v_cndmask_b32_e32 v5, 1.0, v5, vcc_lo
	v_cmp_lt_i32_e32 vcc_lo, 3, v2
	v_cndmask_b32_e32 v6, 1.0, v6, vcc_lo
	v_cmp_lt_i32_e32 vcc_lo, 4, v2
	v_mul_f32_e32 v5, v5, v6
	v_cndmask_b32_e32 v7, 1.0, v7, vcc_lo
	v_cmp_lt_i32_e32 vcc_lo, 5, v2
	v_add_f32_e32 v6, 0x40c00000, v4
	v_mul_f32_e32 v5, v7, v5
	v_cndmask_b32_e32 v9, 1.0, v9, vcc_lo
	v_cmp_lt_i32_e32 vcc_lo, 6, v2
	v_fmaak_f32 v7, s40, v4, 0x3af135b4
	v_mul_f32_e32 v5, v9, v5
	v_cndmask_b32_e32 v2, 1.0, v6, vcc_lo
	v_mul_f32_e32 v2, v2, v5
	v_fmaak_f32 v5, s0, v4, 0x3a4beed6
	v_cmp_gt_f32_e32 vcc_lo, 0x800000, v2
	v_fmaak_f32 v5, v4, v5, 0x3c98bf54
	v_cndmask_b32_e64 v6, 0, 32, vcc_lo
	v_fmaak_f32 v5, v4, v5, 0x3e300f6e
	v_ldexp_f32 v2, v2, v6
	v_fmaak_f32 v6, v4, v7, 0x3cda40e4
	v_fmaak_f32 v5, v4, v5, 0x3f38d0c5
	v_log_f32_e32 v2, v2
	v_fmaak_f32 v6, v4, v6, 0x3e15dce6
	v_fmaak_f32 v5, v4, v5, 0x3fb22d3b
	;; [unrolled: 1-line block ×3, first 2 shown]
	v_fma_f32 v5, v4, v5, 1.0
	v_mul_f32_e32 v7, 0x3f317217, v2
	v_fmaak_f32 v6, v4, v6, 0x3e5c245a
	v_rcp_f32_e32 v5, v5
	v_cmp_gt_f32_e64 s0, 0x7f800000, |v2|
	v_fma_f32 v9, 0x3f317217, v2, -v7
	v_fmaak_f32 v6, v4, v6, 0xbd9e233f
	v_fmamk_f32 v9, v2, 0x3377d1cf, v9
	v_mul_f32_e32 v6, v4, v6
	v_add_f32_e32 v7, v7, v9
	v_mul_f32_e32 v5, v6, v5
	v_cndmask_b32_e64 v6, 0, 0x41b17218, vcc_lo
	v_cndmask_b32_e64 v2, v2, v7, s0
	v_fmac_f32_e32 v5, 0.5, v4
	v_sub_f32_e32 v2, v2, v6
	v_add_f32_e32 v2, v2, v5
.LBB144_342:
	s_or_b32 exec_lo, exec_lo, s39
.LBB144_343:
	s_andn2_saveexec_b32 s23, s23
	s_cbranch_execz .LBB144_361
; %bb.344:
	s_mov_b32 s39, exec_lo
                                        ; implicit-def: $vgpr2
                                        ; implicit-def: $vgpr5
                                        ; implicit-def: $vgpr4
	v_cmpx_ge_f32_e64 0x3f666666, |v3|
	s_xor_b32 s39, exec_lo, s39
	s_cbranch_execz .LBB144_346
; %bb.345:
	v_cmp_gt_f32_e64 s0, 0x800000, |v3|
	v_sub_f32_e64 v6, 1.0, |v3|
	v_cmp_gt_f32_e64 vcc_lo, 0x3f3b4a23, |v3|
	v_cndmask_b32_e64 v2, 0, 32, s0
	v_cndmask_b32_e64 v7, 0, 0x41b17218, s0
	v_ldexp_f32 v2, |v3|, v2
	v_log_f32_e32 v2, v2
	v_mul_f32_e32 v4, 0x3f317217, v2
	v_cmp_gt_f32_e64 s0, 0x7f800000, |v2|
	v_fma_f32 v5, 0x3f317217, v2, -v4
	v_fmamk_f32 v5, v2, 0x3377d1cf, v5
	v_add_f32_e32 v4, v4, v5
	v_add_f32_e64 v5, 0xbeec5b0c, |v3|
	v_cndmask_b32_e64 v2, v2, v4, s0
	v_cndmask_b32_e32 v4, v6, v5, vcc_lo
	v_cndmask_b32_e64 v5, 0, 1, vcc_lo
	v_cmp_gt_f32_e64 s0, 0x3e6d3309, |v3|
	v_sub_f32_e32 v2, v2, v7
	v_cndmask_b32_e64 v4, v4, |v3|, s0
	v_cndmask_b32_e64 v5, v5, 2, s0
	v_xor_b32_e32 v2, 0x80000000, v2
.LBB144_346:
	s_andn2_saveexec_b32 s0, s39
	s_cbranch_execz .LBB144_348
; %bb.347:
	v_sub_f32_e64 v2, 2.0, |v3|
	v_add_f32_e64 v4, 0xbfbb16c3, |v3|
	v_cmp_gt_f32_e64 vcc_lo, 0x3fdda512, |v3|
	v_add_f32_e64 v5, |v3|, -1.0
	v_cndmask_b32_e32 v4, v2, v4, vcc_lo
	v_cndmask_b32_e64 v2, v2, 1.0, vcc_lo
	v_cmp_gt_f32_e64 vcc_lo, 0x3f9d70a4, |v3|
	v_cvt_i32_f32_e32 v2, v2
	v_cndmask_b32_e32 v4, v4, v5, vcc_lo
	v_cndmask_b32_e64 v5, v2, 2, vcc_lo
	v_mov_b32_e32 v2, 0
.LBB144_348:
	s_or_b32 exec_lo, exec_lo, s0
	s_mov_b32 s0, exec_lo
	v_cmpx_lt_i32_e32 0, v5
	s_xor_b32 s0, exec_lo, s0
	s_cbranch_execz .LBB144_356
; %bb.349:
	s_mov_b32 s39, exec_lo
	v_cmpx_lt_i32_e32 1, v5
	s_xor_b32 s39, exec_lo, s39
	s_cbranch_execz .LBB144_353
; %bb.350:
	s_mov_b32 s40, exec_lo
	v_cmpx_eq_u32_e32 2, v5
	s_cbranch_execz .LBB144_352
; %bb.351:
	s_mov_b32 s42, 0x3b52d5db
	v_fmaak_f32 v5, s42, v4, 0x3dd572af
	s_mov_b32 s42, 0x3c5b3c5e
	v_fmaak_f32 v6, s42, v4, 0x3e6a7578
	v_fmaak_f32 v5, v4, v5, 0x3f44efdf
	;; [unrolled: 1-line block ×7, first 2 shown]
	v_fma_f32 v5, v4, v5, 1.0
	v_fmaak_f32 v6, v4, v6, 0xbd9e233f
	v_rcp_f32_e32 v5, v5
	v_mul_f32_e32 v6, v4, v6
	v_mul_f32_e32 v5, v6, v5
	v_fmac_f32_e32 v5, -0.5, v4
	v_add_f32_e32 v2, v2, v5
.LBB144_352:
	s_or_b32 exec_lo, exec_lo, s40
                                        ; implicit-def: $vgpr4
.LBB144_353:
	s_andn2_saveexec_b32 s39, s39
	s_cbranch_execz .LBB144_355
; %bb.354:
	v_mul_f32_e32 v5, v4, v4
	s_mov_b32 s40, 0xb9a3f927
	s_mov_b32 s42, 0x39afe9f7
	v_mul_f32_e32 v6, v4, v5
	v_fmaak_f32 v7, s40, v6, 0x3a66f867
	v_fmaak_f32 v9, s42, v6, 0xba0d3085
	s_mov_b32 s40, 0x39a57b6b
	v_fmaak_f32 v10, s40, v6, 0xbab7f476
	v_fmaak_f32 v7, v6, v7, 0xbb7177fe
	;; [unrolled: 1-line block ×9, first 2 shown]
	v_fmac_f32_e32 v7, v4, v9
	v_fmaak_f32 v4, v6, v10, 0x3ef7b95e
	v_fma_f32 v6, v6, -v7, 0xa2863e55
	v_fma_f32 v4, v5, v4, -v6
	v_add_f32_e32 v4, 0xbdf8cdce, v4
	v_add_f32_e32 v2, v2, v4
.LBB144_355:
	s_or_b32 exec_lo, exec_lo, s39
                                        ; implicit-def: $vgpr5
                                        ; implicit-def: $vgpr4
.LBB144_356:
	s_andn2_saveexec_b32 s0, s0
	s_cbranch_execz .LBB144_360
; %bb.357:
	s_mov_b32 s39, exec_lo
	v_cmpx_eq_u32_e32 0, v5
	s_cbranch_execz .LBB144_359
; %bb.358:
	v_mul_f32_e32 v5, v4, v4
	s_mov_b32 s40, 0x383c2c75
	v_fmaak_f32 v6, s40, v5, 0x38e28445
	s_mov_b32 s40, 0x37d383a2
	v_fmaak_f32 v7, s40, v5, 0x39679767
	v_fmaak_f32 v6, v5, v6, 0x3a05b634
	;; [unrolled: 1-line block ×9, first 2 shown]
	v_mul_f32_e32 v5, v5, v6
	v_fmac_f32_e32 v5, v4, v7
	v_fmac_f32_e32 v5, -0.5, v4
	v_add_f32_e32 v2, v2, v5
.LBB144_359:
	s_or_b32 exec_lo, exec_lo, s39
.LBB144_360:
	s_or_b32 exec_lo, exec_lo, s0
.LBB144_361:
	s_or_b32 exec_lo, exec_lo, s23
.LBB144_362:
	s_andn2_saveexec_b32 s0, s1
	s_cbranch_execz .LBB144_364
; %bb.363:
	v_cmp_gt_f32_e64 s1, 0x800000, |v3|
	s_mov_b32 s23, 0x3e8a8991
	v_fma_f32 v6, |v3|, s23, 0xbecd26ab
	v_cndmask_b32_e64 v2, 0, 32, s1
	v_ldexp_f32 v2, |v3|, v2
	v_log_f32_e32 v2, v2
	v_mul_f32_e32 v4, 0x3f317217, v2
	v_cmp_gt_f32_e64 vcc_lo, 0x7f800000, |v2|
	v_fma_f32 v5, 0x3f317217, v2, -v4
	v_fmamk_f32 v5, v2, 0x3377d1cf, v5
	v_add_f32_e32 v4, v4, v5
	v_fma_f32 v5, |v3|, v6, 0x3f528d33
	v_cndmask_b32_e32 v2, v2, v4, vcc_lo
	v_cndmask_b32_e64 v4, 0, 0x41b17218, s1
	v_fma_f32 v5, |v3|, v5, 0xbf13c468
	v_sub_f32_e32 v2, v2, v4
	v_fma_f32 v2, |v3|, v5, -v2
.LBB144_364:
	s_or_b32 exec_lo, exec_lo, s0
	v_cmp_le_f32_e32 vcc_lo, 0, v3
	s_mov_b32 s1, exec_lo
	v_cmpx_nle_f32_e32 0, v3
	s_xor_b32 s23, exec_lo, s1
	s_cbranch_execz .LBB144_368
; %bb.365:
	v_cmp_gt_f32_e64 s0, 0x4b000000, |v3|
	v_cmp_lt_f32_e64 s1, 0x35000000, |v3|
	s_and_b32 s0, s0, s1
	s_and_saveexec_b32 s39, s0
	s_cbranch_execz .LBB144_367
; %bb.366:
	v_mul_f32_e64 v4, |v3|, 0.5
	s_mov_b32 s1, 0x3d4be544
	v_xor_b32_e32 v1, v1, v3
	v_floor_f32_e32 v5, v4
	v_cmp_neq_f32_e64 s0, 0x7f800000, v4
	v_sub_f32_e32 v5, v4, v5
	v_min_f32_e32 v5, 0x3f7fffff, v5
	v_add_f32_e32 v5, v5, v5
	v_cndmask_b32_e64 v4, 0, v5, s0
	v_cmp_gt_f32_e64 s0, |v3|, 1.0
	v_cndmask_b32_e64 v4, |v3|, v4, s0
	s_mov_b32 s0, 0x3e75aa41
	v_add_f32_e32 v5, v4, v4
	v_rndne_f32_e32 v5, v5
	v_fmac_f32_e32 v4, -0.5, v5
	v_cvt_i32_f32_e32 v5, v5
	v_mul_f32_e32 v6, v4, v4
	v_fmaak_f32 v7, s0, v6, 0xbf1f24be
	v_fmaak_f32 v9, s1, v6, 0x3e642e9d
	v_mul_f32_e32 v10, v4, v6
	v_fmaak_f32 v7, v6, v7, 0x40234736
	v_fmaak_f32 v9, v6, v9, 0xbfaad1da
	;; [unrolled: 1-line block ×4, first 2 shown]
	v_mul_f32_e32 v7, v10, v7
	v_fmaak_f32 v9, v6, v9, 0xc09de9e6
	v_and_b32_e32 v10, 1, v5
	v_lshlrev_b32_e32 v5, 30, v5
	v_fmamk_f32 v4, v4, 0x40490fdb, v7
	v_fma_f32 v6, v6, v9, 1.0
	v_cmp_eq_u32_e64 s0, 0, v10
	v_and_b32_e32 v5, 0x80000000, v5
	v_cndmask_b32_e64 v4, v6, v4, s0
	v_xor3_b32 v1, v1, v5, v4
	v_mul_f32_e32 v1, v3, v1
	v_frexp_mant_f32_e64 v4, |v1|
	v_frexp_exp_i32_f32_e32 v1, v1
	v_rcp_f32_e32 v4, v4
	v_sub_nc_u32_e32 v1, 2, v1
	v_mul_f32_e32 v4, 0x3f490fdb, v4
	v_ldexp_f32 v1, v4, v1
	v_cmp_gt_f32_e64 s0, 0x800000, v1
	v_cndmask_b32_e64 v4, 0, 32, s0
	v_ldexp_f32 v1, v1, v4
	v_log_f32_e32 v1, v1
	v_mul_f32_e32 v4, 0x3f317217, v1
	v_cmp_gt_f32_e64 s1, 0x7f800000, |v1|
	v_fma_f32 v5, 0x3f317217, v1, -v4
	v_fmamk_f32 v5, v1, 0x3377d1cf, v5
	v_add_f32_e32 v4, v4, v5
	v_floor_f32_e32 v5, v3
	v_cndmask_b32_e64 v1, v1, v4, s1
	v_cndmask_b32_e64 v4, 0, 0x41b17218, s0
	v_sub_f32_e32 v5, v3, v5
	v_sub_f32_e32 v1, v1, v4
	v_min_f32_e32 v4, 0x3f7fffff, v5
	v_sub_f32_e32 v1, v1, v2
	v_cmp_neq_f32_e64 s0, 0, v4
	v_cndmask_b32_e64 v2, 0x7f800000, v1, s0
.LBB144_367:
	s_or_b32 exec_lo, exec_lo, s39
.LBB144_368:
	s_andn2_saveexec_b32 s23, s23
; %bb.369:
	v_cmp_eq_f32_e64 s0, 1.0, v3
	v_cmp_eq_f32_e64 s1, 2.0, v3
	s_or_b32 s0, s0, s1
	v_cndmask_b32_e64 v2, v2, 0, s0
; %bb.370:
	s_or_b32 exec_lo, exec_lo, s23
	v_cmp_gt_f32_e64 s0, 0x4b000000, |v3|
	s_and_b32 s1, s29, 0xff
	s_or_b32 vcc_lo, vcc_lo, s0
	v_cmp_class_f32_e64 s0, v3, 0x264
	v_cndmask_b32_e32 v1, 0x7f800000, v2, vcc_lo
	v_cmp_u_f32_e32 vcc_lo, v3, v3
	s_cmp_lt_i32 s1, 11
	v_cndmask_b32_e64 v2, v1, 0x7f800000, s0
	v_add_co_u32 v0, s0, s8, v0
	v_add_co_ci_u32_e64 v1, null, s9, 0, s0
	v_cndmask_b32_e32 v2, v2, v3, vcc_lo
	s_cbranch_scc1 .LBB144_378
; %bb.371:
	s_and_b32 s23, 0xffff, s1
	s_cmp_gt_i32 s23, 25
	s_cbranch_scc0 .LBB144_380
; %bb.372:
	s_cmp_gt_i32 s23, 28
	s_cbranch_scc0 .LBB144_382
; %bb.373:
	;; [unrolled: 3-line block ×4, first 2 shown]
	s_mov_b32 s40, 0
	s_mov_b32 s0, -1
	s_cmp_eq_u32 s23, 46
	s_mov_b32 s39, 0
	s_cbranch_scc0 .LBB144_395
; %bb.376:
	v_bfe_u32 v3, v2, 16, 1
	v_cmp_o_f32_e32 vcc_lo, v2, v2
	v_mov_b32_e32 v4, 0x7fc0
	s_mov_b32 s39, -1
	s_mov_b32 s0, 0
	v_add3_u32 v3, v2, v3, 0x7fff
	v_cndmask_b32_sdwa v3, v4, v3, vcc_lo dst_sel:DWORD dst_unused:UNUSED_PAD src0_sel:DWORD src1_sel:WORD_1
	global_store_dword v[0:1], v3, off
	s_branch .LBB144_395
.LBB144_377:
	s_mov_b32 s23, -1
	s_mov_b32 s1, 0
	s_mov_b32 s22, s37
                                        ; implicit-def: $vgpr3
	s_branch .LBB144_532
.LBB144_378:
	s_mov_b32 s23, -1
	s_mov_b32 s39, 0
	s_mov_b32 s0, s36
	s_branch .LBB144_464
.LBB144_379:
	s_mov_b32 s23, -1
	s_mov_b32 s1, 0
	s_mov_b32 s22, s37
                                        ; implicit-def: $vgpr3
	s_branch .LBB144_513
.LBB144_380:
	s_mov_b32 s40, -1
	s_mov_b32 s39, 0
	s_mov_b32 s0, s36
	s_branch .LBB144_422
.LBB144_381:
	s_mov_b32 s23, -1
	s_mov_b32 s1, 0
	s_mov_b32 s22, s37
                                        ; implicit-def: $vgpr3
	s_branch .LBB144_508
.LBB144_382:
	s_mov_b32 s40, -1
	s_mov_b32 s39, 0
	s_mov_b32 s0, s36
	s_branch .LBB144_405
.LBB144_383:
	s_andn2_saveexec_b32 s40, s40
	s_cbranch_execz .LBB144_106
.LBB144_384:
	v_add_f32_e64 v3, 0x46000000, |v2|
	s_andn2_b32 s37, s37, exec_lo
	v_and_b32_e32 v3, 0xff, v3
	v_cmp_ne_u32_e32 vcc_lo, 0, v3
	s_and_b32 s41, vcc_lo, exec_lo
	s_or_b32 s37, s37, s41
	s_or_b32 exec_lo, exec_lo, s40
	v_mov_b32_e32 v4, 0
	s_and_saveexec_b32 s40, s37
	s_cbranch_execnz .LBB144_107
	s_branch .LBB144_108
.LBB144_385:
	s_mov_b32 s23, -1
	s_mov_b32 s1, 0
	s_mov_b32 s22, s37
	s_branch .LBB144_390
.LBB144_386:
	s_mov_b32 s40, -1
	s_mov_b32 s39, 0
	s_mov_b32 s0, s36
	s_branch .LBB144_401
.LBB144_387:
	s_andn2_saveexec_b32 s40, s40
	s_cbranch_execz .LBB144_119
.LBB144_388:
	v_add_f32_e64 v3, 0x42800000, |v2|
	s_andn2_b32 s37, s37, exec_lo
	v_and_b32_e32 v3, 0xff, v3
	v_cmp_ne_u32_e32 vcc_lo, 0, v3
	s_and_b32 s41, vcc_lo, exec_lo
	s_or_b32 s37, s37, s41
	s_or_b32 exec_lo, exec_lo, s40
	v_mov_b32_e32 v4, 0
	s_and_saveexec_b32 s40, s37
	s_cbranch_execnz .LBB144_120
	s_branch .LBB144_121
.LBB144_389:
	s_mov_b32 s22, -1
	s_mov_b32 s1, 0
.LBB144_390:
                                        ; implicit-def: $vgpr3
.LBB144_391:
	s_and_b32 vcc_lo, exec_lo, s23
	s_cbranch_vccz .LBB144_507
; %bb.392:
	s_cmp_eq_u32 s0, 44
	s_cbranch_scc0 .LBB144_506
; %bb.393:
	global_load_ubyte v3, v[1:2], off
	s_mov_b32 s22, 0
	s_mov_b32 s1, -1
	s_waitcnt vmcnt(0)
	v_lshlrev_b32_e32 v4, 23, v3
	v_cmp_ne_u32_e32 vcc_lo, 0xff, v3
	v_cndmask_b32_e32 v4, 0x7f800001, v4, vcc_lo
	v_cmp_ne_u32_e32 vcc_lo, 0, v3
	v_cndmask_b32_e32 v3, 0x400000, v4, vcc_lo
	s_branch .LBB144_507
.LBB144_394:
	s_mov_b32 s40, -1
	s_mov_b32 s39, 0
	s_mov_b32 s0, s36
.LBB144_395:
	s_and_b32 vcc_lo, exec_lo, s40
	s_cbranch_vccz .LBB144_400
; %bb.396:
	s_cmp_eq_u32 s23, 44
	s_mov_b32 s0, -1
	s_cbranch_scc0 .LBB144_400
; %bb.397:
	v_bfe_u32 v4, v2, 23, 8
	v_mov_b32_e32 v3, 0xff
	s_mov_b32 s39, exec_lo
	v_cmpx_ne_u32_e32 0xff, v4
	s_cbranch_execz .LBB144_399
; %bb.398:
	v_and_b32_e32 v3, 0x400000, v2
	v_and_or_b32 v4, 0x3fffff, v2, v4
	v_cmp_ne_u32_e32 vcc_lo, 0, v3
	v_cmp_ne_u32_e64 s0, 0, v4
	v_lshrrev_b32_e32 v3, 23, v2
	s_and_b32 s0, vcc_lo, s0
	v_cndmask_b32_e64 v4, 0, 1, s0
	v_add_nc_u32_e32 v3, v3, v4
.LBB144_399:
	s_or_b32 exec_lo, exec_lo, s39
	s_mov_b32 s39, -1
	s_mov_b32 s0, 0
	global_store_byte v[0:1], v3, off
.LBB144_400:
	s_mov_b32 s40, 0
.LBB144_401:
	s_and_b32 vcc_lo, exec_lo, s40
	s_cbranch_vccz .LBB144_404
; %bb.402:
	s_cmp_eq_u32 s23, 29
	s_mov_b32 s0, -1
	s_cbranch_scc0 .LBB144_404
; %bb.403:
	v_trunc_f32_e32 v3, v2
	s_mov_b32 s39, -1
	s_mov_b32 s0, 0
	s_mov_b32 s40, 0
	v_mul_f32_e32 v4, 0x2f800000, v3
	v_floor_f32_e32 v4, v4
	v_fmamk_f32 v3, v4, 0xcf800000, v3
	v_cvt_u32_f32_e32 v4, v4
	v_cvt_u32_f32_e32 v3, v3
	global_store_dwordx2 v[0:1], v[3:4], off
	s_branch .LBB144_405
.LBB144_404:
	s_mov_b32 s40, 0
.LBB144_405:
	s_and_b32 vcc_lo, exec_lo, s40
	s_cbranch_vccz .LBB144_421
; %bb.406:
	s_cmp_lt_i32 s23, 27
	s_mov_b32 s39, -1
	s_cbranch_scc1 .LBB144_412
; %bb.407:
	v_cvt_u32_f32_e32 v3, v2
	s_cmp_gt_i32 s23, 27
	s_cbranch_scc0 .LBB144_409
; %bb.408:
	s_mov_b32 s39, 0
	global_store_dword v[0:1], v3, off
.LBB144_409:
	s_andn2_b32 vcc_lo, exec_lo, s39
	s_cbranch_vccnz .LBB144_411
; %bb.410:
	global_store_short v[0:1], v3, off
.LBB144_411:
	s_mov_b32 s39, 0
.LBB144_412:
	s_andn2_b32 vcc_lo, exec_lo, s39
	s_cbranch_vccnz .LBB144_420
; %bb.413:
	v_and_b32_e32 v3, 0x7fffffff, v2
	v_mov_b32_e32 v4, 0x80
	s_mov_b32 s39, exec_lo
	v_cmpx_gt_u32_e32 0x43800000, v3
	s_cbranch_execz .LBB144_419
; %bb.414:
	v_cmp_lt_u32_e32 vcc_lo, 0x3bffffff, v3
	s_mov_b32 s40, 0
                                        ; implicit-def: $vgpr3
	s_and_saveexec_b32 s42, vcc_lo
	s_xor_b32 s42, exec_lo, s42
	s_cbranch_execz .LBB144_647
; %bb.415:
	v_bfe_u32 v3, v2, 20, 1
	s_mov_b32 s40, exec_lo
	v_add3_u32 v3, v2, v3, 0x487ffff
	v_lshrrev_b32_e32 v3, 20, v3
	s_andn2_saveexec_b32 s42, s42
	s_cbranch_execnz .LBB144_648
.LBB144_416:
	s_or_b32 exec_lo, exec_lo, s42
	v_mov_b32_e32 v4, 0
	s_and_saveexec_b32 s42, s40
.LBB144_417:
	v_lshrrev_b32_e32 v4, 24, v2
	v_and_or_b32 v4, 0x80, v4, v3
.LBB144_418:
	s_or_b32 exec_lo, exec_lo, s42
.LBB144_419:
	s_or_b32 exec_lo, exec_lo, s39
	global_store_byte v[0:1], v4, off
.LBB144_420:
	s_mov_b32 s39, -1
.LBB144_421:
	s_mov_b32 s40, 0
.LBB144_422:
	s_and_b32 vcc_lo, exec_lo, s40
	s_cbranch_vccz .LBB144_463
; %bb.423:
	s_cmp_gt_i32 s23, 22
	s_mov_b32 s40, -1
	s_cbranch_scc0 .LBB144_455
; %bb.424:
	s_cmp_lt_i32 s23, 24
	s_mov_b32 s39, -1
	s_cbranch_scc1 .LBB144_444
; %bb.425:
	s_cmp_gt_i32 s23, 24
	s_cbranch_scc0 .LBB144_433
; %bb.426:
	v_and_b32_e32 v3, 0x7fffffff, v2
	v_mov_b32_e32 v4, 0x80
	s_mov_b32 s39, exec_lo
	v_cmpx_gt_u32_e32 0x47800000, v3
	s_cbranch_execz .LBB144_432
; %bb.427:
	v_cmp_lt_u32_e32 vcc_lo, 0x37ffffff, v3
	s_mov_b32 s40, 0
                                        ; implicit-def: $vgpr3
	s_and_saveexec_b32 s42, vcc_lo
	s_xor_b32 s42, exec_lo, s42
	s_cbranch_execz .LBB144_650
; %bb.428:
	v_bfe_u32 v3, v2, 21, 1
	s_mov_b32 s40, exec_lo
	v_add3_u32 v3, v2, v3, 0x88fffff
	v_lshrrev_b32_e32 v3, 21, v3
	s_andn2_saveexec_b32 s42, s42
	s_cbranch_execnz .LBB144_651
.LBB144_429:
	s_or_b32 exec_lo, exec_lo, s42
	v_mov_b32_e32 v4, 0
	s_and_saveexec_b32 s42, s40
.LBB144_430:
	v_lshrrev_b32_e32 v4, 24, v2
	v_and_or_b32 v4, 0x80, v4, v3
.LBB144_431:
	s_or_b32 exec_lo, exec_lo, s42
.LBB144_432:
	s_or_b32 exec_lo, exec_lo, s39
	s_mov_b32 s39, 0
	global_store_byte v[0:1], v4, off
.LBB144_433:
	s_and_b32 vcc_lo, exec_lo, s39
	s_cbranch_vccz .LBB144_443
; %bb.434:
	v_and_b32_e32 v4, 0x7fffffff, v2
	s_mov_b32 s39, exec_lo
                                        ; implicit-def: $vgpr3
	v_cmpx_gt_u32_e32 0x43f00000, v4
	s_xor_b32 s39, exec_lo, s39
	s_cbranch_execz .LBB144_440
; %bb.435:
	s_mov_b32 s40, exec_lo
                                        ; implicit-def: $vgpr3
	v_cmpx_lt_u32_e32 0x3c7fffff, v4
	s_xor_b32 s40, exec_lo, s40
; %bb.436:
	v_bfe_u32 v3, v2, 20, 1
	v_add3_u32 v3, v2, v3, 0x407ffff
	v_and_b32_e32 v4, 0xff00000, v3
	v_lshrrev_b32_e32 v3, 20, v3
	v_cmp_ne_u32_e32 vcc_lo, 0x7f00000, v4
	v_cndmask_b32_e32 v3, 0x7e, v3, vcc_lo
; %bb.437:
	s_andn2_saveexec_b32 s40, s40
; %bb.438:
	v_add_f32_e64 v3, 0x46800000, |v2|
; %bb.439:
	s_or_b32 exec_lo, exec_lo, s40
                                        ; implicit-def: $vgpr4
.LBB144_440:
	s_andn2_saveexec_b32 s39, s39
; %bb.441:
	v_mov_b32_e32 v3, 0x7f
	v_cmp_lt_u32_e32 vcc_lo, 0x7f800000, v4
	v_cndmask_b32_e32 v3, 0x7e, v3, vcc_lo
; %bb.442:
	s_or_b32 exec_lo, exec_lo, s39
	v_lshrrev_b32_e32 v4, 24, v2
	v_and_or_b32 v3, 0x80, v4, v3
	global_store_byte v[0:1], v3, off
.LBB144_443:
	s_mov_b32 s39, 0
.LBB144_444:
	s_andn2_b32 vcc_lo, exec_lo, s39
	s_cbranch_vccnz .LBB144_454
; %bb.445:
	v_and_b32_e32 v4, 0x7fffffff, v2
	s_mov_b32 s39, exec_lo
                                        ; implicit-def: $vgpr3
	v_cmpx_gt_u32_e32 0x47800000, v4
	s_xor_b32 s39, exec_lo, s39
	s_cbranch_execz .LBB144_451
; %bb.446:
	s_mov_b32 s40, exec_lo
                                        ; implicit-def: $vgpr3
	v_cmpx_lt_u32_e32 0x387fffff, v4
	s_xor_b32 s40, exec_lo, s40
; %bb.447:
	v_bfe_u32 v3, v2, 21, 1
	v_add3_u32 v3, v2, v3, 0x80fffff
	v_lshrrev_b32_e32 v3, 21, v3
; %bb.448:
	s_andn2_saveexec_b32 s40, s40
; %bb.449:
	v_add_f32_e64 v3, 0x43000000, |v2|
; %bb.450:
	s_or_b32 exec_lo, exec_lo, s40
                                        ; implicit-def: $vgpr4
.LBB144_451:
	s_andn2_saveexec_b32 s39, s39
; %bb.452:
	v_mov_b32_e32 v3, 0x7f
	v_cmp_lt_u32_e32 vcc_lo, 0x7f800000, v4
	v_cndmask_b32_e32 v3, 0x7c, v3, vcc_lo
; %bb.453:
	s_or_b32 exec_lo, exec_lo, s39
	v_lshrrev_b32_e32 v4, 24, v2
	v_and_or_b32 v3, 0x80, v4, v3
	global_store_byte v[0:1], v3, off
.LBB144_454:
	s_mov_b32 s40, 0
	s_mov_b32 s39, -1
.LBB144_455:
	s_andn2_b32 vcc_lo, exec_lo, s40
	s_cbranch_vccnz .LBB144_463
; %bb.456:
	s_cmp_gt_i32 s23, 14
	s_mov_b32 s40, -1
	s_cbranch_scc0 .LBB144_460
; %bb.457:
	s_cmp_eq_u32 s23, 15
	s_mov_b32 s0, -1
	s_cbranch_scc0 .LBB144_459
; %bb.458:
	v_bfe_u32 v3, v2, 16, 1
	v_cmp_o_f32_e32 vcc_lo, v2, v2
	v_mov_b32_e32 v4, 0x7fc0
	s_mov_b32 s39, -1
	s_mov_b32 s0, 0
	v_add3_u32 v3, v2, v3, 0x7fff
	v_cndmask_b32_sdwa v3, v4, v3, vcc_lo dst_sel:DWORD dst_unused:UNUSED_PAD src0_sel:DWORD src1_sel:WORD_1
	global_store_short v[0:1], v3, off
.LBB144_459:
	s_mov_b32 s40, 0
.LBB144_460:
	s_and_b32 vcc_lo, exec_lo, s40
	s_cbranch_vccz .LBB144_463
; %bb.461:
	s_cmp_eq_u32 s23, 11
	s_mov_b32 s0, -1
	s_cbranch_scc0 .LBB144_463
; %bb.462:
	v_cmp_neq_f32_e32 vcc_lo, 0, v2
	s_mov_b32 s0, 0
	s_mov_b32 s39, -1
	v_cndmask_b32_e64 v3, 0, 1, vcc_lo
	global_store_byte v[0:1], v3, off
.LBB144_463:
	s_mov_b32 s23, 0
.LBB144_464:
	s_and_b32 vcc_lo, exec_lo, s23
	s_cbranch_vccz .LBB144_503
; %bb.465:
	s_and_b32 s1, 0xffff, s1
	s_mov_b32 s23, -1
	s_cmp_lt_i32 s1, 5
	s_cbranch_scc1 .LBB144_486
; %bb.466:
	s_cmp_lt_i32 s1, 8
	s_cbranch_scc1 .LBB144_476
; %bb.467:
	;; [unrolled: 3-line block ×3, first 2 shown]
	s_cmp_gt_i32 s1, 9
	s_cbranch_scc0 .LBB144_470
; %bb.469:
	v_cvt_f64_f32_e32 v[3:4], v2
	v_mov_b32_e32 v5, 0
	s_mov_b32 s23, 0
	v_mov_b32_e32 v6, v5
	global_store_dwordx4 v[0:1], v[3:6], off
.LBB144_470:
	s_andn2_b32 vcc_lo, exec_lo, s23
	s_cbranch_vccnz .LBB144_472
; %bb.471:
	v_mov_b32_e32 v3, 0
	global_store_dwordx2 v[0:1], v[2:3], off
.LBB144_472:
	s_mov_b32 s23, 0
.LBB144_473:
	s_andn2_b32 vcc_lo, exec_lo, s23
	s_cbranch_vccnz .LBB144_475
; %bb.474:
	v_cvt_f16_f32_e32 v3, v2
	v_and_b32_e32 v3, 0xffff, v3
	global_store_dword v[0:1], v3, off
.LBB144_475:
	s_mov_b32 s23, 0
.LBB144_476:
	s_andn2_b32 vcc_lo, exec_lo, s23
	s_cbranch_vccnz .LBB144_485
; %bb.477:
	s_cmp_lt_i32 s1, 6
	s_mov_b32 s23, -1
	s_cbranch_scc1 .LBB144_483
; %bb.478:
	s_cmp_gt_i32 s1, 6
	s_cbranch_scc0 .LBB144_480
; %bb.479:
	v_cvt_f64_f32_e32 v[3:4], v2
	s_mov_b32 s23, 0
	global_store_dwordx2 v[0:1], v[3:4], off
.LBB144_480:
	s_andn2_b32 vcc_lo, exec_lo, s23
	s_cbranch_vccnz .LBB144_482
; %bb.481:
	global_store_dword v[0:1], v2, off
.LBB144_482:
	s_mov_b32 s23, 0
.LBB144_483:
	s_andn2_b32 vcc_lo, exec_lo, s23
	s_cbranch_vccnz .LBB144_485
; %bb.484:
	v_cvt_f16_f32_e32 v3, v2
	global_store_short v[0:1], v3, off
.LBB144_485:
	s_mov_b32 s23, 0
.LBB144_486:
	s_andn2_b32 vcc_lo, exec_lo, s23
	s_cbranch_vccnz .LBB144_502
; %bb.487:
	s_cmp_lt_i32 s1, 2
	s_mov_b32 s23, -1
	s_cbranch_scc1 .LBB144_497
; %bb.488:
	s_cmp_lt_i32 s1, 3
	s_cbranch_scc1 .LBB144_494
; %bb.489:
	s_cmp_gt_i32 s1, 3
	s_cbranch_scc0 .LBB144_491
; %bb.490:
	v_trunc_f32_e32 v3, v2
	s_mov_b32 s23, 0
	v_mul_f32_e64 v4, 0x2f800000, |v3|
	v_ashrrev_i32_e32 v6, 31, v3
	v_floor_f32_e32 v4, v4
	v_fma_f32 v5, 0xcf800000, v4, |v3|
	v_cvt_u32_f32_e32 v4, v4
	v_cvt_u32_f32_e32 v3, v5
	v_xor_b32_e32 v4, v4, v6
	v_xor_b32_e32 v3, v3, v6
	v_sub_co_u32 v3, vcc_lo, v3, v6
	v_sub_co_ci_u32_e64 v4, null, v4, v6, vcc_lo
	global_store_dwordx2 v[0:1], v[3:4], off
.LBB144_491:
	s_andn2_b32 vcc_lo, exec_lo, s23
	s_cbranch_vccnz .LBB144_493
; %bb.492:
	v_cvt_i32_f32_e32 v3, v2
	global_store_dword v[0:1], v3, off
.LBB144_493:
	s_mov_b32 s23, 0
.LBB144_494:
	s_andn2_b32 vcc_lo, exec_lo, s23
	s_cbranch_vccnz .LBB144_496
; %bb.495:
	v_cvt_i32_f32_e32 v3, v2
	global_store_short v[0:1], v3, off
.LBB144_496:
	s_mov_b32 s23, 0
.LBB144_497:
	s_andn2_b32 vcc_lo, exec_lo, s23
	s_cbranch_vccnz .LBB144_502
; %bb.498:
	s_cmp_gt_i32 s1, 0
	s_mov_b32 s1, -1
	s_cbranch_scc0 .LBB144_500
; %bb.499:
	v_cvt_i32_f32_e32 v3, v2
	s_mov_b32 s1, 0
	global_store_byte v[0:1], v3, off
.LBB144_500:
	s_andn2_b32 vcc_lo, exec_lo, s1
	s_cbranch_vccnz .LBB144_502
; %bb.501:
	v_trunc_f32_e32 v2, v2
	v_mul_f32_e64 v3, 0x2f800000, |v2|
	v_floor_f32_e32 v3, v3
	v_fma_f32 v3, 0xcf800000, v3, |v2|
	v_ashrrev_i32_e32 v2, 31, v2
	v_cvt_u32_f32_e32 v3, v3
	v_xor_b32_e32 v3, v3, v2
	v_sub_nc_u32_e32 v2, v3, v2
	global_store_byte v[0:1], v2, off
.LBB144_502:
	s_mov_b32 s39, -1
.LBB144_503:
	s_andn2_b32 vcc_lo, exec_lo, s39
	s_cbranch_vccnz .LBB144_505
; %bb.504:
	v_add_nc_u32_e32 v8, 0x80, v8
	s_mov_b32 s1, -1
	s_branch .LBB144_618
.LBB144_505:
	s_mov_b32 s1, 0
	s_branch .LBB144_617
.LBB144_506:
	s_mov_b32 s22, -1
                                        ; implicit-def: $vgpr3
.LBB144_507:
	s_mov_b32 s23, 0
.LBB144_508:
	s_and_b32 vcc_lo, exec_lo, s23
	s_cbranch_vccz .LBB144_512
; %bb.509:
	s_cmp_eq_u32 s0, 29
	s_cbranch_scc0 .LBB144_511
; %bb.510:
	global_load_dwordx2 v[3:4], v[1:2], off
	s_mov_b32 s1, -1
	s_mov_b32 s22, 0
	s_mov_b32 s23, 0
	s_waitcnt vmcnt(0)
	v_ffbh_u32_e32 v5, v4
	v_min_u32_e32 v5, 32, v5
	v_lshlrev_b64 v[3:4], v5, v[3:4]
	v_min_u32_e32 v3, 1, v3
	v_or_b32_e32 v3, v4, v3
	v_sub_nc_u32_e32 v4, 32, v5
	v_cvt_f32_u32_e32 v3, v3
	v_ldexp_f32 v3, v3, v4
	s_branch .LBB144_513
.LBB144_511:
	s_mov_b32 s22, -1
                                        ; implicit-def: $vgpr3
.LBB144_512:
	s_mov_b32 s23, 0
.LBB144_513:
	s_and_b32 vcc_lo, exec_lo, s23
	s_cbranch_vccz .LBB144_531
; %bb.514:
	s_cmp_lt_i32 s0, 27
	s_cbranch_scc1 .LBB144_517
; %bb.515:
	s_cmp_gt_i32 s0, 27
	s_cbranch_scc0 .LBB144_518
; %bb.516:
	global_load_dword v3, v[1:2], off
	s_mov_b32 s1, 0
	s_waitcnt vmcnt(0)
	v_cvt_f32_u32_e32 v3, v3
	s_branch .LBB144_519
.LBB144_517:
	s_mov_b32 s1, -1
                                        ; implicit-def: $vgpr3
	s_branch .LBB144_522
.LBB144_518:
	s_mov_b32 s1, -1
                                        ; implicit-def: $vgpr3
.LBB144_519:
	s_andn2_b32 vcc_lo, exec_lo, s1
	s_cbranch_vccnz .LBB144_521
; %bb.520:
	global_load_ushort v3, v[1:2], off
	s_waitcnt vmcnt(0)
	v_cvt_f32_u32_e32 v3, v3
.LBB144_521:
	s_mov_b32 s1, 0
.LBB144_522:
	s_andn2_b32 vcc_lo, exec_lo, s1
	s_cbranch_vccnz .LBB144_530
; %bb.523:
	global_load_ubyte v4, v[1:2], off
	s_mov_b32 s1, 0
	s_mov_b32 s23, exec_lo
	s_waitcnt vmcnt(0)
	v_cmpx_lt_i16_e32 0x7f, v4
	s_xor_b32 s23, exec_lo, s23
	s_cbranch_execz .LBB144_544
; %bb.524:
	s_mov_b32 s1, -1
	s_mov_b32 s39, exec_lo
	v_cmpx_eq_u16_e32 0x80, v4
; %bb.525:
	s_xor_b32 s1, exec_lo, -1
; %bb.526:
	s_or_b32 exec_lo, exec_lo, s39
	s_and_b32 s1, s1, exec_lo
	s_or_saveexec_b32 s23, s23
	v_mov_b32_e32 v3, 0x7f800001
	s_xor_b32 exec_lo, exec_lo, s23
	s_cbranch_execnz .LBB144_545
.LBB144_527:
	s_or_b32 exec_lo, exec_lo, s23
	s_and_saveexec_b32 s23, s1
	s_cbranch_execz .LBB144_529
.LBB144_528:
	v_and_b32_e32 v3, 0xffff, v4
	v_lshlrev_b32_e32 v4, 24, v4
	v_and_b32_e32 v5, 7, v3
	v_bfe_u32 v9, v3, 3, 4
	v_and_b32_e32 v4, 0x80000000, v4
	v_ffbh_u32_e32 v6, v5
	v_cmp_eq_u32_e32 vcc_lo, 0, v9
	v_min_u32_e32 v6, 32, v6
	v_subrev_nc_u32_e32 v7, 28, v6
	v_sub_nc_u32_e32 v6, 29, v6
	v_lshlrev_b32_e32 v3, v7, v3
	v_cndmask_b32_e32 v6, v9, v6, vcc_lo
	v_and_b32_e32 v3, 7, v3
	v_cndmask_b32_e32 v3, v5, v3, vcc_lo
	v_lshl_add_u32 v5, v6, 23, 0x3b800000
	v_lshlrev_b32_e32 v3, 20, v3
	v_or3_b32 v3, v4, v5, v3
.LBB144_529:
	s_or_b32 exec_lo, exec_lo, s23
.LBB144_530:
	s_mov_b32 s1, -1
.LBB144_531:
	s_mov_b32 s23, 0
.LBB144_532:
	s_and_b32 vcc_lo, exec_lo, s23
	s_cbranch_vccz .LBB144_567
; %bb.533:
	s_cmp_gt_i32 s0, 22
	s_cbranch_scc0 .LBB144_543
; %bb.534:
	s_cmp_lt_i32 s0, 24
	s_cbranch_scc1 .LBB144_546
; %bb.535:
	s_cmp_gt_i32 s0, 24
	s_cbranch_scc0 .LBB144_547
; %bb.536:
	global_load_ubyte v4, v[1:2], off
	s_mov_b32 s1, 0
	s_mov_b32 s23, exec_lo
	s_waitcnt vmcnt(0)
	v_cmpx_lt_i16_e32 0x7f, v4
	s_xor_b32 s23, exec_lo, s23
	s_cbranch_execz .LBB144_559
; %bb.537:
	s_mov_b32 s1, -1
	s_mov_b32 s39, exec_lo
	v_cmpx_eq_u16_e32 0x80, v4
; %bb.538:
	s_xor_b32 s1, exec_lo, -1
; %bb.539:
	s_or_b32 exec_lo, exec_lo, s39
	s_and_b32 s1, s1, exec_lo
	s_or_saveexec_b32 s23, s23
	v_mov_b32_e32 v3, 0x7f800001
	s_xor_b32 exec_lo, exec_lo, s23
	s_cbranch_execnz .LBB144_560
.LBB144_540:
	s_or_b32 exec_lo, exec_lo, s23
	s_and_saveexec_b32 s23, s1
	s_cbranch_execz .LBB144_542
.LBB144_541:
	v_and_b32_e32 v3, 0xffff, v4
	v_lshlrev_b32_e32 v4, 24, v4
	v_and_b32_e32 v5, 3, v3
	v_bfe_u32 v9, v3, 2, 5
	v_and_b32_e32 v4, 0x80000000, v4
	v_ffbh_u32_e32 v6, v5
	v_cmp_eq_u32_e32 vcc_lo, 0, v9
	v_min_u32_e32 v6, 32, v6
	v_subrev_nc_u32_e32 v7, 29, v6
	v_sub_nc_u32_e32 v6, 30, v6
	v_lshlrev_b32_e32 v3, v7, v3
	v_cndmask_b32_e32 v6, v9, v6, vcc_lo
	v_and_b32_e32 v3, 3, v3
	v_cndmask_b32_e32 v3, v5, v3, vcc_lo
	v_lshl_add_u32 v5, v6, 23, 0x37800000
	v_lshlrev_b32_e32 v3, 21, v3
	v_or3_b32 v3, v4, v5, v3
.LBB144_542:
	s_or_b32 exec_lo, exec_lo, s23
	s_mov_b32 s1, 0
	s_branch .LBB144_548
.LBB144_543:
	s_mov_b32 s23, -1
                                        ; implicit-def: $vgpr3
	s_branch .LBB144_554
.LBB144_544:
	s_or_saveexec_b32 s23, s23
	v_mov_b32_e32 v3, 0x7f800001
	s_xor_b32 exec_lo, exec_lo, s23
	s_cbranch_execz .LBB144_527
.LBB144_545:
	v_cmp_ne_u16_e32 vcc_lo, 0, v4
	v_mov_b32_e32 v3, 0
	s_andn2_b32 s1, s1, exec_lo
	s_and_b32 s39, vcc_lo, exec_lo
	s_or_b32 s1, s1, s39
	s_or_b32 exec_lo, exec_lo, s23
	s_and_saveexec_b32 s23, s1
	s_cbranch_execnz .LBB144_528
	s_branch .LBB144_529
.LBB144_546:
	s_mov_b32 s1, -1
                                        ; implicit-def: $vgpr3
	s_branch .LBB144_551
.LBB144_547:
	s_mov_b32 s1, -1
                                        ; implicit-def: $vgpr3
.LBB144_548:
	s_and_b32 vcc_lo, exec_lo, s1
	s_cbranch_vccz .LBB144_550
; %bb.549:
	global_load_ubyte v3, v[1:2], off
	s_waitcnt vmcnt(0)
	v_lshlrev_b32_e32 v3, 24, v3
	v_and_b32_e32 v4, 0x7f000000, v3
	v_ffbh_u32_e32 v5, v4
	v_add_nc_u32_e32 v7, 0x1000000, v4
	v_cmp_ne_u32_e32 vcc_lo, 0, v4
	v_min_u32_e32 v5, 32, v5
	v_sub_nc_u32_e64 v5, v5, 4 clamp
	v_lshlrev_b32_e32 v6, v5, v4
	v_lshlrev_b32_e32 v5, 23, v5
	v_lshrrev_b32_e32 v6, 4, v6
	v_sub_nc_u32_e32 v5, v6, v5
	v_ashrrev_i32_e32 v6, 8, v7
	v_add_nc_u32_e32 v5, 0x3c000000, v5
	v_and_or_b32 v5, 0x7f800000, v6, v5
	v_cndmask_b32_e32 v4, 0, v5, vcc_lo
	v_and_or_b32 v3, 0x80000000, v3, v4
.LBB144_550:
	s_mov_b32 s1, 0
.LBB144_551:
	s_andn2_b32 vcc_lo, exec_lo, s1
	s_cbranch_vccnz .LBB144_553
; %bb.552:
	global_load_ubyte v3, v[1:2], off
	s_waitcnt vmcnt(0)
	v_lshlrev_b32_e32 v4, 25, v3
	v_lshlrev_b16 v3, 8, v3
	v_lshrrev_b32_e32 v5, 4, v4
	v_and_or_b32 v6, 0x7f00, v3, 0.5
	v_cmp_gt_u32_e32 vcc_lo, 0x8000000, v4
	v_bfe_i32 v3, v3, 0, 16
	v_or_b32_e32 v5, 0x70000000, v5
	v_add_f32_e32 v6, -0.5, v6
	v_mul_f32_e32 v5, 0x7800000, v5
	v_cndmask_b32_e32 v4, v5, v6, vcc_lo
	v_and_or_b32 v3, 0x80000000, v3, v4
.LBB144_553:
	s_mov_b32 s23, 0
	s_mov_b32 s1, -1
.LBB144_554:
	s_andn2_b32 vcc_lo, exec_lo, s23
	s_cbranch_vccnz .LBB144_567
; %bb.555:
	s_cmp_gt_i32 s0, 14
	s_cbranch_scc0 .LBB144_558
; %bb.556:
	s_cmp_eq_u32 s0, 15
	s_cbranch_scc0 .LBB144_561
; %bb.557:
	global_load_ushort v3, v[1:2], off
	s_mov_b32 s1, -1
	s_mov_b32 s22, 0
	s_waitcnt vmcnt(0)
	v_lshlrev_b32_e32 v3, 16, v3
	s_branch .LBB144_562
.LBB144_558:
	s_mov_b32 s23, -1
                                        ; implicit-def: $vgpr3
	s_branch .LBB144_563
.LBB144_559:
	s_or_saveexec_b32 s23, s23
	v_mov_b32_e32 v3, 0x7f800001
	s_xor_b32 exec_lo, exec_lo, s23
	s_cbranch_execz .LBB144_540
.LBB144_560:
	v_cmp_ne_u16_e32 vcc_lo, 0, v4
	v_mov_b32_e32 v3, 0
	s_andn2_b32 s1, s1, exec_lo
	s_and_b32 s39, vcc_lo, exec_lo
	s_or_b32 s1, s1, s39
	s_or_b32 exec_lo, exec_lo, s23
	s_and_saveexec_b32 s23, s1
	s_cbranch_execnz .LBB144_541
	s_branch .LBB144_542
.LBB144_561:
	s_mov_b32 s22, -1
                                        ; implicit-def: $vgpr3
.LBB144_562:
	s_mov_b32 s23, 0
.LBB144_563:
	s_and_b32 vcc_lo, exec_lo, s23
	s_cbranch_vccz .LBB144_567
; %bb.564:
	s_cmp_eq_u32 s0, 11
	s_cbranch_scc0 .LBB144_566
; %bb.565:
	global_load_ubyte v3, v[1:2], off
	s_mov_b32 s22, 0
	s_mov_b32 s1, -1
	s_waitcnt vmcnt(0)
	v_cmp_ne_u16_e32 vcc_lo, 0, v3
	v_cndmask_b32_e64 v3, 0, 1.0, vcc_lo
	s_branch .LBB144_567
.LBB144_566:
	s_mov_b32 s22, -1
                                        ; implicit-def: $vgpr3
.LBB144_567:
	s_branch .LBB144_331
.LBB144_568:
	s_cmp_lt_i32 s0, 5
	s_cbranch_scc1 .LBB144_573
; %bb.569:
	s_cmp_lt_i32 s0, 8
	s_cbranch_scc1 .LBB144_574
; %bb.570:
	;; [unrolled: 3-line block ×3, first 2 shown]
	s_cmp_gt_i32 s0, 9
	s_cbranch_scc0 .LBB144_576
; %bb.572:
	global_load_dwordx2 v[3:4], v[1:2], off
	s_mov_b32 s1, 0
	s_waitcnt vmcnt(0)
	v_cvt_f32_f64_e32 v3, v[3:4]
	s_branch .LBB144_577
.LBB144_573:
	s_mov_b32 s1, -1
                                        ; implicit-def: $vgpr3
	s_branch .LBB144_595
.LBB144_574:
	s_mov_b32 s1, -1
                                        ; implicit-def: $vgpr3
	s_branch .LBB144_583
.LBB144_575:
	s_mov_b32 s1, -1
                                        ; implicit-def: $vgpr3
	s_branch .LBB144_580
.LBB144_576:
	s_mov_b32 s1, -1
                                        ; implicit-def: $vgpr3
.LBB144_577:
	s_andn2_b32 vcc_lo, exec_lo, s1
	s_cbranch_vccnz .LBB144_579
; %bb.578:
	global_load_dword v3, v[1:2], off
.LBB144_579:
	s_mov_b32 s1, 0
.LBB144_580:
	s_andn2_b32 vcc_lo, exec_lo, s1
	s_cbranch_vccnz .LBB144_582
; %bb.581:
	global_load_dword v3, v[1:2], off
	s_waitcnt vmcnt(0)
	v_cvt_f32_f16_e32 v3, v3
.LBB144_582:
	s_mov_b32 s1, 0
.LBB144_583:
	s_andn2_b32 vcc_lo, exec_lo, s1
	s_cbranch_vccnz .LBB144_594
; %bb.584:
	s_cmp_lt_i32 s0, 6
	s_cbranch_scc1 .LBB144_587
; %bb.585:
	s_cmp_gt_i32 s0, 6
	s_cbranch_scc0 .LBB144_588
; %bb.586:
	global_load_dwordx2 v[3:4], v[1:2], off
	s_mov_b32 s1, 0
	s_waitcnt vmcnt(0)
	v_cvt_f32_f64_e32 v3, v[3:4]
	s_branch .LBB144_589
.LBB144_587:
	s_mov_b32 s1, -1
                                        ; implicit-def: $vgpr3
	s_branch .LBB144_592
.LBB144_588:
	s_mov_b32 s1, -1
                                        ; implicit-def: $vgpr3
.LBB144_589:
	s_andn2_b32 vcc_lo, exec_lo, s1
	s_cbranch_vccnz .LBB144_591
; %bb.590:
	global_load_dword v3, v[1:2], off
.LBB144_591:
	s_mov_b32 s1, 0
.LBB144_592:
	s_andn2_b32 vcc_lo, exec_lo, s1
	s_cbranch_vccnz .LBB144_594
; %bb.593:
	global_load_ushort v3, v[1:2], off
	s_waitcnt vmcnt(0)
	v_cvt_f32_f16_e32 v3, v3
.LBB144_594:
	s_mov_b32 s1, 0
.LBB144_595:
	s_andn2_b32 vcc_lo, exec_lo, s1
	s_cbranch_vccnz .LBB144_615
; %bb.596:
	s_cmp_lt_i32 s0, 2
	s_cbranch_scc1 .LBB144_600
; %bb.597:
	s_cmp_lt_i32 s0, 3
	s_cbranch_scc1 .LBB144_601
; %bb.598:
	s_cmp_gt_i32 s0, 3
	s_cbranch_scc0 .LBB144_602
; %bb.599:
	global_load_dwordx2 v[3:4], v[1:2], off
	s_mov_b32 s1, 0
	s_waitcnt vmcnt(0)
	v_xor_b32_e32 v5, v3, v4
	v_ffbh_i32_e32 v6, v4
	v_ashrrev_i32_e32 v5, 31, v5
	v_add_nc_u32_e32 v6, -1, v6
	v_add_nc_u32_e32 v5, 32, v5
	v_min_u32_e32 v5, v6, v5
	v_lshlrev_b64 v[3:4], v5, v[3:4]
	v_min_u32_e32 v3, 1, v3
	v_or_b32_e32 v3, v4, v3
	v_sub_nc_u32_e32 v4, 32, v5
	v_cvt_f32_i32_e32 v3, v3
	v_ldexp_f32 v3, v3, v4
	s_branch .LBB144_603
.LBB144_600:
	s_mov_b32 s1, -1
                                        ; implicit-def: $vgpr3
	s_branch .LBB144_609
.LBB144_601:
	s_mov_b32 s1, -1
                                        ; implicit-def: $vgpr3
	s_branch .LBB144_606
.LBB144_602:
	s_mov_b32 s1, -1
                                        ; implicit-def: $vgpr3
.LBB144_603:
	s_andn2_b32 vcc_lo, exec_lo, s1
	s_cbranch_vccnz .LBB144_605
; %bb.604:
	global_load_dword v3, v[1:2], off
	s_waitcnt vmcnt(0)
	v_cvt_f32_i32_e32 v3, v3
.LBB144_605:
	s_mov_b32 s1, 0
.LBB144_606:
	s_andn2_b32 vcc_lo, exec_lo, s1
	s_cbranch_vccnz .LBB144_608
; %bb.607:
	global_load_sshort v3, v[1:2], off
	s_waitcnt vmcnt(0)
	v_cvt_f32_i32_e32 v3, v3
.LBB144_608:
	s_mov_b32 s1, 0
.LBB144_609:
	s_andn2_b32 vcc_lo, exec_lo, s1
	s_cbranch_vccnz .LBB144_615
; %bb.610:
	s_cmp_gt_i32 s0, 0
	s_mov_b32 s0, 0
	s_cbranch_scc0 .LBB144_612
; %bb.611:
	global_load_sbyte v3, v[1:2], off
	s_waitcnt vmcnt(0)
	v_cvt_f32_i32_e32 v3, v3
	s_branch .LBB144_613
.LBB144_612:
	s_mov_b32 s0, -1
                                        ; implicit-def: $vgpr3
.LBB144_613:
	s_andn2_b32 vcc_lo, exec_lo, s0
	s_cbranch_vccnz .LBB144_615
; %bb.614:
	global_load_ubyte v1, v[1:2], off
	s_waitcnt vmcnt(0)
	v_cvt_f32_ubyte0_e32 v3, v1
.LBB144_615:
	s_branch .LBB144_332
.LBB144_616:
	s_mov_b32 s1, 0
	s_mov_b32 s0, s36
.LBB144_617:
                                        ; implicit-def: $vgpr8
.LBB144_618:
	s_andn2_b32 s23, s36, exec_lo
	s_and_b32 s0, s0, exec_lo
	s_andn2_b32 s39, s37, exec_lo
	s_and_b32 s22, s22, exec_lo
	s_or_b32 s40, s23, s0
	s_or_b32 s39, s39, s22
	s_orn2_b32 s0, s1, exec_lo
.LBB144_619:
	s_or_b32 exec_lo, exec_lo, s41
	s_mov_b32 s1, 0
	s_mov_b32 s23, 0
	;; [unrolled: 1-line block ×3, first 2 shown]
                                        ; implicit-def: $vgpr1_vgpr2
                                        ; implicit-def: $vgpr0
                                        ; implicit-def: $vgpr4
	s_and_saveexec_b32 s41, s0
	s_cbranch_execz .LBB144_1034
; %bb.620:
	s_mov_b32 s44, -1
	s_mov_b32 s22, s39
	s_mov_b32 s23, s40
	s_mov_b32 s42, exec_lo
	v_cmpx_gt_i32_e64 s33, v8
	s_cbranch_execz .LBB144_933
; %bb.621:
	s_andn2_b32 vcc_lo, exec_lo, s27
	s_cbranch_vccnz .LBB144_626
; %bb.622:
	s_andn2_b32 vcc_lo, exec_lo, s34
	s_cbranch_vccnz .LBB144_627
; %bb.623:
	s_add_i32 s44, s35, 1
	s_cmp_eq_u32 s25, 2
	s_cbranch_scc1 .LBB144_628
; %bb.624:
	v_mov_b32_e32 v2, 0
	v_mov_b32_e32 v0, 0
	;; [unrolled: 1-line block ×3, first 2 shown]
	s_and_b32 s43, s44, 28
	s_mov_b32 s45, 0
	s_mov_b64 s[0:1], s[2:3]
	s_mov_b64 s[22:23], s[20:21]
.LBB144_625:                            ; =>This Inner Loop Header: Depth=1
	s_clause 0x1
	s_load_dwordx8 s[48:55], s[0:1], 0x4
	s_load_dwordx4 s[64:67], s[0:1], 0x24
	s_load_dwordx8 s[56:63], s[22:23], 0x0
	s_add_u32 s0, s0, 48
	s_addc_u32 s1, s1, 0
	s_add_i32 s45, s45, 4
	s_add_u32 s22, s22, 32
	s_addc_u32 s23, s23, 0
	s_cmp_eq_u32 s43, s45
	s_waitcnt vmcnt(0) lgkmcnt(0)
	v_mul_hi_u32 v3, s49, v1
	v_add_nc_u32_e32 v3, v1, v3
	v_lshrrev_b32_e32 v3, s50, v3
	v_mul_hi_u32 v4, s52, v3
	v_mul_lo_u32 v6, v3, s48
	v_add_nc_u32_e32 v4, v3, v4
	v_sub_nc_u32_e32 v1, v1, v6
	v_lshrrev_b32_e32 v4, s53, v4
	v_mul_lo_u32 v6, v1, s56
	v_mul_lo_u32 v9, v1, s57
	v_mul_hi_u32 v5, s55, v4
	v_add_nc_u32_e32 v5, v4, v5
	v_lshrrev_b32_e32 v5, s64, v5
	v_mul_hi_u32 v7, s66, v5
	v_mul_lo_u32 v10, v5, s54
	v_add_nc_u32_e32 v1, v5, v7
	v_mul_lo_u32 v7, v4, s51
	v_sub_nc_u32_e32 v4, v4, v10
	v_lshrrev_b32_e32 v1, s67, v1
	v_mul_lo_u32 v10, v4, s60
	v_mul_lo_u32 v4, v4, s61
	v_sub_nc_u32_e32 v3, v3, v7
	v_mul_lo_u32 v11, v1, s65
	v_mul_lo_u32 v7, v3, s58
	;; [unrolled: 1-line block ×3, first 2 shown]
	v_sub_nc_u32_e32 v5, v5, v11
	v_add3_u32 v0, v6, v0, v7
	v_mul_lo_u32 v11, v5, s62
	v_mul_lo_u32 v5, v5, s63
	v_add3_u32 v2, v9, v2, v3
	v_add3_u32 v0, v10, v0, v11
	;; [unrolled: 1-line block ×3, first 2 shown]
	s_cbranch_scc0 .LBB144_625
	s_branch .LBB144_629
.LBB144_626:
	s_mov_b32 s0, -1
                                        ; implicit-def: $vgpr0
                                        ; implicit-def: $vgpr2
	s_branch .LBB144_633
.LBB144_627:
	v_mov_b32_e32 v0, 0
	v_mov_b32_e32 v2, 0
	s_branch .LBB144_632
.LBB144_628:
	v_mov_b32_e32 v0, 0
	v_mov_b32_e32 v2, 0
	;; [unrolled: 1-line block ×3, first 2 shown]
	s_mov_b32 s43, 0
.LBB144_629:
	s_and_b32 s44, s44, 3
	s_cmp_eq_u32 s44, 0
	s_cbranch_scc1 .LBB144_632
; %bb.630:
	s_lshl_b32 s0, s43, 3
	s_mul_i32 s22, s43, 12
	s_add_u32 s0, s2, s0
	s_addc_u32 s1, s3, 0
	s_add_u32 s0, s0, 0xc4
	s_addc_u32 s1, s1, 0
	;; [unrolled: 2-line block ×3, first 2 shown]
	.p2align	6
.LBB144_631:                            ; =>This Inner Loop Header: Depth=1
	s_clause 0x1
	s_load_dwordx2 s[46:47], s[22:23], 0x4
	s_load_dword s43, s[22:23], 0xc
	s_load_dwordx2 s[48:49], s[0:1], 0x0
	s_add_u32 s22, s22, 12
	s_addc_u32 s23, s23, 0
	s_add_u32 s0, s0, 8
	s_addc_u32 s1, s1, 0
	s_add_i32 s44, s44, -1
	s_cmp_lg_u32 s44, 0
	s_waitcnt vmcnt(0) lgkmcnt(0)
	v_mul_hi_u32 v3, s47, v1
	v_add_nc_u32_e32 v3, v1, v3
	v_lshrrev_b32_e32 v4, s43, v3
	v_mul_lo_u32 v3, v4, s46
	v_sub_nc_u32_e32 v3, v1, v3
	v_mad_u64_u32 v[0:1], null, v3, s48, v[0:1]
	v_mad_u64_u32 v[2:3], null, v3, s49, v[2:3]
	v_mov_b32_e32 v1, v4
	s_cbranch_scc1 .LBB144_631
.LBB144_632:
	s_mov_b32 s0, 0
.LBB144_633:
	s_andn2_b32 vcc_lo, exec_lo, s0
	s_cbranch_vccnz .LBB144_636
; %bb.634:
	s_waitcnt lgkmcnt(0)
	v_mul_hi_u32 v0, s17, v8
	s_andn2_b32 vcc_lo, exec_lo, s31
	v_add_nc_u32_e32 v0, v8, v0
	v_lshrrev_b32_e32 v1, s18, v0
	v_mul_lo_u32 v0, v1, s16
	v_sub_nc_u32_e32 v2, v8, v0
	v_mul_lo_u32 v0, v2, s12
	v_mul_lo_u32 v2, v2, s13
	s_cbranch_vccnz .LBB144_636
; %bb.635:
	s_waitcnt vmcnt(0)
	v_mul_hi_u32 v3, s6, v1
	v_add_nc_u32_e32 v3, v1, v3
	v_lshrrev_b32_e32 v3, s7, v3
	v_mul_lo_u32 v3, v3, s19
	v_sub_nc_u32_e32 v3, v1, v3
	v_mad_u64_u32 v[0:1], null, v3, s14, v[0:1]
	v_mad_u64_u32 v[2:3], null, v3, s15, v[2:3]
.LBB144_636:
	s_waitcnt lgkmcnt(0)
	v_add_co_u32 v1, s0, s10, v2
	v_add_co_ci_u32_e64 v2, null, s11, 0, s0
	s_and_b32 s0, 0xffff, s30
	s_cmp_lt_i32 s0, 11
	s_cbranch_scc1 .LBB144_643
; %bb.637:
	s_cmp_gt_i32 s0, 25
	s_cbranch_scc0 .LBB144_644
; %bb.638:
	s_cmp_gt_i32 s0, 28
	s_cbranch_scc0 .LBB144_645
	;; [unrolled: 3-line block ×4, first 2 shown]
; %bb.641:
	s_cmp_eq_u32 s0, 46
	s_mov_b32 s23, 0
	s_cbranch_scc0 .LBB144_652
; %bb.642:
	global_load_dword v3, v[1:2], off
	s_mov_b32 s1, -1
	s_mov_b32 s22, 0
	s_waitcnt vmcnt(0)
	v_lshlrev_b32_e32 v3, 16, v3
	s_branch .LBB144_654
.LBB144_643:
	s_mov_b32 s23, -1
	s_mov_b32 s1, 0
	s_mov_b32 s22, s39
                                        ; implicit-def: $vgpr3
	s_branch .LBB144_719
.LBB144_644:
	s_mov_b32 s23, -1
	s_mov_b32 s1, 0
	s_mov_b32 s22, s39
                                        ; implicit-def: $vgpr3
	s_branch .LBB144_683
.LBB144_645:
	s_mov_b32 s23, -1
	s_mov_b32 s1, 0
	s_mov_b32 s22, s39
                                        ; implicit-def: $vgpr3
	s_branch .LBB144_664
.LBB144_646:
	s_mov_b32 s23, -1
	s_mov_b32 s1, 0
	s_mov_b32 s22, s39
                                        ; implicit-def: $vgpr3
	s_branch .LBB144_659
.LBB144_647:
	s_andn2_saveexec_b32 s42, s42
	s_cbranch_execz .LBB144_416
.LBB144_648:
	v_add_f32_e64 v3, 0x46000000, |v2|
	s_andn2_b32 s40, s40, exec_lo
	v_and_b32_e32 v3, 0xff, v3
	v_cmp_ne_u32_e32 vcc_lo, 0, v3
	s_and_b32 s43, vcc_lo, exec_lo
	s_or_b32 s40, s40, s43
	s_or_b32 exec_lo, exec_lo, s42
	v_mov_b32_e32 v4, 0
	s_and_saveexec_b32 s42, s40
	s_cbranch_execnz .LBB144_417
	s_branch .LBB144_418
.LBB144_649:
	s_mov_b32 s23, -1
	s_mov_b32 s1, 0
	s_mov_b32 s22, s39
	s_branch .LBB144_653
.LBB144_650:
	s_andn2_saveexec_b32 s42, s42
	s_cbranch_execz .LBB144_429
.LBB144_651:
	v_add_f32_e64 v3, 0x42800000, |v2|
	s_andn2_b32 s40, s40, exec_lo
	v_and_b32_e32 v3, 0xff, v3
	v_cmp_ne_u32_e32 vcc_lo, 0, v3
	s_and_b32 s43, vcc_lo, exec_lo
	s_or_b32 s40, s40, s43
	s_or_b32 exec_lo, exec_lo, s42
	v_mov_b32_e32 v4, 0
	s_and_saveexec_b32 s42, s40
	s_cbranch_execnz .LBB144_430
	s_branch .LBB144_431
.LBB144_652:
	s_mov_b32 s22, -1
	s_mov_b32 s1, 0
.LBB144_653:
                                        ; implicit-def: $vgpr3
.LBB144_654:
	s_and_b32 vcc_lo, exec_lo, s23
	s_cbranch_vccz .LBB144_658
; %bb.655:
	s_cmp_eq_u32 s0, 44
	s_cbranch_scc0 .LBB144_657
; %bb.656:
	global_load_ubyte v3, v[1:2], off
	s_mov_b32 s22, 0
	s_mov_b32 s1, -1
	s_waitcnt vmcnt(0)
	v_lshlrev_b32_e32 v4, 23, v3
	v_cmp_ne_u32_e32 vcc_lo, 0xff, v3
	v_cndmask_b32_e32 v4, 0x7f800001, v4, vcc_lo
	v_cmp_ne_u32_e32 vcc_lo, 0, v3
	v_cndmask_b32_e32 v3, 0x400000, v4, vcc_lo
	s_branch .LBB144_658
.LBB144_657:
	s_mov_b32 s22, -1
                                        ; implicit-def: $vgpr3
.LBB144_658:
	s_mov_b32 s23, 0
.LBB144_659:
	s_and_b32 vcc_lo, exec_lo, s23
	s_cbranch_vccz .LBB144_663
; %bb.660:
	s_cmp_eq_u32 s0, 29
	s_cbranch_scc0 .LBB144_662
; %bb.661:
	global_load_dwordx2 v[3:4], v[1:2], off
	s_mov_b32 s1, -1
	s_mov_b32 s22, 0
	s_mov_b32 s23, 0
	s_waitcnt vmcnt(0)
	v_ffbh_u32_e32 v5, v4
	v_min_u32_e32 v5, 32, v5
	v_lshlrev_b64 v[3:4], v5, v[3:4]
	v_min_u32_e32 v3, 1, v3
	v_or_b32_e32 v3, v4, v3
	v_sub_nc_u32_e32 v4, 32, v5
	v_cvt_f32_u32_e32 v3, v3
	v_ldexp_f32 v3, v3, v4
	s_branch .LBB144_664
.LBB144_662:
	s_mov_b32 s22, -1
                                        ; implicit-def: $vgpr3
.LBB144_663:
	s_mov_b32 s23, 0
.LBB144_664:
	s_and_b32 vcc_lo, exec_lo, s23
	s_cbranch_vccz .LBB144_682
; %bb.665:
	s_cmp_lt_i32 s0, 27
	s_cbranch_scc1 .LBB144_668
; %bb.666:
	s_cmp_gt_i32 s0, 27
	s_cbranch_scc0 .LBB144_669
; %bb.667:
	global_load_dword v3, v[1:2], off
	s_mov_b32 s1, 0
	s_waitcnt vmcnt(0)
	v_cvt_f32_u32_e32 v3, v3
	s_branch .LBB144_670
.LBB144_668:
	s_mov_b32 s1, -1
                                        ; implicit-def: $vgpr3
	s_branch .LBB144_673
.LBB144_669:
	s_mov_b32 s1, -1
                                        ; implicit-def: $vgpr3
.LBB144_670:
	s_andn2_b32 vcc_lo, exec_lo, s1
	s_cbranch_vccnz .LBB144_672
; %bb.671:
	global_load_ushort v3, v[1:2], off
	s_waitcnt vmcnt(0)
	v_cvt_f32_u32_e32 v3, v3
.LBB144_672:
	s_mov_b32 s1, 0
.LBB144_673:
	s_andn2_b32 vcc_lo, exec_lo, s1
	s_cbranch_vccnz .LBB144_681
; %bb.674:
	global_load_ubyte v4, v[1:2], off
	s_mov_b32 s1, 0
	s_mov_b32 s23, exec_lo
	s_waitcnt vmcnt(0)
	v_cmpx_lt_i16_e32 0x7f, v4
	s_xor_b32 s23, exec_lo, s23
	s_cbranch_execz .LBB144_695
; %bb.675:
	s_mov_b32 s1, -1
	s_mov_b32 s43, exec_lo
	v_cmpx_eq_u16_e32 0x80, v4
; %bb.676:
	s_xor_b32 s1, exec_lo, -1
; %bb.677:
	s_or_b32 exec_lo, exec_lo, s43
	s_and_b32 s1, s1, exec_lo
	s_or_saveexec_b32 s23, s23
	v_mov_b32_e32 v3, 0x7f800001
	s_xor_b32 exec_lo, exec_lo, s23
	s_cbranch_execnz .LBB144_696
.LBB144_678:
	s_or_b32 exec_lo, exec_lo, s23
	s_and_saveexec_b32 s23, s1
	s_cbranch_execz .LBB144_680
.LBB144_679:
	v_and_b32_e32 v3, 0xffff, v4
	v_lshlrev_b32_e32 v4, 24, v4
	v_and_b32_e32 v5, 7, v3
	v_bfe_u32 v9, v3, 3, 4
	v_and_b32_e32 v4, 0x80000000, v4
	v_ffbh_u32_e32 v6, v5
	v_cmp_eq_u32_e32 vcc_lo, 0, v9
	v_min_u32_e32 v6, 32, v6
	v_subrev_nc_u32_e32 v7, 28, v6
	v_sub_nc_u32_e32 v6, 29, v6
	v_lshlrev_b32_e32 v3, v7, v3
	v_cndmask_b32_e32 v6, v9, v6, vcc_lo
	v_and_b32_e32 v3, 7, v3
	v_cndmask_b32_e32 v3, v5, v3, vcc_lo
	v_lshl_add_u32 v5, v6, 23, 0x3b800000
	v_lshlrev_b32_e32 v3, 20, v3
	v_or3_b32 v3, v4, v5, v3
.LBB144_680:
	s_or_b32 exec_lo, exec_lo, s23
.LBB144_681:
	s_mov_b32 s1, -1
.LBB144_682:
	s_mov_b32 s23, 0
.LBB144_683:
	s_and_b32 vcc_lo, exec_lo, s23
	s_cbranch_vccz .LBB144_718
; %bb.684:
	s_cmp_gt_i32 s0, 22
	s_cbranch_scc0 .LBB144_694
; %bb.685:
	s_cmp_lt_i32 s0, 24
	s_cbranch_scc1 .LBB144_697
; %bb.686:
	s_cmp_gt_i32 s0, 24
	s_cbranch_scc0 .LBB144_698
; %bb.687:
	global_load_ubyte v4, v[1:2], off
	s_mov_b32 s1, 0
	s_mov_b32 s23, exec_lo
	s_waitcnt vmcnt(0)
	v_cmpx_lt_i16_e32 0x7f, v4
	s_xor_b32 s23, exec_lo, s23
	s_cbranch_execz .LBB144_710
; %bb.688:
	s_mov_b32 s1, -1
	s_mov_b32 s43, exec_lo
	v_cmpx_eq_u16_e32 0x80, v4
; %bb.689:
	s_xor_b32 s1, exec_lo, -1
; %bb.690:
	s_or_b32 exec_lo, exec_lo, s43
	s_and_b32 s1, s1, exec_lo
	s_or_saveexec_b32 s23, s23
	v_mov_b32_e32 v3, 0x7f800001
	s_xor_b32 exec_lo, exec_lo, s23
	s_cbranch_execnz .LBB144_711
.LBB144_691:
	s_or_b32 exec_lo, exec_lo, s23
	s_and_saveexec_b32 s23, s1
	s_cbranch_execz .LBB144_693
.LBB144_692:
	v_and_b32_e32 v3, 0xffff, v4
	v_lshlrev_b32_e32 v4, 24, v4
	v_and_b32_e32 v5, 3, v3
	v_bfe_u32 v9, v3, 2, 5
	v_and_b32_e32 v4, 0x80000000, v4
	v_ffbh_u32_e32 v6, v5
	v_cmp_eq_u32_e32 vcc_lo, 0, v9
	v_min_u32_e32 v6, 32, v6
	v_subrev_nc_u32_e32 v7, 29, v6
	v_sub_nc_u32_e32 v6, 30, v6
	v_lshlrev_b32_e32 v3, v7, v3
	v_cndmask_b32_e32 v6, v9, v6, vcc_lo
	v_and_b32_e32 v3, 3, v3
	v_cndmask_b32_e32 v3, v5, v3, vcc_lo
	v_lshl_add_u32 v5, v6, 23, 0x37800000
	v_lshlrev_b32_e32 v3, 21, v3
	v_or3_b32 v3, v4, v5, v3
.LBB144_693:
	s_or_b32 exec_lo, exec_lo, s23
	s_mov_b32 s1, 0
	s_branch .LBB144_699
.LBB144_694:
	s_mov_b32 s23, -1
                                        ; implicit-def: $vgpr3
	s_branch .LBB144_705
.LBB144_695:
	s_or_saveexec_b32 s23, s23
	v_mov_b32_e32 v3, 0x7f800001
	s_xor_b32 exec_lo, exec_lo, s23
	s_cbranch_execz .LBB144_678
.LBB144_696:
	v_cmp_ne_u16_e32 vcc_lo, 0, v4
	v_mov_b32_e32 v3, 0
	s_andn2_b32 s1, s1, exec_lo
	s_and_b32 s43, vcc_lo, exec_lo
	s_or_b32 s1, s1, s43
	s_or_b32 exec_lo, exec_lo, s23
	s_and_saveexec_b32 s23, s1
	s_cbranch_execnz .LBB144_679
	s_branch .LBB144_680
.LBB144_697:
	s_mov_b32 s1, -1
                                        ; implicit-def: $vgpr3
	s_branch .LBB144_702
.LBB144_698:
	s_mov_b32 s1, -1
                                        ; implicit-def: $vgpr3
.LBB144_699:
	s_and_b32 vcc_lo, exec_lo, s1
	s_cbranch_vccz .LBB144_701
; %bb.700:
	global_load_ubyte v3, v[1:2], off
	s_waitcnt vmcnt(0)
	v_lshlrev_b32_e32 v3, 24, v3
	v_and_b32_e32 v4, 0x7f000000, v3
	v_ffbh_u32_e32 v5, v4
	v_add_nc_u32_e32 v7, 0x1000000, v4
	v_cmp_ne_u32_e32 vcc_lo, 0, v4
	v_min_u32_e32 v5, 32, v5
	v_sub_nc_u32_e64 v5, v5, 4 clamp
	v_lshlrev_b32_e32 v6, v5, v4
	v_lshlrev_b32_e32 v5, 23, v5
	v_lshrrev_b32_e32 v6, 4, v6
	v_sub_nc_u32_e32 v5, v6, v5
	v_ashrrev_i32_e32 v6, 8, v7
	v_add_nc_u32_e32 v5, 0x3c000000, v5
	v_and_or_b32 v5, 0x7f800000, v6, v5
	v_cndmask_b32_e32 v4, 0, v5, vcc_lo
	v_and_or_b32 v3, 0x80000000, v3, v4
.LBB144_701:
	s_mov_b32 s1, 0
.LBB144_702:
	s_andn2_b32 vcc_lo, exec_lo, s1
	s_cbranch_vccnz .LBB144_704
; %bb.703:
	global_load_ubyte v3, v[1:2], off
	s_waitcnt vmcnt(0)
	v_lshlrev_b32_e32 v4, 25, v3
	v_lshlrev_b16 v3, 8, v3
	v_lshrrev_b32_e32 v5, 4, v4
	v_and_or_b32 v6, 0x7f00, v3, 0.5
	v_cmp_gt_u32_e32 vcc_lo, 0x8000000, v4
	v_bfe_i32 v3, v3, 0, 16
	v_or_b32_e32 v5, 0x70000000, v5
	v_add_f32_e32 v6, -0.5, v6
	v_mul_f32_e32 v5, 0x7800000, v5
	v_cndmask_b32_e32 v4, v5, v6, vcc_lo
	v_and_or_b32 v3, 0x80000000, v3, v4
.LBB144_704:
	s_mov_b32 s23, 0
	s_mov_b32 s1, -1
.LBB144_705:
	s_andn2_b32 vcc_lo, exec_lo, s23
	s_cbranch_vccnz .LBB144_718
; %bb.706:
	s_cmp_gt_i32 s0, 14
	s_cbranch_scc0 .LBB144_709
; %bb.707:
	s_cmp_eq_u32 s0, 15
	s_cbranch_scc0 .LBB144_712
; %bb.708:
	global_load_ushort v3, v[1:2], off
	s_mov_b32 s1, -1
	s_mov_b32 s22, 0
	s_waitcnt vmcnt(0)
	v_lshlrev_b32_e32 v3, 16, v3
	s_branch .LBB144_713
.LBB144_709:
	s_mov_b32 s23, -1
                                        ; implicit-def: $vgpr3
	s_branch .LBB144_714
.LBB144_710:
	s_or_saveexec_b32 s23, s23
	v_mov_b32_e32 v3, 0x7f800001
	s_xor_b32 exec_lo, exec_lo, s23
	s_cbranch_execz .LBB144_691
.LBB144_711:
	v_cmp_ne_u16_e32 vcc_lo, 0, v4
	v_mov_b32_e32 v3, 0
	s_andn2_b32 s1, s1, exec_lo
	s_and_b32 s43, vcc_lo, exec_lo
	s_or_b32 s1, s1, s43
	s_or_b32 exec_lo, exec_lo, s23
	s_and_saveexec_b32 s23, s1
	s_cbranch_execnz .LBB144_692
	s_branch .LBB144_693
.LBB144_712:
	s_mov_b32 s22, -1
                                        ; implicit-def: $vgpr3
.LBB144_713:
	s_mov_b32 s23, 0
.LBB144_714:
	s_and_b32 vcc_lo, exec_lo, s23
	s_cbranch_vccz .LBB144_718
; %bb.715:
	s_cmp_eq_u32 s0, 11
	s_cbranch_scc0 .LBB144_717
; %bb.716:
	global_load_ubyte v3, v[1:2], off
	s_mov_b32 s22, 0
	s_mov_b32 s1, -1
	s_waitcnt vmcnt(0)
	v_cmp_ne_u16_e32 vcc_lo, 0, v3
	v_cndmask_b32_e64 v3, 0, 1.0, vcc_lo
	s_branch .LBB144_718
.LBB144_717:
	s_mov_b32 s22, -1
                                        ; implicit-def: $vgpr3
.LBB144_718:
	s_mov_b32 s23, 0
.LBB144_719:
	s_and_b32 vcc_lo, exec_lo, s23
	s_cbranch_vccz .LBB144_768
; %bb.720:
	s_cmp_lt_i32 s0, 5
	s_cbranch_scc1 .LBB144_725
; %bb.721:
	s_cmp_lt_i32 s0, 8
	s_cbranch_scc1 .LBB144_726
	;; [unrolled: 3-line block ×3, first 2 shown]
; %bb.723:
	s_cmp_gt_i32 s0, 9
	s_cbranch_scc0 .LBB144_728
; %bb.724:
	global_load_dwordx2 v[3:4], v[1:2], off
	s_mov_b32 s1, 0
	s_waitcnt vmcnt(0)
	v_cvt_f32_f64_e32 v3, v[3:4]
	s_branch .LBB144_729
.LBB144_725:
	s_mov_b32 s1, -1
                                        ; implicit-def: $vgpr3
	s_branch .LBB144_747
.LBB144_726:
	s_mov_b32 s1, -1
                                        ; implicit-def: $vgpr3
	s_branch .LBB144_735
.LBB144_727:
	s_mov_b32 s1, -1
                                        ; implicit-def: $vgpr3
	s_branch .LBB144_732
.LBB144_728:
	s_mov_b32 s1, -1
                                        ; implicit-def: $vgpr3
.LBB144_729:
	s_andn2_b32 vcc_lo, exec_lo, s1
	s_cbranch_vccnz .LBB144_731
; %bb.730:
	global_load_dword v3, v[1:2], off
.LBB144_731:
	s_mov_b32 s1, 0
.LBB144_732:
	s_andn2_b32 vcc_lo, exec_lo, s1
	s_cbranch_vccnz .LBB144_734
; %bb.733:
	global_load_dword v3, v[1:2], off
	s_waitcnt vmcnt(0)
	v_cvt_f32_f16_e32 v3, v3
.LBB144_734:
	s_mov_b32 s1, 0
.LBB144_735:
	s_andn2_b32 vcc_lo, exec_lo, s1
	s_cbranch_vccnz .LBB144_746
; %bb.736:
	s_cmp_lt_i32 s0, 6
	s_cbranch_scc1 .LBB144_739
; %bb.737:
	s_cmp_gt_i32 s0, 6
	s_cbranch_scc0 .LBB144_740
; %bb.738:
	global_load_dwordx2 v[3:4], v[1:2], off
	s_mov_b32 s1, 0
	s_waitcnt vmcnt(0)
	v_cvt_f32_f64_e32 v3, v[3:4]
	s_branch .LBB144_741
.LBB144_739:
	s_mov_b32 s1, -1
                                        ; implicit-def: $vgpr3
	s_branch .LBB144_744
.LBB144_740:
	s_mov_b32 s1, -1
                                        ; implicit-def: $vgpr3
.LBB144_741:
	s_andn2_b32 vcc_lo, exec_lo, s1
	s_cbranch_vccnz .LBB144_743
; %bb.742:
	global_load_dword v3, v[1:2], off
.LBB144_743:
	s_mov_b32 s1, 0
.LBB144_744:
	s_andn2_b32 vcc_lo, exec_lo, s1
	s_cbranch_vccnz .LBB144_746
; %bb.745:
	global_load_ushort v3, v[1:2], off
	s_waitcnt vmcnt(0)
	v_cvt_f32_f16_e32 v3, v3
.LBB144_746:
	s_mov_b32 s1, 0
.LBB144_747:
	s_andn2_b32 vcc_lo, exec_lo, s1
	s_cbranch_vccnz .LBB144_767
; %bb.748:
	s_cmp_lt_i32 s0, 2
	s_cbranch_scc1 .LBB144_752
; %bb.749:
	s_cmp_lt_i32 s0, 3
	s_cbranch_scc1 .LBB144_753
; %bb.750:
	s_cmp_gt_i32 s0, 3
	s_cbranch_scc0 .LBB144_754
; %bb.751:
	global_load_dwordx2 v[3:4], v[1:2], off
	s_mov_b32 s1, 0
	s_waitcnt vmcnt(0)
	v_xor_b32_e32 v5, v3, v4
	v_ffbh_i32_e32 v6, v4
	v_ashrrev_i32_e32 v5, 31, v5
	v_add_nc_u32_e32 v6, -1, v6
	v_add_nc_u32_e32 v5, 32, v5
	v_min_u32_e32 v5, v6, v5
	v_lshlrev_b64 v[3:4], v5, v[3:4]
	v_min_u32_e32 v3, 1, v3
	v_or_b32_e32 v3, v4, v3
	v_sub_nc_u32_e32 v4, 32, v5
	v_cvt_f32_i32_e32 v3, v3
	v_ldexp_f32 v3, v3, v4
	s_branch .LBB144_755
.LBB144_752:
	s_mov_b32 s1, -1
                                        ; implicit-def: $vgpr3
	s_branch .LBB144_761
.LBB144_753:
	s_mov_b32 s1, -1
                                        ; implicit-def: $vgpr3
	s_branch .LBB144_758
.LBB144_754:
	s_mov_b32 s1, -1
                                        ; implicit-def: $vgpr3
.LBB144_755:
	s_andn2_b32 vcc_lo, exec_lo, s1
	s_cbranch_vccnz .LBB144_757
; %bb.756:
	global_load_dword v3, v[1:2], off
	s_waitcnt vmcnt(0)
	v_cvt_f32_i32_e32 v3, v3
.LBB144_757:
	s_mov_b32 s1, 0
.LBB144_758:
	s_andn2_b32 vcc_lo, exec_lo, s1
	s_cbranch_vccnz .LBB144_760
; %bb.759:
	global_load_sshort v3, v[1:2], off
	s_waitcnt vmcnt(0)
	v_cvt_f32_i32_e32 v3, v3
.LBB144_760:
	s_mov_b32 s1, 0
.LBB144_761:
	s_andn2_b32 vcc_lo, exec_lo, s1
	s_cbranch_vccnz .LBB144_767
; %bb.762:
	s_cmp_gt_i32 s0, 0
	s_mov_b32 s0, 0
	s_cbranch_scc0 .LBB144_764
; %bb.763:
	global_load_sbyte v3, v[1:2], off
	s_waitcnt vmcnt(0)
	v_cvt_f32_i32_e32 v3, v3
	s_branch .LBB144_765
.LBB144_764:
	s_mov_b32 s0, -1
                                        ; implicit-def: $vgpr3
.LBB144_765:
	s_andn2_b32 vcc_lo, exec_lo, s0
	s_cbranch_vccnz .LBB144_767
; %bb.766:
	global_load_ubyte v1, v[1:2], off
	s_waitcnt vmcnt(0)
	v_cvt_f32_ubyte0_e32 v3, v1
.LBB144_767:
	s_mov_b32 s1, -1
.LBB144_768:
	s_andn2_b32 vcc_lo, exec_lo, s1
	s_cbranch_vccnz .LBB144_814
; %bb.769:
	s_waitcnt vmcnt(0)
	v_and_b32_e32 v1, 0x7fffffff, v3
	s_mov_b32 s1, exec_lo
                                        ; implicit-def: $vgpr2
	v_cmpx_ngt_f32_e64 0x3c800000, |v3|
	s_xor_b32 s1, exec_lo, s1
	s_cbranch_execz .LBB144_799
; %bb.770:
	s_mov_b32 s23, exec_lo
                                        ; implicit-def: $vgpr2
	v_cmpx_nlt_f32_e64 |v3|, 2.0
	s_xor_b32 s23, exec_lo, s23
	s_cbranch_execz .LBB144_780
; %bb.771:
	v_cmp_ngt_f32_e64 s0, 0x41000000, |v3|
                                        ; implicit-def: $vgpr2
	s_and_saveexec_b32 s43, s0
	s_xor_b32 s0, exec_lo, s43
	s_cbranch_execz .LBB144_777
; %bb.772:
	v_cmp_ngt_f32_e64 s43, 0x5c800000, |v3|
                                        ; implicit-def: $vgpr2
	s_and_saveexec_b32 s44, s43
	s_xor_b32 s43, exec_lo, s44
	s_cbranch_execz .LBB144_774
; %bb.773:
	v_cmp_gt_f32_e64 s44, 0x800000, |v3|
	v_cndmask_b32_e64 v2, 0, 32, s44
	v_ldexp_f32 v2, |v3|, v2
	v_log_f32_e32 v2, v2
	v_mul_f32_e32 v4, 0x3f317217, v2
	v_cmp_gt_f32_e64 vcc_lo, 0x7f800000, |v2|
	v_fma_f32 v5, 0x3f317217, v2, -v4
	v_fmamk_f32 v5, v2, 0x3377d1cf, v5
	v_add_f32_e32 v4, v4, v5
	v_cndmask_b32_e32 v2, v2, v4, vcc_lo
	v_cndmask_b32_e64 v4, 0, 0x41b17218, s44
	v_sub_f32_e32 v2, v2, v4
	v_fma_f32 v2, |v3|, v2, -|v3|
.LBB144_774:
	s_andn2_saveexec_b32 s43, s43
	s_cbranch_execz .LBB144_776
; %bb.775:
	v_cmp_gt_f32_e64 s44, 0x800000, |v3|
	v_rcp_f32_e64 v4, |v3|
	s_mov_b32 s45, 0xbad5c4e8
	v_cndmask_b32_e64 v2, 0, 32, s44
	v_ldexp_f32 v2, |v3|, v2
	v_mul_f32_e32 v5, v4, v4
	v_log_f32_e32 v2, v2
	v_fmaak_f32 v7, s45, v5, 0x3a5b3dd2
	v_fmaak_f32 v7, v5, v7, 0xba1c065c
	v_mul_f32_e32 v6, 0x3f317217, v2
	v_fmaak_f32 v7, v5, v7, 0x3a500cfd
	v_cmp_gt_f32_e64 vcc_lo, 0x7f800000, |v2|
	v_fma_f32 v9, 0x3f317217, v2, -v6
	v_fmaak_f32 v7, v5, v7, 0xbb360b61
	v_fmamk_f32 v9, v2, 0x3377d1cf, v9
	v_fmaak_f32 v5, v5, v7, 0x3daaaaab
	v_add_f32_e32 v6, v6, v9
	v_cndmask_b32_e32 v2, v2, v6, vcc_lo
	v_cndmask_b32_e64 v6, 0, 0x41b17218, s44
	v_sub_f32_e32 v6, v2, v6
	v_fmaak_f32 v2, v4, v5, 0x3ed67f1d
	v_add_f32_e64 v4, |v3|, -0.5
	v_add_f32_e32 v5, -1.0, v6
	v_fmac_f32_e32 v2, v4, v5
.LBB144_776:
	s_or_b32 exec_lo, exec_lo, s43
.LBB144_777:
	s_andn2_saveexec_b32 s43, s0
	s_cbranch_execz .LBB144_779
; %bb.778:
	v_cvt_i32_f32_e32 v2, v1
	s_mov_b32 s0, 0x36f5d7bd
	s_mov_b32 s44, 0x3805ff67
	v_cvt_f32_i32_e32 v4, v2
	v_cmp_lt_i32_e32 vcc_lo, 2, v2
	v_sub_f32_e64 v4, |v3|, v4
	v_add_f32_e32 v5, 2.0, v4
	v_add_f32_e32 v6, 0x40400000, v4
	v_add_f32_e32 v7, 4.0, v4
	v_add_f32_e32 v9, 0x40a00000, v4
	v_cndmask_b32_e32 v5, 1.0, v5, vcc_lo
	v_cmp_lt_i32_e32 vcc_lo, 3, v2
	v_cndmask_b32_e32 v6, 1.0, v6, vcc_lo
	v_cmp_lt_i32_e32 vcc_lo, 4, v2
	v_mul_f32_e32 v5, v5, v6
	v_cndmask_b32_e32 v7, 1.0, v7, vcc_lo
	v_cmp_lt_i32_e32 vcc_lo, 5, v2
	v_add_f32_e32 v6, 0x40c00000, v4
	v_mul_f32_e32 v5, v7, v5
	v_cndmask_b32_e32 v9, 1.0, v9, vcc_lo
	v_cmp_lt_i32_e32 vcc_lo, 6, v2
	v_fmaak_f32 v7, s44, v4, 0x3af135b4
	v_mul_f32_e32 v5, v9, v5
	v_cndmask_b32_e32 v2, 1.0, v6, vcc_lo
	v_mul_f32_e32 v2, v2, v5
	v_fmaak_f32 v5, s0, v4, 0x3a4beed6
	v_cmp_gt_f32_e32 vcc_lo, 0x800000, v2
	v_fmaak_f32 v5, v4, v5, 0x3c98bf54
	v_cndmask_b32_e64 v6, 0, 32, vcc_lo
	v_fmaak_f32 v5, v4, v5, 0x3e300f6e
	v_ldexp_f32 v2, v2, v6
	v_fmaak_f32 v6, v4, v7, 0x3cda40e4
	v_fmaak_f32 v5, v4, v5, 0x3f38d0c5
	v_log_f32_e32 v2, v2
	v_fmaak_f32 v6, v4, v6, 0x3e15dce6
	v_fmaak_f32 v5, v4, v5, 0x3fb22d3b
	;; [unrolled: 1-line block ×3, first 2 shown]
	v_fma_f32 v5, v4, v5, 1.0
	v_mul_f32_e32 v7, 0x3f317217, v2
	v_fmaak_f32 v6, v4, v6, 0x3e5c245a
	v_rcp_f32_e32 v5, v5
	v_cmp_gt_f32_e64 s0, 0x7f800000, |v2|
	v_fma_f32 v9, 0x3f317217, v2, -v7
	v_fmaak_f32 v6, v4, v6, 0xbd9e233f
	v_fmamk_f32 v9, v2, 0x3377d1cf, v9
	v_mul_f32_e32 v6, v4, v6
	v_add_f32_e32 v7, v7, v9
	v_mul_f32_e32 v5, v6, v5
	v_cndmask_b32_e64 v6, 0, 0x41b17218, vcc_lo
	v_cndmask_b32_e64 v2, v2, v7, s0
	v_fmac_f32_e32 v5, 0.5, v4
	v_sub_f32_e32 v2, v2, v6
	v_add_f32_e32 v2, v2, v5
.LBB144_779:
	s_or_b32 exec_lo, exec_lo, s43
.LBB144_780:
	s_andn2_saveexec_b32 s23, s23
	s_cbranch_execz .LBB144_798
; %bb.781:
	s_mov_b32 s43, exec_lo
                                        ; implicit-def: $vgpr2
                                        ; implicit-def: $vgpr5
                                        ; implicit-def: $vgpr4
	v_cmpx_ge_f32_e64 0x3f666666, |v3|
	s_xor_b32 s43, exec_lo, s43
	s_cbranch_execz .LBB144_783
; %bb.782:
	v_cmp_gt_f32_e64 s0, 0x800000, |v3|
	v_sub_f32_e64 v6, 1.0, |v3|
	v_cmp_gt_f32_e64 vcc_lo, 0x3f3b4a23, |v3|
	v_cndmask_b32_e64 v2, 0, 32, s0
	v_cndmask_b32_e64 v7, 0, 0x41b17218, s0
	v_ldexp_f32 v2, |v3|, v2
	v_log_f32_e32 v2, v2
	v_mul_f32_e32 v4, 0x3f317217, v2
	v_cmp_gt_f32_e64 s0, 0x7f800000, |v2|
	v_fma_f32 v5, 0x3f317217, v2, -v4
	v_fmamk_f32 v5, v2, 0x3377d1cf, v5
	v_add_f32_e32 v4, v4, v5
	v_add_f32_e64 v5, 0xbeec5b0c, |v3|
	v_cndmask_b32_e64 v2, v2, v4, s0
	v_cndmask_b32_e32 v4, v6, v5, vcc_lo
	v_cndmask_b32_e64 v5, 0, 1, vcc_lo
	v_cmp_gt_f32_e64 s0, 0x3e6d3309, |v3|
	v_sub_f32_e32 v2, v2, v7
	v_cndmask_b32_e64 v4, v4, |v3|, s0
	v_cndmask_b32_e64 v5, v5, 2, s0
	v_xor_b32_e32 v2, 0x80000000, v2
.LBB144_783:
	s_andn2_saveexec_b32 s0, s43
	s_cbranch_execz .LBB144_785
; %bb.784:
	v_sub_f32_e64 v2, 2.0, |v3|
	v_add_f32_e64 v4, 0xbfbb16c3, |v3|
	v_cmp_gt_f32_e64 vcc_lo, 0x3fdda512, |v3|
	v_add_f32_e64 v5, |v3|, -1.0
	v_cndmask_b32_e32 v4, v2, v4, vcc_lo
	v_cndmask_b32_e64 v2, v2, 1.0, vcc_lo
	v_cmp_gt_f32_e64 vcc_lo, 0x3f9d70a4, |v3|
	v_cvt_i32_f32_e32 v2, v2
	v_cndmask_b32_e32 v4, v4, v5, vcc_lo
	v_cndmask_b32_e64 v5, v2, 2, vcc_lo
	v_mov_b32_e32 v2, 0
.LBB144_785:
	s_or_b32 exec_lo, exec_lo, s0
	s_mov_b32 s0, exec_lo
	v_cmpx_lt_i32_e32 0, v5
	s_xor_b32 s0, exec_lo, s0
	s_cbranch_execz .LBB144_793
; %bb.786:
	s_mov_b32 s43, exec_lo
	v_cmpx_lt_i32_e32 1, v5
	s_xor_b32 s43, exec_lo, s43
	s_cbranch_execz .LBB144_790
; %bb.787:
	s_mov_b32 s44, exec_lo
	v_cmpx_eq_u32_e32 2, v5
	s_cbranch_execz .LBB144_789
; %bb.788:
	s_mov_b32 s45, 0x3b52d5db
	v_fmaak_f32 v5, s45, v4, 0x3dd572af
	s_mov_b32 s45, 0x3c5b3c5e
	v_fmaak_f32 v6, s45, v4, 0x3e6a7578
	v_fmaak_f32 v5, v4, v5, 0x3f44efdf
	;; [unrolled: 1-line block ×7, first 2 shown]
	v_fma_f32 v5, v4, v5, 1.0
	v_fmaak_f32 v6, v4, v6, 0xbd9e233f
	v_rcp_f32_e32 v5, v5
	v_mul_f32_e32 v6, v4, v6
	v_mul_f32_e32 v5, v6, v5
	v_fmac_f32_e32 v5, -0.5, v4
	v_add_f32_e32 v2, v2, v5
.LBB144_789:
	s_or_b32 exec_lo, exec_lo, s44
                                        ; implicit-def: $vgpr4
.LBB144_790:
	s_andn2_saveexec_b32 s43, s43
	s_cbranch_execz .LBB144_792
; %bb.791:
	v_mul_f32_e32 v5, v4, v4
	s_mov_b32 s44, 0xb9a3f927
	s_mov_b32 s45, 0x39afe9f7
	v_mul_f32_e32 v6, v4, v5
	v_fmaak_f32 v7, s44, v6, 0x3a66f867
	v_fmaak_f32 v9, s45, v6, 0xba0d3085
	s_mov_b32 s44, 0x39a57b6b
	v_fmaak_f32 v10, s44, v6, 0xbab7f476
	v_fmaak_f32 v7, v6, v7, 0xbb7177fe
	;; [unrolled: 1-line block ×9, first 2 shown]
	v_fmac_f32_e32 v7, v4, v9
	v_fmaak_f32 v4, v6, v10, 0x3ef7b95e
	v_fma_f32 v6, v6, -v7, 0xa2863e55
	v_fma_f32 v4, v5, v4, -v6
	v_add_f32_e32 v4, 0xbdf8cdce, v4
	v_add_f32_e32 v2, v2, v4
.LBB144_792:
	s_or_b32 exec_lo, exec_lo, s43
                                        ; implicit-def: $vgpr5
                                        ; implicit-def: $vgpr4
.LBB144_793:
	s_andn2_saveexec_b32 s0, s0
	s_cbranch_execz .LBB144_797
; %bb.794:
	s_mov_b32 s43, exec_lo
	v_cmpx_eq_u32_e32 0, v5
	s_cbranch_execz .LBB144_796
; %bb.795:
	v_mul_f32_e32 v5, v4, v4
	s_mov_b32 s44, 0x383c2c75
	v_fmaak_f32 v6, s44, v5, 0x38e28445
	s_mov_b32 s44, 0x37d383a2
	v_fmaak_f32 v7, s44, v5, 0x39679767
	v_fmaak_f32 v6, v5, v6, 0x3a05b634
	;; [unrolled: 1-line block ×9, first 2 shown]
	v_mul_f32_e32 v5, v5, v6
	v_fmac_f32_e32 v5, v4, v7
	v_fmac_f32_e32 v5, -0.5, v4
	v_add_f32_e32 v2, v2, v5
.LBB144_796:
	s_or_b32 exec_lo, exec_lo, s43
.LBB144_797:
	s_or_b32 exec_lo, exec_lo, s0
.LBB144_798:
	s_or_b32 exec_lo, exec_lo, s23
.LBB144_799:
	s_andn2_saveexec_b32 s0, s1
	s_cbranch_execz .LBB144_801
; %bb.800:
	v_cmp_gt_f32_e64 s1, 0x800000, |v3|
	s_mov_b32 s23, 0x3e8a8991
	v_fma_f32 v6, |v3|, s23, 0xbecd26ab
	v_cndmask_b32_e64 v2, 0, 32, s1
	v_ldexp_f32 v2, |v3|, v2
	v_log_f32_e32 v2, v2
	v_mul_f32_e32 v4, 0x3f317217, v2
	v_cmp_gt_f32_e64 vcc_lo, 0x7f800000, |v2|
	v_fma_f32 v5, 0x3f317217, v2, -v4
	v_fmamk_f32 v5, v2, 0x3377d1cf, v5
	v_add_f32_e32 v4, v4, v5
	v_fma_f32 v5, |v3|, v6, 0x3f528d33
	v_cndmask_b32_e32 v2, v2, v4, vcc_lo
	v_cndmask_b32_e64 v4, 0, 0x41b17218, s1
	v_fma_f32 v5, |v3|, v5, 0xbf13c468
	v_sub_f32_e32 v2, v2, v4
	v_fma_f32 v2, |v3|, v5, -v2
.LBB144_801:
	s_or_b32 exec_lo, exec_lo, s0
	v_cmp_le_f32_e32 vcc_lo, 0, v3
	s_mov_b32 s1, exec_lo
	v_cmpx_nle_f32_e32 0, v3
	s_xor_b32 s23, exec_lo, s1
	s_cbranch_execz .LBB144_805
; %bb.802:
	v_cmp_gt_f32_e64 s0, 0x4b000000, |v3|
	v_cmp_lt_f32_e64 s1, 0x35000000, |v3|
	s_and_b32 s0, s0, s1
	s_and_saveexec_b32 s43, s0
	s_cbranch_execz .LBB144_804
; %bb.803:
	v_mul_f32_e64 v4, |v3|, 0.5
	s_mov_b32 s1, 0x3d4be544
	v_xor_b32_e32 v1, v1, v3
	v_floor_f32_e32 v5, v4
	v_cmp_neq_f32_e64 s0, 0x7f800000, v4
	v_sub_f32_e32 v5, v4, v5
	v_min_f32_e32 v5, 0x3f7fffff, v5
	v_add_f32_e32 v5, v5, v5
	v_cndmask_b32_e64 v4, 0, v5, s0
	v_cmp_gt_f32_e64 s0, |v3|, 1.0
	v_cndmask_b32_e64 v4, |v3|, v4, s0
	s_mov_b32 s0, 0x3e75aa41
	v_add_f32_e32 v5, v4, v4
	v_rndne_f32_e32 v5, v5
	v_fmac_f32_e32 v4, -0.5, v5
	v_cvt_i32_f32_e32 v5, v5
	v_mul_f32_e32 v6, v4, v4
	v_fmaak_f32 v7, s0, v6, 0xbf1f24be
	v_fmaak_f32 v9, s1, v6, 0x3e642e9d
	v_mul_f32_e32 v10, v4, v6
	v_fmaak_f32 v7, v6, v7, 0x40234736
	v_fmaak_f32 v9, v6, v9, 0xbfaad1da
	;; [unrolled: 1-line block ×4, first 2 shown]
	v_mul_f32_e32 v7, v10, v7
	v_fmaak_f32 v9, v6, v9, 0xc09de9e6
	v_and_b32_e32 v10, 1, v5
	v_lshlrev_b32_e32 v5, 30, v5
	v_fmamk_f32 v4, v4, 0x40490fdb, v7
	v_fma_f32 v6, v6, v9, 1.0
	v_cmp_eq_u32_e64 s0, 0, v10
	v_and_b32_e32 v5, 0x80000000, v5
	v_cndmask_b32_e64 v4, v6, v4, s0
	v_xor3_b32 v1, v1, v5, v4
	v_mul_f32_e32 v1, v3, v1
	v_frexp_mant_f32_e64 v4, |v1|
	v_frexp_exp_i32_f32_e32 v1, v1
	v_rcp_f32_e32 v4, v4
	v_sub_nc_u32_e32 v1, 2, v1
	v_mul_f32_e32 v4, 0x3f490fdb, v4
	v_ldexp_f32 v1, v4, v1
	v_cmp_gt_f32_e64 s0, 0x800000, v1
	v_cndmask_b32_e64 v4, 0, 32, s0
	v_ldexp_f32 v1, v1, v4
	v_log_f32_e32 v1, v1
	v_mul_f32_e32 v4, 0x3f317217, v1
	v_cmp_gt_f32_e64 s1, 0x7f800000, |v1|
	v_fma_f32 v5, 0x3f317217, v1, -v4
	v_fmamk_f32 v5, v1, 0x3377d1cf, v5
	v_add_f32_e32 v4, v4, v5
	v_floor_f32_e32 v5, v3
	v_cndmask_b32_e64 v1, v1, v4, s1
	v_cndmask_b32_e64 v4, 0, 0x41b17218, s0
	v_sub_f32_e32 v5, v3, v5
	v_sub_f32_e32 v1, v1, v4
	v_min_f32_e32 v4, 0x3f7fffff, v5
	v_sub_f32_e32 v1, v1, v2
	v_cmp_neq_f32_e64 s0, 0, v4
	v_cndmask_b32_e64 v2, 0x7f800000, v1, s0
.LBB144_804:
	s_or_b32 exec_lo, exec_lo, s43
.LBB144_805:
	s_andn2_saveexec_b32 s23, s23
; %bb.806:
	v_cmp_eq_f32_e64 s0, 1.0, v3
	v_cmp_eq_f32_e64 s1, 2.0, v3
	s_or_b32 s0, s0, s1
	v_cndmask_b32_e64 v2, v2, 0, s0
; %bb.807:
	s_or_b32 exec_lo, exec_lo, s23
	v_cmp_gt_f32_e64 s0, 0x4b000000, |v3|
	s_and_b32 s1, s29, 0xff
	s_or_b32 vcc_lo, vcc_lo, s0
	v_cmp_class_f32_e64 s0, v3, 0x264
	v_cndmask_b32_e32 v1, 0x7f800000, v2, vcc_lo
	v_cmp_u_f32_e32 vcc_lo, v3, v3
	s_cmp_lt_i32 s1, 11
	v_cndmask_b32_e64 v2, v1, 0x7f800000, s0
	v_add_co_u32 v0, s0, s8, v0
	v_add_co_ci_u32_e64 v1, null, s9, 0, s0
	v_cndmask_b32_e32 v2, v2, v3, vcc_lo
	s_cbranch_scc1 .LBB144_815
; %bb.808:
	s_and_b32 s23, 0xffff, s1
	s_cmp_gt_i32 s23, 25
	s_cbranch_scc0 .LBB144_816
; %bb.809:
	s_cmp_gt_i32 s23, 28
	s_cbranch_scc0 .LBB144_817
; %bb.810:
	;; [unrolled: 3-line block ×4, first 2 shown]
	s_mov_b32 s44, 0
	s_mov_b32 s0, -1
	s_cmp_eq_u32 s23, 46
	s_mov_b32 s43, 0
	s_cbranch_scc0 .LBB144_820
; %bb.813:
	v_bfe_u32 v3, v2, 16, 1
	v_cmp_o_f32_e32 vcc_lo, v2, v2
	v_mov_b32_e32 v4, 0x7fc0
	s_mov_b32 s43, -1
	s_mov_b32 s0, 0
	v_add3_u32 v3, v2, v3, 0x7fff
	v_cndmask_b32_sdwa v3, v4, v3, vcc_lo dst_sel:DWORD dst_unused:UNUSED_PAD src0_sel:DWORD src1_sel:WORD_1
	global_store_dword v[0:1], v3, off
	s_branch .LBB144_820
.LBB144_814:
	s_mov_b32 s1, 0
	s_mov_b32 s0, s40
	s_branch .LBB144_931
.LBB144_815:
	s_mov_b32 s23, -1
	s_mov_b32 s43, 0
	s_mov_b32 s0, s40
	s_branch .LBB144_889
.LBB144_816:
	s_mov_b32 s44, -1
	s_mov_b32 s43, 0
	s_mov_b32 s0, s40
	s_branch .LBB144_847
.LBB144_817:
	s_mov_b32 s44, -1
	s_mov_b32 s43, 0
	s_mov_b32 s0, s40
	s_branch .LBB144_830
.LBB144_818:
	s_mov_b32 s44, -1
	s_mov_b32 s43, 0
	s_mov_b32 s0, s40
	s_branch .LBB144_826
.LBB144_819:
	s_mov_b32 s44, -1
	s_mov_b32 s43, 0
	s_mov_b32 s0, s40
.LBB144_820:
	s_and_b32 vcc_lo, exec_lo, s44
	s_cbranch_vccz .LBB144_825
; %bb.821:
	s_cmp_eq_u32 s23, 44
	s_mov_b32 s0, -1
	s_cbranch_scc0 .LBB144_825
; %bb.822:
	v_bfe_u32 v4, v2, 23, 8
	v_mov_b32_e32 v3, 0xff
	s_mov_b32 s43, exec_lo
	v_cmpx_ne_u32_e32 0xff, v4
	s_cbranch_execz .LBB144_824
; %bb.823:
	v_and_b32_e32 v3, 0x400000, v2
	v_and_or_b32 v4, 0x3fffff, v2, v4
	v_cmp_ne_u32_e32 vcc_lo, 0, v3
	v_cmp_ne_u32_e64 s0, 0, v4
	v_lshrrev_b32_e32 v3, 23, v2
	s_and_b32 s0, vcc_lo, s0
	v_cndmask_b32_e64 v4, 0, 1, s0
	v_add_nc_u32_e32 v3, v3, v4
.LBB144_824:
	s_or_b32 exec_lo, exec_lo, s43
	s_mov_b32 s43, -1
	s_mov_b32 s0, 0
	global_store_byte v[0:1], v3, off
.LBB144_825:
	s_mov_b32 s44, 0
.LBB144_826:
	s_and_b32 vcc_lo, exec_lo, s44
	s_cbranch_vccz .LBB144_829
; %bb.827:
	s_cmp_eq_u32 s23, 29
	s_mov_b32 s0, -1
	s_cbranch_scc0 .LBB144_829
; %bb.828:
	v_trunc_f32_e32 v3, v2
	s_mov_b32 s43, -1
	s_mov_b32 s0, 0
	s_mov_b32 s44, 0
	v_mul_f32_e32 v4, 0x2f800000, v3
	v_floor_f32_e32 v4, v4
	v_fmamk_f32 v3, v4, 0xcf800000, v3
	v_cvt_u32_f32_e32 v4, v4
	v_cvt_u32_f32_e32 v3, v3
	global_store_dwordx2 v[0:1], v[3:4], off
	s_branch .LBB144_830
.LBB144_829:
	s_mov_b32 s44, 0
.LBB144_830:
	s_and_b32 vcc_lo, exec_lo, s44
	s_cbranch_vccz .LBB144_846
; %bb.831:
	s_cmp_lt_i32 s23, 27
	s_mov_b32 s43, -1
	s_cbranch_scc1 .LBB144_837
; %bb.832:
	v_cvt_u32_f32_e32 v3, v2
	s_cmp_gt_i32 s23, 27
	s_cbranch_scc0 .LBB144_834
; %bb.833:
	s_mov_b32 s43, 0
	global_store_dword v[0:1], v3, off
.LBB144_834:
	s_andn2_b32 vcc_lo, exec_lo, s43
	s_cbranch_vccnz .LBB144_836
; %bb.835:
	global_store_short v[0:1], v3, off
.LBB144_836:
	s_mov_b32 s43, 0
.LBB144_837:
	s_andn2_b32 vcc_lo, exec_lo, s43
	s_cbranch_vccnz .LBB144_845
; %bb.838:
	v_and_b32_e32 v3, 0x7fffffff, v2
	v_mov_b32_e32 v4, 0x80
	s_mov_b32 s43, exec_lo
	v_cmpx_gt_u32_e32 0x43800000, v3
	s_cbranch_execz .LBB144_844
; %bb.839:
	v_cmp_lt_u32_e32 vcc_lo, 0x3bffffff, v3
	s_mov_b32 s44, 0
                                        ; implicit-def: $vgpr3
	s_and_saveexec_b32 s45, vcc_lo
	s_xor_b32 s45, exec_lo, s45
	s_cbranch_execz .LBB144_961
; %bb.840:
	v_bfe_u32 v3, v2, 20, 1
	s_mov_b32 s44, exec_lo
	v_add3_u32 v3, v2, v3, 0x487ffff
	v_lshrrev_b32_e32 v3, 20, v3
	s_andn2_saveexec_b32 s45, s45
	s_cbranch_execnz .LBB144_962
.LBB144_841:
	s_or_b32 exec_lo, exec_lo, s45
	v_mov_b32_e32 v4, 0
	s_and_saveexec_b32 s45, s44
.LBB144_842:
	v_lshrrev_b32_e32 v4, 24, v2
	v_and_or_b32 v4, 0x80, v4, v3
.LBB144_843:
	s_or_b32 exec_lo, exec_lo, s45
.LBB144_844:
	s_or_b32 exec_lo, exec_lo, s43
	global_store_byte v[0:1], v4, off
.LBB144_845:
	s_mov_b32 s43, -1
.LBB144_846:
	s_mov_b32 s44, 0
.LBB144_847:
	s_and_b32 vcc_lo, exec_lo, s44
	s_cbranch_vccz .LBB144_888
; %bb.848:
	s_cmp_gt_i32 s23, 22
	s_mov_b32 s44, -1
	s_cbranch_scc0 .LBB144_880
; %bb.849:
	s_cmp_lt_i32 s23, 24
	s_mov_b32 s43, -1
	s_cbranch_scc1 .LBB144_869
; %bb.850:
	s_cmp_gt_i32 s23, 24
	s_cbranch_scc0 .LBB144_858
; %bb.851:
	v_and_b32_e32 v3, 0x7fffffff, v2
	v_mov_b32_e32 v4, 0x80
	s_mov_b32 s43, exec_lo
	v_cmpx_gt_u32_e32 0x47800000, v3
	s_cbranch_execz .LBB144_857
; %bb.852:
	v_cmp_lt_u32_e32 vcc_lo, 0x37ffffff, v3
	s_mov_b32 s44, 0
                                        ; implicit-def: $vgpr3
	s_and_saveexec_b32 s45, vcc_lo
	s_xor_b32 s45, exec_lo, s45
	s_cbranch_execz .LBB144_964
; %bb.853:
	v_bfe_u32 v3, v2, 21, 1
	s_mov_b32 s44, exec_lo
	v_add3_u32 v3, v2, v3, 0x88fffff
	v_lshrrev_b32_e32 v3, 21, v3
	s_andn2_saveexec_b32 s45, s45
	s_cbranch_execnz .LBB144_965
.LBB144_854:
	s_or_b32 exec_lo, exec_lo, s45
	v_mov_b32_e32 v4, 0
	s_and_saveexec_b32 s45, s44
.LBB144_855:
	v_lshrrev_b32_e32 v4, 24, v2
	v_and_or_b32 v4, 0x80, v4, v3
.LBB144_856:
	s_or_b32 exec_lo, exec_lo, s45
.LBB144_857:
	s_or_b32 exec_lo, exec_lo, s43
	s_mov_b32 s43, 0
	global_store_byte v[0:1], v4, off
.LBB144_858:
	s_and_b32 vcc_lo, exec_lo, s43
	s_cbranch_vccz .LBB144_868
; %bb.859:
	v_and_b32_e32 v4, 0x7fffffff, v2
	s_mov_b32 s43, exec_lo
                                        ; implicit-def: $vgpr3
	v_cmpx_gt_u32_e32 0x43f00000, v4
	s_xor_b32 s43, exec_lo, s43
	s_cbranch_execz .LBB144_865
; %bb.860:
	s_mov_b32 s44, exec_lo
                                        ; implicit-def: $vgpr3
	v_cmpx_lt_u32_e32 0x3c7fffff, v4
	s_xor_b32 s44, exec_lo, s44
; %bb.861:
	v_bfe_u32 v3, v2, 20, 1
	v_add3_u32 v3, v2, v3, 0x407ffff
	v_and_b32_e32 v4, 0xff00000, v3
	v_lshrrev_b32_e32 v3, 20, v3
	v_cmp_ne_u32_e32 vcc_lo, 0x7f00000, v4
	v_cndmask_b32_e32 v3, 0x7e, v3, vcc_lo
; %bb.862:
	s_andn2_saveexec_b32 s44, s44
; %bb.863:
	v_add_f32_e64 v3, 0x46800000, |v2|
; %bb.864:
	s_or_b32 exec_lo, exec_lo, s44
                                        ; implicit-def: $vgpr4
.LBB144_865:
	s_andn2_saveexec_b32 s43, s43
; %bb.866:
	v_mov_b32_e32 v3, 0x7f
	v_cmp_lt_u32_e32 vcc_lo, 0x7f800000, v4
	v_cndmask_b32_e32 v3, 0x7e, v3, vcc_lo
; %bb.867:
	s_or_b32 exec_lo, exec_lo, s43
	v_lshrrev_b32_e32 v4, 24, v2
	v_and_or_b32 v3, 0x80, v4, v3
	global_store_byte v[0:1], v3, off
.LBB144_868:
	s_mov_b32 s43, 0
.LBB144_869:
	s_andn2_b32 vcc_lo, exec_lo, s43
	s_cbranch_vccnz .LBB144_879
; %bb.870:
	v_and_b32_e32 v4, 0x7fffffff, v2
	s_mov_b32 s43, exec_lo
                                        ; implicit-def: $vgpr3
	v_cmpx_gt_u32_e32 0x47800000, v4
	s_xor_b32 s43, exec_lo, s43
	s_cbranch_execz .LBB144_876
; %bb.871:
	s_mov_b32 s44, exec_lo
                                        ; implicit-def: $vgpr3
	v_cmpx_lt_u32_e32 0x387fffff, v4
	s_xor_b32 s44, exec_lo, s44
; %bb.872:
	v_bfe_u32 v3, v2, 21, 1
	v_add3_u32 v3, v2, v3, 0x80fffff
	v_lshrrev_b32_e32 v3, 21, v3
; %bb.873:
	s_andn2_saveexec_b32 s44, s44
; %bb.874:
	v_add_f32_e64 v3, 0x43000000, |v2|
; %bb.875:
	s_or_b32 exec_lo, exec_lo, s44
                                        ; implicit-def: $vgpr4
.LBB144_876:
	s_andn2_saveexec_b32 s43, s43
; %bb.877:
	v_mov_b32_e32 v3, 0x7f
	v_cmp_lt_u32_e32 vcc_lo, 0x7f800000, v4
	v_cndmask_b32_e32 v3, 0x7c, v3, vcc_lo
; %bb.878:
	s_or_b32 exec_lo, exec_lo, s43
	v_lshrrev_b32_e32 v4, 24, v2
	v_and_or_b32 v3, 0x80, v4, v3
	global_store_byte v[0:1], v3, off
.LBB144_879:
	s_mov_b32 s44, 0
	s_mov_b32 s43, -1
.LBB144_880:
	s_andn2_b32 vcc_lo, exec_lo, s44
	s_cbranch_vccnz .LBB144_888
; %bb.881:
	s_cmp_gt_i32 s23, 14
	s_mov_b32 s44, -1
	s_cbranch_scc0 .LBB144_885
; %bb.882:
	s_cmp_eq_u32 s23, 15
	s_mov_b32 s0, -1
	s_cbranch_scc0 .LBB144_884
; %bb.883:
	v_bfe_u32 v3, v2, 16, 1
	v_cmp_o_f32_e32 vcc_lo, v2, v2
	v_mov_b32_e32 v4, 0x7fc0
	s_mov_b32 s43, -1
	s_mov_b32 s0, 0
	v_add3_u32 v3, v2, v3, 0x7fff
	v_cndmask_b32_sdwa v3, v4, v3, vcc_lo dst_sel:DWORD dst_unused:UNUSED_PAD src0_sel:DWORD src1_sel:WORD_1
	global_store_short v[0:1], v3, off
.LBB144_884:
	s_mov_b32 s44, 0
.LBB144_885:
	s_and_b32 vcc_lo, exec_lo, s44
	s_cbranch_vccz .LBB144_888
; %bb.886:
	s_cmp_eq_u32 s23, 11
	s_mov_b32 s0, -1
	s_cbranch_scc0 .LBB144_888
; %bb.887:
	v_cmp_neq_f32_e32 vcc_lo, 0, v2
	s_mov_b32 s0, 0
	s_mov_b32 s43, -1
	v_cndmask_b32_e64 v3, 0, 1, vcc_lo
	global_store_byte v[0:1], v3, off
.LBB144_888:
	s_mov_b32 s23, 0
.LBB144_889:
	s_and_b32 vcc_lo, exec_lo, s23
	s_cbranch_vccz .LBB144_928
; %bb.890:
	s_and_b32 s1, 0xffff, s1
	s_mov_b32 s23, -1
	s_cmp_lt_i32 s1, 5
	s_cbranch_scc1 .LBB144_911
; %bb.891:
	s_cmp_lt_i32 s1, 8
	s_cbranch_scc1 .LBB144_901
; %bb.892:
	;; [unrolled: 3-line block ×3, first 2 shown]
	s_cmp_gt_i32 s1, 9
	s_cbranch_scc0 .LBB144_895
; %bb.894:
	v_cvt_f64_f32_e32 v[3:4], v2
	v_mov_b32_e32 v5, 0
	s_mov_b32 s23, 0
	v_mov_b32_e32 v6, v5
	global_store_dwordx4 v[0:1], v[3:6], off
.LBB144_895:
	s_andn2_b32 vcc_lo, exec_lo, s23
	s_cbranch_vccnz .LBB144_897
; %bb.896:
	v_mov_b32_e32 v3, 0
	global_store_dwordx2 v[0:1], v[2:3], off
.LBB144_897:
	s_mov_b32 s23, 0
.LBB144_898:
	s_andn2_b32 vcc_lo, exec_lo, s23
	s_cbranch_vccnz .LBB144_900
; %bb.899:
	v_cvt_f16_f32_e32 v3, v2
	v_and_b32_e32 v3, 0xffff, v3
	global_store_dword v[0:1], v3, off
.LBB144_900:
	s_mov_b32 s23, 0
.LBB144_901:
	s_andn2_b32 vcc_lo, exec_lo, s23
	s_cbranch_vccnz .LBB144_910
; %bb.902:
	s_cmp_lt_i32 s1, 6
	s_mov_b32 s23, -1
	s_cbranch_scc1 .LBB144_908
; %bb.903:
	s_cmp_gt_i32 s1, 6
	s_cbranch_scc0 .LBB144_905
; %bb.904:
	v_cvt_f64_f32_e32 v[3:4], v2
	s_mov_b32 s23, 0
	global_store_dwordx2 v[0:1], v[3:4], off
.LBB144_905:
	s_andn2_b32 vcc_lo, exec_lo, s23
	s_cbranch_vccnz .LBB144_907
; %bb.906:
	global_store_dword v[0:1], v2, off
.LBB144_907:
	s_mov_b32 s23, 0
.LBB144_908:
	s_andn2_b32 vcc_lo, exec_lo, s23
	s_cbranch_vccnz .LBB144_910
; %bb.909:
	v_cvt_f16_f32_e32 v3, v2
	global_store_short v[0:1], v3, off
.LBB144_910:
	s_mov_b32 s23, 0
.LBB144_911:
	s_andn2_b32 vcc_lo, exec_lo, s23
	s_cbranch_vccnz .LBB144_927
; %bb.912:
	s_cmp_lt_i32 s1, 2
	s_mov_b32 s23, -1
	s_cbranch_scc1 .LBB144_922
; %bb.913:
	s_cmp_lt_i32 s1, 3
	s_cbranch_scc1 .LBB144_919
; %bb.914:
	s_cmp_gt_i32 s1, 3
	s_cbranch_scc0 .LBB144_916
; %bb.915:
	v_trunc_f32_e32 v3, v2
	s_mov_b32 s23, 0
	v_mul_f32_e64 v4, 0x2f800000, |v3|
	v_ashrrev_i32_e32 v6, 31, v3
	v_floor_f32_e32 v4, v4
	v_fma_f32 v5, 0xcf800000, v4, |v3|
	v_cvt_u32_f32_e32 v4, v4
	v_cvt_u32_f32_e32 v3, v5
	v_xor_b32_e32 v4, v4, v6
	v_xor_b32_e32 v3, v3, v6
	v_sub_co_u32 v3, vcc_lo, v3, v6
	v_sub_co_ci_u32_e64 v4, null, v4, v6, vcc_lo
	global_store_dwordx2 v[0:1], v[3:4], off
.LBB144_916:
	s_andn2_b32 vcc_lo, exec_lo, s23
	s_cbranch_vccnz .LBB144_918
; %bb.917:
	v_cvt_i32_f32_e32 v3, v2
	global_store_dword v[0:1], v3, off
.LBB144_918:
	s_mov_b32 s23, 0
.LBB144_919:
	s_andn2_b32 vcc_lo, exec_lo, s23
	s_cbranch_vccnz .LBB144_921
; %bb.920:
	v_cvt_i32_f32_e32 v3, v2
	global_store_short v[0:1], v3, off
.LBB144_921:
	s_mov_b32 s23, 0
.LBB144_922:
	s_andn2_b32 vcc_lo, exec_lo, s23
	s_cbranch_vccnz .LBB144_927
; %bb.923:
	s_cmp_gt_i32 s1, 0
	s_mov_b32 s1, -1
	s_cbranch_scc0 .LBB144_925
; %bb.924:
	v_cvt_i32_f32_e32 v3, v2
	s_mov_b32 s1, 0
	global_store_byte v[0:1], v3, off
.LBB144_925:
	s_andn2_b32 vcc_lo, exec_lo, s1
	s_cbranch_vccnz .LBB144_927
; %bb.926:
	v_trunc_f32_e32 v2, v2
	v_mul_f32_e64 v3, 0x2f800000, |v2|
	v_floor_f32_e32 v3, v3
	v_fma_f32 v3, 0xcf800000, v3, |v2|
	v_ashrrev_i32_e32 v2, 31, v2
	v_cvt_u32_f32_e32 v3, v3
	v_xor_b32_e32 v3, v3, v2
	v_sub_nc_u32_e32 v2, v3, v2
	global_store_byte v[0:1], v2, off
.LBB144_927:
	s_mov_b32 s43, -1
.LBB144_928:
	s_andn2_b32 vcc_lo, exec_lo, s43
	s_cbranch_vccnz .LBB144_930
; %bb.929:
	v_add_nc_u32_e32 v8, 0x80, v8
	s_mov_b32 s1, -1
	s_branch .LBB144_932
.LBB144_930:
	s_mov_b32 s1, 0
.LBB144_931:
                                        ; implicit-def: $vgpr8
.LBB144_932:
	s_andn2_b32 s23, s40, exec_lo
	s_and_b32 s0, s0, exec_lo
	s_andn2_b32 s43, s39, exec_lo
	s_and_b32 s22, s22, exec_lo
	s_or_b32 s23, s23, s0
	s_or_b32 s22, s43, s22
	s_orn2_b32 s44, s1, exec_lo
.LBB144_933:
	s_or_b32 exec_lo, exec_lo, s42
	s_mov_b32 s0, 0
	s_mov_b32 s1, 0
	;; [unrolled: 1-line block ×3, first 2 shown]
                                        ; implicit-def: $vgpr1_vgpr2
                                        ; implicit-def: $vgpr0
                                        ; implicit-def: $vgpr4
	s_and_saveexec_b32 s42, s44
	s_cbranch_execz .LBB144_1033
; %bb.934:
	v_cmp_gt_i32_e32 vcc_lo, s33, v8
	s_mov_b32 s45, s22
	s_mov_b32 s44, 0
                                        ; implicit-def: $vgpr1_vgpr2
                                        ; implicit-def: $vgpr0
                                        ; implicit-def: $vgpr4
	s_and_saveexec_b32 s33, vcc_lo
	s_cbranch_execz .LBB144_1032
; %bb.935:
	s_andn2_b32 vcc_lo, exec_lo, s27
	s_cbranch_vccnz .LBB144_940
; %bb.936:
	s_andn2_b32 vcc_lo, exec_lo, s34
	s_cbranch_vccnz .LBB144_941
; %bb.937:
	s_add_i32 s35, s35, 1
	s_cmp_eq_u32 s25, 2
	s_cbranch_scc1 .LBB144_942
; %bb.938:
	v_mov_b32_e32 v2, 0
	v_mov_b32_e32 v0, 0
	;; [unrolled: 1-line block ×3, first 2 shown]
	s_and_b32 s34, s35, 28
	s_mov_b64 s[0:1], s[2:3]
.LBB144_939:                            ; =>This Inner Loop Header: Depth=1
	s_clause 0x1
	s_load_dwordx8 s[44:51], s[0:1], 0x4
	s_load_dwordx4 s[60:63], s[0:1], 0x24
	s_load_dwordx8 s[52:59], s[20:21], 0x0
	s_add_u32 s0, s0, 48
	s_addc_u32 s1, s1, 0
	s_add_i32 s43, s43, 4
	s_add_u32 s20, s20, 32
	s_addc_u32 s21, s21, 0
	s_cmp_eq_u32 s34, s43
	s_waitcnt vmcnt(0) lgkmcnt(0)
	v_mul_hi_u32 v3, s45, v1
	v_add_nc_u32_e32 v3, v1, v3
	v_lshrrev_b32_e32 v3, s46, v3
	v_mul_hi_u32 v4, s48, v3
	v_mul_lo_u32 v6, v3, s44
	v_add_nc_u32_e32 v4, v3, v4
	v_sub_nc_u32_e32 v1, v1, v6
	v_lshrrev_b32_e32 v4, s49, v4
	v_mul_lo_u32 v6, v1, s52
	v_mul_lo_u32 v9, v1, s53
	v_mul_hi_u32 v5, s51, v4
	v_add_nc_u32_e32 v5, v4, v5
	v_lshrrev_b32_e32 v5, s60, v5
	v_mul_hi_u32 v7, s62, v5
	v_mul_lo_u32 v10, v5, s50
	v_add_nc_u32_e32 v1, v5, v7
	v_mul_lo_u32 v7, v4, s47
	v_sub_nc_u32_e32 v4, v4, v10
	v_lshrrev_b32_e32 v1, s63, v1
	v_mul_lo_u32 v10, v4, s56
	v_mul_lo_u32 v4, v4, s57
	v_sub_nc_u32_e32 v3, v3, v7
	v_mul_lo_u32 v11, v1, s61
	v_mul_lo_u32 v7, v3, s54
	;; [unrolled: 1-line block ×3, first 2 shown]
	v_sub_nc_u32_e32 v5, v5, v11
	v_add3_u32 v0, v6, v0, v7
	v_mul_lo_u32 v11, v5, s58
	v_mul_lo_u32 v5, v5, s59
	v_add3_u32 v2, v9, v2, v3
	v_add3_u32 v0, v10, v0, v11
	;; [unrolled: 1-line block ×3, first 2 shown]
	s_cbranch_scc0 .LBB144_939
	s_branch .LBB144_943
.LBB144_940:
	s_mov_b32 s0, -1
                                        ; implicit-def: $vgpr0
                                        ; implicit-def: $vgpr2
	s_branch .LBB144_947
.LBB144_941:
	v_mov_b32_e32 v0, 0
	v_mov_b32_e32 v2, 0
	s_branch .LBB144_946
.LBB144_942:
	v_mov_b32_e32 v0, 0
	v_mov_b32_e32 v2, 0
	;; [unrolled: 1-line block ×3, first 2 shown]
	s_mov_b32 s34, 0
.LBB144_943:
	s_and_b32 s35, s35, 3
	s_cmp_eq_u32 s35, 0
	s_cbranch_scc1 .LBB144_946
; %bb.944:
	s_lshl_b32 s0, s34, 3
	s_mul_i32 s20, s34, 12
	s_add_u32 s0, s2, s0
	s_addc_u32 s1, s3, 0
	s_add_u32 s0, s0, 0xc4
	s_addc_u32 s1, s1, 0
	;; [unrolled: 2-line block ×3, first 2 shown]
.LBB144_945:                            ; =>This Inner Loop Header: Depth=1
	s_clause 0x1
	s_load_dwordx2 s[44:45], s[20:21], 0x4
	s_load_dword s34, s[20:21], 0xc
	s_load_dwordx2 s[46:47], s[0:1], 0x0
	s_add_u32 s20, s20, 12
	s_addc_u32 s21, s21, 0
	s_add_u32 s0, s0, 8
	s_addc_u32 s1, s1, 0
	s_add_i32 s35, s35, -1
	s_cmp_lg_u32 s35, 0
	s_waitcnt vmcnt(0) lgkmcnt(0)
	v_mul_hi_u32 v3, s45, v1
	v_add_nc_u32_e32 v3, v1, v3
	v_lshrrev_b32_e32 v4, s34, v3
	v_mul_lo_u32 v3, v4, s44
	v_sub_nc_u32_e32 v3, v1, v3
	v_mad_u64_u32 v[0:1], null, v3, s46, v[0:1]
	v_mad_u64_u32 v[2:3], null, v3, s47, v[2:3]
	v_mov_b32_e32 v1, v4
	s_cbranch_scc1 .LBB144_945
.LBB144_946:
	s_mov_b32 s0, 0
.LBB144_947:
	s_andn2_b32 vcc_lo, exec_lo, s0
	s_cbranch_vccnz .LBB144_950
; %bb.948:
	s_waitcnt lgkmcnt(0)
	v_mul_hi_u32 v0, s17, v8
	s_andn2_b32 vcc_lo, exec_lo, s31
	v_add_nc_u32_e32 v0, v8, v0
	v_lshrrev_b32_e32 v1, s18, v0
	v_mul_lo_u32 v0, v1, s16
	v_sub_nc_u32_e32 v2, v8, v0
	v_mul_lo_u32 v0, v2, s12
	v_mul_lo_u32 v2, v2, s13
	s_cbranch_vccnz .LBB144_950
; %bb.949:
	s_waitcnt vmcnt(0)
	v_mul_hi_u32 v3, s6, v1
	v_add_nc_u32_e32 v3, v1, v3
	v_lshrrev_b32_e32 v3, s7, v3
	v_mul_lo_u32 v3, v3, s19
	v_sub_nc_u32_e32 v3, v1, v3
	v_mad_u64_u32 v[0:1], null, v3, s14, v[0:1]
	v_mad_u64_u32 v[2:3], null, v3, s15, v[2:3]
.LBB144_950:
	s_waitcnt lgkmcnt(0)
	v_add_co_u32 v1, s0, s10, v2
	v_add_co_ci_u32_e64 v2, null, s11, 0, s0
	s_and_b32 s0, 0xffff, s30
	s_cmp_lt_i32 s0, 11
	s_cbranch_scc1 .LBB144_957
; %bb.951:
	s_cmp_gt_i32 s0, 25
	s_mov_b32 s6, 0
	s_cbranch_scc0 .LBB144_958
; %bb.952:
	s_cmp_gt_i32 s0, 28
	s_cbranch_scc0 .LBB144_959
; %bb.953:
	s_cmp_gt_i32 s0, 43
	;; [unrolled: 3-line block ×3, first 2 shown]
	s_cbranch_scc0 .LBB144_963
; %bb.955:
	s_cmp_eq_u32 s0, 46
	s_mov_b32 s10, 0
	s_cbranch_scc0 .LBB144_966
; %bb.956:
	global_load_dword v3, v[1:2], off
	s_mov_b32 s1, 0
	s_mov_b32 s7, -1
	s_waitcnt vmcnt(0)
	v_lshlrev_b32_e32 v4, 16, v3
	s_branch .LBB144_968
.LBB144_957:
	s_mov_b32 s0, -1
	s_mov_b32 s7, 0
	s_mov_b32 s6, 0
	;; [unrolled: 1-line block ×3, first 2 shown]
                                        ; implicit-def: $vgpr4
	s_branch .LBB144_1031
.LBB144_958:
	s_mov_b32 s10, -1
	s_mov_b32 s7, 0
	s_mov_b32 s1, s22
                                        ; implicit-def: $vgpr4
	s_branch .LBB144_997
.LBB144_959:
	s_mov_b32 s10, -1
	s_mov_b32 s7, 0
	s_mov_b32 s1, s22
                                        ; implicit-def: $vgpr4
	s_branch .LBB144_978
.LBB144_960:
	s_mov_b32 s10, -1
	s_mov_b32 s7, 0
	s_mov_b32 s1, s22
                                        ; implicit-def: $vgpr4
	s_branch .LBB144_973
.LBB144_961:
	s_andn2_saveexec_b32 s45, s45
	s_cbranch_execz .LBB144_841
.LBB144_962:
	v_add_f32_e64 v3, 0x46000000, |v2|
	s_andn2_b32 s44, s44, exec_lo
	v_and_b32_e32 v3, 0xff, v3
	v_cmp_ne_u32_e32 vcc_lo, 0, v3
	s_and_b32 s46, vcc_lo, exec_lo
	s_or_b32 s44, s44, s46
	s_or_b32 exec_lo, exec_lo, s45
	v_mov_b32_e32 v4, 0
	s_and_saveexec_b32 s45, s44
	s_cbranch_execnz .LBB144_842
	s_branch .LBB144_843
.LBB144_963:
	s_mov_b32 s10, -1
	s_mov_b32 s7, 0
	s_mov_b32 s1, s22
	s_branch .LBB144_967
.LBB144_964:
	s_andn2_saveexec_b32 s45, s45
	s_cbranch_execz .LBB144_854
.LBB144_965:
	v_add_f32_e64 v3, 0x42800000, |v2|
	s_andn2_b32 s44, s44, exec_lo
	v_and_b32_e32 v3, 0xff, v3
	v_cmp_ne_u32_e32 vcc_lo, 0, v3
	s_and_b32 s46, vcc_lo, exec_lo
	s_or_b32 s44, s44, s46
	s_or_b32 exec_lo, exec_lo, s45
	v_mov_b32_e32 v4, 0
	s_and_saveexec_b32 s45, s44
	s_cbranch_execnz .LBB144_855
	s_branch .LBB144_856
.LBB144_966:
	s_mov_b32 s1, -1
	s_mov_b32 s7, 0
.LBB144_967:
                                        ; implicit-def: $vgpr4
.LBB144_968:
	s_and_b32 vcc_lo, exec_lo, s10
	s_cbranch_vccz .LBB144_972
; %bb.969:
	s_cmp_eq_u32 s0, 44
	s_cbranch_scc0 .LBB144_971
; %bb.970:
	global_load_ubyte v3, v[1:2], off
	s_mov_b32 s1, 0
	s_mov_b32 s7, -1
	s_waitcnt vmcnt(0)
	v_lshlrev_b32_e32 v4, 23, v3
	v_cmp_ne_u32_e32 vcc_lo, 0xff, v3
	v_cndmask_b32_e32 v4, 0x7f800001, v4, vcc_lo
	v_cmp_ne_u32_e32 vcc_lo, 0, v3
	v_cndmask_b32_e32 v4, 0x400000, v4, vcc_lo
	s_branch .LBB144_972
.LBB144_971:
	s_mov_b32 s1, -1
                                        ; implicit-def: $vgpr4
.LBB144_972:
	s_mov_b32 s10, 0
.LBB144_973:
	s_and_b32 vcc_lo, exec_lo, s10
	s_cbranch_vccz .LBB144_977
; %bb.974:
	s_cmp_eq_u32 s0, 29
	s_cbranch_scc0 .LBB144_976
; %bb.975:
	global_load_dwordx2 v[3:4], v[1:2], off
	s_mov_b32 s1, 0
	s_mov_b32 s7, -1
	s_mov_b32 s10, 0
	s_waitcnt vmcnt(0)
	v_ffbh_u32_e32 v5, v4
	v_min_u32_e32 v5, 32, v5
	v_lshlrev_b64 v[3:4], v5, v[3:4]
	v_min_u32_e32 v3, 1, v3
	v_or_b32_e32 v3, v4, v3
	v_sub_nc_u32_e32 v4, 32, v5
	v_cvt_f32_u32_e32 v3, v3
	v_ldexp_f32 v4, v3, v4
	s_branch .LBB144_978
.LBB144_976:
	s_mov_b32 s1, -1
                                        ; implicit-def: $vgpr4
.LBB144_977:
	s_mov_b32 s10, 0
.LBB144_978:
	s_and_b32 vcc_lo, exec_lo, s10
	s_cbranch_vccz .LBB144_996
; %bb.979:
	s_cmp_lt_i32 s0, 27
	s_cbranch_scc1 .LBB144_982
; %bb.980:
	s_cmp_gt_i32 s0, 27
	s_cbranch_scc0 .LBB144_983
; %bb.981:
	global_load_dword v3, v[1:2], off
	s_mov_b32 s7, 0
	s_waitcnt vmcnt(0)
	v_cvt_f32_u32_e32 v4, v3
	s_branch .LBB144_984
.LBB144_982:
	s_mov_b32 s7, -1
                                        ; implicit-def: $vgpr4
	s_branch .LBB144_987
.LBB144_983:
	s_mov_b32 s7, -1
                                        ; implicit-def: $vgpr4
.LBB144_984:
	s_andn2_b32 vcc_lo, exec_lo, s7
	s_cbranch_vccnz .LBB144_986
; %bb.985:
	global_load_ushort v3, v[1:2], off
	s_waitcnt vmcnt(0)
	v_cvt_f32_u32_e32 v4, v3
.LBB144_986:
	s_mov_b32 s7, 0
.LBB144_987:
	s_andn2_b32 vcc_lo, exec_lo, s7
	s_cbranch_vccnz .LBB144_995
; %bb.988:
	global_load_ubyte v3, v[1:2], off
	s_mov_b32 s7, 0
	s_mov_b32 s10, exec_lo
	s_waitcnt vmcnt(0)
	v_cmpx_lt_i16_e32 0x7f, v3
	s_xor_b32 s10, exec_lo, s10
	s_cbranch_execz .LBB144_1009
; %bb.989:
	s_mov_b32 s7, -1
	s_mov_b32 s11, exec_lo
	v_cmpx_eq_u16_e32 0x80, v3
; %bb.990:
	s_xor_b32 s7, exec_lo, -1
; %bb.991:
	s_or_b32 exec_lo, exec_lo, s11
	s_and_b32 s7, s7, exec_lo
	s_or_saveexec_b32 s10, s10
	v_mov_b32_e32 v4, 0x7f800001
	s_xor_b32 exec_lo, exec_lo, s10
	s_cbranch_execnz .LBB144_1010
.LBB144_992:
	s_or_b32 exec_lo, exec_lo, s10
	s_and_saveexec_b32 s10, s7
	s_cbranch_execz .LBB144_994
.LBB144_993:
	v_and_b32_e32 v4, 0xffff, v3
	v_lshlrev_b32_e32 v3, 24, v3
	v_and_b32_e32 v5, 7, v4
	v_bfe_u32 v8, v4, 3, 4
	v_and_b32_e32 v3, 0x80000000, v3
	v_ffbh_u32_e32 v6, v5
	v_cmp_eq_u32_e32 vcc_lo, 0, v8
	v_min_u32_e32 v6, 32, v6
	v_subrev_nc_u32_e32 v7, 28, v6
	v_sub_nc_u32_e32 v6, 29, v6
	v_lshlrev_b32_e32 v4, v7, v4
	v_cndmask_b32_e32 v6, v8, v6, vcc_lo
	v_and_b32_e32 v4, 7, v4
	v_cndmask_b32_e32 v4, v5, v4, vcc_lo
	v_lshl_add_u32 v5, v6, 23, 0x3b800000
	v_lshlrev_b32_e32 v4, 20, v4
	v_or3_b32 v4, v3, v5, v4
.LBB144_994:
	s_or_b32 exec_lo, exec_lo, s10
.LBB144_995:
	s_mov_b32 s7, -1
.LBB144_996:
	s_mov_b32 s10, 0
.LBB144_997:
	s_and_b32 vcc_lo, exec_lo, s10
	s_cbranch_vccz .LBB144_1030
; %bb.998:
	s_cmp_gt_i32 s0, 22
	s_cbranch_scc0 .LBB144_1008
; %bb.999:
	s_cmp_lt_i32 s0, 24
	s_cbranch_scc1 .LBB144_1011
; %bb.1000:
	s_cmp_gt_i32 s0, 24
	s_cbranch_scc0 .LBB144_1012
; %bb.1001:
	global_load_ubyte v3, v[1:2], off
	s_mov_b32 s7, exec_lo
	s_waitcnt vmcnt(0)
	v_cmpx_lt_i16_e32 0x7f, v3
	s_xor_b32 s7, exec_lo, s7
	s_cbranch_execz .LBB144_1024
; %bb.1002:
	s_mov_b32 s6, -1
	s_mov_b32 s10, exec_lo
	v_cmpx_eq_u16_e32 0x80, v3
; %bb.1003:
	s_xor_b32 s6, exec_lo, -1
; %bb.1004:
	s_or_b32 exec_lo, exec_lo, s10
	s_and_b32 s6, s6, exec_lo
	s_or_saveexec_b32 s7, s7
	v_mov_b32_e32 v4, 0x7f800001
	s_xor_b32 exec_lo, exec_lo, s7
	s_cbranch_execnz .LBB144_1025
.LBB144_1005:
	s_or_b32 exec_lo, exec_lo, s7
	s_and_saveexec_b32 s7, s6
	s_cbranch_execz .LBB144_1007
.LBB144_1006:
	v_and_b32_e32 v4, 0xffff, v3
	v_lshlrev_b32_e32 v3, 24, v3
	v_and_b32_e32 v5, 3, v4
	v_bfe_u32 v8, v4, 2, 5
	v_and_b32_e32 v3, 0x80000000, v3
	v_ffbh_u32_e32 v6, v5
	v_cmp_eq_u32_e32 vcc_lo, 0, v8
	v_min_u32_e32 v6, 32, v6
	v_subrev_nc_u32_e32 v7, 29, v6
	v_sub_nc_u32_e32 v6, 30, v6
	v_lshlrev_b32_e32 v4, v7, v4
	v_cndmask_b32_e32 v6, v8, v6, vcc_lo
	v_and_b32_e32 v4, 3, v4
	v_cndmask_b32_e32 v4, v5, v4, vcc_lo
	v_lshl_add_u32 v5, v6, 23, 0x37800000
	v_lshlrev_b32_e32 v4, 21, v4
	v_or3_b32 v4, v3, v5, v4
.LBB144_1007:
	s_or_b32 exec_lo, exec_lo, s7
	s_mov_b32 s6, 0
	s_branch .LBB144_1013
.LBB144_1008:
	s_mov_b32 s6, -1
                                        ; implicit-def: $vgpr4
	s_branch .LBB144_1019
.LBB144_1009:
	s_or_saveexec_b32 s10, s10
	v_mov_b32_e32 v4, 0x7f800001
	s_xor_b32 exec_lo, exec_lo, s10
	s_cbranch_execz .LBB144_992
.LBB144_1010:
	v_cmp_ne_u16_e32 vcc_lo, 0, v3
	v_mov_b32_e32 v4, 0
	s_andn2_b32 s7, s7, exec_lo
	s_and_b32 s11, vcc_lo, exec_lo
	s_or_b32 s7, s7, s11
	s_or_b32 exec_lo, exec_lo, s10
	s_and_saveexec_b32 s10, s7
	s_cbranch_execnz .LBB144_993
	s_branch .LBB144_994
.LBB144_1011:
	s_mov_b32 s6, -1
                                        ; implicit-def: $vgpr4
	s_branch .LBB144_1016
.LBB144_1012:
	s_mov_b32 s6, -1
                                        ; implicit-def: $vgpr4
.LBB144_1013:
	s_and_b32 vcc_lo, exec_lo, s6
	s_cbranch_vccz .LBB144_1015
; %bb.1014:
	global_load_ubyte v3, v[1:2], off
	s_waitcnt vmcnt(0)
	v_lshlrev_b32_e32 v3, 24, v3
	v_and_b32_e32 v4, 0x7f000000, v3
	v_ffbh_u32_e32 v5, v4
	v_add_nc_u32_e32 v7, 0x1000000, v4
	v_cmp_ne_u32_e32 vcc_lo, 0, v4
	v_min_u32_e32 v5, 32, v5
	v_sub_nc_u32_e64 v5, v5, 4 clamp
	v_lshlrev_b32_e32 v6, v5, v4
	v_lshlrev_b32_e32 v5, 23, v5
	v_lshrrev_b32_e32 v6, 4, v6
	v_sub_nc_u32_e32 v5, v6, v5
	v_ashrrev_i32_e32 v6, 8, v7
	v_add_nc_u32_e32 v5, 0x3c000000, v5
	v_and_or_b32 v5, 0x7f800000, v6, v5
	v_cndmask_b32_e32 v4, 0, v5, vcc_lo
	v_and_or_b32 v4, 0x80000000, v3, v4
.LBB144_1015:
	s_mov_b32 s6, 0
.LBB144_1016:
	s_andn2_b32 vcc_lo, exec_lo, s6
	s_cbranch_vccnz .LBB144_1018
; %bb.1017:
	global_load_ubyte v3, v[1:2], off
	s_waitcnt vmcnt(0)
	v_lshlrev_b32_e32 v4, 25, v3
	v_lshlrev_b16 v3, 8, v3
	v_lshrrev_b32_e32 v5, 4, v4
	v_and_or_b32 v6, 0x7f00, v3, 0.5
	v_cmp_gt_u32_e32 vcc_lo, 0x8000000, v4
	v_bfe_i32 v3, v3, 0, 16
	v_or_b32_e32 v5, 0x70000000, v5
	v_add_f32_e32 v6, -0.5, v6
	v_mul_f32_e32 v5, 0x7800000, v5
	v_cndmask_b32_e32 v4, v5, v6, vcc_lo
	v_and_or_b32 v4, 0x80000000, v3, v4
.LBB144_1018:
	s_mov_b32 s6, 0
	s_mov_b32 s7, -1
.LBB144_1019:
	s_andn2_b32 vcc_lo, exec_lo, s6
	s_mov_b32 s6, 0
	s_cbranch_vccnz .LBB144_1030
; %bb.1020:
	s_cmp_gt_i32 s0, 14
	s_cbranch_scc0 .LBB144_1023
; %bb.1021:
	s_cmp_eq_u32 s0, 15
	s_cbranch_scc0 .LBB144_1026
; %bb.1022:
	global_load_ushort v3, v[1:2], off
	s_mov_b32 s1, 0
	s_mov_b32 s7, -1
	s_waitcnt vmcnt(0)
	v_lshlrev_b32_e32 v4, 16, v3
	s_branch .LBB144_1028
.LBB144_1023:
	s_mov_b32 s6, -1
	s_branch .LBB144_1027
.LBB144_1024:
	s_or_saveexec_b32 s7, s7
	v_mov_b32_e32 v4, 0x7f800001
	s_xor_b32 exec_lo, exec_lo, s7
	s_cbranch_execz .LBB144_1005
.LBB144_1025:
	v_cmp_ne_u16_e32 vcc_lo, 0, v3
	v_mov_b32_e32 v4, 0
	s_andn2_b32 s6, s6, exec_lo
	s_and_b32 s10, vcc_lo, exec_lo
	s_or_b32 s6, s6, s10
	s_or_b32 exec_lo, exec_lo, s7
	s_and_saveexec_b32 s7, s6
	s_cbranch_execnz .LBB144_1006
	s_branch .LBB144_1007
.LBB144_1026:
	s_mov_b32 s1, -1
.LBB144_1027:
                                        ; implicit-def: $vgpr4
.LBB144_1028:
	s_and_b32 vcc_lo, exec_lo, s6
	s_mov_b32 s6, 0
	s_cbranch_vccz .LBB144_1030
; %bb.1029:
	s_cmp_lg_u32 s0, 11
	s_mov_b32 s6, -1
	s_cselect_b32 s0, -1, 0
	s_andn2_b32 s1, s1, exec_lo
	s_and_b32 s0, s0, exec_lo
	s_or_b32 s1, s1, s0
.LBB144_1030:
	s_mov_b32 s0, 0
.LBB144_1031:
	s_and_b32 s43, s7, exec_lo
	s_andn2_b32 s7, s22, exec_lo
	s_and_b32 s1, s1, exec_lo
	s_and_b32 s44, s0, exec_lo
	;; [unrolled: 1-line block ×3, first 2 shown]
	s_or_b32 s45, s7, s1
.LBB144_1032:
	s_or_b32 exec_lo, exec_lo, s33
	s_waitcnt lgkmcnt(0)
	s_andn2_b32 s6, s22, exec_lo
	s_and_b32 s7, s45, exec_lo
	s_and_b32 s43, s43, exec_lo
	;; [unrolled: 1-line block ×4, first 2 shown]
	s_or_b32 s22, s6, s7
.LBB144_1033:
	s_or_b32 exec_lo, exec_lo, s42
	s_waitcnt lgkmcnt(0)
	s_andn2_b32 s6, s40, exec_lo
	s_and_b32 s7, s23, exec_lo
	s_and_b32 s42, s43, exec_lo
	s_or_b32 s40, s6, s7
	s_andn2_b32 s6, s39, exec_lo
	s_and_b32 s7, s22, exec_lo
	s_and_b32 s23, s1, exec_lo
	;; [unrolled: 1-line block ×3, first 2 shown]
	s_or_b32 s39, s6, s7
.LBB144_1034:
	s_or_b32 exec_lo, exec_lo, s41
	s_andn2_b32 s0, s36, exec_lo
	s_waitcnt lgkmcnt(0)
	s_and_b32 s6, s40, exec_lo
	s_and_b32 s7, s39, exec_lo
	s_or_b32 s36, s0, s6
	s_andn2_b32 s6, s37, exec_lo
	s_and_b32 s0, s42, exec_lo
	s_and_b32 s22, s23, exec_lo
	;; [unrolled: 1-line block ×3, first 2 shown]
	s_or_b32 s37, s6, s7
	s_or_b32 exec_lo, exec_lo, s38
	s_mov_b32 s6, 0
	s_and_saveexec_b32 s1, s37
	s_cbranch_execz .LBB144_312
.LBB144_1035:
	s_mov_b32 s6, exec_lo
	s_andn2_b32 s39, s39, exec_lo
	s_trap 2
	s_or_b32 exec_lo, exec_lo, s1
	s_and_saveexec_b32 s1, s39
	s_xor_b32 s1, exec_lo, s1
	s_cbranch_execnz .LBB144_313
.LBB144_1036:
	s_or_b32 exec_lo, exec_lo, s1
	s_and_saveexec_b32 s1, s22
	s_cbranch_execz .LBB144_1082
.LBB144_1037:
	s_sext_i32_i16 s7, s30
	s_cmp_lt_i32 s7, 5
	s_cbranch_scc1 .LBB144_1042
; %bb.1038:
	s_cmp_lt_i32 s7, 8
	s_cbranch_scc1 .LBB144_1043
; %bb.1039:
	;; [unrolled: 3-line block ×3, first 2 shown]
	s_cmp_gt_i32 s7, 9
	s_cbranch_scc0 .LBB144_1045
; %bb.1041:
	global_load_dwordx2 v[3:4], v[1:2], off
	s_mov_b32 s7, 0
	s_waitcnt vmcnt(0)
	v_cvt_f32_f64_e32 v4, v[3:4]
	s_branch .LBB144_1046
.LBB144_1042:
                                        ; implicit-def: $vgpr4
	s_branch .LBB144_1063
.LBB144_1043:
                                        ; implicit-def: $vgpr4
	s_branch .LBB144_1052
.LBB144_1044:
	s_mov_b32 s7, -1
                                        ; implicit-def: $vgpr4
	s_branch .LBB144_1049
.LBB144_1045:
	s_mov_b32 s7, -1
                                        ; implicit-def: $vgpr4
.LBB144_1046:
	s_andn2_b32 vcc_lo, exec_lo, s7
	s_cbranch_vccnz .LBB144_1048
; %bb.1047:
	global_load_dword v4, v[1:2], off
.LBB144_1048:
	s_mov_b32 s7, 0
.LBB144_1049:
	s_andn2_b32 vcc_lo, exec_lo, s7
	s_cbranch_vccnz .LBB144_1051
; %bb.1050:
	global_load_dword v3, v[1:2], off
	s_waitcnt vmcnt(0)
	v_cvt_f32_f16_e32 v4, v3
.LBB144_1051:
	s_cbranch_execnz .LBB144_1062
.LBB144_1052:
	s_sext_i32_i16 s7, s30
	s_cmp_lt_i32 s7, 6
	s_cbranch_scc1 .LBB144_1055
; %bb.1053:
	s_cmp_gt_i32 s7, 6
	s_cbranch_scc0 .LBB144_1056
; %bb.1054:
	global_load_dwordx2 v[3:4], v[1:2], off
	s_mov_b32 s7, 0
	s_waitcnt vmcnt(0)
	v_cvt_f32_f64_e32 v4, v[3:4]
	s_branch .LBB144_1057
.LBB144_1055:
	s_mov_b32 s7, -1
                                        ; implicit-def: $vgpr4
	s_branch .LBB144_1060
.LBB144_1056:
	s_mov_b32 s7, -1
                                        ; implicit-def: $vgpr4
.LBB144_1057:
	s_andn2_b32 vcc_lo, exec_lo, s7
	s_cbranch_vccnz .LBB144_1059
; %bb.1058:
	global_load_dword v4, v[1:2], off
.LBB144_1059:
	s_mov_b32 s7, 0
.LBB144_1060:
	s_andn2_b32 vcc_lo, exec_lo, s7
	s_cbranch_vccnz .LBB144_1062
; %bb.1061:
	global_load_ushort v3, v[1:2], off
	s_waitcnt vmcnt(0)
	v_cvt_f32_f16_e32 v4, v3
.LBB144_1062:
	s_cbranch_execnz .LBB144_1081
.LBB144_1063:
	s_sext_i32_i16 s7, s30
	s_cmp_lt_i32 s7, 2
	s_cbranch_scc1 .LBB144_1067
; %bb.1064:
	s_cmp_lt_i32 s7, 3
	s_cbranch_scc1 .LBB144_1068
; %bb.1065:
	s_cmp_gt_i32 s7, 3
	s_cbranch_scc0 .LBB144_1069
; %bb.1066:
	global_load_dwordx2 v[3:4], v[1:2], off
	s_mov_b32 s7, 0
	s_waitcnt vmcnt(0)
	v_xor_b32_e32 v5, v3, v4
	v_ffbh_i32_e32 v6, v4
	v_ashrrev_i32_e32 v5, 31, v5
	v_add_nc_u32_e32 v6, -1, v6
	v_add_nc_u32_e32 v5, 32, v5
	v_min_u32_e32 v5, v6, v5
	v_lshlrev_b64 v[3:4], v5, v[3:4]
	v_min_u32_e32 v3, 1, v3
	v_or_b32_e32 v3, v4, v3
	v_sub_nc_u32_e32 v4, 32, v5
	v_cvt_f32_i32_e32 v3, v3
	v_ldexp_f32 v4, v3, v4
	s_branch .LBB144_1070
.LBB144_1067:
                                        ; implicit-def: $vgpr4
	s_branch .LBB144_1076
.LBB144_1068:
	s_mov_b32 s7, -1
                                        ; implicit-def: $vgpr4
	s_branch .LBB144_1073
.LBB144_1069:
	s_mov_b32 s7, -1
                                        ; implicit-def: $vgpr4
.LBB144_1070:
	s_andn2_b32 vcc_lo, exec_lo, s7
	s_cbranch_vccnz .LBB144_1072
; %bb.1071:
	global_load_dword v3, v[1:2], off
	s_waitcnt vmcnt(0)
	v_cvt_f32_i32_e32 v4, v3
.LBB144_1072:
	s_mov_b32 s7, 0
.LBB144_1073:
	s_andn2_b32 vcc_lo, exec_lo, s7
	s_cbranch_vccnz .LBB144_1075
; %bb.1074:
	global_load_sshort v3, v[1:2], off
	s_waitcnt vmcnt(0)
	v_cvt_f32_i32_e32 v4, v3
.LBB144_1075:
	s_cbranch_execnz .LBB144_1081
.LBB144_1076:
	s_sext_i32_i16 s7, s30
	s_cmp_gt_i32 s7, 0
	s_mov_b32 s7, 0
	s_cbranch_scc0 .LBB144_1078
; %bb.1077:
	global_load_sbyte v3, v[1:2], off
	s_waitcnt vmcnt(0)
	v_cvt_f32_i32_e32 v4, v3
	s_branch .LBB144_1079
.LBB144_1078:
	s_mov_b32 s7, -1
                                        ; implicit-def: $vgpr4
.LBB144_1079:
	s_andn2_b32 vcc_lo, exec_lo, s7
	s_cbranch_vccnz .LBB144_1081
; %bb.1080:
	global_load_ubyte v1, v[1:2], off
	s_waitcnt vmcnt(0)
	v_cvt_f32_ubyte0_e32 v4, v1
.LBB144_1081:
	s_or_b32 s0, s0, exec_lo
.LBB144_1082:
	s_or_b32 exec_lo, exec_lo, s1
	s_mov_b32 s11, 0
	s_mov_b32 s10, 0
                                        ; implicit-def: $sgpr1
                                        ; implicit-def: $vgpr1_vgpr2
                                        ; implicit-def: $vgpr3
	s_and_saveexec_b32 s7, s0
	s_cbranch_execz .LBB144_1128
; %bb.1083:
	s_waitcnt vmcnt(0)
	v_and_b32_e32 v1, 0x7fffffff, v4
	s_mov_b32 s1, exec_lo
                                        ; implicit-def: $vgpr2
	v_cmpx_ngt_f32_e64 0x3c800000, |v4|
	s_xor_b32 s1, exec_lo, s1
	s_cbranch_execz .LBB144_1113
; %bb.1084:
	s_mov_b32 s10, exec_lo
                                        ; implicit-def: $vgpr2
	v_cmpx_nlt_f32_e64 |v4|, 2.0
	s_xor_b32 s10, exec_lo, s10
	s_cbranch_execz .LBB144_1094
; %bb.1085:
	v_cmp_ngt_f32_e64 s0, 0x41000000, |v4|
                                        ; implicit-def: $vgpr2
	s_and_saveexec_b32 s11, s0
	s_xor_b32 s0, exec_lo, s11
	s_cbranch_execz .LBB144_1091
; %bb.1086:
	v_cmp_ngt_f32_e64 s11, 0x5c800000, |v4|
                                        ; implicit-def: $vgpr2
	s_and_saveexec_b32 s12, s11
	s_xor_b32 s11, exec_lo, s12
	s_cbranch_execz .LBB144_1088
; %bb.1087:
	v_cmp_gt_f32_e64 s12, 0x800000, |v4|
	v_cndmask_b32_e64 v2, 0, 32, s12
	v_ldexp_f32 v2, |v4|, v2
	v_log_f32_e32 v2, v2
	v_mul_f32_e32 v3, 0x3f317217, v2
	v_cmp_gt_f32_e64 vcc_lo, 0x7f800000, |v2|
	v_fma_f32 v5, 0x3f317217, v2, -v3
	v_fmamk_f32 v5, v2, 0x3377d1cf, v5
	v_add_f32_e32 v3, v3, v5
	v_cndmask_b32_e32 v2, v2, v3, vcc_lo
	v_cndmask_b32_e64 v3, 0, 0x41b17218, s12
	v_sub_f32_e32 v2, v2, v3
	v_fma_f32 v2, |v4|, v2, -|v4|
.LBB144_1088:
	s_andn2_saveexec_b32 s11, s11
	s_cbranch_execz .LBB144_1090
; %bb.1089:
	v_cmp_gt_f32_e64 s12, 0x800000, |v4|
	v_rcp_f32_e64 v3, |v4|
	s_mov_b32 s13, 0xbad5c4e8
	v_cndmask_b32_e64 v2, 0, 32, s12
	v_ldexp_f32 v2, |v4|, v2
	v_mul_f32_e32 v5, v3, v3
	v_log_f32_e32 v2, v2
	v_fmaak_f32 v7, s13, v5, 0x3a5b3dd2
	v_fmaak_f32 v7, v5, v7, 0xba1c065c
	v_mul_f32_e32 v6, 0x3f317217, v2
	v_fmaak_f32 v7, v5, v7, 0x3a500cfd
	v_cmp_gt_f32_e64 vcc_lo, 0x7f800000, |v2|
	v_fma_f32 v8, 0x3f317217, v2, -v6
	v_fmaak_f32 v7, v5, v7, 0xbb360b61
	v_fmamk_f32 v8, v2, 0x3377d1cf, v8
	v_fmaak_f32 v5, v5, v7, 0x3daaaaab
	v_add_f32_e32 v6, v6, v8
	v_cndmask_b32_e32 v2, v2, v6, vcc_lo
	v_cndmask_b32_e64 v6, 0, 0x41b17218, s12
	v_sub_f32_e32 v6, v2, v6
	v_fmaak_f32 v2, v3, v5, 0x3ed67f1d
	v_add_f32_e64 v3, |v4|, -0.5
	v_add_f32_e32 v5, -1.0, v6
	v_fmac_f32_e32 v2, v3, v5
.LBB144_1090:
	s_or_b32 exec_lo, exec_lo, s11
.LBB144_1091:
	s_andn2_saveexec_b32 s11, s0
	s_cbranch_execz .LBB144_1093
; %bb.1092:
	v_cvt_i32_f32_e32 v2, v1
	s_mov_b32 s0, 0x36f5d7bd
	s_mov_b32 s12, 0x3805ff67
	v_cvt_f32_i32_e32 v3, v2
	v_cmp_lt_i32_e32 vcc_lo, 2, v2
	v_sub_f32_e64 v3, |v4|, v3
	v_add_f32_e32 v5, 2.0, v3
	v_add_f32_e32 v6, 0x40400000, v3
	v_add_f32_e32 v7, 4.0, v3
	v_add_f32_e32 v8, 0x40a00000, v3
	v_cndmask_b32_e32 v5, 1.0, v5, vcc_lo
	v_cmp_lt_i32_e32 vcc_lo, 3, v2
	v_cndmask_b32_e32 v6, 1.0, v6, vcc_lo
	v_cmp_lt_i32_e32 vcc_lo, 4, v2
	v_mul_f32_e32 v5, v5, v6
	v_cndmask_b32_e32 v7, 1.0, v7, vcc_lo
	v_cmp_lt_i32_e32 vcc_lo, 5, v2
	v_add_f32_e32 v6, 0x40c00000, v3
	v_mul_f32_e32 v5, v7, v5
	v_cndmask_b32_e32 v8, 1.0, v8, vcc_lo
	v_cmp_lt_i32_e32 vcc_lo, 6, v2
	v_fmaak_f32 v7, s12, v3, 0x3af135b4
	v_mul_f32_e32 v5, v8, v5
	v_cndmask_b32_e32 v2, 1.0, v6, vcc_lo
	v_mul_f32_e32 v2, v2, v5
	v_fmaak_f32 v5, s0, v3, 0x3a4beed6
	v_cmp_gt_f32_e32 vcc_lo, 0x800000, v2
	v_fmaak_f32 v5, v3, v5, 0x3c98bf54
	v_cndmask_b32_e64 v6, 0, 32, vcc_lo
	v_fmaak_f32 v5, v3, v5, 0x3e300f6e
	v_ldexp_f32 v2, v2, v6
	v_fmaak_f32 v6, v3, v7, 0x3cda40e4
	v_fmaak_f32 v5, v3, v5, 0x3f38d0c5
	v_log_f32_e32 v2, v2
	v_fmaak_f32 v6, v3, v6, 0x3e15dce6
	v_fmaak_f32 v5, v3, v5, 0x3fb22d3b
	;; [unrolled: 1-line block ×3, first 2 shown]
	v_fma_f32 v5, v3, v5, 1.0
	v_mul_f32_e32 v7, 0x3f317217, v2
	v_fmaak_f32 v6, v3, v6, 0x3e5c245a
	v_rcp_f32_e32 v5, v5
	v_cmp_gt_f32_e64 s0, 0x7f800000, |v2|
	v_fma_f32 v8, 0x3f317217, v2, -v7
	v_fmaak_f32 v6, v3, v6, 0xbd9e233f
	v_fmamk_f32 v8, v2, 0x3377d1cf, v8
	v_mul_f32_e32 v6, v3, v6
	v_add_f32_e32 v7, v7, v8
	v_mul_f32_e32 v5, v6, v5
	v_cndmask_b32_e64 v6, 0, 0x41b17218, vcc_lo
	v_cndmask_b32_e64 v2, v2, v7, s0
	v_fmac_f32_e32 v5, 0.5, v3
	v_sub_f32_e32 v2, v2, v6
	v_add_f32_e32 v2, v2, v5
.LBB144_1093:
	s_or_b32 exec_lo, exec_lo, s11
.LBB144_1094:
	s_andn2_saveexec_b32 s10, s10
	s_cbranch_execz .LBB144_1112
; %bb.1095:
	s_mov_b32 s11, exec_lo
                                        ; implicit-def: $vgpr2
                                        ; implicit-def: $vgpr5
                                        ; implicit-def: $vgpr3
	v_cmpx_ge_f32_e64 0x3f666666, |v4|
	s_xor_b32 s11, exec_lo, s11
	s_cbranch_execz .LBB144_1097
; %bb.1096:
	v_cmp_gt_f32_e64 s0, 0x800000, |v4|
	v_sub_f32_e64 v6, 1.0, |v4|
	v_cmp_gt_f32_e64 vcc_lo, 0x3f3b4a23, |v4|
	v_cndmask_b32_e64 v2, 0, 32, s0
	v_cndmask_b32_e64 v7, 0, 0x41b17218, s0
	v_ldexp_f32 v2, |v4|, v2
	v_log_f32_e32 v2, v2
	v_mul_f32_e32 v3, 0x3f317217, v2
	v_cmp_gt_f32_e64 s0, 0x7f800000, |v2|
	v_fma_f32 v5, 0x3f317217, v2, -v3
	v_fmamk_f32 v5, v2, 0x3377d1cf, v5
	v_add_f32_e32 v3, v3, v5
	v_add_f32_e64 v5, 0xbeec5b0c, |v4|
	v_cndmask_b32_e64 v2, v2, v3, s0
	v_cndmask_b32_e32 v3, v6, v5, vcc_lo
	v_cndmask_b32_e64 v5, 0, 1, vcc_lo
	v_cmp_gt_f32_e64 s0, 0x3e6d3309, |v4|
	v_sub_f32_e32 v2, v2, v7
	v_cndmask_b32_e64 v3, v3, |v4|, s0
	v_cndmask_b32_e64 v5, v5, 2, s0
	v_xor_b32_e32 v2, 0x80000000, v2
.LBB144_1097:
	s_andn2_saveexec_b32 s0, s11
	s_cbranch_execz .LBB144_1099
; %bb.1098:
	v_sub_f32_e64 v2, 2.0, |v4|
	v_add_f32_e64 v3, 0xbfbb16c3, |v4|
	v_cmp_gt_f32_e64 vcc_lo, 0x3fdda512, |v4|
	v_add_f32_e64 v5, |v4|, -1.0
	v_cndmask_b32_e32 v3, v2, v3, vcc_lo
	v_cndmask_b32_e64 v2, v2, 1.0, vcc_lo
	v_cmp_gt_f32_e64 vcc_lo, 0x3f9d70a4, |v4|
	v_cvt_i32_f32_e32 v2, v2
	v_cndmask_b32_e32 v3, v3, v5, vcc_lo
	v_cndmask_b32_e64 v5, v2, 2, vcc_lo
	v_mov_b32_e32 v2, 0
.LBB144_1099:
	s_or_b32 exec_lo, exec_lo, s0
	s_mov_b32 s0, exec_lo
	v_cmpx_lt_i32_e32 0, v5
	s_xor_b32 s0, exec_lo, s0
	s_cbranch_execz .LBB144_1107
; %bb.1100:
	s_mov_b32 s11, exec_lo
	v_cmpx_lt_i32_e32 1, v5
	s_xor_b32 s11, exec_lo, s11
	s_cbranch_execz .LBB144_1104
; %bb.1101:
	s_mov_b32 s12, exec_lo
	v_cmpx_eq_u32_e32 2, v5
	s_cbranch_execz .LBB144_1103
; %bb.1102:
	s_mov_b32 s13, 0x3b52d5db
	v_fmaak_f32 v5, s13, v3, 0x3dd572af
	s_mov_b32 s13, 0x3c5b3c5e
	v_fmaak_f32 v6, s13, v3, 0x3e6a7578
	v_fmaak_f32 v5, v3, v5, 0x3f44efdf
	v_fmaak_f32 v6, v3, v6, 0x3f7a4bb2
	v_fmaak_f32 v5, v3, v5, 0x4008392d
	v_fmaak_f32 v6, v3, v6, 0x3fba3ae7
	v_fmaak_f32 v5, v3, v5, 0x401d2ebe
	v_fmaak_f32 v6, v3, v6, 0x3f2200f4
	v_fma_f32 v5, v3, v5, 1.0
	v_fmaak_f32 v6, v3, v6, 0xbd9e233f
	v_rcp_f32_e32 v5, v5
	v_mul_f32_e32 v6, v3, v6
	v_mul_f32_e32 v5, v6, v5
	v_fmac_f32_e32 v5, -0.5, v3
	v_add_f32_e32 v2, v2, v5
.LBB144_1103:
	s_or_b32 exec_lo, exec_lo, s12
                                        ; implicit-def: $vgpr3
.LBB144_1104:
	s_andn2_saveexec_b32 s11, s11
	s_cbranch_execz .LBB144_1106
; %bb.1105:
	v_mul_f32_e32 v5, v3, v3
	s_mov_b32 s12, 0xb9a3f927
	s_mov_b32 s13, 0x39afe9f7
	v_mul_f32_e32 v6, v3, v5
	v_fmaak_f32 v7, s12, v6, 0x3a66f867
	v_fmaak_f32 v8, s13, v6, 0xba0d3085
	s_mov_b32 s12, 0x39a57b6b
	v_fmaak_f32 v9, s12, v6, 0xbab7f476
	v_fmaak_f32 v7, v6, v7, 0xbb7177fe
	;; [unrolled: 1-line block ×9, first 2 shown]
	v_fmac_f32_e32 v7, v3, v8
	v_fmaak_f32 v3, v6, v9, 0x3ef7b95e
	v_fma_f32 v6, v6, -v7, 0xa2863e55
	v_fma_f32 v3, v5, v3, -v6
	v_add_f32_e32 v3, 0xbdf8cdce, v3
	v_add_f32_e32 v2, v2, v3
.LBB144_1106:
	s_or_b32 exec_lo, exec_lo, s11
                                        ; implicit-def: $vgpr5
                                        ; implicit-def: $vgpr3
.LBB144_1107:
	s_andn2_saveexec_b32 s0, s0
	s_cbranch_execz .LBB144_1111
; %bb.1108:
	s_mov_b32 s11, exec_lo
	v_cmpx_eq_u32_e32 0, v5
	s_cbranch_execz .LBB144_1110
; %bb.1109:
	v_mul_f32_e32 v5, v3, v3
	s_mov_b32 s12, 0x383c2c75
	v_fmaak_f32 v6, s12, v5, 0x38e28445
	s_mov_b32 s12, 0x37d383a2
	v_fmaak_f32 v7, s12, v5, 0x39679767
	v_fmaak_f32 v6, v5, v6, 0x3a05b634
	;; [unrolled: 1-line block ×9, first 2 shown]
	v_mul_f32_e32 v5, v5, v6
	v_fmac_f32_e32 v5, v3, v7
	v_fmac_f32_e32 v5, -0.5, v3
	v_add_f32_e32 v2, v2, v5
.LBB144_1110:
	s_or_b32 exec_lo, exec_lo, s11
.LBB144_1111:
	s_or_b32 exec_lo, exec_lo, s0
.LBB144_1112:
	s_or_b32 exec_lo, exec_lo, s10
.LBB144_1113:
	s_andn2_saveexec_b32 s0, s1
	s_cbranch_execz .LBB144_1115
; %bb.1114:
	v_cmp_gt_f32_e64 s1, 0x800000, |v4|
	s_mov_b32 s10, 0x3e8a8991
	v_fma_f32 v6, |v4|, s10, 0xbecd26ab
	v_cndmask_b32_e64 v2, 0, 32, s1
	v_ldexp_f32 v2, |v4|, v2
	v_log_f32_e32 v2, v2
	v_mul_f32_e32 v3, 0x3f317217, v2
	v_cmp_gt_f32_e64 vcc_lo, 0x7f800000, |v2|
	v_fma_f32 v5, 0x3f317217, v2, -v3
	v_fmamk_f32 v5, v2, 0x3377d1cf, v5
	v_add_f32_e32 v3, v3, v5
	v_fma_f32 v5, |v4|, v6, 0x3f528d33
	v_cndmask_b32_e32 v2, v2, v3, vcc_lo
	v_cndmask_b32_e64 v3, 0, 0x41b17218, s1
	v_fma_f32 v5, |v4|, v5, 0xbf13c468
	v_sub_f32_e32 v2, v2, v3
	v_fma_f32 v2, |v4|, v5, -v2
.LBB144_1115:
	s_or_b32 exec_lo, exec_lo, s0
	v_cmp_le_f32_e32 vcc_lo, 0, v4
	s_mov_b32 s1, exec_lo
	v_cmpx_nle_f32_e32 0, v4
	s_xor_b32 s10, exec_lo, s1
	s_cbranch_execz .LBB144_1119
; %bb.1116:
	v_cmp_gt_f32_e64 s0, 0x4b000000, |v4|
	v_cmp_lt_f32_e64 s1, 0x35000000, |v4|
	s_and_b32 s0, s0, s1
	s_and_saveexec_b32 s11, s0
	s_cbranch_execz .LBB144_1118
; %bb.1117:
	v_mul_f32_e64 v3, |v4|, 0.5
	s_mov_b32 s1, 0x3d4be544
	v_xor_b32_e32 v1, v1, v4
	v_floor_f32_e32 v5, v3
	v_cmp_neq_f32_e64 s0, 0x7f800000, v3
	v_sub_f32_e32 v5, v3, v5
	v_min_f32_e32 v5, 0x3f7fffff, v5
	v_add_f32_e32 v5, v5, v5
	v_cndmask_b32_e64 v3, 0, v5, s0
	v_cmp_gt_f32_e64 s0, |v4|, 1.0
	v_cndmask_b32_e64 v3, |v4|, v3, s0
	s_mov_b32 s0, 0x3e75aa41
	v_add_f32_e32 v5, v3, v3
	v_rndne_f32_e32 v5, v5
	v_fmac_f32_e32 v3, -0.5, v5
	v_cvt_i32_f32_e32 v5, v5
	v_mul_f32_e32 v6, v3, v3
	v_fmaak_f32 v7, s0, v6, 0xbf1f24be
	v_fmaak_f32 v8, s1, v6, 0x3e642e9d
	v_mul_f32_e32 v9, v3, v6
	v_fmaak_f32 v7, v6, v7, 0x40234736
	v_fmaak_f32 v8, v6, v8, 0xbfaad1da
	;; [unrolled: 1-line block ×4, first 2 shown]
	v_mul_f32_e32 v7, v9, v7
	v_fmaak_f32 v8, v6, v8, 0xc09de9e6
	v_and_b32_e32 v9, 1, v5
	v_lshlrev_b32_e32 v5, 30, v5
	v_fmamk_f32 v3, v3, 0x40490fdb, v7
	v_fma_f32 v6, v6, v8, 1.0
	v_cmp_eq_u32_e64 s0, 0, v9
	v_and_b32_e32 v5, 0x80000000, v5
	v_cndmask_b32_e64 v3, v6, v3, s0
	v_xor3_b32 v1, v1, v5, v3
	v_mul_f32_e32 v1, v4, v1
	v_frexp_mant_f32_e64 v3, |v1|
	v_frexp_exp_i32_f32_e32 v1, v1
	v_rcp_f32_e32 v3, v3
	v_sub_nc_u32_e32 v1, 2, v1
	v_mul_f32_e32 v3, 0x3f490fdb, v3
	v_ldexp_f32 v1, v3, v1
	v_cmp_gt_f32_e64 s0, 0x800000, v1
	v_cndmask_b32_e64 v3, 0, 32, s0
	v_ldexp_f32 v1, v1, v3
	v_log_f32_e32 v1, v1
	v_mul_f32_e32 v3, 0x3f317217, v1
	v_cmp_gt_f32_e64 s1, 0x7f800000, |v1|
	v_fma_f32 v5, 0x3f317217, v1, -v3
	v_fmamk_f32 v5, v1, 0x3377d1cf, v5
	v_add_f32_e32 v3, v3, v5
	v_floor_f32_e32 v5, v4
	v_cndmask_b32_e64 v1, v1, v3, s1
	v_cndmask_b32_e64 v3, 0, 0x41b17218, s0
	v_sub_f32_e32 v5, v4, v5
	v_sub_f32_e32 v1, v1, v3
	v_min_f32_e32 v3, 0x3f7fffff, v5
	v_sub_f32_e32 v1, v1, v2
	v_cmp_neq_f32_e64 s0, 0, v3
	v_cndmask_b32_e64 v2, 0x7f800000, v1, s0
.LBB144_1118:
	s_or_b32 exec_lo, exec_lo, s11
.LBB144_1119:
	s_andn2_saveexec_b32 s10, s10
; %bb.1120:
	v_cmp_eq_f32_e64 s0, 1.0, v4
	v_cmp_eq_f32_e64 s1, 2.0, v4
	s_or_b32 s0, s0, s1
	v_cndmask_b32_e64 v2, v2, 0, s0
; %bb.1121:
	s_or_b32 exec_lo, exec_lo, s10
	v_cmp_gt_f32_e64 s0, 0x4b000000, |v4|
	s_and_b32 s1, s29, 0xff
	s_or_b32 vcc_lo, vcc_lo, s0
	v_cmp_class_f32_e64 s0, v4, 0x264
	v_cndmask_b32_e32 v1, 0x7f800000, v2, vcc_lo
	v_cmp_u_f32_e32 vcc_lo, v4, v4
	s_cmp_lt_i32 s1, 11
	v_cndmask_b32_e64 v3, v1, 0x7f800000, s0
	v_add_co_u32 v1, s0, s8, v0
	v_add_co_ci_u32_e64 v2, null, s9, 0, s0
	v_cndmask_b32_e32 v3, v3, v4, vcc_lo
	s_cbranch_scc1 .LBB144_1131
; %bb.1122:
	s_and_b32 s8, 0xffff, s1
	s_mov_b32 s9, -1
	s_cmp_gt_i32 s8, 25
	s_mov_b32 s0, s36
	s_cbranch_scc0 .LBB144_1159
; %bb.1123:
	s_cmp_gt_i32 s8, 28
	s_mov_b32 s0, s36
	s_cbranch_scc0 .LBB144_1143
; %bb.1124:
	;; [unrolled: 4-line block ×4, first 2 shown]
	s_cmp_eq_u32 s8, 46
	s_mov_b32 s0, -1
	s_cbranch_scc0 .LBB144_1132
; %bb.1127:
	v_bfe_u32 v0, v3, 16, 1
	v_cmp_o_f32_e32 vcc_lo, v3, v3
	v_mov_b32_e32 v4, 0x7fc0
	s_mov_b32 s0, 0
	s_mov_b32 s9, 0
	v_add3_u32 v0, v3, v0, 0x7fff
	v_cndmask_b32_sdwa v0, v4, v0, vcc_lo dst_sel:DWORD dst_unused:UNUSED_PAD src0_sel:DWORD src1_sel:WORD_1
	global_store_dword v[1:2], v0, off
	s_branch .LBB144_1133
.LBB144_1128:
	s_or_b32 exec_lo, exec_lo, s7
	s_and_saveexec_b32 s0, s36
	s_cbranch_execnz .LBB144_1201
.LBB144_1129:
	s_or_b32 exec_lo, exec_lo, s0
	s_and_saveexec_b32 s0, s11
	s_xor_b32 s0, exec_lo, s0
	s_cbranch_execz .LBB144_1202
.LBB144_1130:
	s_waitcnt vmcnt(0)
	v_cmp_neq_f32_e32 vcc_lo, 0, v3
	v_cndmask_b32_e64 v0, 0, 1, vcc_lo
	global_store_byte v[1:2], v0, off
	s_or_b32 exec_lo, exec_lo, s0
	s_and_saveexec_b32 s0, s10
	s_xor_b32 s0, exec_lo, s0
	s_cbranch_execz .LBB144_1240
	s_branch .LBB144_1203
.LBB144_1131:
	s_mov_b32 s11, 0
	s_mov_b32 s9, -1
	s_mov_b32 s0, s36
	s_branch .LBB144_1200
.LBB144_1132:
	s_mov_b32 s9, 0
.LBB144_1133:
	s_and_b32 vcc_lo, exec_lo, s9
	s_cbranch_vccz .LBB144_1138
; %bb.1134:
	s_cmp_eq_u32 s8, 44
	s_mov_b32 s0, -1
	s_cbranch_scc0 .LBB144_1138
; %bb.1135:
	v_bfe_u32 v4, v3, 23, 8
	v_mov_b32_e32 v0, 0xff
	s_mov_b32 s9, exec_lo
	v_cmpx_ne_u32_e32 0xff, v4
	s_cbranch_execz .LBB144_1137
; %bb.1136:
	v_and_b32_e32 v0, 0x400000, v3
	v_and_or_b32 v4, 0x3fffff, v3, v4
	v_cmp_ne_u32_e32 vcc_lo, 0, v0
	v_cmp_ne_u32_e64 s0, 0, v4
	v_lshrrev_b32_e32 v0, 23, v3
	s_and_b32 s0, vcc_lo, s0
	v_cndmask_b32_e64 v4, 0, 1, s0
	v_add_nc_u32_e32 v0, v0, v4
.LBB144_1137:
	s_or_b32 exec_lo, exec_lo, s9
	s_mov_b32 s0, 0
	global_store_byte v[1:2], v0, off
.LBB144_1138:
	s_mov_b32 s9, 0
.LBB144_1139:
	s_and_b32 vcc_lo, exec_lo, s9
	s_cbranch_vccz .LBB144_1142
; %bb.1140:
	s_cmp_eq_u32 s8, 29
	s_mov_b32 s0, -1
	s_cbranch_scc0 .LBB144_1142
; %bb.1141:
	v_trunc_f32_e32 v0, v3
	s_mov_b32 s0, 0
	s_mov_b32 s9, 0
	v_mul_f32_e32 v4, 0x2f800000, v0
	v_floor_f32_e32 v4, v4
	v_fmamk_f32 v0, v4, 0xcf800000, v0
	v_cvt_u32_f32_e32 v5, v4
	v_cvt_u32_f32_e32 v4, v0
	global_store_dwordx2 v[1:2], v[4:5], off
	s_branch .LBB144_1143
.LBB144_1142:
	s_mov_b32 s9, 0
.LBB144_1143:
	s_and_b32 vcc_lo, exec_lo, s9
	s_cbranch_vccz .LBB144_1158
; %bb.1144:
	s_cmp_lt_i32 s8, 27
	s_mov_b32 s9, -1
	s_cbranch_scc1 .LBB144_1150
; %bb.1145:
	s_cmp_gt_i32 s8, 27
	s_cbranch_scc0 .LBB144_1147
; %bb.1146:
	v_cvt_u32_f32_e32 v0, v3
	s_mov_b32 s9, 0
	global_store_dword v[1:2], v0, off
.LBB144_1147:
	s_andn2_b32 vcc_lo, exec_lo, s9
	s_cbranch_vccnz .LBB144_1149
; %bb.1148:
	v_cvt_u32_f32_e32 v0, v3
	global_store_short v[1:2], v0, off
.LBB144_1149:
	s_mov_b32 s9, 0
.LBB144_1150:
	s_andn2_b32 vcc_lo, exec_lo, s9
	s_cbranch_vccnz .LBB144_1158
; %bb.1151:
	v_and_b32_e32 v0, 0x7fffffff, v3
	v_mov_b32_e32 v4, 0x80
	s_mov_b32 s9, exec_lo
	v_cmpx_gt_u32_e32 0x43800000, v0
	s_cbranch_execz .LBB144_1157
; %bb.1152:
	v_cmp_lt_u32_e32 vcc_lo, 0x3bffffff, v0
	s_mov_b32 s10, 0
                                        ; implicit-def: $vgpr0
	s_and_saveexec_b32 s11, vcc_lo
	s_xor_b32 s11, exec_lo, s11
	s_cbranch_execz .LBB144_1311
; %bb.1153:
	v_bfe_u32 v0, v3, 20, 1
	s_mov_b32 s10, exec_lo
	v_add3_u32 v0, v3, v0, 0x487ffff
	v_lshrrev_b32_e32 v0, 20, v0
	s_andn2_saveexec_b32 s11, s11
	s_cbranch_execnz .LBB144_1312
.LBB144_1154:
	s_or_b32 exec_lo, exec_lo, s11
	v_mov_b32_e32 v4, 0
	s_and_saveexec_b32 s11, s10
.LBB144_1155:
	v_lshrrev_b32_e32 v4, 24, v3
	v_and_or_b32 v4, 0x80, v4, v0
.LBB144_1156:
	s_or_b32 exec_lo, exec_lo, s11
.LBB144_1157:
	s_or_b32 exec_lo, exec_lo, s9
	global_store_byte v[1:2], v4, off
.LBB144_1158:
	s_mov_b32 s9, 0
.LBB144_1159:
	s_and_b32 vcc_lo, exec_lo, s9
	s_mov_b32 s9, 0
	s_cbranch_vccz .LBB144_1199
; %bb.1160:
	s_cmp_gt_i32 s8, 22
	s_mov_b32 s10, -1
	s_cbranch_scc0 .LBB144_1192
; %bb.1161:
	s_cmp_lt_i32 s8, 24
	s_cbranch_scc1 .LBB144_1181
; %bb.1162:
	s_cmp_gt_i32 s8, 24
	s_cbranch_scc0 .LBB144_1170
; %bb.1163:
	v_and_b32_e32 v0, 0x7fffffff, v3
	v_mov_b32_e32 v4, 0x80
	s_mov_b32 s10, exec_lo
	v_cmpx_gt_u32_e32 0x47800000, v0
	s_cbranch_execz .LBB144_1169
; %bb.1164:
	v_cmp_lt_u32_e32 vcc_lo, 0x37ffffff, v0
	s_mov_b32 s11, 0
                                        ; implicit-def: $vgpr0
	s_and_saveexec_b32 s12, vcc_lo
	s_xor_b32 s12, exec_lo, s12
	s_cbranch_execz .LBB144_1475
; %bb.1165:
	v_bfe_u32 v0, v3, 21, 1
	s_mov_b32 s11, exec_lo
	v_add3_u32 v0, v3, v0, 0x88fffff
	v_lshrrev_b32_e32 v0, 21, v0
	s_andn2_saveexec_b32 s12, s12
	s_cbranch_execnz .LBB144_1476
.LBB144_1166:
	s_or_b32 exec_lo, exec_lo, s12
	v_mov_b32_e32 v4, 0
	s_and_saveexec_b32 s12, s11
.LBB144_1167:
	v_lshrrev_b32_e32 v4, 24, v3
	v_and_or_b32 v4, 0x80, v4, v0
.LBB144_1168:
	s_or_b32 exec_lo, exec_lo, s12
.LBB144_1169:
	s_or_b32 exec_lo, exec_lo, s10
	s_mov_b32 s10, 0
	global_store_byte v[1:2], v4, off
.LBB144_1170:
	s_and_b32 vcc_lo, exec_lo, s10
	s_cbranch_vccz .LBB144_1180
; %bb.1171:
	v_and_b32_e32 v4, 0x7fffffff, v3
	s_mov_b32 s10, exec_lo
                                        ; implicit-def: $vgpr0
	v_cmpx_gt_u32_e32 0x43f00000, v4
	s_xor_b32 s10, exec_lo, s10
	s_cbranch_execz .LBB144_1177
; %bb.1172:
	s_mov_b32 s11, exec_lo
                                        ; implicit-def: $vgpr0
	v_cmpx_lt_u32_e32 0x3c7fffff, v4
	s_xor_b32 s11, exec_lo, s11
; %bb.1173:
	v_bfe_u32 v0, v3, 20, 1
	v_add3_u32 v0, v3, v0, 0x407ffff
	v_and_b32_e32 v4, 0xff00000, v0
	v_lshrrev_b32_e32 v0, 20, v0
	v_cmp_ne_u32_e32 vcc_lo, 0x7f00000, v4
	v_cndmask_b32_e32 v0, 0x7e, v0, vcc_lo
; %bb.1174:
	s_andn2_saveexec_b32 s11, s11
; %bb.1175:
	v_add_f32_e64 v0, 0x46800000, |v3|
; %bb.1176:
	s_or_b32 exec_lo, exec_lo, s11
                                        ; implicit-def: $vgpr4
.LBB144_1177:
	s_andn2_saveexec_b32 s10, s10
; %bb.1178:
	v_mov_b32_e32 v0, 0x7f
	v_cmp_lt_u32_e32 vcc_lo, 0x7f800000, v4
	v_cndmask_b32_e32 v0, 0x7e, v0, vcc_lo
; %bb.1179:
	s_or_b32 exec_lo, exec_lo, s10
	v_lshrrev_b32_e32 v4, 24, v3
	v_and_or_b32 v0, 0x80, v4, v0
	global_store_byte v[1:2], v0, off
.LBB144_1180:
	s_mov_b32 s10, 0
.LBB144_1181:
	s_andn2_b32 vcc_lo, exec_lo, s10
	s_cbranch_vccnz .LBB144_1191
; %bb.1182:
	v_and_b32_e32 v4, 0x7fffffff, v3
	s_mov_b32 s10, exec_lo
                                        ; implicit-def: $vgpr0
	v_cmpx_gt_u32_e32 0x47800000, v4
	s_xor_b32 s10, exec_lo, s10
	s_cbranch_execz .LBB144_1188
; %bb.1183:
	s_mov_b32 s11, exec_lo
                                        ; implicit-def: $vgpr0
	v_cmpx_lt_u32_e32 0x387fffff, v4
	s_xor_b32 s11, exec_lo, s11
; %bb.1184:
	v_bfe_u32 v0, v3, 21, 1
	v_add3_u32 v0, v3, v0, 0x80fffff
	v_lshrrev_b32_e32 v0, 21, v0
; %bb.1185:
	s_andn2_saveexec_b32 s11, s11
; %bb.1186:
	v_add_f32_e64 v0, 0x43000000, |v3|
; %bb.1187:
	s_or_b32 exec_lo, exec_lo, s11
                                        ; implicit-def: $vgpr4
.LBB144_1188:
	s_andn2_saveexec_b32 s10, s10
; %bb.1189:
	v_mov_b32_e32 v0, 0x7f
	v_cmp_lt_u32_e32 vcc_lo, 0x7f800000, v4
	v_cndmask_b32_e32 v0, 0x7c, v0, vcc_lo
; %bb.1190:
	s_or_b32 exec_lo, exec_lo, s10
	v_lshrrev_b32_e32 v4, 24, v3
	v_and_or_b32 v0, 0x80, v4, v0
	global_store_byte v[1:2], v0, off
.LBB144_1191:
	s_mov_b32 s10, 0
.LBB144_1192:
	s_andn2_b32 vcc_lo, exec_lo, s10
	s_mov_b32 s11, 0
	s_cbranch_vccnz .LBB144_1200
; %bb.1193:
	s_cmp_gt_i32 s8, 14
	s_mov_b32 s10, -1
	s_cbranch_scc0 .LBB144_1197
; %bb.1194:
	s_cmp_eq_u32 s8, 15
	s_mov_b32 s0, -1
	s_cbranch_scc0 .LBB144_1196
; %bb.1195:
	v_bfe_u32 v0, v3, 16, 1
	v_cmp_o_f32_e32 vcc_lo, v3, v3
	v_mov_b32_e32 v4, 0x7fc0
	s_mov_b32 s0, 0
	v_add3_u32 v0, v3, v0, 0x7fff
	v_cndmask_b32_sdwa v0, v4, v0, vcc_lo dst_sel:DWORD dst_unused:UNUSED_PAD src0_sel:DWORD src1_sel:WORD_1
	global_store_short v[1:2], v0, off
.LBB144_1196:
	s_mov_b32 s10, 0
.LBB144_1197:
	s_and_b32 vcc_lo, exec_lo, s10
	s_cbranch_vccz .LBB144_1200
; %bb.1198:
	s_cmp_lg_u32 s8, 11
	s_mov_b32 s11, -1
	s_cselect_b32 s8, -1, 0
	s_andn2_b32 s0, s0, exec_lo
	s_and_b32 s8, s8, exec_lo
	s_or_b32 s0, s0, s8
	s_branch .LBB144_1200
.LBB144_1199:
	s_mov_b32 s11, 0
.LBB144_1200:
	s_andn2_b32 s8, s36, exec_lo
	s_and_b32 s0, s0, exec_lo
	s_and_b32 s10, s9, exec_lo
	;; [unrolled: 1-line block ×3, first 2 shown]
	s_or_b32 s36, s8, s0
	s_or_b32 exec_lo, exec_lo, s7
	s_and_saveexec_b32 s0, s36
	s_cbranch_execz .LBB144_1129
.LBB144_1201:
	s_or_b32 s6, s6, exec_lo
	s_andn2_b32 s11, s11, exec_lo
	s_trap 2
	s_or_b32 exec_lo, exec_lo, s0
	s_and_saveexec_b32 s0, s11
	s_xor_b32 s0, exec_lo, s0
	s_cbranch_execnz .LBB144_1130
.LBB144_1202:
	s_or_b32 exec_lo, exec_lo, s0
	s_and_saveexec_b32 s0, s10
	s_xor_b32 s0, exec_lo, s0
	s_cbranch_execz .LBB144_1240
.LBB144_1203:
	s_sext_i32_i16 s8, s1
	s_mov_b32 s7, -1
	s_cmp_lt_i32 s8, 5
	s_cbranch_scc1 .LBB144_1224
; %bb.1204:
	s_cmp_lt_i32 s8, 8
	s_cbranch_scc1 .LBB144_1214
; %bb.1205:
	;; [unrolled: 3-line block ×3, first 2 shown]
	s_cmp_gt_i32 s8, 9
	s_cbranch_scc0 .LBB144_1208
; %bb.1207:
	s_waitcnt vmcnt(0)
	v_cvt_f64_f32_e32 v[4:5], v3
	v_mov_b32_e32 v6, 0
	s_mov_b32 s7, 0
	v_mov_b32_e32 v7, v6
	global_store_dwordx4 v[1:2], v[4:7], off
.LBB144_1208:
	s_andn2_b32 vcc_lo, exec_lo, s7
	s_cbranch_vccnz .LBB144_1210
; %bb.1209:
	s_waitcnt vmcnt(0)
	v_mov_b32_e32 v4, 0
	global_store_dwordx2 v[1:2], v[3:4], off
.LBB144_1210:
	s_mov_b32 s7, 0
.LBB144_1211:
	s_andn2_b32 vcc_lo, exec_lo, s7
	s_cbranch_vccnz .LBB144_1213
; %bb.1212:
	s_waitcnt vmcnt(0)
	v_cvt_f16_f32_e32 v0, v3
	v_and_b32_e32 v0, 0xffff, v0
	global_store_dword v[1:2], v0, off
.LBB144_1213:
	s_mov_b32 s7, 0
.LBB144_1214:
	s_andn2_b32 vcc_lo, exec_lo, s7
	s_cbranch_vccnz .LBB144_1223
; %bb.1215:
	s_sext_i32_i16 s8, s1
	s_mov_b32 s7, -1
	s_cmp_lt_i32 s8, 6
	s_cbranch_scc1 .LBB144_1221
; %bb.1216:
	s_cmp_gt_i32 s8, 6
	s_cbranch_scc0 .LBB144_1218
; %bb.1217:
	s_waitcnt vmcnt(0)
	v_cvt_f64_f32_e32 v[4:5], v3
	s_mov_b32 s7, 0
	global_store_dwordx2 v[1:2], v[4:5], off
.LBB144_1218:
	s_andn2_b32 vcc_lo, exec_lo, s7
	s_cbranch_vccnz .LBB144_1220
; %bb.1219:
	s_waitcnt vmcnt(0)
	global_store_dword v[1:2], v3, off
.LBB144_1220:
	s_mov_b32 s7, 0
.LBB144_1221:
	s_andn2_b32 vcc_lo, exec_lo, s7
	s_cbranch_vccnz .LBB144_1223
; %bb.1222:
	s_waitcnt vmcnt(0)
	v_cvt_f16_f32_e32 v0, v3
	global_store_short v[1:2], v0, off
.LBB144_1223:
	s_mov_b32 s7, 0
.LBB144_1224:
	s_andn2_b32 vcc_lo, exec_lo, s7
	s_cbranch_vccnz .LBB144_1240
; %bb.1225:
	s_sext_i32_i16 s8, s1
	s_mov_b32 s7, -1
	s_cmp_lt_i32 s8, 2
	s_cbranch_scc1 .LBB144_1235
; %bb.1226:
	s_cmp_lt_i32 s8, 3
	s_cbranch_scc1 .LBB144_1232
; %bb.1227:
	s_cmp_gt_i32 s8, 3
	s_cbranch_scc0 .LBB144_1229
; %bb.1228:
	s_waitcnt vmcnt(0)
	v_trunc_f32_e32 v0, v3
	s_mov_b32 s7, 0
	v_mul_f32_e64 v4, 0x2f800000, |v0|
	v_floor_f32_e32 v4, v4
	v_fma_f32 v5, 0xcf800000, v4, |v0|
	v_ashrrev_i32_e32 v0, 31, v0
	v_cvt_u32_f32_e32 v4, v4
	v_cvt_u32_f32_e32 v5, v5
	v_xor_b32_e32 v6, v4, v0
	v_xor_b32_e32 v5, v5, v0
	v_sub_co_u32 v4, vcc_lo, v5, v0
	v_sub_co_ci_u32_e64 v5, null, v6, v0, vcc_lo
	global_store_dwordx2 v[1:2], v[4:5], off
.LBB144_1229:
	s_andn2_b32 vcc_lo, exec_lo, s7
	s_cbranch_vccnz .LBB144_1231
; %bb.1230:
	s_waitcnt vmcnt(0)
	v_cvt_i32_f32_e32 v0, v3
	global_store_dword v[1:2], v0, off
.LBB144_1231:
	s_mov_b32 s7, 0
.LBB144_1232:
	s_andn2_b32 vcc_lo, exec_lo, s7
	s_cbranch_vccnz .LBB144_1234
; %bb.1233:
	s_waitcnt vmcnt(0)
	v_cvt_i32_f32_e32 v0, v3
	global_store_short v[1:2], v0, off
.LBB144_1234:
	s_mov_b32 s7, 0
.LBB144_1235:
	s_andn2_b32 vcc_lo, exec_lo, s7
	s_cbranch_vccnz .LBB144_1240
; %bb.1236:
	s_sext_i32_i16 s1, s1
	s_cmp_gt_i32 s1, 0
	s_mov_b32 s1, -1
	s_cbranch_scc0 .LBB144_1238
; %bb.1237:
	s_waitcnt vmcnt(0)
	v_cvt_i32_f32_e32 v0, v3
	s_mov_b32 s1, 0
	global_store_byte v[1:2], v0, off
.LBB144_1238:
	s_andn2_b32 vcc_lo, exec_lo, s1
	s_cbranch_vccnz .LBB144_1240
; %bb.1239:
	s_waitcnt vmcnt(0)
	v_trunc_f32_e32 v0, v3
	v_mul_f32_e64 v3, 0x2f800000, |v0|
	v_floor_f32_e32 v3, v3
	v_fma_f32 v3, 0xcf800000, v3, |v0|
	v_ashrrev_i32_e32 v0, 31, v0
	v_cvt_u32_f32_e32 v3, v3
	v_xor_b32_e32 v3, v3, v0
	v_sub_nc_u32_e32 v0, v3, v0
	global_store_byte v[1:2], v0, off
.LBB144_1240:
	s_or_b32 exec_lo, exec_lo, s0
	s_and_b32 s12, s6, exec_lo
                                        ; implicit-def: $vgpr15
                                        ; implicit-def: $vgpr8
.LBB144_1241:
	s_or_saveexec_b32 s13, s28
	s_mov_b32 s0, 0
                                        ; implicit-def: $vgpr0_vgpr1
                                        ; implicit-def: $sgpr1
                                        ; implicit-def: $vgpr2
	s_xor_b32 exec_lo, exec_lo, s13
	s_cbranch_execz .LBB144_2401
; %bb.1242:
	v_cndmask_b32_e64 v0, 0, 1, s27
	s_andn2_b32 vcc_lo, exec_lo, s27
	s_cbranch_vccnz .LBB144_1248
; %bb.1243:
	s_cmp_lg_u32 s24, 0
	s_mov_b32 s8, 0
	s_cbranch_scc0 .LBB144_1249
; %bb.1244:
	s_min_u32 s10, s25, 15
	s_add_i32 s10, s10, 1
	s_cmp_eq_u32 s25, 2
	s_cbranch_scc1 .LBB144_1250
; %bb.1245:
	v_mov_b32_e32 v13, 0
	v_mov_b32_e32 v6, 0
	;; [unrolled: 1-line block ×3, first 2 shown]
	s_and_b32 s9, s10, 28
	s_add_u32 s0, s2, 0xc4
	s_addc_u32 s1, s3, 0
	s_mov_b32 s11, 0
	s_mov_b64 s[6:7], s[2:3]
.LBB144_1246:                           ; =>This Inner Loop Header: Depth=1
	s_clause 0x1
	s_load_dwordx8 s[16:23], s[6:7], 0x4
	s_load_dwordx4 s[28:31], s[6:7], 0x24
	s_load_dwordx8 s[36:43], s[0:1], 0x0
	s_add_u32 s6, s6, 48
	s_addc_u32 s7, s7, 0
	s_add_i32 s11, s11, 4
	s_add_u32 s0, s0, 32
	s_addc_u32 s1, s1, 0
	s_cmp_lg_u32 s9, s11
	s_waitcnt lgkmcnt(0)
	v_mul_hi_u32 v2, s17, v1
	v_add_nc_u32_e32 v2, v1, v2
	v_lshrrev_b32_e32 v2, s18, v2
	s_waitcnt vmcnt(0)
	v_mul_hi_u32 v3, s20, v2
	v_mul_lo_u32 v5, v2, s16
	v_add_nc_u32_e32 v3, v2, v3
	v_sub_nc_u32_e32 v1, v1, v5
	v_lshrrev_b32_e32 v3, s21, v3
	v_mul_lo_u32 v5, v1, s36
	v_mul_lo_u32 v9, v1, s37
	v_mul_hi_u32 v4, s23, v3
	v_add_nc_u32_e32 v4, v3, v4
	v_lshrrev_b32_e32 v4, s28, v4
	v_mul_hi_u32 v7, s30, v4
	v_mul_lo_u32 v10, v4, s22
	v_add_nc_u32_e32 v1, v4, v7
	v_mul_lo_u32 v7, v3, s19
	v_sub_nc_u32_e32 v3, v3, v10
	v_lshrrev_b32_e32 v1, s31, v1
	v_mul_lo_u32 v10, v3, s40
	v_mul_lo_u32 v3, v3, s41
	v_sub_nc_u32_e32 v2, v2, v7
	v_mul_lo_u32 v11, v1, s29
	v_mul_lo_u32 v7, v2, s38
	v_mul_lo_u32 v2, v2, s39
	v_sub_nc_u32_e32 v4, v4, v11
	v_add3_u32 v5, v5, v6, v7
	v_mul_lo_u32 v11, v4, s42
	v_mul_lo_u32 v4, v4, s43
	v_add3_u32 v2, v9, v13, v2
	v_add3_u32 v6, v10, v5, v11
	;; [unrolled: 1-line block ×3, first 2 shown]
	s_cbranch_scc1 .LBB144_1246
; %bb.1247:
	s_and_b32 s10, s10, 3
	s_cmp_eq_u32 s10, 0
	s_cbranch_scc0 .LBB144_1251
	s_branch .LBB144_1253
.LBB144_1248:
	s_mov_b32 s8, -1
                                        ; implicit-def: $vgpr6
                                        ; implicit-def: $vgpr13
	s_branch .LBB144_1253
.LBB144_1249:
	v_mov_b32_e32 v6, 0
	v_mov_b32_e32 v13, 0
	s_branch .LBB144_1253
.LBB144_1250:
	v_mov_b32_e32 v6, 0
	v_mov_b32_e32 v13, 0
	v_mov_b32_e32 v1, v8
	s_mov_b32 s9, 0
	s_and_b32 s10, s10, 3
	s_cmp_eq_u32 s10, 0
	s_cbranch_scc1 .LBB144_1253
.LBB144_1251:
	s_lshl_b32 s0, s9, 3
	s_mul_i32 s6, s9, 12
	s_add_u32 s0, s2, s0
	s_addc_u32 s1, s3, 0
	s_add_u32 s0, s0, 0xc4
	s_addc_u32 s1, s1, 0
	;; [unrolled: 2-line block ×3, first 2 shown]
	.p2align	6
.LBB144_1252:                           ; =>This Inner Loop Header: Depth=1
	s_clause 0x1
	s_load_dwordx2 s[14:15], s[6:7], 0x4
	s_load_dword s9, s[6:7], 0xc
	s_load_dwordx2 s[16:17], s[0:1], 0x0
	s_add_u32 s6, s6, 12
	s_addc_u32 s7, s7, 0
	s_add_u32 s0, s0, 8
	s_addc_u32 s1, s1, 0
	s_add_i32 s10, s10, -1
	s_cmp_lg_u32 s10, 0
	s_waitcnt lgkmcnt(0)
	v_mul_hi_u32 v2, s15, v1
	v_add_nc_u32_e32 v2, v1, v2
	v_lshrrev_b32_e32 v2, s9, v2
	s_waitcnt vmcnt(0)
	v_mul_lo_u32 v3, v2, s14
	v_sub_nc_u32_e32 v1, v1, v3
	v_mad_u64_u32 v[6:7], null, v1, s16, v[6:7]
	v_mad_u64_u32 v[13:14], null, v1, s17, v[13:14]
	v_mov_b32_e32 v1, v2
	s_cbranch_scc1 .LBB144_1252
.LBB144_1253:
	s_andn2_b32 vcc_lo, exec_lo, s8
	s_cbranch_vccnz .LBB144_1256
; %bb.1254:
	s_clause 0x1
	s_load_dwordx4 s[8:11], s[2:3], 0x4
	s_load_dwordx2 s[0:1], s[2:3], 0xc4
	s_cmp_lt_u32 s24, 2
	s_waitcnt lgkmcnt(0)
	v_mul_hi_u32 v1, s9, v8
	v_add_nc_u32_e32 v1, v8, v1
	v_lshrrev_b32_e32 v1, s10, v1
	v_mul_lo_u32 v2, v1, s8
	v_sub_nc_u32_e32 v2, v8, v2
	v_mul_lo_u32 v6, v2, s0
	v_mul_lo_u32 v13, v2, s1
	s_cbranch_scc1 .LBB144_1256
; %bb.1255:
	s_clause 0x1
	s_load_dwordx4 s[8:11], s[2:3], 0x10
	s_load_dwordx2 s[0:1], s[2:3], 0xcc
	s_waitcnt lgkmcnt(0)
	v_mul_hi_u32 v2, s9, v1
	v_add_nc_u32_e32 v2, v1, v2
	v_lshrrev_b32_e32 v2, s10, v2
	v_mul_lo_u32 v2, v2, s8
	v_sub_nc_u32_e32 v1, v1, v2
	v_mad_u64_u32 v[6:7], null, v1, s0, v[6:7]
	v_mad_u64_u32 v[13:14], null, v1, s1, v[13:14]
.LBB144_1256:
	v_cmp_ne_u32_e32 vcc_lo, 1, v0
	v_add_nc_u32_e32 v1, 0x80, v8
	s_cbranch_vccnz .LBB144_1262
; %bb.1257:
	s_cmp_lg_u32 s24, 0
	s_mov_b32 s8, 0
	s_cbranch_scc0 .LBB144_1263
; %bb.1258:
	s_min_u32 s10, s25, 15
	s_add_i32 s10, s10, 1
	s_cmp_eq_u32 s25, 2
	s_cbranch_scc1 .LBB144_1264
; %bb.1259:
	v_mov_b32_e32 v11, 0
	s_waitcnt vmcnt(0)
	v_mov_b32_e32 v4, 0
	v_mov_b32_e32 v2, v1
	s_and_b32 s9, s10, 28
	s_add_u32 s0, s2, 0xc4
	s_addc_u32 s1, s3, 0
	s_mov_b32 s11, 0
	s_mov_b64 s[6:7], s[2:3]
.LBB144_1260:                           ; =>This Inner Loop Header: Depth=1
	s_clause 0x1
	s_load_dwordx8 s[16:23], s[6:7], 0x4
	s_load_dwordx4 s[28:31], s[6:7], 0x24
	s_load_dwordx8 s[36:43], s[0:1], 0x0
	s_add_u32 s6, s6, 48
	s_addc_u32 s7, s7, 0
	s_add_i32 s11, s11, 4
	s_add_u32 s0, s0, 32
	s_addc_u32 s1, s1, 0
	s_cmp_lg_u32 s9, s11
	s_waitcnt lgkmcnt(0)
	v_mul_hi_u32 v3, s17, v2
	v_add_nc_u32_e32 v3, v2, v3
	v_lshrrev_b32_e32 v3, s18, v3
	v_mul_hi_u32 v5, s20, v3
	v_mul_lo_u32 v9, v3, s16
	v_add_nc_u32_e32 v5, v3, v5
	v_sub_nc_u32_e32 v2, v2, v9
	v_lshrrev_b32_e32 v5, s21, v5
	v_mul_lo_u32 v9, v2, s36
	v_mul_lo_u32 v12, v2, s37
	v_mul_hi_u32 v7, s23, v5
	v_add_nc_u32_e32 v7, v5, v7
	v_lshrrev_b32_e32 v7, s28, v7
	v_mul_hi_u32 v10, s30, v7
	v_mul_lo_u32 v14, v7, s22
	v_add_nc_u32_e32 v2, v7, v10
	v_mul_lo_u32 v10, v5, s19
	v_sub_nc_u32_e32 v5, v5, v14
	v_lshrrev_b32_e32 v2, s31, v2
	v_mul_lo_u32 v14, v5, s40
	v_mul_lo_u32 v5, v5, s41
	v_sub_nc_u32_e32 v3, v3, v10
	v_mul_lo_u32 v16, v2, s29
	v_mul_lo_u32 v10, v3, s38
	;; [unrolled: 1-line block ×3, first 2 shown]
	v_sub_nc_u32_e32 v7, v7, v16
	v_add3_u32 v4, v9, v4, v10
	v_mul_lo_u32 v16, v7, s42
	v_mul_lo_u32 v7, v7, s43
	v_add3_u32 v3, v12, v11, v3
	v_add3_u32 v4, v14, v4, v16
	;; [unrolled: 1-line block ×3, first 2 shown]
	s_cbranch_scc1 .LBB144_1260
; %bb.1261:
	s_and_b32 s10, s10, 3
	s_cmp_eq_u32 s10, 0
	s_cbranch_scc0 .LBB144_1265
	s_branch .LBB144_1267
.LBB144_1262:
	s_mov_b32 s8, -1
                                        ; implicit-def: $vgpr4
                                        ; implicit-def: $vgpr11
	s_branch .LBB144_1267
.LBB144_1263:
	s_waitcnt vmcnt(0)
	v_mov_b32_e32 v4, 0
	v_mov_b32_e32 v11, 0
	s_branch .LBB144_1267
.LBB144_1264:
	s_waitcnt vmcnt(0)
	v_mov_b32_e32 v4, 0
	v_mov_b32_e32 v11, 0
	;; [unrolled: 1-line block ×3, first 2 shown]
	s_mov_b32 s9, 0
	s_and_b32 s10, s10, 3
	s_cmp_eq_u32 s10, 0
	s_cbranch_scc1 .LBB144_1267
.LBB144_1265:
	s_lshl_b32 s0, s9, 3
	s_mul_i32 s6, s9, 12
	s_add_u32 s0, s2, s0
	s_addc_u32 s1, s3, 0
	s_add_u32 s0, s0, 0xc4
	s_addc_u32 s1, s1, 0
	;; [unrolled: 2-line block ×3, first 2 shown]
	.p2align	6
.LBB144_1266:                           ; =>This Inner Loop Header: Depth=1
	s_clause 0x1
	s_load_dwordx2 s[14:15], s[6:7], 0x4
	s_load_dword s9, s[6:7], 0xc
	s_load_dwordx2 s[16:17], s[0:1], 0x0
	s_add_u32 s6, s6, 12
	s_addc_u32 s7, s7, 0
	s_add_u32 s0, s0, 8
	s_addc_u32 s1, s1, 0
	s_add_i32 s10, s10, -1
	s_cmp_lg_u32 s10, 0
	s_waitcnt lgkmcnt(0)
	v_mul_hi_u32 v3, s15, v2
	v_add_nc_u32_e32 v3, v2, v3
	v_lshrrev_b32_e32 v3, s9, v3
	v_mul_lo_u32 v5, v3, s14
	v_sub_nc_u32_e32 v2, v2, v5
	v_mad_u64_u32 v[4:5], null, v2, s16, v[4:5]
	v_mad_u64_u32 v[11:12], null, v2, s17, v[11:12]
	v_mov_b32_e32 v2, v3
	s_cbranch_scc1 .LBB144_1266
.LBB144_1267:
	s_andn2_b32 vcc_lo, exec_lo, s8
	s_cbranch_vccnz .LBB144_1270
; %bb.1268:
	s_clause 0x1
	s_load_dwordx4 s[8:11], s[2:3], 0x4
	s_load_dwordx2 s[0:1], s[2:3], 0xc4
	s_cmp_lt_u32 s24, 2
	s_waitcnt lgkmcnt(0)
	v_mul_hi_u32 v2, s9, v1
	v_add_nc_u32_e32 v2, v1, v2
	v_lshrrev_b32_e32 v2, s10, v2
	s_waitcnt vmcnt(0)
	v_mul_lo_u32 v3, v2, s8
	v_sub_nc_u32_e32 v1, v1, v3
	v_mul_lo_u32 v4, v1, s0
	v_mul_lo_u32 v11, v1, s1
	s_cbranch_scc1 .LBB144_1270
; %bb.1269:
	s_clause 0x1
	s_load_dwordx4 s[8:11], s[2:3], 0x10
	s_load_dwordx2 s[0:1], s[2:3], 0xcc
	s_waitcnt lgkmcnt(0)
	v_mul_hi_u32 v1, s9, v2
	v_add_nc_u32_e32 v1, v2, v1
	v_lshrrev_b32_e32 v1, s10, v1
	v_mul_lo_u32 v1, v1, s8
	v_sub_nc_u32_e32 v1, v2, v1
	v_mad_u64_u32 v[4:5], null, v1, s0, v[4:5]
	v_mad_u64_u32 v[11:12], null, v1, s1, v[11:12]
.LBB144_1270:
	v_cmp_ne_u32_e32 vcc_lo, 1, v0
	v_add_nc_u32_e32 v1, 0x100, v8
	s_cbranch_vccnz .LBB144_1276
; %bb.1271:
	s_cmp_lg_u32 s24, 0
	s_mov_b32 s8, 0
	s_cbranch_scc0 .LBB144_1277
; %bb.1272:
	s_min_u32 s10, s25, 15
	s_add_i32 s10, s10, 1
	s_cmp_eq_u32 s25, 2
	s_cbranch_scc1 .LBB144_1278
; %bb.1273:
	v_mov_b32_e32 v9, 0
	v_mov_b32_e32 v2, 0
	s_waitcnt vmcnt(0)
	v_mov_b32_e32 v3, v1
	s_and_b32 s9, s10, 28
	s_add_u32 s0, s2, 0xc4
	s_addc_u32 s1, s3, 0
	s_mov_b32 s11, 0
	s_mov_b64 s[6:7], s[2:3]
.LBB144_1274:                           ; =>This Inner Loop Header: Depth=1
	s_clause 0x1
	s_load_dwordx8 s[16:23], s[6:7], 0x4
	s_load_dwordx4 s[28:31], s[6:7], 0x24
	s_load_dwordx8 s[36:43], s[0:1], 0x0
	s_add_u32 s6, s6, 48
	s_addc_u32 s7, s7, 0
	s_add_i32 s11, s11, 4
	s_add_u32 s0, s0, 32
	s_addc_u32 s1, s1, 0
	s_cmp_lg_u32 s9, s11
	s_waitcnt lgkmcnt(0)
	v_mul_hi_u32 v5, s17, v3
	v_add_nc_u32_e32 v5, v3, v5
	v_lshrrev_b32_e32 v5, s18, v5
	v_mul_hi_u32 v7, s20, v5
	v_mul_lo_u32 v10, v5, s16
	v_add_nc_u32_e32 v7, v5, v7
	v_sub_nc_u32_e32 v3, v3, v10
	v_lshrrev_b32_e32 v7, s21, v7
	v_mul_lo_u32 v10, v3, s36
	v_mul_lo_u32 v14, v3, s37
	v_mul_hi_u32 v8, s23, v7
	v_add_nc_u32_e32 v8, v7, v8
	v_lshrrev_b32_e32 v8, s28, v8
	v_mul_hi_u32 v12, s30, v8
	v_mul_lo_u32 v16, v8, s22
	v_add_nc_u32_e32 v3, v8, v12
	v_mul_lo_u32 v12, v7, s19
	v_sub_nc_u32_e32 v7, v7, v16
	v_lshrrev_b32_e32 v3, s31, v3
	v_mul_lo_u32 v16, v7, s40
	v_mul_lo_u32 v7, v7, s41
	v_sub_nc_u32_e32 v5, v5, v12
	v_mul_lo_u32 v17, v3, s29
	v_mul_lo_u32 v12, v5, s38
	;; [unrolled: 1-line block ×3, first 2 shown]
	v_sub_nc_u32_e32 v8, v8, v17
	v_add3_u32 v2, v10, v2, v12
	v_mul_lo_u32 v17, v8, s42
	v_mul_lo_u32 v8, v8, s43
	v_add3_u32 v5, v14, v9, v5
	v_add3_u32 v2, v16, v2, v17
	;; [unrolled: 1-line block ×3, first 2 shown]
	s_cbranch_scc1 .LBB144_1274
; %bb.1275:
	s_and_b32 s10, s10, 3
	s_cmp_eq_u32 s10, 0
	s_cbranch_scc0 .LBB144_1279
	s_branch .LBB144_1281
.LBB144_1276:
	s_mov_b32 s8, -1
                                        ; implicit-def: $vgpr2
                                        ; implicit-def: $vgpr9
	s_branch .LBB144_1281
.LBB144_1277:
	v_mov_b32_e32 v2, 0
	v_mov_b32_e32 v9, 0
	s_branch .LBB144_1281
.LBB144_1278:
	v_mov_b32_e32 v2, 0
	v_mov_b32_e32 v9, 0
	s_waitcnt vmcnt(0)
	v_mov_b32_e32 v3, v1
	s_mov_b32 s9, 0
	s_and_b32 s10, s10, 3
	s_cmp_eq_u32 s10, 0
	s_cbranch_scc1 .LBB144_1281
.LBB144_1279:
	s_lshl_b32 s0, s9, 3
	s_mul_i32 s6, s9, 12
	s_add_u32 s0, s2, s0
	s_addc_u32 s1, s3, 0
	s_add_u32 s0, s0, 0xc4
	s_addc_u32 s1, s1, 0
	;; [unrolled: 2-line block ×3, first 2 shown]
	.p2align	6
.LBB144_1280:                           ; =>This Inner Loop Header: Depth=1
	s_clause 0x1
	s_load_dwordx2 s[14:15], s[6:7], 0x4
	s_load_dword s9, s[6:7], 0xc
	s_load_dwordx2 s[16:17], s[0:1], 0x0
	s_add_u32 s6, s6, 12
	s_addc_u32 s7, s7, 0
	s_add_u32 s0, s0, 8
	s_addc_u32 s1, s1, 0
	s_add_i32 s10, s10, -1
	s_cmp_lg_u32 s10, 0
	s_waitcnt lgkmcnt(0)
	v_mul_hi_u32 v5, s15, v3
	v_add_nc_u32_e32 v5, v3, v5
	v_lshrrev_b32_e32 v5, s9, v5
	v_mul_lo_u32 v7, v5, s14
	v_sub_nc_u32_e32 v7, v3, v7
	v_mad_u64_u32 v[2:3], null, v7, s16, v[2:3]
	v_mad_u64_u32 v[9:10], null, v7, s17, v[9:10]
	v_mov_b32_e32 v3, v5
	s_cbranch_scc1 .LBB144_1280
.LBB144_1281:
	s_andn2_b32 vcc_lo, exec_lo, s8
	s_cbranch_vccnz .LBB144_1284
; %bb.1282:
	s_clause 0x1
	s_load_dwordx4 s[8:11], s[2:3], 0x4
	s_load_dwordx2 s[0:1], s[2:3], 0xc4
	s_cmp_lt_u32 s24, 2
	s_waitcnt lgkmcnt(0)
	v_mul_hi_u32 v2, s9, v1
	v_add_nc_u32_e32 v2, v1, v2
	s_waitcnt vmcnt(0)
	v_lshrrev_b32_e32 v3, s10, v2
	v_mul_lo_u32 v2, v3, s8
	v_sub_nc_u32_e32 v1, v1, v2
	v_mul_lo_u32 v2, v1, s0
	v_mul_lo_u32 v9, v1, s1
	s_cbranch_scc1 .LBB144_1284
; %bb.1283:
	s_clause 0x1
	s_load_dwordx4 s[8:11], s[2:3], 0x10
	s_load_dwordx2 s[0:1], s[2:3], 0xcc
	s_waitcnt lgkmcnt(0)
	v_mul_hi_u32 v1, s9, v3
	v_add_nc_u32_e32 v1, v3, v1
	v_lshrrev_b32_e32 v1, s10, v1
	v_mul_lo_u32 v1, v1, s8
	v_sub_nc_u32_e32 v1, v3, v1
	v_mad_u64_u32 v[2:3], null, v1, s0, v[2:3]
	v_mad_u64_u32 v[9:10], null, v1, s1, v[9:10]
.LBB144_1284:
	v_cmp_ne_u32_e32 vcc_lo, 1, v0
	s_cbranch_vccnz .LBB144_1290
; %bb.1285:
	s_cmp_lg_u32 s24, 0
	s_mov_b32 s8, 0
	s_cbranch_scc0 .LBB144_1291
; %bb.1286:
	s_min_u32 s10, s25, 15
	s_add_i32 s10, s10, 1
	s_cmp_eq_u32 s25, 2
	s_cbranch_scc1 .LBB144_1292
; %bb.1287:
	v_mov_b32_e32 v7, 0
	v_mov_b32_e32 v0, 0
	;; [unrolled: 1-line block ×3, first 2 shown]
	s_and_b32 s9, s10, 28
	s_add_u32 s0, s2, 0xc4
	s_addc_u32 s1, s3, 0
	s_mov_b32 s11, 0
	s_mov_b64 s[6:7], s[2:3]
.LBB144_1288:                           ; =>This Inner Loop Header: Depth=1
	s_clause 0x1
	s_load_dwordx8 s[16:23], s[6:7], 0x4
	s_load_dwordx4 s[28:31], s[6:7], 0x24
	s_load_dwordx8 s[36:43], s[0:1], 0x0
	s_add_u32 s6, s6, 48
	s_addc_u32 s7, s7, 0
	s_add_i32 s11, s11, 4
	s_add_u32 s0, s0, 32
	s_addc_u32 s1, s1, 0
	s_cmp_lg_u32 s9, s11
	s_waitcnt vmcnt(0) lgkmcnt(0)
	v_mul_hi_u32 v3, s17, v1
	v_add_nc_u32_e32 v3, v1, v3
	v_lshrrev_b32_e32 v3, s18, v3
	v_mul_hi_u32 v5, s20, v3
	v_mul_lo_u32 v10, v3, s16
	v_add_nc_u32_e32 v5, v3, v5
	v_sub_nc_u32_e32 v1, v1, v10
	v_lshrrev_b32_e32 v5, s21, v5
	v_mul_lo_u32 v10, v1, s36
	v_mul_lo_u32 v14, v1, s37
	v_mul_hi_u32 v8, s23, v5
	v_add_nc_u32_e32 v8, v5, v8
	v_lshrrev_b32_e32 v8, s28, v8
	v_mul_hi_u32 v12, s30, v8
	v_mul_lo_u32 v16, v8, s22
	v_add_nc_u32_e32 v1, v8, v12
	v_mul_lo_u32 v12, v5, s19
	v_sub_nc_u32_e32 v5, v5, v16
	v_lshrrev_b32_e32 v1, s31, v1
	v_mul_lo_u32 v16, v5, s40
	v_mul_lo_u32 v5, v5, s41
	v_sub_nc_u32_e32 v3, v3, v12
	v_mul_lo_u32 v17, v1, s29
	v_mul_lo_u32 v12, v3, s38
	;; [unrolled: 1-line block ×3, first 2 shown]
	v_sub_nc_u32_e32 v8, v8, v17
	v_add3_u32 v0, v10, v0, v12
	v_mul_lo_u32 v17, v8, s42
	v_mul_lo_u32 v8, v8, s43
	v_add3_u32 v3, v14, v7, v3
	v_add3_u32 v0, v16, v0, v17
	;; [unrolled: 1-line block ×3, first 2 shown]
	s_cbranch_scc1 .LBB144_1288
; %bb.1289:
	s_and_b32 s10, s10, 3
	s_cmp_eq_u32 s10, 0
	s_cbranch_scc0 .LBB144_1293
	s_branch .LBB144_1295
.LBB144_1290:
	s_mov_b32 s8, -1
                                        ; implicit-def: $vgpr0
                                        ; implicit-def: $vgpr7
	s_branch .LBB144_1295
.LBB144_1291:
	v_mov_b32_e32 v0, 0
	v_mov_b32_e32 v7, 0
	s_branch .LBB144_1295
.LBB144_1292:
	v_mov_b32_e32 v0, 0
	v_mov_b32_e32 v7, 0
	;; [unrolled: 1-line block ×3, first 2 shown]
	s_mov_b32 s9, 0
	s_and_b32 s10, s10, 3
	s_cmp_eq_u32 s10, 0
	s_cbranch_scc1 .LBB144_1295
.LBB144_1293:
	s_lshl_b32 s0, s9, 3
	s_mul_i32 s6, s9, 12
	s_add_u32 s0, s2, s0
	s_addc_u32 s1, s3, 0
	s_add_u32 s0, s0, 0xc4
	s_addc_u32 s1, s1, 0
	;; [unrolled: 2-line block ×3, first 2 shown]
	.p2align	6
.LBB144_1294:                           ; =>This Inner Loop Header: Depth=1
	s_clause 0x1
	s_load_dwordx2 s[14:15], s[6:7], 0x4
	s_load_dword s9, s[6:7], 0xc
	s_load_dwordx2 s[16:17], s[0:1], 0x0
	s_add_u32 s6, s6, 12
	s_addc_u32 s7, s7, 0
	s_add_u32 s0, s0, 8
	s_addc_u32 s1, s1, 0
	s_add_i32 s10, s10, -1
	s_cmp_lg_u32 s10, 0
	s_waitcnt vmcnt(0) lgkmcnt(0)
	v_mul_hi_u32 v3, s15, v1
	v_add_nc_u32_e32 v3, v1, v3
	v_lshrrev_b32_e32 v3, s9, v3
	v_mul_lo_u32 v5, v3, s14
	v_sub_nc_u32_e32 v5, v1, v5
	v_mad_u64_u32 v[0:1], null, v5, s16, v[0:1]
	v_mad_u64_u32 v[7:8], null, v5, s17, v[7:8]
	v_mov_b32_e32 v1, v3
	s_cbranch_scc1 .LBB144_1294
.LBB144_1295:
	s_andn2_b32 vcc_lo, exec_lo, s8
	s_cbranch_vccnz .LBB144_1298
; %bb.1296:
	s_clause 0x1
	s_load_dwordx4 s[8:11], s[2:3], 0x4
	s_load_dwordx2 s[0:1], s[2:3], 0xc4
	s_cmp_lt_u32 s24, 2
	s_waitcnt lgkmcnt(0)
	v_mul_hi_u32 v0, s9, v15
	v_add_nc_u32_e32 v0, v15, v0
	v_lshrrev_b32_e32 v1, s10, v0
	v_mul_lo_u32 v0, v1, s8
	s_waitcnt vmcnt(0)
	v_sub_nc_u32_e32 v3, v15, v0
	v_mul_lo_u32 v0, v3, s0
	v_mul_lo_u32 v7, v3, s1
	s_cbranch_scc1 .LBB144_1298
; %bb.1297:
	s_clause 0x1
	s_load_dwordx4 s[8:11], s[2:3], 0x10
	s_load_dwordx2 s[0:1], s[2:3], 0xcc
	s_waitcnt lgkmcnt(0)
	v_mul_hi_u32 v3, s9, v1
	v_add_nc_u32_e32 v3, v1, v3
	v_lshrrev_b32_e32 v3, s10, v3
	v_mul_lo_u32 v3, v3, s8
	v_sub_nc_u32_e32 v3, v1, v3
	v_mad_u64_u32 v[0:1], null, v3, s0, v[0:1]
	v_mad_u64_u32 v[7:8], null, v3, s1, v[7:8]
.LBB144_1298:
	s_clause 0x1
	s_load_dwordx4 s[8:11], s[2:3], 0x148
	s_load_dword s6, s[4:5], 0x160
	s_waitcnt lgkmcnt(0)
	v_add_co_u32 v12, s0, s10, v13
	v_add_co_ci_u32_e64 v13, null, s11, 0, s0
	s_bfe_u32 s0, s6, 0x80010
	s_cmp_lt_i32 s0, 11
	s_cbranch_scc1 .LBB144_1305
; %bb.1299:
	s_and_b32 s1, 0xffff, s0
	s_mov_b32 s3, 0
	s_cmp_gt_i32 s1, 25
	s_cbranch_scc0 .LBB144_1307
; %bb.1300:
	s_cmp_gt_i32 s1, 28
	s_cbranch_scc0 .LBB144_1308
; %bb.1301:
	;; [unrolled: 3-line block ×4, first 2 shown]
	s_cmp_eq_u32 s1, 46
	s_mov_b32 s5, 0
	s_cbranch_scc0 .LBB144_1313
; %bb.1304:
	global_load_dword v1, v[12:13], off
	s_mov_b32 s2, 0
	s_mov_b32 s4, -1
	s_waitcnt vmcnt(0)
	v_lshlrev_b32_e32 v1, 16, v1
	s_branch .LBB144_1315
.LBB144_1305:
	s_mov_b32 s4, 0
	s_mov_b32 s5, s12
                                        ; implicit-def: $vgpr1
	s_cbranch_execnz .LBB144_1378
.LBB144_1306:
	s_andn2_b32 vcc_lo, exec_lo, s4
	s_cbranch_vccz .LBB144_1423
	s_branch .LBB144_2399
.LBB144_1307:
	s_mov_b32 s4, 0
	s_mov_b32 s2, 0
                                        ; implicit-def: $vgpr1
	s_cbranch_execnz .LBB144_1343
	s_branch .LBB144_1374
.LBB144_1308:
	s_mov_b32 s5, -1
	s_mov_b32 s4, 0
	s_mov_b32 s2, 0
                                        ; implicit-def: $vgpr1
	s_branch .LBB144_1324
.LBB144_1309:
	s_mov_b32 s4, 0
	s_mov_b32 s2, 0
                                        ; implicit-def: $vgpr1
	s_cbranch_execnz .LBB144_1320
	s_branch .LBB144_1323
.LBB144_1310:
	s_mov_b32 s5, -1
	s_mov_b32 s4, 0
	s_mov_b32 s2, 0
	s_branch .LBB144_1314
.LBB144_1311:
	s_andn2_saveexec_b32 s11, s11
	s_cbranch_execz .LBB144_1154
.LBB144_1312:
	v_add_f32_e64 v0, 0x46000000, |v3|
	s_andn2_b32 s10, s10, exec_lo
	v_and_b32_e32 v0, 0xff, v0
	v_cmp_ne_u32_e32 vcc_lo, 0, v0
	s_and_b32 s12, vcc_lo, exec_lo
	s_or_b32 s10, s10, s12
	s_or_b32 exec_lo, exec_lo, s11
	v_mov_b32_e32 v4, 0
	s_and_saveexec_b32 s11, s10
	s_cbranch_execnz .LBB144_1155
	s_branch .LBB144_1156
.LBB144_1313:
	s_mov_b32 s2, -1
	s_mov_b32 s4, 0
.LBB144_1314:
                                        ; implicit-def: $vgpr1
.LBB144_1315:
	s_and_b32 vcc_lo, exec_lo, s5
	s_cbranch_vccz .LBB144_1318
; %bb.1316:
	s_cmp_eq_u32 s1, 44
	s_cbranch_scc0 .LBB144_1319
; %bb.1317:
	global_load_ubyte v1, v[12:13], off
	s_mov_b32 s2, 0
	s_mov_b32 s4, -1
	s_waitcnt vmcnt(0)
	v_lshlrev_b32_e32 v3, 23, v1
	v_cmp_ne_u32_e32 vcc_lo, 0xff, v1
	v_cndmask_b32_e32 v3, 0x7f800001, v3, vcc_lo
	v_cmp_ne_u32_e32 vcc_lo, 0, v1
	v_cndmask_b32_e32 v1, 0x400000, v3, vcc_lo
.LBB144_1318:
	s_branch .LBB144_1323
.LBB144_1319:
	s_mov_b32 s2, -1
                                        ; implicit-def: $vgpr1
	s_branch .LBB144_1323
.LBB144_1320:
	s_cmp_eq_u32 s1, 29
	s_cbranch_scc0 .LBB144_1322
; %bb.1321:
	global_load_dwordx2 v[14:15], v[12:13], off
	s_mov_b32 s2, 0
	s_mov_b32 s4, -1
	s_mov_b32 s5, 0
	s_waitcnt vmcnt(0)
	v_ffbh_u32_e32 v1, v15
	v_min_u32_e32 v1, 32, v1
	v_lshlrev_b64 v[14:15], v1, v[14:15]
	v_sub_nc_u32_e32 v1, 32, v1
	v_min_u32_e32 v3, 1, v14
	v_or_b32_e32 v3, v15, v3
	v_cvt_f32_u32_e32 v3, v3
	v_ldexp_f32 v1, v3, v1
	s_branch .LBB144_1324
.LBB144_1322:
	s_mov_b32 s2, -1
                                        ; implicit-def: $vgpr1
.LBB144_1323:
	s_mov_b32 s5, 0
.LBB144_1324:
	s_and_b32 vcc_lo, exec_lo, s5
	s_cbranch_vccz .LBB144_1342
; %bb.1325:
	s_cmp_lt_i32 s1, 27
	s_cbranch_scc1 .LBB144_1328
; %bb.1326:
	s_cmp_gt_i32 s1, 27
	s_cbranch_scc0 .LBB144_1329
; %bb.1327:
	global_load_dword v1, v[12:13], off
	s_mov_b32 s4, 0
	s_waitcnt vmcnt(0)
	v_cvt_f32_u32_e32 v1, v1
	s_branch .LBB144_1330
.LBB144_1328:
	s_mov_b32 s4, -1
                                        ; implicit-def: $vgpr1
	s_branch .LBB144_1333
.LBB144_1329:
	s_mov_b32 s4, -1
                                        ; implicit-def: $vgpr1
.LBB144_1330:
	s_andn2_b32 vcc_lo, exec_lo, s4
	s_cbranch_vccnz .LBB144_1332
; %bb.1331:
	global_load_ushort v1, v[12:13], off
	s_waitcnt vmcnt(0)
	v_cvt_f32_u32_e32 v1, v1
.LBB144_1332:
	s_mov_b32 s4, 0
.LBB144_1333:
	s_andn2_b32 vcc_lo, exec_lo, s4
	s_cbranch_vccnz .LBB144_1341
; %bb.1334:
	global_load_ubyte v3, v[12:13], off
	s_mov_b32 s4, 0
	s_mov_b32 s5, exec_lo
	s_waitcnt vmcnt(0)
	v_cmpx_lt_i16_e32 0x7f, v3
	s_xor_b32 s5, exec_lo, s5
	s_cbranch_execz .LBB144_1354
; %bb.1335:
	s_mov_b32 s4, -1
	s_mov_b32 s7, exec_lo
	v_cmpx_eq_u16_e32 0x80, v3
; %bb.1336:
	s_xor_b32 s4, exec_lo, -1
; %bb.1337:
	s_or_b32 exec_lo, exec_lo, s7
	s_and_b32 s4, s4, exec_lo
	s_or_saveexec_b32 s5, s5
	v_mov_b32_e32 v1, 0x7f800001
	s_xor_b32 exec_lo, exec_lo, s5
	s_cbranch_execnz .LBB144_1355
.LBB144_1338:
	s_or_b32 exec_lo, exec_lo, s5
	s_and_saveexec_b32 s5, s4
	s_cbranch_execz .LBB144_1340
.LBB144_1339:
	v_and_b32_e32 v1, 0xffff, v3
	v_lshlrev_b32_e32 v3, 24, v3
	v_and_b32_e32 v5, 7, v1
	v_bfe_u32 v14, v1, 3, 4
	v_and_b32_e32 v3, 0x80000000, v3
	v_ffbh_u32_e32 v8, v5
	v_cmp_eq_u32_e32 vcc_lo, 0, v14
	v_min_u32_e32 v8, 32, v8
	v_subrev_nc_u32_e32 v10, 28, v8
	v_sub_nc_u32_e32 v8, 29, v8
	v_lshlrev_b32_e32 v1, v10, v1
	v_cndmask_b32_e32 v8, v14, v8, vcc_lo
	v_and_b32_e32 v1, 7, v1
	v_cndmask_b32_e32 v1, v5, v1, vcc_lo
	v_lshl_add_u32 v5, v8, 23, 0x3b800000
	v_lshlrev_b32_e32 v1, 20, v1
	v_or3_b32 v1, v3, v5, v1
.LBB144_1340:
	s_or_b32 exec_lo, exec_lo, s5
.LBB144_1341:
	s_mov_b32 s4, -1
.LBB144_1342:
	s_branch .LBB144_1374
.LBB144_1343:
	s_cmp_gt_i32 s1, 22
	s_cbranch_scc0 .LBB144_1353
; %bb.1344:
	s_cmp_lt_i32 s1, 24
	s_cbranch_scc1 .LBB144_1356
; %bb.1345:
	s_cmp_gt_i32 s1, 24
	s_cbranch_scc0 .LBB144_1357
; %bb.1346:
	global_load_ubyte v3, v[12:13], off
	s_mov_b32 s4, exec_lo
	s_waitcnt vmcnt(0)
	v_cmpx_lt_i16_e32 0x7f, v3
	s_xor_b32 s4, exec_lo, s4
	s_cbranch_execz .LBB144_1368
; %bb.1347:
	s_mov_b32 s3, -1
	s_mov_b32 s5, exec_lo
	v_cmpx_eq_u16_e32 0x80, v3
; %bb.1348:
	s_xor_b32 s3, exec_lo, -1
; %bb.1349:
	s_or_b32 exec_lo, exec_lo, s5
	s_and_b32 s3, s3, exec_lo
	s_or_saveexec_b32 s4, s4
	v_mov_b32_e32 v1, 0x7f800001
	s_xor_b32 exec_lo, exec_lo, s4
	s_cbranch_execnz .LBB144_1369
.LBB144_1350:
	s_or_b32 exec_lo, exec_lo, s4
	s_and_saveexec_b32 s4, s3
	s_cbranch_execz .LBB144_1352
.LBB144_1351:
	v_and_b32_e32 v1, 0xffff, v3
	v_lshlrev_b32_e32 v3, 24, v3
	v_and_b32_e32 v5, 3, v1
	v_bfe_u32 v14, v1, 2, 5
	v_and_b32_e32 v3, 0x80000000, v3
	v_ffbh_u32_e32 v8, v5
	v_cmp_eq_u32_e32 vcc_lo, 0, v14
	v_min_u32_e32 v8, 32, v8
	v_subrev_nc_u32_e32 v10, 29, v8
	v_sub_nc_u32_e32 v8, 30, v8
	v_lshlrev_b32_e32 v1, v10, v1
	v_cndmask_b32_e32 v8, v14, v8, vcc_lo
	v_and_b32_e32 v1, 3, v1
	v_cndmask_b32_e32 v1, v5, v1, vcc_lo
	v_lshl_add_u32 v5, v8, 23, 0x37800000
	v_lshlrev_b32_e32 v1, 21, v1
	v_or3_b32 v1, v3, v5, v1
.LBB144_1352:
	s_or_b32 exec_lo, exec_lo, s4
	s_mov_b32 s3, 0
	s_branch .LBB144_1358
.LBB144_1353:
                                        ; implicit-def: $vgpr1
	s_mov_b32 s3, 0
	s_branch .LBB144_1364
.LBB144_1354:
	s_or_saveexec_b32 s5, s5
	v_mov_b32_e32 v1, 0x7f800001
	s_xor_b32 exec_lo, exec_lo, s5
	s_cbranch_execz .LBB144_1338
.LBB144_1355:
	v_cmp_ne_u16_e32 vcc_lo, 0, v3
	v_mov_b32_e32 v1, 0
	s_andn2_b32 s4, s4, exec_lo
	s_and_b32 s7, vcc_lo, exec_lo
	s_or_b32 s4, s4, s7
	s_or_b32 exec_lo, exec_lo, s5
	s_and_saveexec_b32 s5, s4
	s_cbranch_execnz .LBB144_1339
	s_branch .LBB144_1340
.LBB144_1356:
	s_mov_b32 s3, -1
                                        ; implicit-def: $vgpr1
	s_branch .LBB144_1361
.LBB144_1357:
	s_mov_b32 s3, -1
                                        ; implicit-def: $vgpr1
.LBB144_1358:
	s_and_b32 vcc_lo, exec_lo, s3
	s_cbranch_vccz .LBB144_1360
; %bb.1359:
	global_load_ubyte v1, v[12:13], off
	s_waitcnt vmcnt(0)
	v_lshlrev_b32_e32 v1, 24, v1
	v_and_b32_e32 v3, 0x7f000000, v1
	v_ffbh_u32_e32 v5, v3
	v_add_nc_u32_e32 v10, 0x1000000, v3
	v_cmp_ne_u32_e32 vcc_lo, 0, v3
	v_min_u32_e32 v5, 32, v5
	v_sub_nc_u32_e64 v5, v5, 4 clamp
	v_lshlrev_b32_e32 v8, v5, v3
	v_lshlrev_b32_e32 v5, 23, v5
	v_lshrrev_b32_e32 v8, 4, v8
	v_sub_nc_u32_e32 v5, v8, v5
	v_ashrrev_i32_e32 v8, 8, v10
	v_add_nc_u32_e32 v5, 0x3c000000, v5
	v_and_or_b32 v5, 0x7f800000, v8, v5
	v_cndmask_b32_e32 v3, 0, v5, vcc_lo
	v_and_or_b32 v1, 0x80000000, v1, v3
.LBB144_1360:
	s_mov_b32 s3, 0
.LBB144_1361:
	s_andn2_b32 vcc_lo, exec_lo, s3
	s_cbranch_vccnz .LBB144_1363
; %bb.1362:
	global_load_ubyte v1, v[12:13], off
	s_waitcnt vmcnt(0)
	v_lshlrev_b32_e32 v3, 25, v1
	v_lshlrev_b16 v1, 8, v1
	v_lshrrev_b32_e32 v5, 4, v3
	v_and_or_b32 v8, 0x7f00, v1, 0.5
	v_cmp_gt_u32_e32 vcc_lo, 0x8000000, v3
	v_bfe_i32 v1, v1, 0, 16
	v_or_b32_e32 v5, 0x70000000, v5
	v_add_f32_e32 v8, -0.5, v8
	v_mul_f32_e32 v5, 0x7800000, v5
	v_cndmask_b32_e32 v3, v5, v8, vcc_lo
	v_and_or_b32 v1, 0x80000000, v1, v3
.LBB144_1363:
	s_mov_b32 s4, -1
	s_mov_b32 s3, 0
	s_cbranch_execnz .LBB144_1374
.LBB144_1364:
	s_cmp_gt_i32 s1, 14
	s_cbranch_scc0 .LBB144_1367
; %bb.1365:
	s_cmp_eq_u32 s1, 15
	s_cbranch_scc0 .LBB144_1370
; %bb.1366:
	global_load_ushort v1, v[12:13], off
	s_mov_b32 s2, 0
	s_mov_b32 s4, -1
	s_waitcnt vmcnt(0)
	v_lshlrev_b32_e32 v1, 16, v1
	s_branch .LBB144_1372
.LBB144_1367:
	s_mov_b32 s3, -1
	s_branch .LBB144_1371
.LBB144_1368:
	s_or_saveexec_b32 s4, s4
	v_mov_b32_e32 v1, 0x7f800001
	s_xor_b32 exec_lo, exec_lo, s4
	s_cbranch_execz .LBB144_1350
.LBB144_1369:
	v_cmp_ne_u16_e32 vcc_lo, 0, v3
	v_mov_b32_e32 v1, 0
	s_andn2_b32 s3, s3, exec_lo
	s_and_b32 s5, vcc_lo, exec_lo
	s_or_b32 s3, s3, s5
	s_or_b32 exec_lo, exec_lo, s4
	s_and_saveexec_b32 s4, s3
	s_cbranch_execnz .LBB144_1351
	s_branch .LBB144_1352
.LBB144_1370:
	s_mov_b32 s2, -1
.LBB144_1371:
                                        ; implicit-def: $vgpr1
.LBB144_1372:
	s_and_b32 vcc_lo, exec_lo, s3
	s_mov_b32 s3, 0
	s_cbranch_vccz .LBB144_1374
; %bb.1373:
	s_cmp_lg_u32 s1, 11
	s_mov_b32 s3, -1
	s_cselect_b32 s2, -1, 0
.LBB144_1374:
	s_and_b32 vcc_lo, exec_lo, s2
	s_mov_b32 s5, s12
	s_cbranch_vccnz .LBB144_1473
; %bb.1375:
	s_andn2_b32 vcc_lo, exec_lo, s3
	s_cbranch_vccnz .LBB144_1377
.LBB144_1376:
	global_load_ubyte v1, v[12:13], off
	s_mov_b32 s4, -1
	s_waitcnt vmcnt(0)
	v_cmp_ne_u16_e32 vcc_lo, 0, v1
	v_cndmask_b32_e64 v1, 0, 1.0, vcc_lo
.LBB144_1377:
	s_branch .LBB144_1306
.LBB144_1378:
	s_and_b32 s0, 0xffff, s0
	s_cmp_lt_i32 s0, 5
	s_cbranch_scc1 .LBB144_1383
; %bb.1379:
	s_cmp_lt_i32 s0, 8
	s_cbranch_scc1 .LBB144_1384
; %bb.1380:
	;; [unrolled: 3-line block ×3, first 2 shown]
	s_cmp_gt_i32 s0, 9
	s_cbranch_scc0 .LBB144_1386
; %bb.1382:
	global_load_dwordx2 v[14:15], v[12:13], off
	s_mov_b32 s1, 0
	s_waitcnt vmcnt(0)
	v_cvt_f32_f64_e32 v1, v[14:15]
	s_branch .LBB144_1387
.LBB144_1383:
                                        ; implicit-def: $vgpr1
	s_branch .LBB144_1404
.LBB144_1384:
                                        ; implicit-def: $vgpr1
	s_branch .LBB144_1393
.LBB144_1385:
	s_mov_b32 s1, -1
                                        ; implicit-def: $vgpr1
	s_branch .LBB144_1390
.LBB144_1386:
	s_mov_b32 s1, -1
                                        ; implicit-def: $vgpr1
.LBB144_1387:
	s_andn2_b32 vcc_lo, exec_lo, s1
	s_cbranch_vccnz .LBB144_1389
; %bb.1388:
	global_load_dword v1, v[12:13], off
.LBB144_1389:
	s_mov_b32 s1, 0
.LBB144_1390:
	s_andn2_b32 vcc_lo, exec_lo, s1
	s_cbranch_vccnz .LBB144_1392
; %bb.1391:
	global_load_dword v1, v[12:13], off
	s_waitcnt vmcnt(0)
	v_cvt_f32_f16_e32 v1, v1
.LBB144_1392:
	s_cbranch_execnz .LBB144_1403
.LBB144_1393:
	s_cmp_lt_i32 s0, 6
	s_cbranch_scc1 .LBB144_1396
; %bb.1394:
	s_cmp_gt_i32 s0, 6
	s_cbranch_scc0 .LBB144_1397
; %bb.1395:
	global_load_dwordx2 v[14:15], v[12:13], off
	s_mov_b32 s1, 0
	s_waitcnt vmcnt(0)
	v_cvt_f32_f64_e32 v1, v[14:15]
	s_branch .LBB144_1398
.LBB144_1396:
	s_mov_b32 s1, -1
                                        ; implicit-def: $vgpr1
	s_branch .LBB144_1401
.LBB144_1397:
	s_mov_b32 s1, -1
                                        ; implicit-def: $vgpr1
.LBB144_1398:
	s_andn2_b32 vcc_lo, exec_lo, s1
	s_cbranch_vccnz .LBB144_1400
; %bb.1399:
	global_load_dword v1, v[12:13], off
.LBB144_1400:
	s_mov_b32 s1, 0
.LBB144_1401:
	s_andn2_b32 vcc_lo, exec_lo, s1
	s_cbranch_vccnz .LBB144_1403
; %bb.1402:
	global_load_ushort v1, v[12:13], off
	s_waitcnt vmcnt(0)
	v_cvt_f32_f16_e32 v1, v1
.LBB144_1403:
	s_cbranch_execnz .LBB144_1422
.LBB144_1404:
	s_cmp_lt_i32 s0, 2
	s_cbranch_scc1 .LBB144_1408
; %bb.1405:
	s_cmp_lt_i32 s0, 3
	s_cbranch_scc1 .LBB144_1409
; %bb.1406:
	s_cmp_gt_i32 s0, 3
	s_cbranch_scc0 .LBB144_1410
; %bb.1407:
	global_load_dwordx2 v[14:15], v[12:13], off
	s_mov_b32 s1, 0
	s_waitcnt vmcnt(0)
	v_xor_b32_e32 v1, v14, v15
	v_ffbh_i32_e32 v3, v15
	v_ashrrev_i32_e32 v1, 31, v1
	v_add_nc_u32_e32 v3, -1, v3
	v_add_nc_u32_e32 v1, 32, v1
	v_min_u32_e32 v1, v3, v1
	v_lshlrev_b64 v[14:15], v1, v[14:15]
	v_sub_nc_u32_e32 v1, 32, v1
	v_min_u32_e32 v3, 1, v14
	v_or_b32_e32 v3, v15, v3
	v_cvt_f32_i32_e32 v3, v3
	v_ldexp_f32 v1, v3, v1
	s_branch .LBB144_1411
.LBB144_1408:
                                        ; implicit-def: $vgpr1
	s_branch .LBB144_1417
.LBB144_1409:
	s_mov_b32 s1, -1
                                        ; implicit-def: $vgpr1
	s_branch .LBB144_1414
.LBB144_1410:
	s_mov_b32 s1, -1
                                        ; implicit-def: $vgpr1
.LBB144_1411:
	s_andn2_b32 vcc_lo, exec_lo, s1
	s_cbranch_vccnz .LBB144_1413
; %bb.1412:
	global_load_dword v1, v[12:13], off
	s_waitcnt vmcnt(0)
	v_cvt_f32_i32_e32 v1, v1
.LBB144_1413:
	s_mov_b32 s1, 0
.LBB144_1414:
	s_andn2_b32 vcc_lo, exec_lo, s1
	s_cbranch_vccnz .LBB144_1416
; %bb.1415:
	global_load_sshort v1, v[12:13], off
	s_waitcnt vmcnt(0)
	v_cvt_f32_i32_e32 v1, v1
.LBB144_1416:
	s_cbranch_execnz .LBB144_1422
.LBB144_1417:
	s_cmp_gt_i32 s0, 0
	s_mov_b32 s0, 0
	s_cbranch_scc0 .LBB144_1419
; %bb.1418:
	global_load_sbyte v1, v[12:13], off
	s_waitcnt vmcnt(0)
	v_cvt_f32_i32_e32 v1, v1
	s_branch .LBB144_1420
.LBB144_1419:
	s_mov_b32 s0, -1
                                        ; implicit-def: $vgpr1
.LBB144_1420:
	s_andn2_b32 vcc_lo, exec_lo, s0
	s_cbranch_vccnz .LBB144_1422
; %bb.1421:
	global_load_ubyte v1, v[12:13], off
	s_waitcnt vmcnt(0)
	v_cvt_f32_ubyte0_e32 v1, v1
.LBB144_1422:
.LBB144_1423:
	s_waitcnt vmcnt(0)
	v_and_b32_e32 v3, 0x7fffffff, v1
	s_mov_b32 s1, exec_lo
                                        ; implicit-def: $vgpr5
	v_cmpx_ngt_f32_e64 0x3c800000, |v1|
	s_xor_b32 s1, exec_lo, s1
	s_cbranch_execz .LBB144_1453
; %bb.1424:
	s_mov_b32 s2, exec_lo
                                        ; implicit-def: $vgpr5
	v_cmpx_nlt_f32_e64 |v1|, 2.0
	s_xor_b32 s2, exec_lo, s2
	s_cbranch_execz .LBB144_1434
; %bb.1425:
	v_cmp_ngt_f32_e64 s0, 0x41000000, |v1|
                                        ; implicit-def: $vgpr5
	s_and_saveexec_b32 s3, s0
	s_xor_b32 s0, exec_lo, s3
	s_cbranch_execz .LBB144_1431
; %bb.1426:
	v_cmp_ngt_f32_e64 s3, 0x5c800000, |v1|
                                        ; implicit-def: $vgpr5
	s_and_saveexec_b32 s4, s3
	s_xor_b32 s3, exec_lo, s4
	s_cbranch_execz .LBB144_1428
; %bb.1427:
	v_cmp_gt_f32_e64 s4, 0x800000, |v1|
	v_cndmask_b32_e64 v5, 0, 32, s4
	v_ldexp_f32 v5, |v1|, v5
	v_log_f32_e32 v5, v5
	v_mul_f32_e32 v8, 0x3f317217, v5
	v_cmp_gt_f32_e64 vcc_lo, 0x7f800000, |v5|
	v_fma_f32 v10, 0x3f317217, v5, -v8
	v_fmamk_f32 v10, v5, 0x3377d1cf, v10
	v_add_f32_e32 v8, v8, v10
	v_cndmask_b32_e32 v5, v5, v8, vcc_lo
	v_cndmask_b32_e64 v8, 0, 0x41b17218, s4
	v_sub_f32_e32 v5, v5, v8
	v_fma_f32 v5, |v1|, v5, -|v1|
.LBB144_1428:
	s_andn2_saveexec_b32 s3, s3
	s_cbranch_execz .LBB144_1430
; %bb.1429:
	v_cmp_gt_f32_e64 s4, 0x800000, |v1|
	v_rcp_f32_e64 v8, |v1|
	s_mov_b32 s7, 0xbad5c4e8
	v_cndmask_b32_e64 v5, 0, 32, s4
	v_ldexp_f32 v5, |v1|, v5
	v_mul_f32_e32 v10, v8, v8
	v_log_f32_e32 v5, v5
	v_fmaak_f32 v13, s7, v10, 0x3a5b3dd2
	v_fmaak_f32 v13, v10, v13, 0xba1c065c
	v_mul_f32_e32 v12, 0x3f317217, v5
	v_fmaak_f32 v13, v10, v13, 0x3a500cfd
	v_cmp_gt_f32_e64 vcc_lo, 0x7f800000, |v5|
	v_fma_f32 v14, 0x3f317217, v5, -v12
	v_fmaak_f32 v13, v10, v13, 0xbb360b61
	v_fmamk_f32 v14, v5, 0x3377d1cf, v14
	v_fmaak_f32 v10, v10, v13, 0x3daaaaab
	v_add_f32_e32 v12, v12, v14
	v_cndmask_b32_e32 v5, v5, v12, vcc_lo
	v_cndmask_b32_e64 v12, 0, 0x41b17218, s4
	v_sub_f32_e32 v12, v5, v12
	v_fmaak_f32 v5, v8, v10, 0x3ed67f1d
	v_add_f32_e64 v8, |v1|, -0.5
	v_add_f32_e32 v10, -1.0, v12
	v_fmac_f32_e32 v5, v8, v10
.LBB144_1430:
	s_or_b32 exec_lo, exec_lo, s3
.LBB144_1431:
	s_andn2_saveexec_b32 s3, s0
	s_cbranch_execz .LBB144_1433
; %bb.1432:
	v_cvt_i32_f32_e32 v5, v3
	s_mov_b32 s0, 0x36f5d7bd
	s_mov_b32 s4, 0x3805ff67
	v_cvt_f32_i32_e32 v8, v5
	v_cmp_lt_i32_e32 vcc_lo, 2, v5
	v_sub_f32_e64 v8, |v1|, v8
	v_add_f32_e32 v10, 2.0, v8
	v_add_f32_e32 v12, 0x40400000, v8
	v_add_f32_e32 v13, 4.0, v8
	v_add_f32_e32 v14, 0x40a00000, v8
	v_cndmask_b32_e32 v10, 1.0, v10, vcc_lo
	v_cmp_lt_i32_e32 vcc_lo, 3, v5
	v_cndmask_b32_e32 v12, 1.0, v12, vcc_lo
	v_cmp_lt_i32_e32 vcc_lo, 4, v5
	v_mul_f32_e32 v10, v10, v12
	v_cndmask_b32_e32 v13, 1.0, v13, vcc_lo
	v_cmp_lt_i32_e32 vcc_lo, 5, v5
	v_add_f32_e32 v12, 0x40c00000, v8
	v_mul_f32_e32 v10, v13, v10
	v_cndmask_b32_e32 v14, 1.0, v14, vcc_lo
	v_cmp_lt_i32_e32 vcc_lo, 6, v5
	v_fmaak_f32 v13, s4, v8, 0x3af135b4
	v_mul_f32_e32 v10, v14, v10
	v_cndmask_b32_e32 v5, 1.0, v12, vcc_lo
	v_mul_f32_e32 v5, v5, v10
	v_fmaak_f32 v10, s0, v8, 0x3a4beed6
	v_cmp_gt_f32_e32 vcc_lo, 0x800000, v5
	v_fmaak_f32 v10, v8, v10, 0x3c98bf54
	v_cndmask_b32_e64 v12, 0, 32, vcc_lo
	v_fmaak_f32 v10, v8, v10, 0x3e300f6e
	v_ldexp_f32 v5, v5, v12
	v_fmaak_f32 v12, v8, v13, 0x3cda40e4
	v_fmaak_f32 v10, v8, v10, 0x3f38d0c5
	v_log_f32_e32 v5, v5
	v_fmaak_f32 v12, v8, v12, 0x3e15dce6
	v_fmaak_f32 v10, v8, v10, 0x3fb22d3b
	;; [unrolled: 1-line block ×3, first 2 shown]
	v_fma_f32 v10, v8, v10, 1.0
	v_mul_f32_e32 v13, 0x3f317217, v5
	v_fmaak_f32 v12, v8, v12, 0x3e5c245a
	v_rcp_f32_e32 v10, v10
	v_cmp_gt_f32_e64 s0, 0x7f800000, |v5|
	v_fma_f32 v14, 0x3f317217, v5, -v13
	v_fmaak_f32 v12, v8, v12, 0xbd9e233f
	v_fmamk_f32 v14, v5, 0x3377d1cf, v14
	v_mul_f32_e32 v12, v8, v12
	v_add_f32_e32 v13, v13, v14
	v_mul_f32_e32 v10, v12, v10
	v_cndmask_b32_e64 v12, 0, 0x41b17218, vcc_lo
	v_cndmask_b32_e64 v5, v5, v13, s0
	v_fmac_f32_e32 v10, 0.5, v8
	v_sub_f32_e32 v5, v5, v12
	v_add_f32_e32 v5, v5, v10
.LBB144_1433:
	s_or_b32 exec_lo, exec_lo, s3
.LBB144_1434:
	s_andn2_saveexec_b32 s2, s2
	s_cbranch_execz .LBB144_1452
; %bb.1435:
	s_mov_b32 s3, exec_lo
                                        ; implicit-def: $vgpr5
                                        ; implicit-def: $vgpr10
                                        ; implicit-def: $vgpr8
	v_cmpx_ge_f32_e64 0x3f666666, |v1|
	s_xor_b32 s3, exec_lo, s3
	s_cbranch_execz .LBB144_1437
; %bb.1436:
	v_cmp_gt_f32_e64 s0, 0x800000, |v1|
	v_sub_f32_e64 v12, 1.0, |v1|
	v_cmp_gt_f32_e64 vcc_lo, 0x3f3b4a23, |v1|
	v_cndmask_b32_e64 v5, 0, 32, s0
	v_cndmask_b32_e64 v13, 0, 0x41b17218, s0
	v_ldexp_f32 v5, |v1|, v5
	v_log_f32_e32 v5, v5
	v_mul_f32_e32 v8, 0x3f317217, v5
	v_cmp_gt_f32_e64 s0, 0x7f800000, |v5|
	v_fma_f32 v10, 0x3f317217, v5, -v8
	v_fmamk_f32 v10, v5, 0x3377d1cf, v10
	v_add_f32_e32 v8, v8, v10
	v_add_f32_e64 v10, 0xbeec5b0c, |v1|
	v_cndmask_b32_e64 v5, v5, v8, s0
	v_cndmask_b32_e32 v8, v12, v10, vcc_lo
	v_cndmask_b32_e64 v10, 0, 1, vcc_lo
	v_cmp_gt_f32_e64 s0, 0x3e6d3309, |v1|
	v_sub_f32_e32 v5, v5, v13
	v_cndmask_b32_e64 v8, v8, |v1|, s0
	v_cndmask_b32_e64 v10, v10, 2, s0
	v_xor_b32_e32 v5, 0x80000000, v5
.LBB144_1437:
	s_andn2_saveexec_b32 s0, s3
	s_cbranch_execz .LBB144_1439
; %bb.1438:
	v_sub_f32_e64 v5, 2.0, |v1|
	v_add_f32_e64 v8, 0xbfbb16c3, |v1|
	v_cmp_gt_f32_e64 vcc_lo, 0x3fdda512, |v1|
	v_add_f32_e64 v10, |v1|, -1.0
	v_cndmask_b32_e32 v8, v5, v8, vcc_lo
	v_cndmask_b32_e64 v5, v5, 1.0, vcc_lo
	v_cmp_gt_f32_e64 vcc_lo, 0x3f9d70a4, |v1|
	v_cvt_i32_f32_e32 v5, v5
	v_cndmask_b32_e32 v8, v8, v10, vcc_lo
	v_cndmask_b32_e64 v10, v5, 2, vcc_lo
	v_mov_b32_e32 v5, 0
.LBB144_1439:
	s_or_b32 exec_lo, exec_lo, s0
	s_mov_b32 s0, exec_lo
	v_cmpx_lt_i32_e32 0, v10
	s_xor_b32 s0, exec_lo, s0
	s_cbranch_execz .LBB144_1447
; %bb.1440:
	s_mov_b32 s3, exec_lo
	v_cmpx_lt_i32_e32 1, v10
	s_xor_b32 s3, exec_lo, s3
	s_cbranch_execz .LBB144_1444
; %bb.1441:
	s_mov_b32 s4, exec_lo
	v_cmpx_eq_u32_e32 2, v10
	s_cbranch_execz .LBB144_1443
; %bb.1442:
	s_mov_b32 s7, 0x3b52d5db
	v_fmaak_f32 v10, s7, v8, 0x3dd572af
	s_mov_b32 s7, 0x3c5b3c5e
	v_fmaak_f32 v12, s7, v8, 0x3e6a7578
	v_fmaak_f32 v10, v8, v10, 0x3f44efdf
	;; [unrolled: 1-line block ×7, first 2 shown]
	v_fma_f32 v10, v8, v10, 1.0
	v_fmaak_f32 v12, v8, v12, 0xbd9e233f
	v_rcp_f32_e32 v10, v10
	v_mul_f32_e32 v12, v8, v12
	v_mul_f32_e32 v10, v12, v10
	v_fmac_f32_e32 v10, -0.5, v8
	v_add_f32_e32 v5, v5, v10
.LBB144_1443:
	s_or_b32 exec_lo, exec_lo, s4
                                        ; implicit-def: $vgpr8
.LBB144_1444:
	s_andn2_saveexec_b32 s3, s3
	s_cbranch_execz .LBB144_1446
; %bb.1445:
	v_mul_f32_e32 v10, v8, v8
	s_mov_b32 s4, 0xb9a3f927
	s_mov_b32 s7, 0x39afe9f7
	v_mul_f32_e32 v12, v8, v10
	v_fmaak_f32 v13, s4, v12, 0x3a66f867
	v_fmaak_f32 v14, s7, v12, 0xba0d3085
	s_mov_b32 s4, 0x39a57b6b
	v_fmaak_f32 v15, s4, v12, 0xbab7f476
	v_fmaak_f32 v13, v12, v13, 0xbb7177fe
	;; [unrolled: 1-line block ×9, first 2 shown]
	v_fmac_f32_e32 v13, v8, v14
	v_fmaak_f32 v8, v12, v15, 0x3ef7b95e
	v_fma_f32 v12, v12, -v13, 0xa2863e55
	v_fma_f32 v8, v10, v8, -v12
	v_add_f32_e32 v8, 0xbdf8cdce, v8
	v_add_f32_e32 v5, v5, v8
.LBB144_1446:
	s_or_b32 exec_lo, exec_lo, s3
                                        ; implicit-def: $vgpr10
                                        ; implicit-def: $vgpr8
.LBB144_1447:
	s_andn2_saveexec_b32 s0, s0
	s_cbranch_execz .LBB144_1451
; %bb.1448:
	s_mov_b32 s3, exec_lo
	v_cmpx_eq_u32_e32 0, v10
	s_cbranch_execz .LBB144_1450
; %bb.1449:
	v_mul_f32_e32 v10, v8, v8
	s_mov_b32 s4, 0x383c2c75
	v_fmaak_f32 v12, s4, v10, 0x38e28445
	s_mov_b32 s4, 0x37d383a2
	v_fmaak_f32 v13, s4, v10, 0x39679767
	v_fmaak_f32 v12, v10, v12, 0x3a05b634
	v_fmaak_f32 v13, v10, v13, 0x3a9c54a1
	v_fmaak_f32 v12, v10, v12, 0x3b3d6ec6
	v_fmaak_f32 v13, v10, v13, 0x3bf2027e
	v_fmaak_f32 v12, v10, v12, 0x3ca89915
	v_fmaak_f32 v13, v10, v13, 0x3d89f001
	v_fmaak_f32 v12, v10, v12, 0x3ea51a66
	v_fmaak_f32 v13, v10, v13, 0x3d9e233f
	v_mul_f32_e32 v10, v10, v12
	v_fmac_f32_e32 v10, v8, v13
	v_fmac_f32_e32 v10, -0.5, v8
	v_add_f32_e32 v5, v5, v10
.LBB144_1450:
	s_or_b32 exec_lo, exec_lo, s3
.LBB144_1451:
	s_or_b32 exec_lo, exec_lo, s0
.LBB144_1452:
	s_or_b32 exec_lo, exec_lo, s2
.LBB144_1453:
	s_andn2_saveexec_b32 s0, s1
	s_cbranch_execz .LBB144_1455
; %bb.1454:
	v_cmp_gt_f32_e64 s1, 0x800000, |v1|
	s_mov_b32 s2, 0x3e8a8991
	v_fma_f32 v12, |v1|, s2, 0xbecd26ab
	v_cndmask_b32_e64 v5, 0, 32, s1
	v_ldexp_f32 v5, |v1|, v5
	v_log_f32_e32 v5, v5
	v_mul_f32_e32 v8, 0x3f317217, v5
	v_cmp_gt_f32_e64 vcc_lo, 0x7f800000, |v5|
	v_fma_f32 v10, 0x3f317217, v5, -v8
	v_fmamk_f32 v10, v5, 0x3377d1cf, v10
	v_add_f32_e32 v8, v8, v10
	v_fma_f32 v10, |v1|, v12, 0x3f528d33
	v_cndmask_b32_e32 v5, v5, v8, vcc_lo
	v_cndmask_b32_e64 v8, 0, 0x41b17218, s1
	v_fma_f32 v10, |v1|, v10, 0xbf13c468
	v_sub_f32_e32 v5, v5, v8
	v_fma_f32 v5, |v1|, v10, -v5
.LBB144_1455:
	s_or_b32 exec_lo, exec_lo, s0
	v_cmp_le_f32_e64 s0, 0, v1
	s_mov_b32 s1, exec_lo
	v_cmpx_nle_f32_e32 0, v1
	s_xor_b32 s2, exec_lo, s1
	s_cbranch_execz .LBB144_1459
; %bb.1456:
	v_cmp_gt_f32_e64 s1, 0x4b000000, |v1|
	v_cmp_lt_f32_e64 s3, 0x35000000, |v1|
	s_and_b32 s1, s1, s3
	s_and_saveexec_b32 s3, s1
	s_cbranch_execz .LBB144_1458
; %bb.1457:
	v_mul_f32_e64 v8, |v1|, 0.5
	v_cmp_gt_f32_e64 s1, |v1|, 1.0
	s_mov_b32 s4, 0x3d4be544
	v_xor_b32_e32 v3, v3, v1
	v_floor_f32_e32 v10, v8
	v_cmp_neq_f32_e32 vcc_lo, 0x7f800000, v8
	v_sub_f32_e32 v10, v8, v10
	v_min_f32_e32 v10, 0x3f7fffff, v10
	v_add_f32_e32 v10, v10, v10
	v_cndmask_b32_e32 v8, 0, v10, vcc_lo
	v_cndmask_b32_e64 v8, |v1|, v8, s1
	s_mov_b32 s1, 0x3e75aa41
	v_add_f32_e32 v10, v8, v8
	v_rndne_f32_e32 v10, v10
	v_fmac_f32_e32 v8, -0.5, v10
	v_cvt_i32_f32_e32 v10, v10
	v_mul_f32_e32 v12, v8, v8
	v_fmaak_f32 v13, s1, v12, 0xbf1f24be
	v_fmaak_f32 v14, s4, v12, 0x3e642e9d
	v_mul_f32_e32 v15, v8, v12
	v_fmaak_f32 v13, v12, v13, 0x40234736
	v_fmaak_f32 v14, v12, v14, 0xbfaad1da
	;; [unrolled: 1-line block ×4, first 2 shown]
	v_mul_f32_e32 v13, v15, v13
	v_fmaak_f32 v14, v12, v14, 0xc09de9e6
	v_and_b32_e32 v15, 1, v10
	v_lshlrev_b32_e32 v10, 30, v10
	v_fmamk_f32 v8, v8, 0x40490fdb, v13
	v_fma_f32 v12, v12, v14, 1.0
	v_cmp_eq_u32_e32 vcc_lo, 0, v15
	v_and_b32_e32 v10, 0x80000000, v10
	v_cndmask_b32_e32 v8, v12, v8, vcc_lo
	v_xor3_b32 v3, v3, v10, v8
	v_mul_f32_e32 v3, v1, v3
	v_frexp_mant_f32_e64 v8, |v3|
	v_frexp_exp_i32_f32_e32 v3, v3
	v_rcp_f32_e32 v8, v8
	v_sub_nc_u32_e32 v3, 2, v3
	v_mul_f32_e32 v8, 0x3f490fdb, v8
	v_ldexp_f32 v3, v8, v3
	v_cmp_gt_f32_e32 vcc_lo, 0x800000, v3
	v_cndmask_b32_e64 v8, 0, 32, vcc_lo
	v_ldexp_f32 v3, v3, v8
	v_log_f32_e32 v3, v3
	v_mul_f32_e32 v8, 0x3f317217, v3
	v_cmp_gt_f32_e64 s1, 0x7f800000, |v3|
	v_fma_f32 v10, 0x3f317217, v3, -v8
	v_fmamk_f32 v10, v3, 0x3377d1cf, v10
	v_add_f32_e32 v8, v8, v10
	v_floor_f32_e32 v10, v1
	v_cndmask_b32_e64 v3, v3, v8, s1
	v_cndmask_b32_e64 v8, 0, 0x41b17218, vcc_lo
	v_sub_f32_e32 v10, v1, v10
	v_sub_f32_e32 v3, v3, v8
	v_min_f32_e32 v8, 0x3f7fffff, v10
	v_sub_f32_e32 v3, v3, v5
	v_cmp_neq_f32_e32 vcc_lo, 0, v8
	v_cndmask_b32_e32 v5, 0x7f800000, v3, vcc_lo
.LBB144_1458:
	s_or_b32 exec_lo, exec_lo, s3
.LBB144_1459:
	s_andn2_saveexec_b32 s2, s2
; %bb.1460:
	v_cmp_eq_f32_e32 vcc_lo, 1.0, v1
	v_cmp_eq_f32_e64 s1, 2.0, v1
	s_or_b32 s1, vcc_lo, s1
	v_cndmask_b32_e64 v5, v5, 0, s1
; %bb.1461:
	s_or_b32 exec_lo, exec_lo, s2
	v_add_co_u32 v10, s2, s10, v11
	s_lshr_b32 s1, s6, 16
	v_add_co_ci_u32_e64 v11, null, s11, 0, s2
	s_and_b32 s4, s1, 0xff
	s_cmp_lt_i32 s4, 11
	s_cbranch_scc1 .LBB144_1468
; %bb.1462:
	s_and_b32 s1, 0xffff, s4
	s_mov_b32 s3, 0
	s_cmp_gt_i32 s1, 25
	s_cbranch_scc0 .LBB144_1470
; %bb.1463:
	s_cmp_gt_i32 s1, 28
	s_cbranch_scc0 .LBB144_1471
; %bb.1464:
	;; [unrolled: 3-line block ×4, first 2 shown]
	s_cmp_eq_u32 s1, 46
	s_mov_b32 s14, 0
	s_cbranch_scc0 .LBB144_1477
; %bb.1467:
	global_load_dword v3, v[10:11], off
	s_mov_b32 s2, 0
	s_mov_b32 s7, -1
	s_waitcnt vmcnt(0)
	v_lshlrev_b32_e32 v3, 16, v3
	s_branch .LBB144_1479
.LBB144_1468:
	s_mov_b32 s7, 0
                                        ; implicit-def: $vgpr3
	s_cbranch_execnz .LBB144_1544
.LBB144_1469:
	s_andn2_b32 vcc_lo, exec_lo, s7
	s_cbranch_vccnz .LBB144_2399
	s_branch .LBB144_1591
.LBB144_1470:
	s_mov_b32 s7, 0
	s_mov_b32 s2, 0
                                        ; implicit-def: $vgpr3
	s_cbranch_execnz .LBB144_1508
	s_branch .LBB144_1540
.LBB144_1471:
	s_mov_b32 s14, -1
	s_mov_b32 s7, 0
	s_mov_b32 s2, 0
                                        ; implicit-def: $vgpr3
	s_branch .LBB144_1489
.LBB144_1472:
	s_mov_b32 s14, -1
	s_mov_b32 s7, 0
	s_mov_b32 s2, 0
                                        ; implicit-def: $vgpr3
	s_branch .LBB144_1484
.LBB144_1473:
	s_or_b32 s5, s12, exec_lo
	s_trap 2
	s_cbranch_execz .LBB144_1376
	s_branch .LBB144_1377
.LBB144_1474:
	s_mov_b32 s14, -1
	s_mov_b32 s7, 0
	s_mov_b32 s2, 0
	s_branch .LBB144_1478
.LBB144_1475:
	s_andn2_saveexec_b32 s12, s12
	s_cbranch_execz .LBB144_1166
.LBB144_1476:
	v_add_f32_e64 v0, 0x42800000, |v3|
	s_andn2_b32 s11, s11, exec_lo
	v_and_b32_e32 v0, 0xff, v0
	v_cmp_ne_u32_e32 vcc_lo, 0, v0
	s_and_b32 s13, vcc_lo, exec_lo
	s_or_b32 s11, s11, s13
	s_or_b32 exec_lo, exec_lo, s12
	v_mov_b32_e32 v4, 0
	s_and_saveexec_b32 s12, s11
	s_cbranch_execnz .LBB144_1167
	s_branch .LBB144_1168
.LBB144_1477:
	s_mov_b32 s2, -1
	s_mov_b32 s7, 0
.LBB144_1478:
                                        ; implicit-def: $vgpr3
.LBB144_1479:
	s_and_b32 vcc_lo, exec_lo, s14
	s_cbranch_vccz .LBB144_1483
; %bb.1480:
	s_cmp_eq_u32 s1, 44
	s_cbranch_scc0 .LBB144_1482
; %bb.1481:
	global_load_ubyte v3, v[10:11], off
	s_mov_b32 s2, 0
	s_mov_b32 s7, -1
	s_waitcnt vmcnt(0)
	v_lshlrev_b32_e32 v8, 23, v3
	v_cmp_ne_u32_e32 vcc_lo, 0xff, v3
	v_cndmask_b32_e32 v8, 0x7f800001, v8, vcc_lo
	v_cmp_ne_u32_e32 vcc_lo, 0, v3
	v_cndmask_b32_e32 v3, 0x400000, v8, vcc_lo
	s_branch .LBB144_1483
.LBB144_1482:
	s_mov_b32 s2, -1
                                        ; implicit-def: $vgpr3
.LBB144_1483:
	s_mov_b32 s14, 0
.LBB144_1484:
	s_and_b32 vcc_lo, exec_lo, s14
	s_cbranch_vccz .LBB144_1488
; %bb.1485:
	s_cmp_eq_u32 s1, 29
	s_cbranch_scc0 .LBB144_1487
; %bb.1486:
	global_load_dwordx2 v[12:13], v[10:11], off
	s_mov_b32 s2, 0
	s_mov_b32 s7, -1
	s_mov_b32 s14, 0
	s_waitcnt vmcnt(0)
	v_ffbh_u32_e32 v3, v13
	v_min_u32_e32 v3, 32, v3
	v_lshlrev_b64 v[12:13], v3, v[12:13]
	v_sub_nc_u32_e32 v3, 32, v3
	v_min_u32_e32 v8, 1, v12
	v_or_b32_e32 v8, v13, v8
	v_cvt_f32_u32_e32 v8, v8
	v_ldexp_f32 v3, v8, v3
	s_branch .LBB144_1489
.LBB144_1487:
	s_mov_b32 s2, -1
                                        ; implicit-def: $vgpr3
.LBB144_1488:
	s_mov_b32 s14, 0
.LBB144_1489:
	s_and_b32 vcc_lo, exec_lo, s14
	s_cbranch_vccz .LBB144_1507
; %bb.1490:
	s_cmp_lt_i32 s1, 27
	s_cbranch_scc1 .LBB144_1493
; %bb.1491:
	s_cmp_gt_i32 s1, 27
	s_cbranch_scc0 .LBB144_1494
; %bb.1492:
	global_load_dword v3, v[10:11], off
	s_mov_b32 s7, 0
	s_waitcnt vmcnt(0)
	v_cvt_f32_u32_e32 v3, v3
	s_branch .LBB144_1495
.LBB144_1493:
	s_mov_b32 s7, -1
                                        ; implicit-def: $vgpr3
	s_branch .LBB144_1498
.LBB144_1494:
	s_mov_b32 s7, -1
                                        ; implicit-def: $vgpr3
.LBB144_1495:
	s_andn2_b32 vcc_lo, exec_lo, s7
	s_cbranch_vccnz .LBB144_1497
; %bb.1496:
	global_load_ushort v3, v[10:11], off
	s_waitcnt vmcnt(0)
	v_cvt_f32_u32_e32 v3, v3
.LBB144_1497:
	s_mov_b32 s7, 0
.LBB144_1498:
	s_andn2_b32 vcc_lo, exec_lo, s7
	s_cbranch_vccnz .LBB144_1506
; %bb.1499:
	global_load_ubyte v8, v[10:11], off
	s_mov_b32 s7, 0
	s_mov_b32 s14, exec_lo
	s_waitcnt vmcnt(0)
	v_cmpx_lt_i16_e32 0x7f, v8
	s_xor_b32 s14, exec_lo, s14
	s_cbranch_execz .LBB144_1519
; %bb.1500:
	s_mov_b32 s7, -1
	s_mov_b32 s15, exec_lo
	v_cmpx_eq_u16_e32 0x80, v8
; %bb.1501:
	s_xor_b32 s7, exec_lo, -1
; %bb.1502:
	s_or_b32 exec_lo, exec_lo, s15
	s_and_b32 s7, s7, exec_lo
	s_or_saveexec_b32 s14, s14
	v_mov_b32_e32 v3, 0x7f800001
	s_xor_b32 exec_lo, exec_lo, s14
	s_cbranch_execnz .LBB144_1520
.LBB144_1503:
	s_or_b32 exec_lo, exec_lo, s14
	s_and_saveexec_b32 s14, s7
	s_cbranch_execz .LBB144_1505
.LBB144_1504:
	v_and_b32_e32 v3, 0xffff, v8
	v_lshlrev_b32_e32 v8, 24, v8
	v_and_b32_e32 v12, 7, v3
	v_bfe_u32 v15, v3, 3, 4
	v_and_b32_e32 v8, 0x80000000, v8
	v_ffbh_u32_e32 v13, v12
	v_cmp_eq_u32_e32 vcc_lo, 0, v15
	v_min_u32_e32 v13, 32, v13
	v_subrev_nc_u32_e32 v14, 28, v13
	v_sub_nc_u32_e32 v13, 29, v13
	v_lshlrev_b32_e32 v3, v14, v3
	v_cndmask_b32_e32 v13, v15, v13, vcc_lo
	v_and_b32_e32 v3, 7, v3
	v_cndmask_b32_e32 v3, v12, v3, vcc_lo
	v_lshl_add_u32 v12, v13, 23, 0x3b800000
	v_lshlrev_b32_e32 v3, 20, v3
	v_or3_b32 v3, v8, v12, v3
.LBB144_1505:
	s_or_b32 exec_lo, exec_lo, s14
.LBB144_1506:
	s_mov_b32 s7, -1
.LBB144_1507:
	s_branch .LBB144_1540
.LBB144_1508:
	s_cmp_gt_i32 s1, 22
	s_cbranch_scc0 .LBB144_1518
; %bb.1509:
	s_cmp_lt_i32 s1, 24
	s_cbranch_scc1 .LBB144_1521
; %bb.1510:
	s_cmp_gt_i32 s1, 24
	s_cbranch_scc0 .LBB144_1522
; %bb.1511:
	global_load_ubyte v8, v[10:11], off
	s_mov_b32 s7, exec_lo
	s_waitcnt vmcnt(0)
	v_cmpx_lt_i16_e32 0x7f, v8
	s_xor_b32 s7, exec_lo, s7
	s_cbranch_execz .LBB144_1534
; %bb.1512:
	s_mov_b32 s3, -1
	s_mov_b32 s14, exec_lo
	v_cmpx_eq_u16_e32 0x80, v8
; %bb.1513:
	s_xor_b32 s3, exec_lo, -1
; %bb.1514:
	s_or_b32 exec_lo, exec_lo, s14
	s_and_b32 s3, s3, exec_lo
	s_or_saveexec_b32 s7, s7
	v_mov_b32_e32 v3, 0x7f800001
	s_xor_b32 exec_lo, exec_lo, s7
	s_cbranch_execnz .LBB144_1535
.LBB144_1515:
	s_or_b32 exec_lo, exec_lo, s7
	s_and_saveexec_b32 s7, s3
	s_cbranch_execz .LBB144_1517
.LBB144_1516:
	v_and_b32_e32 v3, 0xffff, v8
	v_lshlrev_b32_e32 v8, 24, v8
	v_and_b32_e32 v12, 3, v3
	v_bfe_u32 v15, v3, 2, 5
	v_and_b32_e32 v8, 0x80000000, v8
	v_ffbh_u32_e32 v13, v12
	v_cmp_eq_u32_e32 vcc_lo, 0, v15
	v_min_u32_e32 v13, 32, v13
	v_subrev_nc_u32_e32 v14, 29, v13
	v_sub_nc_u32_e32 v13, 30, v13
	v_lshlrev_b32_e32 v3, v14, v3
	v_cndmask_b32_e32 v13, v15, v13, vcc_lo
	v_and_b32_e32 v3, 3, v3
	v_cndmask_b32_e32 v3, v12, v3, vcc_lo
	v_lshl_add_u32 v12, v13, 23, 0x37800000
	v_lshlrev_b32_e32 v3, 21, v3
	v_or3_b32 v3, v8, v12, v3
.LBB144_1517:
	s_or_b32 exec_lo, exec_lo, s7
	s_mov_b32 s3, 0
	s_branch .LBB144_1523
.LBB144_1518:
	s_mov_b32 s3, -1
                                        ; implicit-def: $vgpr3
	s_branch .LBB144_1529
.LBB144_1519:
	s_or_saveexec_b32 s14, s14
	v_mov_b32_e32 v3, 0x7f800001
	s_xor_b32 exec_lo, exec_lo, s14
	s_cbranch_execz .LBB144_1503
.LBB144_1520:
	v_cmp_ne_u16_e32 vcc_lo, 0, v8
	v_mov_b32_e32 v3, 0
	s_andn2_b32 s7, s7, exec_lo
	s_and_b32 s15, vcc_lo, exec_lo
	s_or_b32 s7, s7, s15
	s_or_b32 exec_lo, exec_lo, s14
	s_and_saveexec_b32 s14, s7
	s_cbranch_execnz .LBB144_1504
	s_branch .LBB144_1505
.LBB144_1521:
	s_mov_b32 s3, -1
                                        ; implicit-def: $vgpr3
	s_branch .LBB144_1526
.LBB144_1522:
	s_mov_b32 s3, -1
                                        ; implicit-def: $vgpr3
.LBB144_1523:
	s_and_b32 vcc_lo, exec_lo, s3
	s_cbranch_vccz .LBB144_1525
; %bb.1524:
	global_load_ubyte v3, v[10:11], off
	s_waitcnt vmcnt(0)
	v_lshlrev_b32_e32 v3, 24, v3
	v_and_b32_e32 v8, 0x7f000000, v3
	v_ffbh_u32_e32 v12, v8
	v_add_nc_u32_e32 v14, 0x1000000, v8
	v_cmp_ne_u32_e32 vcc_lo, 0, v8
	v_min_u32_e32 v12, 32, v12
	v_sub_nc_u32_e64 v12, v12, 4 clamp
	v_lshlrev_b32_e32 v13, v12, v8
	v_lshlrev_b32_e32 v12, 23, v12
	v_lshrrev_b32_e32 v13, 4, v13
	v_sub_nc_u32_e32 v12, v13, v12
	v_ashrrev_i32_e32 v13, 8, v14
	v_add_nc_u32_e32 v12, 0x3c000000, v12
	v_and_or_b32 v12, 0x7f800000, v13, v12
	v_cndmask_b32_e32 v8, 0, v12, vcc_lo
	v_and_or_b32 v3, 0x80000000, v3, v8
.LBB144_1525:
	s_mov_b32 s3, 0
.LBB144_1526:
	s_andn2_b32 vcc_lo, exec_lo, s3
	s_cbranch_vccnz .LBB144_1528
; %bb.1527:
	global_load_ubyte v3, v[10:11], off
	s_waitcnt vmcnt(0)
	v_lshlrev_b32_e32 v8, 25, v3
	v_lshlrev_b16 v3, 8, v3
	v_lshrrev_b32_e32 v12, 4, v8
	v_and_or_b32 v13, 0x7f00, v3, 0.5
	v_cmp_gt_u32_e32 vcc_lo, 0x8000000, v8
	v_bfe_i32 v3, v3, 0, 16
	v_or_b32_e32 v12, 0x70000000, v12
	v_add_f32_e32 v13, -0.5, v13
	v_mul_f32_e32 v12, 0x7800000, v12
	v_cndmask_b32_e32 v8, v12, v13, vcc_lo
	v_and_or_b32 v3, 0x80000000, v3, v8
.LBB144_1528:
	s_mov_b32 s3, 0
	s_mov_b32 s7, -1
.LBB144_1529:
	s_andn2_b32 vcc_lo, exec_lo, s3
	s_mov_b32 s3, 0
	s_cbranch_vccnz .LBB144_1540
; %bb.1530:
	s_cmp_gt_i32 s1, 14
	s_cbranch_scc0 .LBB144_1533
; %bb.1531:
	s_cmp_eq_u32 s1, 15
	s_cbranch_scc0 .LBB144_1536
; %bb.1532:
	global_load_ushort v3, v[10:11], off
	s_mov_b32 s2, 0
	s_mov_b32 s7, -1
	s_waitcnt vmcnt(0)
	v_lshlrev_b32_e32 v3, 16, v3
	s_branch .LBB144_1538
.LBB144_1533:
	s_mov_b32 s3, -1
	s_branch .LBB144_1537
.LBB144_1534:
	s_or_saveexec_b32 s7, s7
	v_mov_b32_e32 v3, 0x7f800001
	s_xor_b32 exec_lo, exec_lo, s7
	s_cbranch_execz .LBB144_1515
.LBB144_1535:
	v_cmp_ne_u16_e32 vcc_lo, 0, v8
	v_mov_b32_e32 v3, 0
	s_andn2_b32 s3, s3, exec_lo
	s_and_b32 s14, vcc_lo, exec_lo
	s_or_b32 s3, s3, s14
	s_or_b32 exec_lo, exec_lo, s7
	s_and_saveexec_b32 s7, s3
	s_cbranch_execnz .LBB144_1516
	s_branch .LBB144_1517
.LBB144_1536:
	s_mov_b32 s2, -1
.LBB144_1537:
                                        ; implicit-def: $vgpr3
.LBB144_1538:
	s_and_b32 vcc_lo, exec_lo, s3
	s_mov_b32 s3, 0
	s_cbranch_vccz .LBB144_1540
; %bb.1539:
	s_cmp_lg_u32 s1, 11
	s_mov_b32 s3, -1
	s_cselect_b32 s2, -1, 0
.LBB144_1540:
	s_and_b32 vcc_lo, exec_lo, s2
	s_cbranch_vccnz .LBB144_1641
; %bb.1541:
	s_andn2_b32 vcc_lo, exec_lo, s3
	s_cbranch_vccnz .LBB144_1543
.LBB144_1542:
	global_load_ubyte v3, v[10:11], off
	s_mov_b32 s7, -1
	s_waitcnt vmcnt(0)
	v_cmp_ne_u16_e32 vcc_lo, 0, v3
	v_cndmask_b32_e64 v3, 0, 1.0, vcc_lo
.LBB144_1543:
	s_branch .LBB144_1469
.LBB144_1544:
	s_and_b32 s1, 0xffff, s4
	s_cmp_lt_i32 s1, 5
	s_cbranch_scc1 .LBB144_1549
; %bb.1545:
	s_cmp_lt_i32 s1, 8
	s_cbranch_scc1 .LBB144_1550
; %bb.1546:
	;; [unrolled: 3-line block ×3, first 2 shown]
	s_cmp_gt_i32 s1, 9
	s_cbranch_scc0 .LBB144_1552
; %bb.1548:
	global_load_dwordx2 v[12:13], v[10:11], off
	s_mov_b32 s2, 0
	s_waitcnt vmcnt(0)
	v_cvt_f32_f64_e32 v3, v[12:13]
	s_branch .LBB144_1553
.LBB144_1549:
                                        ; implicit-def: $vgpr3
	s_branch .LBB144_1571
.LBB144_1550:
	s_mov_b32 s2, -1
                                        ; implicit-def: $vgpr3
	s_branch .LBB144_1559
.LBB144_1551:
	s_mov_b32 s2, -1
                                        ; implicit-def: $vgpr3
	s_branch .LBB144_1556
.LBB144_1552:
	s_mov_b32 s2, -1
                                        ; implicit-def: $vgpr3
.LBB144_1553:
	s_andn2_b32 vcc_lo, exec_lo, s2
	s_cbranch_vccnz .LBB144_1555
; %bb.1554:
	global_load_dword v3, v[10:11], off
.LBB144_1555:
	s_mov_b32 s2, 0
.LBB144_1556:
	s_andn2_b32 vcc_lo, exec_lo, s2
	s_cbranch_vccnz .LBB144_1558
; %bb.1557:
	global_load_dword v3, v[10:11], off
	s_waitcnt vmcnt(0)
	v_cvt_f32_f16_e32 v3, v3
.LBB144_1558:
	s_mov_b32 s2, 0
.LBB144_1559:
	s_andn2_b32 vcc_lo, exec_lo, s2
	s_cbranch_vccnz .LBB144_1570
; %bb.1560:
	s_cmp_lt_i32 s1, 6
	s_cbranch_scc1 .LBB144_1563
; %bb.1561:
	s_cmp_gt_i32 s1, 6
	s_cbranch_scc0 .LBB144_1564
; %bb.1562:
	global_load_dwordx2 v[12:13], v[10:11], off
	s_mov_b32 s2, 0
	s_waitcnt vmcnt(0)
	v_cvt_f32_f64_e32 v3, v[12:13]
	s_branch .LBB144_1565
.LBB144_1563:
	s_mov_b32 s2, -1
                                        ; implicit-def: $vgpr3
	s_branch .LBB144_1568
.LBB144_1564:
	s_mov_b32 s2, -1
                                        ; implicit-def: $vgpr3
.LBB144_1565:
	s_andn2_b32 vcc_lo, exec_lo, s2
	s_cbranch_vccnz .LBB144_1567
; %bb.1566:
	global_load_dword v3, v[10:11], off
.LBB144_1567:
	s_mov_b32 s2, 0
.LBB144_1568:
	s_andn2_b32 vcc_lo, exec_lo, s2
	s_cbranch_vccnz .LBB144_1570
; %bb.1569:
	global_load_ushort v3, v[10:11], off
	s_waitcnt vmcnt(0)
	v_cvt_f32_f16_e32 v3, v3
.LBB144_1570:
	s_cbranch_execnz .LBB144_1590
.LBB144_1571:
	s_cmp_lt_i32 s1, 2
	s_cbranch_scc1 .LBB144_1575
; %bb.1572:
	s_cmp_lt_i32 s1, 3
	s_cbranch_scc1 .LBB144_1576
; %bb.1573:
	s_cmp_gt_i32 s1, 3
	s_cbranch_scc0 .LBB144_1577
; %bb.1574:
	global_load_dwordx2 v[12:13], v[10:11], off
	s_mov_b32 s2, 0
	s_waitcnt vmcnt(0)
	v_xor_b32_e32 v3, v12, v13
	v_ffbh_i32_e32 v8, v13
	v_ashrrev_i32_e32 v3, 31, v3
	v_add_nc_u32_e32 v8, -1, v8
	v_add_nc_u32_e32 v3, 32, v3
	v_min_u32_e32 v3, v8, v3
	v_lshlrev_b64 v[12:13], v3, v[12:13]
	v_sub_nc_u32_e32 v3, 32, v3
	v_min_u32_e32 v8, 1, v12
	v_or_b32_e32 v8, v13, v8
	v_cvt_f32_i32_e32 v8, v8
	v_ldexp_f32 v3, v8, v3
	s_branch .LBB144_1578
.LBB144_1575:
	s_mov_b32 s2, -1
                                        ; implicit-def: $vgpr3
	s_branch .LBB144_1584
.LBB144_1576:
	s_mov_b32 s2, -1
                                        ; implicit-def: $vgpr3
	s_branch .LBB144_1581
.LBB144_1577:
	s_mov_b32 s2, -1
                                        ; implicit-def: $vgpr3
.LBB144_1578:
	s_andn2_b32 vcc_lo, exec_lo, s2
	s_cbranch_vccnz .LBB144_1580
; %bb.1579:
	global_load_dword v3, v[10:11], off
	s_waitcnt vmcnt(0)
	v_cvt_f32_i32_e32 v3, v3
.LBB144_1580:
	s_mov_b32 s2, 0
.LBB144_1581:
	s_andn2_b32 vcc_lo, exec_lo, s2
	s_cbranch_vccnz .LBB144_1583
; %bb.1582:
	global_load_sshort v3, v[10:11], off
	s_waitcnt vmcnt(0)
	v_cvt_f32_i32_e32 v3, v3
.LBB144_1583:
	s_mov_b32 s2, 0
.LBB144_1584:
	s_andn2_b32 vcc_lo, exec_lo, s2
	s_cbranch_vccnz .LBB144_1590
; %bb.1585:
	s_cmp_gt_i32 s1, 0
	s_mov_b32 s1, 0
	s_cbranch_scc0 .LBB144_1587
; %bb.1586:
	global_load_sbyte v3, v[10:11], off
	s_waitcnt vmcnt(0)
	v_cvt_f32_i32_e32 v3, v3
	s_branch .LBB144_1588
.LBB144_1587:
	s_mov_b32 s1, -1
                                        ; implicit-def: $vgpr3
.LBB144_1588:
	s_andn2_b32 vcc_lo, exec_lo, s1
	s_cbranch_vccnz .LBB144_1590
; %bb.1589:
	global_load_ubyte v3, v[10:11], off
	s_waitcnt vmcnt(0)
	v_cvt_f32_ubyte0_e32 v3, v3
.LBB144_1590:
.LBB144_1591:
	s_waitcnt vmcnt(0)
	v_and_b32_e32 v8, 0x7fffffff, v3
	s_mov_b32 s2, exec_lo
                                        ; implicit-def: $vgpr11
	v_cmpx_ngt_f32_e64 0x3c800000, |v3|
	s_xor_b32 s2, exec_lo, s2
	s_cbranch_execz .LBB144_1621
; %bb.1592:
	s_mov_b32 s3, exec_lo
                                        ; implicit-def: $vgpr11
	v_cmpx_nlt_f32_e64 |v3|, 2.0
	s_xor_b32 s3, exec_lo, s3
	s_cbranch_execz .LBB144_1602
; %bb.1593:
	v_cmp_ngt_f32_e64 s1, 0x41000000, |v3|
                                        ; implicit-def: $vgpr11
	s_and_saveexec_b32 s7, s1
	s_xor_b32 s1, exec_lo, s7
	s_cbranch_execz .LBB144_1599
; %bb.1594:
	v_cmp_ngt_f32_e64 s7, 0x5c800000, |v3|
                                        ; implicit-def: $vgpr11
	s_and_saveexec_b32 s14, s7
	s_xor_b32 s7, exec_lo, s14
	s_cbranch_execz .LBB144_1596
; %bb.1595:
	v_cmp_gt_f32_e64 s14, 0x800000, |v3|
	v_cndmask_b32_e64 v10, 0, 32, s14
	v_ldexp_f32 v10, |v3|, v10
	v_log_f32_e32 v10, v10
	v_mul_f32_e32 v11, 0x3f317217, v10
	v_cmp_gt_f32_e64 vcc_lo, 0x7f800000, |v10|
	v_fma_f32 v12, 0x3f317217, v10, -v11
	v_fmamk_f32 v12, v10, 0x3377d1cf, v12
	v_add_f32_e32 v11, v11, v12
	v_cndmask_b32_e32 v10, v10, v11, vcc_lo
	v_cndmask_b32_e64 v11, 0, 0x41b17218, s14
	v_sub_f32_e32 v10, v10, v11
	v_fma_f32 v11, |v3|, v10, -|v3|
.LBB144_1596:
	s_andn2_saveexec_b32 s7, s7
	s_cbranch_execz .LBB144_1598
; %bb.1597:
	v_cmp_gt_f32_e64 s14, 0x800000, |v3|
	v_rcp_f32_e64 v11, |v3|
	s_mov_b32 s15, 0xbad5c4e8
	v_cndmask_b32_e64 v10, 0, 32, s14
	v_ldexp_f32 v10, |v3|, v10
	v_mul_f32_e32 v12, v11, v11
	v_log_f32_e32 v10, v10
	v_fmaak_f32 v14, s15, v12, 0x3a5b3dd2
	v_fmaak_f32 v14, v12, v14, 0xba1c065c
	v_mul_f32_e32 v13, 0x3f317217, v10
	v_fmaak_f32 v14, v12, v14, 0x3a500cfd
	v_cmp_gt_f32_e64 vcc_lo, 0x7f800000, |v10|
	v_fma_f32 v15, 0x3f317217, v10, -v13
	v_fmaak_f32 v14, v12, v14, 0xbb360b61
	v_fmamk_f32 v15, v10, 0x3377d1cf, v15
	v_fmaak_f32 v12, v12, v14, 0x3daaaaab
	v_add_f32_e32 v13, v13, v15
	v_fmaak_f32 v11, v11, v12, 0x3ed67f1d
	v_add_f32_e64 v12, |v3|, -0.5
	v_cndmask_b32_e32 v10, v10, v13, vcc_lo
	v_cndmask_b32_e64 v13, 0, 0x41b17218, s14
	v_sub_f32_e32 v10, v10, v13
	v_add_f32_e32 v10, -1.0, v10
	v_fmac_f32_e32 v11, v12, v10
.LBB144_1598:
	s_or_b32 exec_lo, exec_lo, s7
.LBB144_1599:
	s_andn2_saveexec_b32 s7, s1
	s_cbranch_execz .LBB144_1601
; %bb.1600:
	v_cvt_i32_f32_e32 v10, v8
	s_mov_b32 s1, 0x36f5d7bd
	s_mov_b32 s14, 0x3805ff67
	v_cvt_f32_i32_e32 v11, v10
	v_cmp_lt_i32_e32 vcc_lo, 2, v10
	v_sub_f32_e64 v11, |v3|, v11
	v_add_f32_e32 v12, 2.0, v11
	v_add_f32_e32 v13, 0x40400000, v11
	v_add_f32_e32 v14, 4.0, v11
	v_add_f32_e32 v15, 0x40a00000, v11
	v_cndmask_b32_e32 v12, 1.0, v12, vcc_lo
	v_cmp_lt_i32_e32 vcc_lo, 3, v10
	v_cndmask_b32_e32 v13, 1.0, v13, vcc_lo
	v_cmp_lt_i32_e32 vcc_lo, 4, v10
	v_mul_f32_e32 v12, v12, v13
	v_cndmask_b32_e32 v14, 1.0, v14, vcc_lo
	v_cmp_lt_i32_e32 vcc_lo, 5, v10
	v_add_f32_e32 v13, 0x40c00000, v11
	v_mul_f32_e32 v12, v14, v12
	v_cndmask_b32_e32 v15, 1.0, v15, vcc_lo
	v_cmp_lt_i32_e32 vcc_lo, 6, v10
	v_fmaak_f32 v14, s14, v11, 0x3af135b4
	v_mul_f32_e32 v12, v15, v12
	v_cndmask_b32_e32 v10, 1.0, v13, vcc_lo
	v_mul_f32_e32 v10, v10, v12
	v_fmaak_f32 v12, s1, v11, 0x3a4beed6
	v_cmp_gt_f32_e32 vcc_lo, 0x800000, v10
	v_fmaak_f32 v12, v11, v12, 0x3c98bf54
	v_cndmask_b32_e64 v13, 0, 32, vcc_lo
	v_fmaak_f32 v12, v11, v12, 0x3e300f6e
	v_ldexp_f32 v10, v10, v13
	v_fmaak_f32 v13, v11, v14, 0x3cda40e4
	v_fmaak_f32 v12, v11, v12, 0x3f38d0c5
	v_log_f32_e32 v10, v10
	v_fmaak_f32 v13, v11, v13, 0x3e15dce6
	v_fmaak_f32 v12, v11, v12, 0x3fb22d3b
	;; [unrolled: 1-line block ×3, first 2 shown]
	v_fma_f32 v12, v11, v12, 1.0
	v_mul_f32_e32 v14, 0x3f317217, v10
	v_fmaak_f32 v13, v11, v13, 0x3e5c245a
	v_rcp_f32_e32 v12, v12
	v_cmp_gt_f32_e64 s1, 0x7f800000, |v10|
	v_fma_f32 v15, 0x3f317217, v10, -v14
	v_fmaak_f32 v13, v11, v13, 0xbd9e233f
	v_fmamk_f32 v15, v10, 0x3377d1cf, v15
	v_mul_f32_e32 v13, v11, v13
	v_add_f32_e32 v14, v14, v15
	v_mul_f32_e32 v12, v13, v12
	v_cndmask_b32_e64 v13, 0, 0x41b17218, vcc_lo
	v_cndmask_b32_e64 v10, v10, v14, s1
	v_fmac_f32_e32 v12, 0.5, v11
	v_sub_f32_e32 v10, v10, v13
	v_add_f32_e32 v11, v10, v12
.LBB144_1601:
	s_or_b32 exec_lo, exec_lo, s7
.LBB144_1602:
	s_andn2_saveexec_b32 s3, s3
	s_cbranch_execz .LBB144_1620
; %bb.1603:
	s_mov_b32 s7, exec_lo
                                        ; implicit-def: $vgpr11
                                        ; implicit-def: $vgpr12
                                        ; implicit-def: $vgpr10
	v_cmpx_ge_f32_e64 0x3f666666, |v3|
	s_xor_b32 s7, exec_lo, s7
	s_cbranch_execz .LBB144_1605
; %bb.1604:
	v_cmp_gt_f32_e64 s1, 0x800000, |v3|
	v_sub_f32_e64 v13, 1.0, |v3|
	v_cmp_gt_f32_e64 vcc_lo, 0x3f3b4a23, |v3|
	v_cndmask_b32_e64 v10, 0, 32, s1
	v_cndmask_b32_e64 v14, 0, 0x41b17218, s1
	v_ldexp_f32 v10, |v3|, v10
	v_log_f32_e32 v10, v10
	v_mul_f32_e32 v11, 0x3f317217, v10
	v_cmp_gt_f32_e64 s1, 0x7f800000, |v10|
	v_fma_f32 v12, 0x3f317217, v10, -v11
	v_fmamk_f32 v12, v10, 0x3377d1cf, v12
	v_add_f32_e32 v11, v11, v12
	v_add_f32_e64 v12, 0xbeec5b0c, |v3|
	v_cndmask_b32_e64 v10, v10, v11, s1
	v_cndmask_b32_e32 v11, v13, v12, vcc_lo
	v_cndmask_b32_e64 v12, 0, 1, vcc_lo
	v_cmp_gt_f32_e64 s1, 0x3e6d3309, |v3|
	v_sub_f32_e32 v13, v10, v14
	v_cndmask_b32_e64 v10, v11, |v3|, s1
	v_cndmask_b32_e64 v12, v12, 2, s1
	v_xor_b32_e32 v11, 0x80000000, v13
.LBB144_1605:
	s_andn2_saveexec_b32 s1, s7
	s_cbranch_execz .LBB144_1607
; %bb.1606:
	v_sub_f32_e64 v10, 2.0, |v3|
	v_add_f32_e64 v11, 0xbfbb16c3, |v3|
	v_cmp_gt_f32_e64 vcc_lo, 0x3fdda512, |v3|
	v_add_f32_e64 v12, |v3|, -1.0
	v_cndmask_b32_e32 v11, v10, v11, vcc_lo
	v_cndmask_b32_e64 v10, v10, 1.0, vcc_lo
	v_cmp_gt_f32_e64 vcc_lo, 0x3f9d70a4, |v3|
	v_cvt_i32_f32_e32 v13, v10
	v_cndmask_b32_e32 v10, v11, v12, vcc_lo
	v_mov_b32_e32 v11, 0
	v_cndmask_b32_e64 v12, v13, 2, vcc_lo
.LBB144_1607:
	s_or_b32 exec_lo, exec_lo, s1
	s_mov_b32 s1, exec_lo
	v_cmpx_lt_i32_e32 0, v12
	s_xor_b32 s1, exec_lo, s1
	s_cbranch_execz .LBB144_1615
; %bb.1608:
	s_mov_b32 s7, exec_lo
	v_cmpx_lt_i32_e32 1, v12
	s_xor_b32 s7, exec_lo, s7
	s_cbranch_execz .LBB144_1612
; %bb.1609:
	s_mov_b32 s14, exec_lo
	v_cmpx_eq_u32_e32 2, v12
	s_cbranch_execz .LBB144_1611
; %bb.1610:
	s_mov_b32 s15, 0x3b52d5db
	v_fmaak_f32 v12, s15, v10, 0x3dd572af
	s_mov_b32 s15, 0x3c5b3c5e
	v_fmaak_f32 v13, s15, v10, 0x3e6a7578
	v_fmaak_f32 v12, v10, v12, 0x3f44efdf
	;; [unrolled: 1-line block ×7, first 2 shown]
	v_fma_f32 v12, v10, v12, 1.0
	v_fmaak_f32 v13, v10, v13, 0xbd9e233f
	v_rcp_f32_e32 v12, v12
	v_mul_f32_e32 v13, v10, v13
	v_mul_f32_e32 v12, v13, v12
	v_fmac_f32_e32 v12, -0.5, v10
	v_add_f32_e32 v11, v11, v12
.LBB144_1611:
	s_or_b32 exec_lo, exec_lo, s14
                                        ; implicit-def: $vgpr10
.LBB144_1612:
	s_andn2_saveexec_b32 s7, s7
	s_cbranch_execz .LBB144_1614
; %bb.1613:
	v_mul_f32_e32 v12, v10, v10
	s_mov_b32 s14, 0xb9a3f927
	s_mov_b32 s15, 0x39afe9f7
	v_mul_f32_e32 v13, v10, v12
	v_fmaak_f32 v14, s14, v13, 0x3a66f867
	v_fmaak_f32 v15, s15, v13, 0xba0d3085
	s_mov_b32 s14, 0x39a57b6b
	v_fmaak_f32 v16, s14, v13, 0xbab7f476
	v_fmaak_f32 v14, v13, v14, 0xbb7177fe
	;; [unrolled: 1-line block ×9, first 2 shown]
	v_fmac_f32_e32 v14, v10, v15
	v_fmaak_f32 v10, v13, v16, 0x3ef7b95e
	v_fma_f32 v13, v13, -v14, 0xa2863e55
	v_fma_f32 v10, v12, v10, -v13
	v_add_f32_e32 v10, 0xbdf8cdce, v10
	v_add_f32_e32 v11, v11, v10
.LBB144_1614:
	s_or_b32 exec_lo, exec_lo, s7
                                        ; implicit-def: $vgpr12
                                        ; implicit-def: $vgpr10
.LBB144_1615:
	s_andn2_saveexec_b32 s1, s1
	s_cbranch_execz .LBB144_1619
; %bb.1616:
	s_mov_b32 s7, exec_lo
	v_cmpx_eq_u32_e32 0, v12
	s_cbranch_execz .LBB144_1618
; %bb.1617:
	v_mul_f32_e32 v12, v10, v10
	s_mov_b32 s14, 0x383c2c75
	v_fmaak_f32 v13, s14, v12, 0x38e28445
	s_mov_b32 s14, 0x37d383a2
	v_fmaak_f32 v14, s14, v12, 0x39679767
	v_fmaak_f32 v13, v12, v13, 0x3a05b634
	;; [unrolled: 1-line block ×9, first 2 shown]
	v_mul_f32_e32 v12, v12, v13
	v_fmac_f32_e32 v12, v10, v14
	v_fmac_f32_e32 v12, -0.5, v10
	v_add_f32_e32 v11, v11, v12
.LBB144_1618:
	s_or_b32 exec_lo, exec_lo, s7
.LBB144_1619:
	s_or_b32 exec_lo, exec_lo, s1
.LBB144_1620:
	s_or_b32 exec_lo, exec_lo, s3
.LBB144_1621:
	s_andn2_saveexec_b32 s1, s2
	s_cbranch_execz .LBB144_1623
; %bb.1622:
	v_cmp_gt_f32_e64 s2, 0x800000, |v3|
	s_mov_b32 s3, 0x3e8a8991
	v_fma_f32 v13, |v3|, s3, 0xbecd26ab
	v_cndmask_b32_e64 v10, 0, 32, s2
	v_ldexp_f32 v10, |v3|, v10
	v_log_f32_e32 v10, v10
	v_mul_f32_e32 v11, 0x3f317217, v10
	v_cmp_gt_f32_e64 vcc_lo, 0x7f800000, |v10|
	v_fma_f32 v12, 0x3f317217, v10, -v11
	v_fmamk_f32 v12, v10, 0x3377d1cf, v12
	v_add_f32_e32 v11, v11, v12
	v_fma_f32 v12, |v3|, v13, 0x3f528d33
	v_cndmask_b32_e32 v10, v10, v11, vcc_lo
	v_cndmask_b32_e64 v11, 0, 0x41b17218, s2
	v_fma_f32 v12, |v3|, v12, 0xbf13c468
	v_sub_f32_e32 v10, v10, v11
	v_fma_f32 v11, |v3|, v12, -v10
.LBB144_1623:
	s_or_b32 exec_lo, exec_lo, s1
	v_cmp_le_f32_e64 s1, 0, v3
	s_mov_b32 s2, exec_lo
	v_cmpx_nle_f32_e32 0, v3
	s_xor_b32 s3, exec_lo, s2
	s_cbranch_execz .LBB144_1627
; %bb.1624:
	v_cmp_gt_f32_e64 s2, 0x4b000000, |v3|
	v_cmp_lt_f32_e64 s7, 0x35000000, |v3|
	s_and_b32 s2, s2, s7
	s_and_saveexec_b32 s7, s2
	s_cbranch_execz .LBB144_1626
; %bb.1625:
	v_mul_f32_e64 v10, |v3|, 0.5
	v_cmp_gt_f32_e64 s2, |v3|, 1.0
	s_mov_b32 s14, 0x3d4be544
	v_xor_b32_e32 v8, v8, v3
	v_floor_f32_e32 v12, v10
	v_cmp_neq_f32_e32 vcc_lo, 0x7f800000, v10
	v_sub_f32_e32 v12, v10, v12
	v_min_f32_e32 v12, 0x3f7fffff, v12
	v_add_f32_e32 v12, v12, v12
	v_cndmask_b32_e32 v10, 0, v12, vcc_lo
	v_cndmask_b32_e64 v10, |v3|, v10, s2
	s_mov_b32 s2, 0x3e75aa41
	v_add_f32_e32 v12, v10, v10
	v_rndne_f32_e32 v12, v12
	v_fmac_f32_e32 v10, -0.5, v12
	v_cvt_i32_f32_e32 v12, v12
	v_mul_f32_e32 v13, v10, v10
	v_fmaak_f32 v14, s2, v13, 0xbf1f24be
	v_fmaak_f32 v15, s14, v13, 0x3e642e9d
	v_mul_f32_e32 v16, v10, v13
	v_fmaak_f32 v14, v13, v14, 0x40234736
	v_fmaak_f32 v15, v13, v15, 0xbfaad1da
	;; [unrolled: 1-line block ×4, first 2 shown]
	v_mul_f32_e32 v14, v16, v14
	v_fmaak_f32 v15, v13, v15, 0xc09de9e6
	v_and_b32_e32 v16, 1, v12
	v_lshlrev_b32_e32 v12, 30, v12
	v_fmamk_f32 v10, v10, 0x40490fdb, v14
	v_fma_f32 v13, v13, v15, 1.0
	v_cmp_eq_u32_e32 vcc_lo, 0, v16
	v_and_b32_e32 v12, 0x80000000, v12
	v_cndmask_b32_e32 v10, v13, v10, vcc_lo
	v_xor3_b32 v8, v8, v12, v10
	v_mul_f32_e32 v8, v3, v8
	v_frexp_mant_f32_e64 v10, |v8|
	v_frexp_exp_i32_f32_e32 v8, v8
	v_rcp_f32_e32 v10, v10
	v_sub_nc_u32_e32 v8, 2, v8
	v_mul_f32_e32 v10, 0x3f490fdb, v10
	v_ldexp_f32 v8, v10, v8
	v_cmp_gt_f32_e32 vcc_lo, 0x800000, v8
	v_cndmask_b32_e64 v10, 0, 32, vcc_lo
	v_ldexp_f32 v8, v8, v10
	v_log_f32_e32 v8, v8
	v_mul_f32_e32 v10, 0x3f317217, v8
	v_cmp_gt_f32_e64 s2, 0x7f800000, |v8|
	v_fma_f32 v12, 0x3f317217, v8, -v10
	v_fmamk_f32 v12, v8, 0x3377d1cf, v12
	v_add_f32_e32 v10, v10, v12
	v_floor_f32_e32 v12, v3
	v_cndmask_b32_e64 v8, v8, v10, s2
	v_cndmask_b32_e64 v10, 0, 0x41b17218, vcc_lo
	v_sub_f32_e32 v12, v3, v12
	v_sub_f32_e32 v8, v8, v10
	v_min_f32_e32 v10, 0x3f7fffff, v12
	v_sub_f32_e32 v8, v8, v11
	v_cmp_neq_f32_e32 vcc_lo, 0, v10
	v_cndmask_b32_e32 v11, 0x7f800000, v8, vcc_lo
.LBB144_1626:
	s_or_b32 exec_lo, exec_lo, s7
.LBB144_1627:
	s_andn2_saveexec_b32 s3, s3
; %bb.1628:
	v_cmp_eq_f32_e32 vcc_lo, 1.0, v3
	v_cmp_eq_f32_e64 s2, 2.0, v3
	s_or_b32 s2, vcc_lo, s2
	v_cndmask_b32_e64 v11, v11, 0, s2
; %bb.1629:
	s_or_b32 exec_lo, exec_lo, s3
	v_add_co_u32 v8, s2, s10, v9
	v_add_co_ci_u32_e64 v9, null, s11, 0, s2
	s_cmp_lt_i32 s4, 11
	s_cbranch_scc1 .LBB144_1636
; %bb.1630:
	s_and_b32 s2, 0xffff, s4
	s_mov_b32 s7, 0
	s_cmp_gt_i32 s2, 25
	s_cbranch_scc0 .LBB144_1638
; %bb.1631:
	s_cmp_gt_i32 s2, 28
	s_cbranch_scc0 .LBB144_1639
; %bb.1632:
	;; [unrolled: 3-line block ×4, first 2 shown]
	s_cmp_eq_u32 s2, 46
	s_mov_b32 s15, 0
	s_cbranch_scc0 .LBB144_1643
; %bb.1635:
	global_load_dword v10, v[8:9], off
	s_mov_b32 s3, 0
	s_mov_b32 s14, -1
	s_waitcnt vmcnt(0)
	v_lshlrev_b32_e32 v10, 16, v10
	s_branch .LBB144_1645
.LBB144_1636:
	s_mov_b32 s14, 0
                                        ; implicit-def: $vgpr10
	s_cbranch_execnz .LBB144_1711
.LBB144_1637:
	s_andn2_b32 vcc_lo, exec_lo, s14
	s_cbranch_vccnz .LBB144_2399
	s_branch .LBB144_1759
.LBB144_1638:
	s_mov_b32 s15, -1
	s_mov_b32 s14, 0
	s_mov_b32 s3, 0
                                        ; implicit-def: $vgpr10
	s_branch .LBB144_1674
.LBB144_1639:
	s_mov_b32 s15, -1
	s_mov_b32 s14, 0
	s_mov_b32 s3, 0
                                        ; implicit-def: $vgpr10
	s_branch .LBB144_1655
.LBB144_1640:
	s_mov_b32 s15, -1
	s_mov_b32 s14, 0
	s_mov_b32 s3, 0
                                        ; implicit-def: $vgpr10
	s_branch .LBB144_1650
.LBB144_1641:
	s_or_b32 s5, s5, exec_lo
	s_trap 2
	s_cbranch_execz .LBB144_1542
	s_branch .LBB144_1543
.LBB144_1642:
	s_mov_b32 s15, -1
	s_mov_b32 s14, 0
	s_mov_b32 s3, 0
	s_branch .LBB144_1644
.LBB144_1643:
	s_mov_b32 s3, -1
	s_mov_b32 s14, 0
.LBB144_1644:
                                        ; implicit-def: $vgpr10
.LBB144_1645:
	s_and_b32 vcc_lo, exec_lo, s15
	s_cbranch_vccz .LBB144_1649
; %bb.1646:
	s_cmp_eq_u32 s2, 44
	s_cbranch_scc0 .LBB144_1648
; %bb.1647:
	global_load_ubyte v10, v[8:9], off
	s_mov_b32 s3, 0
	s_mov_b32 s14, -1
	s_waitcnt vmcnt(0)
	v_lshlrev_b32_e32 v12, 23, v10
	v_cmp_ne_u32_e32 vcc_lo, 0xff, v10
	v_cndmask_b32_e32 v12, 0x7f800001, v12, vcc_lo
	v_cmp_ne_u32_e32 vcc_lo, 0, v10
	v_cndmask_b32_e32 v10, 0x400000, v12, vcc_lo
	s_branch .LBB144_1649
.LBB144_1648:
	s_mov_b32 s3, -1
                                        ; implicit-def: $vgpr10
.LBB144_1649:
	s_mov_b32 s15, 0
.LBB144_1650:
	s_and_b32 vcc_lo, exec_lo, s15
	s_cbranch_vccz .LBB144_1654
; %bb.1651:
	s_cmp_eq_u32 s2, 29
	s_cbranch_scc0 .LBB144_1653
; %bb.1652:
	global_load_dwordx2 v[12:13], v[8:9], off
	s_mov_b32 s3, 0
	s_mov_b32 s14, -1
	s_mov_b32 s15, 0
	s_waitcnt vmcnt(0)
	v_ffbh_u32_e32 v10, v13
	v_min_u32_e32 v10, 32, v10
	v_lshlrev_b64 v[12:13], v10, v[12:13]
	v_sub_nc_u32_e32 v10, 32, v10
	v_min_u32_e32 v12, 1, v12
	v_or_b32_e32 v12, v13, v12
	v_cvt_f32_u32_e32 v12, v12
	v_ldexp_f32 v10, v12, v10
	s_branch .LBB144_1655
.LBB144_1653:
	s_mov_b32 s3, -1
                                        ; implicit-def: $vgpr10
.LBB144_1654:
	s_mov_b32 s15, 0
.LBB144_1655:
	s_and_b32 vcc_lo, exec_lo, s15
	s_cbranch_vccz .LBB144_1673
; %bb.1656:
	s_cmp_lt_i32 s2, 27
	s_cbranch_scc1 .LBB144_1659
; %bb.1657:
	s_cmp_gt_i32 s2, 27
	s_cbranch_scc0 .LBB144_1660
; %bb.1658:
	global_load_dword v10, v[8:9], off
	s_mov_b32 s14, 0
	s_waitcnt vmcnt(0)
	v_cvt_f32_u32_e32 v10, v10
	s_branch .LBB144_1661
.LBB144_1659:
	s_mov_b32 s14, -1
                                        ; implicit-def: $vgpr10
	s_branch .LBB144_1664
.LBB144_1660:
	s_mov_b32 s14, -1
                                        ; implicit-def: $vgpr10
.LBB144_1661:
	s_andn2_b32 vcc_lo, exec_lo, s14
	s_cbranch_vccnz .LBB144_1663
; %bb.1662:
	global_load_ushort v10, v[8:9], off
	s_waitcnt vmcnt(0)
	v_cvt_f32_u32_e32 v10, v10
.LBB144_1663:
	s_mov_b32 s14, 0
.LBB144_1664:
	s_andn2_b32 vcc_lo, exec_lo, s14
	s_cbranch_vccnz .LBB144_1672
; %bb.1665:
	global_load_ubyte v12, v[8:9], off
	s_mov_b32 s14, 0
	s_mov_b32 s15, exec_lo
	s_waitcnt vmcnt(0)
	v_cmpx_lt_i16_e32 0x7f, v12
	s_xor_b32 s15, exec_lo, s15
	s_cbranch_execz .LBB144_1686
; %bb.1666:
	s_mov_b32 s14, -1
	s_mov_b32 s16, exec_lo
	v_cmpx_eq_u16_e32 0x80, v12
; %bb.1667:
	s_xor_b32 s14, exec_lo, -1
; %bb.1668:
	s_or_b32 exec_lo, exec_lo, s16
	s_and_b32 s14, s14, exec_lo
	s_or_saveexec_b32 s15, s15
	v_mov_b32_e32 v10, 0x7f800001
	s_xor_b32 exec_lo, exec_lo, s15
	s_cbranch_execnz .LBB144_1687
.LBB144_1669:
	s_or_b32 exec_lo, exec_lo, s15
	s_and_saveexec_b32 s15, s14
	s_cbranch_execz .LBB144_1671
.LBB144_1670:
	v_and_b32_e32 v10, 0xffff, v12
	v_lshlrev_b32_e32 v12, 24, v12
	v_and_b32_e32 v13, 7, v10
	v_bfe_u32 v16, v10, 3, 4
	v_and_b32_e32 v12, 0x80000000, v12
	v_ffbh_u32_e32 v14, v13
	v_cmp_eq_u32_e32 vcc_lo, 0, v16
	v_min_u32_e32 v14, 32, v14
	v_subrev_nc_u32_e32 v15, 28, v14
	v_sub_nc_u32_e32 v14, 29, v14
	v_lshlrev_b32_e32 v10, v15, v10
	v_cndmask_b32_e32 v14, v16, v14, vcc_lo
	v_and_b32_e32 v10, 7, v10
	v_cndmask_b32_e32 v10, v13, v10, vcc_lo
	v_lshl_add_u32 v13, v14, 23, 0x3b800000
	v_lshlrev_b32_e32 v10, 20, v10
	v_or3_b32 v10, v12, v13, v10
.LBB144_1671:
	s_or_b32 exec_lo, exec_lo, s15
.LBB144_1672:
	s_mov_b32 s14, -1
.LBB144_1673:
	s_mov_b32 s15, 0
.LBB144_1674:
	s_and_b32 vcc_lo, exec_lo, s15
	s_cbranch_vccz .LBB144_1707
; %bb.1675:
	s_cmp_gt_i32 s2, 22
	s_cbranch_scc0 .LBB144_1685
; %bb.1676:
	s_cmp_lt_i32 s2, 24
	s_cbranch_scc1 .LBB144_1688
; %bb.1677:
	s_cmp_gt_i32 s2, 24
	s_cbranch_scc0 .LBB144_1689
; %bb.1678:
	global_load_ubyte v12, v[8:9], off
	s_mov_b32 s14, exec_lo
	s_waitcnt vmcnt(0)
	v_cmpx_lt_i16_e32 0x7f, v12
	s_xor_b32 s14, exec_lo, s14
	s_cbranch_execz .LBB144_1701
; %bb.1679:
	s_mov_b32 s7, -1
	s_mov_b32 s15, exec_lo
	v_cmpx_eq_u16_e32 0x80, v12
; %bb.1680:
	s_xor_b32 s7, exec_lo, -1
; %bb.1681:
	s_or_b32 exec_lo, exec_lo, s15
	s_and_b32 s7, s7, exec_lo
	s_or_saveexec_b32 s14, s14
	v_mov_b32_e32 v10, 0x7f800001
	s_xor_b32 exec_lo, exec_lo, s14
	s_cbranch_execnz .LBB144_1702
.LBB144_1682:
	s_or_b32 exec_lo, exec_lo, s14
	s_and_saveexec_b32 s14, s7
	s_cbranch_execz .LBB144_1684
.LBB144_1683:
	v_and_b32_e32 v10, 0xffff, v12
	v_lshlrev_b32_e32 v12, 24, v12
	v_and_b32_e32 v13, 3, v10
	v_bfe_u32 v16, v10, 2, 5
	v_and_b32_e32 v12, 0x80000000, v12
	v_ffbh_u32_e32 v14, v13
	v_cmp_eq_u32_e32 vcc_lo, 0, v16
	v_min_u32_e32 v14, 32, v14
	v_subrev_nc_u32_e32 v15, 29, v14
	v_sub_nc_u32_e32 v14, 30, v14
	v_lshlrev_b32_e32 v10, v15, v10
	v_cndmask_b32_e32 v14, v16, v14, vcc_lo
	v_and_b32_e32 v10, 3, v10
	v_cndmask_b32_e32 v10, v13, v10, vcc_lo
	v_lshl_add_u32 v13, v14, 23, 0x37800000
	v_lshlrev_b32_e32 v10, 21, v10
	v_or3_b32 v10, v12, v13, v10
.LBB144_1684:
	s_or_b32 exec_lo, exec_lo, s14
	s_mov_b32 s7, 0
	s_branch .LBB144_1690
.LBB144_1685:
	s_mov_b32 s7, -1
                                        ; implicit-def: $vgpr10
	s_branch .LBB144_1696
.LBB144_1686:
	s_or_saveexec_b32 s15, s15
	v_mov_b32_e32 v10, 0x7f800001
	s_xor_b32 exec_lo, exec_lo, s15
	s_cbranch_execz .LBB144_1669
.LBB144_1687:
	v_cmp_ne_u16_e32 vcc_lo, 0, v12
	v_mov_b32_e32 v10, 0
	s_andn2_b32 s14, s14, exec_lo
	s_and_b32 s16, vcc_lo, exec_lo
	s_or_b32 s14, s14, s16
	s_or_b32 exec_lo, exec_lo, s15
	s_and_saveexec_b32 s15, s14
	s_cbranch_execnz .LBB144_1670
	s_branch .LBB144_1671
.LBB144_1688:
	s_mov_b32 s7, -1
                                        ; implicit-def: $vgpr10
	s_branch .LBB144_1693
.LBB144_1689:
	s_mov_b32 s7, -1
                                        ; implicit-def: $vgpr10
.LBB144_1690:
	s_and_b32 vcc_lo, exec_lo, s7
	s_cbranch_vccz .LBB144_1692
; %bb.1691:
	global_load_ubyte v10, v[8:9], off
	s_waitcnt vmcnt(0)
	v_lshlrev_b32_e32 v10, 24, v10
	v_and_b32_e32 v12, 0x7f000000, v10
	v_ffbh_u32_e32 v13, v12
	v_add_nc_u32_e32 v15, 0x1000000, v12
	v_cmp_ne_u32_e32 vcc_lo, 0, v12
	v_min_u32_e32 v13, 32, v13
	v_sub_nc_u32_e64 v13, v13, 4 clamp
	v_lshlrev_b32_e32 v14, v13, v12
	v_lshlrev_b32_e32 v13, 23, v13
	v_lshrrev_b32_e32 v14, 4, v14
	v_sub_nc_u32_e32 v13, v14, v13
	v_ashrrev_i32_e32 v14, 8, v15
	v_add_nc_u32_e32 v13, 0x3c000000, v13
	v_and_or_b32 v13, 0x7f800000, v14, v13
	v_cndmask_b32_e32 v12, 0, v13, vcc_lo
	v_and_or_b32 v10, 0x80000000, v10, v12
.LBB144_1692:
	s_mov_b32 s7, 0
.LBB144_1693:
	s_andn2_b32 vcc_lo, exec_lo, s7
	s_cbranch_vccnz .LBB144_1695
; %bb.1694:
	global_load_ubyte v10, v[8:9], off
	s_waitcnt vmcnt(0)
	v_lshlrev_b32_e32 v12, 25, v10
	v_lshlrev_b16 v10, 8, v10
	v_lshrrev_b32_e32 v13, 4, v12
	v_and_or_b32 v14, 0x7f00, v10, 0.5
	v_cmp_gt_u32_e32 vcc_lo, 0x8000000, v12
	v_bfe_i32 v10, v10, 0, 16
	v_or_b32_e32 v13, 0x70000000, v13
	v_add_f32_e32 v14, -0.5, v14
	v_mul_f32_e32 v13, 0x7800000, v13
	v_cndmask_b32_e32 v12, v13, v14, vcc_lo
	v_and_or_b32 v10, 0x80000000, v10, v12
.LBB144_1695:
	s_mov_b32 s7, 0
	s_mov_b32 s14, -1
.LBB144_1696:
	s_andn2_b32 vcc_lo, exec_lo, s7
	s_mov_b32 s7, 0
	s_cbranch_vccnz .LBB144_1707
; %bb.1697:
	s_cmp_gt_i32 s2, 14
	s_cbranch_scc0 .LBB144_1700
; %bb.1698:
	s_cmp_eq_u32 s2, 15
	s_cbranch_scc0 .LBB144_1703
; %bb.1699:
	global_load_ushort v10, v[8:9], off
	s_mov_b32 s3, 0
	s_mov_b32 s14, -1
	s_waitcnt vmcnt(0)
	v_lshlrev_b32_e32 v10, 16, v10
	s_branch .LBB144_1705
.LBB144_1700:
	s_mov_b32 s7, -1
	s_branch .LBB144_1704
.LBB144_1701:
	s_or_saveexec_b32 s14, s14
	v_mov_b32_e32 v10, 0x7f800001
	s_xor_b32 exec_lo, exec_lo, s14
	s_cbranch_execz .LBB144_1682
.LBB144_1702:
	v_cmp_ne_u16_e32 vcc_lo, 0, v12
	v_mov_b32_e32 v10, 0
	s_andn2_b32 s7, s7, exec_lo
	s_and_b32 s15, vcc_lo, exec_lo
	s_or_b32 s7, s7, s15
	s_or_b32 exec_lo, exec_lo, s14
	s_and_saveexec_b32 s14, s7
	s_cbranch_execnz .LBB144_1683
	s_branch .LBB144_1684
.LBB144_1703:
	s_mov_b32 s3, -1
.LBB144_1704:
                                        ; implicit-def: $vgpr10
.LBB144_1705:
	s_and_b32 vcc_lo, exec_lo, s7
	s_mov_b32 s7, 0
	s_cbranch_vccz .LBB144_1707
; %bb.1706:
	s_cmp_lg_u32 s2, 11
	s_mov_b32 s7, -1
	s_cselect_b32 s3, -1, 0
.LBB144_1707:
	s_and_b32 vcc_lo, exec_lo, s3
	s_cbranch_vccnz .LBB144_1808
; %bb.1708:
	s_andn2_b32 vcc_lo, exec_lo, s7
	s_cbranch_vccnz .LBB144_1710
.LBB144_1709:
	global_load_ubyte v10, v[8:9], off
	s_mov_b32 s14, -1
	s_waitcnt vmcnt(0)
	v_cmp_ne_u16_e32 vcc_lo, 0, v10
	v_cndmask_b32_e64 v10, 0, 1.0, vcc_lo
.LBB144_1710:
	s_branch .LBB144_1637
.LBB144_1711:
	s_and_b32 s2, 0xffff, s4
	s_cmp_lt_i32 s2, 5
	s_cbranch_scc1 .LBB144_1716
; %bb.1712:
	s_cmp_lt_i32 s2, 8
	s_cbranch_scc1 .LBB144_1717
; %bb.1713:
	;; [unrolled: 3-line block ×3, first 2 shown]
	s_cmp_gt_i32 s2, 9
	s_cbranch_scc0 .LBB144_1719
; %bb.1715:
	global_load_dwordx2 v[12:13], v[8:9], off
	s_mov_b32 s3, 0
	s_waitcnt vmcnt(0)
	v_cvt_f32_f64_e32 v10, v[12:13]
	s_branch .LBB144_1720
.LBB144_1716:
	s_mov_b32 s3, -1
                                        ; implicit-def: $vgpr10
	s_branch .LBB144_1738
.LBB144_1717:
	s_mov_b32 s3, -1
                                        ; implicit-def: $vgpr10
	s_branch .LBB144_1726
.LBB144_1718:
	s_mov_b32 s3, -1
                                        ; implicit-def: $vgpr10
	s_branch .LBB144_1723
.LBB144_1719:
	s_mov_b32 s3, -1
                                        ; implicit-def: $vgpr10
.LBB144_1720:
	s_andn2_b32 vcc_lo, exec_lo, s3
	s_cbranch_vccnz .LBB144_1722
; %bb.1721:
	global_load_dword v10, v[8:9], off
.LBB144_1722:
	s_mov_b32 s3, 0
.LBB144_1723:
	s_andn2_b32 vcc_lo, exec_lo, s3
	s_cbranch_vccnz .LBB144_1725
; %bb.1724:
	global_load_dword v10, v[8:9], off
	s_waitcnt vmcnt(0)
	v_cvt_f32_f16_e32 v10, v10
.LBB144_1725:
	s_mov_b32 s3, 0
.LBB144_1726:
	s_andn2_b32 vcc_lo, exec_lo, s3
	s_cbranch_vccnz .LBB144_1737
; %bb.1727:
	s_cmp_lt_i32 s2, 6
	s_cbranch_scc1 .LBB144_1730
; %bb.1728:
	s_cmp_gt_i32 s2, 6
	s_cbranch_scc0 .LBB144_1731
; %bb.1729:
	global_load_dwordx2 v[12:13], v[8:9], off
	s_mov_b32 s3, 0
	s_waitcnt vmcnt(0)
	v_cvt_f32_f64_e32 v10, v[12:13]
	s_branch .LBB144_1732
.LBB144_1730:
	s_mov_b32 s3, -1
                                        ; implicit-def: $vgpr10
	s_branch .LBB144_1735
.LBB144_1731:
	s_mov_b32 s3, -1
                                        ; implicit-def: $vgpr10
.LBB144_1732:
	s_andn2_b32 vcc_lo, exec_lo, s3
	s_cbranch_vccnz .LBB144_1734
; %bb.1733:
	global_load_dword v10, v[8:9], off
.LBB144_1734:
	s_mov_b32 s3, 0
.LBB144_1735:
	s_andn2_b32 vcc_lo, exec_lo, s3
	s_cbranch_vccnz .LBB144_1737
; %bb.1736:
	global_load_ushort v10, v[8:9], off
	s_waitcnt vmcnt(0)
	v_cvt_f32_f16_e32 v10, v10
.LBB144_1737:
	s_mov_b32 s3, 0
.LBB144_1738:
	s_andn2_b32 vcc_lo, exec_lo, s3
	s_cbranch_vccnz .LBB144_1758
; %bb.1739:
	s_cmp_lt_i32 s2, 2
	s_cbranch_scc1 .LBB144_1743
; %bb.1740:
	s_cmp_lt_i32 s2, 3
	s_cbranch_scc1 .LBB144_1744
; %bb.1741:
	s_cmp_gt_i32 s2, 3
	s_cbranch_scc0 .LBB144_1745
; %bb.1742:
	global_load_dwordx2 v[12:13], v[8:9], off
	s_mov_b32 s3, 0
	s_waitcnt vmcnt(0)
	v_xor_b32_e32 v10, v12, v13
	v_ffbh_i32_e32 v14, v13
	v_ashrrev_i32_e32 v10, 31, v10
	v_add_nc_u32_e32 v14, -1, v14
	v_add_nc_u32_e32 v10, 32, v10
	v_min_u32_e32 v10, v14, v10
	v_lshlrev_b64 v[12:13], v10, v[12:13]
	v_sub_nc_u32_e32 v10, 32, v10
	v_min_u32_e32 v12, 1, v12
	v_or_b32_e32 v12, v13, v12
	v_cvt_f32_i32_e32 v12, v12
	v_ldexp_f32 v10, v12, v10
	s_branch .LBB144_1746
.LBB144_1743:
	s_mov_b32 s3, -1
                                        ; implicit-def: $vgpr10
	s_branch .LBB144_1752
.LBB144_1744:
	s_mov_b32 s3, -1
                                        ; implicit-def: $vgpr10
	s_branch .LBB144_1749
.LBB144_1745:
	s_mov_b32 s3, -1
                                        ; implicit-def: $vgpr10
.LBB144_1746:
	s_andn2_b32 vcc_lo, exec_lo, s3
	s_cbranch_vccnz .LBB144_1748
; %bb.1747:
	global_load_dword v10, v[8:9], off
	s_waitcnt vmcnt(0)
	v_cvt_f32_i32_e32 v10, v10
.LBB144_1748:
	s_mov_b32 s3, 0
.LBB144_1749:
	s_andn2_b32 vcc_lo, exec_lo, s3
	s_cbranch_vccnz .LBB144_1751
; %bb.1750:
	global_load_sshort v10, v[8:9], off
	s_waitcnt vmcnt(0)
	v_cvt_f32_i32_e32 v10, v10
.LBB144_1751:
	s_mov_b32 s3, 0
.LBB144_1752:
	s_andn2_b32 vcc_lo, exec_lo, s3
	s_cbranch_vccnz .LBB144_1758
; %bb.1753:
	s_cmp_gt_i32 s2, 0
	s_mov_b32 s2, 0
	s_cbranch_scc0 .LBB144_1755
; %bb.1754:
	global_load_sbyte v10, v[8:9], off
	s_waitcnt vmcnt(0)
	v_cvt_f32_i32_e32 v10, v10
	s_branch .LBB144_1756
.LBB144_1755:
	s_mov_b32 s2, -1
                                        ; implicit-def: $vgpr10
.LBB144_1756:
	s_andn2_b32 vcc_lo, exec_lo, s2
	s_cbranch_vccnz .LBB144_1758
; %bb.1757:
	global_load_ubyte v8, v[8:9], off
	s_waitcnt vmcnt(0)
	v_cvt_f32_ubyte0_e32 v10, v8
.LBB144_1758:
.LBB144_1759:
	s_waitcnt vmcnt(0)
	v_and_b32_e32 v8, 0x7fffffff, v10
	s_mov_b32 s3, exec_lo
                                        ; implicit-def: $vgpr12
	v_cmpx_ngt_f32_e64 0x3c800000, |v10|
	s_xor_b32 s3, exec_lo, s3
	s_cbranch_execz .LBB144_1789
; %bb.1760:
	s_mov_b32 s7, exec_lo
                                        ; implicit-def: $vgpr12
	v_cmpx_nlt_f32_e64 |v10|, 2.0
	s_xor_b32 s7, exec_lo, s7
	s_cbranch_execz .LBB144_1770
; %bb.1761:
	v_cmp_ngt_f32_e64 s2, 0x41000000, |v10|
                                        ; implicit-def: $vgpr12
	s_and_saveexec_b32 s14, s2
	s_xor_b32 s2, exec_lo, s14
	s_cbranch_execz .LBB144_1767
; %bb.1762:
	v_cmp_ngt_f32_e64 s14, 0x5c800000, |v10|
                                        ; implicit-def: $vgpr12
	s_and_saveexec_b32 s15, s14
	s_xor_b32 s14, exec_lo, s15
	s_cbranch_execz .LBB144_1764
; %bb.1763:
	v_cmp_gt_f32_e64 s15, 0x800000, |v10|
	v_cndmask_b32_e64 v9, 0, 32, s15
	v_ldexp_f32 v9, |v10|, v9
	v_log_f32_e32 v9, v9
	v_mul_f32_e32 v12, 0x3f317217, v9
	v_cmp_gt_f32_e64 vcc_lo, 0x7f800000, |v9|
	v_fma_f32 v13, 0x3f317217, v9, -v12
	v_fmamk_f32 v13, v9, 0x3377d1cf, v13
	v_add_f32_e32 v12, v12, v13
	v_cndmask_b32_e32 v9, v9, v12, vcc_lo
	v_cndmask_b32_e64 v12, 0, 0x41b17218, s15
	v_sub_f32_e32 v9, v9, v12
	v_fma_f32 v12, |v10|, v9, -|v10|
.LBB144_1764:
	s_andn2_saveexec_b32 s14, s14
	s_cbranch_execz .LBB144_1766
; %bb.1765:
	v_cmp_gt_f32_e64 s15, 0x800000, |v10|
	v_rcp_f32_e64 v12, |v10|
	s_mov_b32 s16, 0xbad5c4e8
	v_cndmask_b32_e64 v9, 0, 32, s15
	v_ldexp_f32 v9, |v10|, v9
	v_mul_f32_e32 v13, v12, v12
	v_log_f32_e32 v9, v9
	v_fmaak_f32 v15, s16, v13, 0x3a5b3dd2
	v_fmaak_f32 v15, v13, v15, 0xba1c065c
	v_mul_f32_e32 v14, 0x3f317217, v9
	v_fmaak_f32 v15, v13, v15, 0x3a500cfd
	v_cmp_gt_f32_e64 vcc_lo, 0x7f800000, |v9|
	v_fma_f32 v16, 0x3f317217, v9, -v14
	v_fmaak_f32 v15, v13, v15, 0xbb360b61
	v_fmamk_f32 v16, v9, 0x3377d1cf, v16
	v_fmaak_f32 v13, v13, v15, 0x3daaaaab
	v_add_f32_e32 v14, v14, v16
	v_fmaak_f32 v12, v12, v13, 0x3ed67f1d
	v_add_f32_e64 v13, |v10|, -0.5
	v_cndmask_b32_e32 v9, v9, v14, vcc_lo
	v_cndmask_b32_e64 v14, 0, 0x41b17218, s15
	v_sub_f32_e32 v9, v9, v14
	v_add_f32_e32 v9, -1.0, v9
	v_fmac_f32_e32 v12, v13, v9
.LBB144_1766:
	s_or_b32 exec_lo, exec_lo, s14
.LBB144_1767:
	s_andn2_saveexec_b32 s14, s2
	s_cbranch_execz .LBB144_1769
; %bb.1768:
	v_cvt_i32_f32_e32 v9, v8
	s_mov_b32 s2, 0x36f5d7bd
	s_mov_b32 s15, 0x3805ff67
	v_cvt_f32_i32_e32 v12, v9
	v_cmp_lt_i32_e32 vcc_lo, 2, v9
	v_sub_f32_e64 v12, |v10|, v12
	v_add_f32_e32 v13, 2.0, v12
	v_add_f32_e32 v14, 0x40400000, v12
	v_add_f32_e32 v15, 4.0, v12
	v_add_f32_e32 v16, 0x40a00000, v12
	v_cndmask_b32_e32 v13, 1.0, v13, vcc_lo
	v_cmp_lt_i32_e32 vcc_lo, 3, v9
	v_cndmask_b32_e32 v14, 1.0, v14, vcc_lo
	v_cmp_lt_i32_e32 vcc_lo, 4, v9
	v_mul_f32_e32 v13, v13, v14
	v_cndmask_b32_e32 v15, 1.0, v15, vcc_lo
	v_cmp_lt_i32_e32 vcc_lo, 5, v9
	v_add_f32_e32 v14, 0x40c00000, v12
	v_mul_f32_e32 v13, v15, v13
	v_cndmask_b32_e32 v16, 1.0, v16, vcc_lo
	v_cmp_lt_i32_e32 vcc_lo, 6, v9
	v_fmaak_f32 v15, s15, v12, 0x3af135b4
	v_mul_f32_e32 v13, v16, v13
	v_cndmask_b32_e32 v9, 1.0, v14, vcc_lo
	v_mul_f32_e32 v9, v9, v13
	v_fmaak_f32 v13, s2, v12, 0x3a4beed6
	v_cmp_gt_f32_e32 vcc_lo, 0x800000, v9
	v_fmaak_f32 v13, v12, v13, 0x3c98bf54
	v_cndmask_b32_e64 v14, 0, 32, vcc_lo
	v_fmaak_f32 v13, v12, v13, 0x3e300f6e
	v_ldexp_f32 v9, v9, v14
	v_fmaak_f32 v14, v12, v15, 0x3cda40e4
	v_fmaak_f32 v13, v12, v13, 0x3f38d0c5
	v_log_f32_e32 v9, v9
	v_fmaak_f32 v14, v12, v14, 0x3e15dce6
	v_fmaak_f32 v13, v12, v13, 0x3fb22d3b
	;; [unrolled: 1-line block ×3, first 2 shown]
	v_fma_f32 v13, v12, v13, 1.0
	v_mul_f32_e32 v15, 0x3f317217, v9
	v_fmaak_f32 v14, v12, v14, 0x3e5c245a
	v_rcp_f32_e32 v13, v13
	v_cmp_gt_f32_e64 s2, 0x7f800000, |v9|
	v_fma_f32 v16, 0x3f317217, v9, -v15
	v_fmaak_f32 v14, v12, v14, 0xbd9e233f
	v_fmamk_f32 v16, v9, 0x3377d1cf, v16
	v_mul_f32_e32 v14, v12, v14
	v_add_f32_e32 v15, v15, v16
	v_mul_f32_e32 v13, v14, v13
	v_cndmask_b32_e64 v14, 0, 0x41b17218, vcc_lo
	v_cndmask_b32_e64 v9, v9, v15, s2
	v_fmac_f32_e32 v13, 0.5, v12
	v_sub_f32_e32 v9, v9, v14
	v_add_f32_e32 v12, v9, v13
.LBB144_1769:
	s_or_b32 exec_lo, exec_lo, s14
.LBB144_1770:
	s_andn2_saveexec_b32 s7, s7
	s_cbranch_execz .LBB144_1788
; %bb.1771:
	s_mov_b32 s14, exec_lo
                                        ; implicit-def: $vgpr12
                                        ; implicit-def: $vgpr13
                                        ; implicit-def: $vgpr9
	v_cmpx_ge_f32_e64 0x3f666666, |v10|
	s_xor_b32 s14, exec_lo, s14
	s_cbranch_execz .LBB144_1773
; %bb.1772:
	v_cmp_gt_f32_e64 s2, 0x800000, |v10|
	v_sub_f32_e64 v14, 1.0, |v10|
	v_cmp_gt_f32_e64 vcc_lo, 0x3f3b4a23, |v10|
	v_cndmask_b32_e64 v9, 0, 32, s2
	v_cndmask_b32_e64 v15, 0, 0x41b17218, s2
	v_ldexp_f32 v9, |v10|, v9
	v_log_f32_e32 v9, v9
	v_mul_f32_e32 v12, 0x3f317217, v9
	v_cmp_gt_f32_e64 s2, 0x7f800000, |v9|
	v_fma_f32 v13, 0x3f317217, v9, -v12
	v_fmamk_f32 v13, v9, 0x3377d1cf, v13
	v_add_f32_e32 v12, v12, v13
	v_add_f32_e64 v13, 0xbeec5b0c, |v10|
	v_cndmask_b32_e64 v9, v9, v12, s2
	v_cndmask_b32_e32 v12, v14, v13, vcc_lo
	v_cndmask_b32_e64 v13, 0, 1, vcc_lo
	v_cmp_gt_f32_e64 s2, 0x3e6d3309, |v10|
	v_sub_f32_e32 v14, v9, v15
	v_cndmask_b32_e64 v9, v12, |v10|, s2
	v_cndmask_b32_e64 v13, v13, 2, s2
	v_xor_b32_e32 v12, 0x80000000, v14
.LBB144_1773:
	s_andn2_saveexec_b32 s2, s14
	s_cbranch_execz .LBB144_1775
; %bb.1774:
	v_sub_f32_e64 v9, 2.0, |v10|
	v_add_f32_e64 v12, 0xbfbb16c3, |v10|
	v_cmp_gt_f32_e64 vcc_lo, 0x3fdda512, |v10|
	v_add_f32_e64 v13, |v10|, -1.0
	v_cndmask_b32_e32 v12, v9, v12, vcc_lo
	v_cndmask_b32_e64 v9, v9, 1.0, vcc_lo
	v_cmp_gt_f32_e64 vcc_lo, 0x3f9d70a4, |v10|
	v_cvt_i32_f32_e32 v14, v9
	v_cndmask_b32_e32 v9, v12, v13, vcc_lo
	v_mov_b32_e32 v12, 0
	v_cndmask_b32_e64 v13, v14, 2, vcc_lo
.LBB144_1775:
	s_or_b32 exec_lo, exec_lo, s2
	s_mov_b32 s2, exec_lo
	v_cmpx_lt_i32_e32 0, v13
	s_xor_b32 s2, exec_lo, s2
	s_cbranch_execz .LBB144_1783
; %bb.1776:
	s_mov_b32 s14, exec_lo
	v_cmpx_lt_i32_e32 1, v13
	s_xor_b32 s14, exec_lo, s14
	s_cbranch_execz .LBB144_1780
; %bb.1777:
	s_mov_b32 s15, exec_lo
	v_cmpx_eq_u32_e32 2, v13
	s_cbranch_execz .LBB144_1779
; %bb.1778:
	s_mov_b32 s16, 0x3b52d5db
	v_fmaak_f32 v13, s16, v9, 0x3dd572af
	s_mov_b32 s16, 0x3c5b3c5e
	v_fmaak_f32 v14, s16, v9, 0x3e6a7578
	v_fmaak_f32 v13, v9, v13, 0x3f44efdf
	;; [unrolled: 1-line block ×7, first 2 shown]
	v_fma_f32 v13, v9, v13, 1.0
	v_fmaak_f32 v14, v9, v14, 0xbd9e233f
	v_rcp_f32_e32 v13, v13
	v_mul_f32_e32 v14, v9, v14
	v_mul_f32_e32 v13, v14, v13
	v_fmac_f32_e32 v13, -0.5, v9
	v_add_f32_e32 v12, v12, v13
.LBB144_1779:
	s_or_b32 exec_lo, exec_lo, s15
                                        ; implicit-def: $vgpr9
.LBB144_1780:
	s_andn2_saveexec_b32 s14, s14
	s_cbranch_execz .LBB144_1782
; %bb.1781:
	v_mul_f32_e32 v13, v9, v9
	s_mov_b32 s15, 0xb9a3f927
	s_mov_b32 s16, 0x39afe9f7
	v_mul_f32_e32 v14, v9, v13
	v_fmaak_f32 v15, s15, v14, 0x3a66f867
	v_fmaak_f32 v16, s16, v14, 0xba0d3085
	s_mov_b32 s15, 0x39a57b6b
	v_fmaak_f32 v17, s15, v14, 0xbab7f476
	v_fmaak_f32 v15, v14, v15, 0xbb7177fe
	;; [unrolled: 1-line block ×9, first 2 shown]
	v_fmac_f32_e32 v15, v9, v16
	v_fmaak_f32 v9, v14, v17, 0x3ef7b95e
	v_fma_f32 v14, v14, -v15, 0xa2863e55
	v_fma_f32 v9, v13, v9, -v14
	v_add_f32_e32 v9, 0xbdf8cdce, v9
	v_add_f32_e32 v12, v12, v9
.LBB144_1782:
	s_or_b32 exec_lo, exec_lo, s14
                                        ; implicit-def: $vgpr13
                                        ; implicit-def: $vgpr9
.LBB144_1783:
	s_andn2_saveexec_b32 s2, s2
	s_cbranch_execz .LBB144_1787
; %bb.1784:
	s_mov_b32 s14, exec_lo
	v_cmpx_eq_u32_e32 0, v13
	s_cbranch_execz .LBB144_1786
; %bb.1785:
	v_mul_f32_e32 v13, v9, v9
	s_mov_b32 s15, 0x383c2c75
	v_fmaak_f32 v14, s15, v13, 0x38e28445
	s_mov_b32 s15, 0x37d383a2
	v_fmaak_f32 v15, s15, v13, 0x39679767
	v_fmaak_f32 v14, v13, v14, 0x3a05b634
	;; [unrolled: 1-line block ×9, first 2 shown]
	v_mul_f32_e32 v13, v13, v14
	v_fmac_f32_e32 v13, v9, v15
	v_fmac_f32_e32 v13, -0.5, v9
	v_add_f32_e32 v12, v12, v13
.LBB144_1786:
	s_or_b32 exec_lo, exec_lo, s14
.LBB144_1787:
	s_or_b32 exec_lo, exec_lo, s2
.LBB144_1788:
	s_or_b32 exec_lo, exec_lo, s7
.LBB144_1789:
	s_andn2_saveexec_b32 s2, s3
	s_cbranch_execz .LBB144_1791
; %bb.1790:
	v_cmp_gt_f32_e64 s3, 0x800000, |v10|
	s_mov_b32 s7, 0x3e8a8991
	v_fma_f32 v14, |v10|, s7, 0xbecd26ab
	v_cndmask_b32_e64 v9, 0, 32, s3
	v_ldexp_f32 v9, |v10|, v9
	v_log_f32_e32 v9, v9
	v_mul_f32_e32 v12, 0x3f317217, v9
	v_cmp_gt_f32_e64 vcc_lo, 0x7f800000, |v9|
	v_fma_f32 v13, 0x3f317217, v9, -v12
	v_fmamk_f32 v13, v9, 0x3377d1cf, v13
	v_add_f32_e32 v12, v12, v13
	v_fma_f32 v13, |v10|, v14, 0x3f528d33
	v_cndmask_b32_e32 v9, v9, v12, vcc_lo
	v_cndmask_b32_e64 v12, 0, 0x41b17218, s3
	v_fma_f32 v13, |v10|, v13, 0xbf13c468
	v_sub_f32_e32 v9, v9, v12
	v_fma_f32 v12, |v10|, v13, -v9
.LBB144_1791:
	s_or_b32 exec_lo, exec_lo, s2
	v_cmp_le_f32_e64 s2, 0, v10
	s_mov_b32 s3, exec_lo
	v_cmpx_nle_f32_e32 0, v10
	s_xor_b32 s7, exec_lo, s3
	s_cbranch_execz .LBB144_1795
; %bb.1792:
	v_cmp_gt_f32_e64 s3, 0x4b000000, |v10|
	v_cmp_lt_f32_e64 s14, 0x35000000, |v10|
	s_and_b32 s3, s3, s14
	s_and_saveexec_b32 s14, s3
	s_cbranch_execz .LBB144_1794
; %bb.1793:
	v_mul_f32_e64 v9, |v10|, 0.5
	v_cmp_gt_f32_e64 s3, |v10|, 1.0
	s_mov_b32 s15, 0x3d4be544
	v_xor_b32_e32 v8, v8, v10
	v_floor_f32_e32 v13, v9
	v_cmp_neq_f32_e32 vcc_lo, 0x7f800000, v9
	v_sub_f32_e32 v13, v9, v13
	v_min_f32_e32 v13, 0x3f7fffff, v13
	v_add_f32_e32 v13, v13, v13
	v_cndmask_b32_e32 v9, 0, v13, vcc_lo
	v_cndmask_b32_e64 v9, |v10|, v9, s3
	s_mov_b32 s3, 0x3e75aa41
	v_add_f32_e32 v13, v9, v9
	v_rndne_f32_e32 v13, v13
	v_fmac_f32_e32 v9, -0.5, v13
	v_cvt_i32_f32_e32 v13, v13
	v_mul_f32_e32 v14, v9, v9
	v_fmaak_f32 v15, s3, v14, 0xbf1f24be
	v_fmaak_f32 v16, s15, v14, 0x3e642e9d
	v_mul_f32_e32 v17, v9, v14
	v_fmaak_f32 v15, v14, v15, 0x40234736
	v_fmaak_f32 v16, v14, v16, 0xbfaad1da
	;; [unrolled: 1-line block ×4, first 2 shown]
	v_mul_f32_e32 v15, v17, v15
	v_fmaak_f32 v16, v14, v16, 0xc09de9e6
	v_and_b32_e32 v17, 1, v13
	v_lshlrev_b32_e32 v13, 30, v13
	v_fmamk_f32 v9, v9, 0x40490fdb, v15
	v_fma_f32 v14, v14, v16, 1.0
	v_cmp_eq_u32_e32 vcc_lo, 0, v17
	v_and_b32_e32 v13, 0x80000000, v13
	v_cndmask_b32_e32 v9, v14, v9, vcc_lo
	v_xor3_b32 v8, v8, v13, v9
	v_mul_f32_e32 v8, v10, v8
	v_frexp_mant_f32_e64 v9, |v8|
	v_frexp_exp_i32_f32_e32 v8, v8
	v_rcp_f32_e32 v9, v9
	v_sub_nc_u32_e32 v8, 2, v8
	v_mul_f32_e32 v9, 0x3f490fdb, v9
	v_ldexp_f32 v8, v9, v8
	v_cmp_gt_f32_e32 vcc_lo, 0x800000, v8
	v_cndmask_b32_e64 v9, 0, 32, vcc_lo
	v_ldexp_f32 v8, v8, v9
	v_log_f32_e32 v8, v8
	v_mul_f32_e32 v9, 0x3f317217, v8
	v_cmp_gt_f32_e64 s3, 0x7f800000, |v8|
	v_fma_f32 v13, 0x3f317217, v8, -v9
	v_fmamk_f32 v13, v8, 0x3377d1cf, v13
	v_add_f32_e32 v9, v9, v13
	v_floor_f32_e32 v13, v10
	v_cndmask_b32_e64 v8, v8, v9, s3
	v_cndmask_b32_e64 v9, 0, 0x41b17218, vcc_lo
	v_sub_f32_e32 v13, v10, v13
	v_sub_f32_e32 v8, v8, v9
	v_min_f32_e32 v9, 0x3f7fffff, v13
	v_sub_f32_e32 v8, v8, v12
	v_cmp_neq_f32_e32 vcc_lo, 0, v9
	v_cndmask_b32_e32 v12, 0x7f800000, v8, vcc_lo
.LBB144_1794:
	s_or_b32 exec_lo, exec_lo, s14
.LBB144_1795:
	s_andn2_saveexec_b32 s7, s7
; %bb.1796:
	v_cmp_eq_f32_e32 vcc_lo, 1.0, v10
	v_cmp_eq_f32_e64 s3, 2.0, v10
	s_or_b32 s3, vcc_lo, s3
	v_cndmask_b32_e64 v12, v12, 0, s3
; %bb.1797:
	s_or_b32 exec_lo, exec_lo, s7
	v_add_co_u32 v7, s3, s10, v7
	v_add_co_ci_u32_e64 v8, null, s11, 0, s3
	s_cmp_lt_i32 s4, 11
	s_cbranch_scc1 .LBB144_1804
; %bb.1798:
	s_and_b32 s3, 0xffff, s4
	s_mov_b32 s10, 0
	s_cmp_gt_i32 s3, 25
	s_cbranch_scc0 .LBB144_1805
; %bb.1799:
	s_cmp_gt_i32 s3, 28
	s_cbranch_scc0 .LBB144_1806
; %bb.1800:
	;; [unrolled: 3-line block ×4, first 2 shown]
	s_cmp_eq_u32 s3, 46
	s_mov_b32 s14, 0
	s_cbranch_scc0 .LBB144_1810
; %bb.1803:
	global_load_dword v9, v[7:8], off
	s_mov_b32 s7, 0
	s_mov_b32 s11, -1
	s_waitcnt vmcnt(0)
	v_lshlrev_b32_e32 v9, 16, v9
	s_branch .LBB144_1812
.LBB144_1804:
	s_mov_b32 s3, -1
	s_mov_b32 s11, 0
                                        ; implicit-def: $vgpr9
	s_branch .LBB144_1878
.LBB144_1805:
	s_mov_b32 s14, -1
	s_mov_b32 s11, 0
	s_mov_b32 s7, 0
                                        ; implicit-def: $vgpr9
	s_branch .LBB144_1841
.LBB144_1806:
	s_mov_b32 s14, -1
	s_mov_b32 s11, 0
	s_mov_b32 s7, 0
                                        ; implicit-def: $vgpr9
	s_branch .LBB144_1822
.LBB144_1807:
	s_mov_b32 s14, -1
	s_mov_b32 s11, 0
	s_mov_b32 s7, 0
                                        ; implicit-def: $vgpr9
	s_branch .LBB144_1817
.LBB144_1808:
	s_or_b32 s5, s5, exec_lo
	s_trap 2
	s_cbranch_execz .LBB144_1709
	s_branch .LBB144_1710
.LBB144_1809:
	s_mov_b32 s14, -1
	s_mov_b32 s11, 0
	s_mov_b32 s7, 0
	s_branch .LBB144_1811
.LBB144_1810:
	s_mov_b32 s7, -1
	s_mov_b32 s11, 0
.LBB144_1811:
                                        ; implicit-def: $vgpr9
.LBB144_1812:
	s_and_b32 vcc_lo, exec_lo, s14
	s_cbranch_vccz .LBB144_1816
; %bb.1813:
	s_cmp_eq_u32 s3, 44
	s_cbranch_scc0 .LBB144_1815
; %bb.1814:
	global_load_ubyte v9, v[7:8], off
	s_mov_b32 s7, 0
	s_mov_b32 s11, -1
	s_waitcnt vmcnt(0)
	v_lshlrev_b32_e32 v13, 23, v9
	v_cmp_ne_u32_e32 vcc_lo, 0xff, v9
	v_cndmask_b32_e32 v13, 0x7f800001, v13, vcc_lo
	v_cmp_ne_u32_e32 vcc_lo, 0, v9
	v_cndmask_b32_e32 v9, 0x400000, v13, vcc_lo
	s_branch .LBB144_1816
.LBB144_1815:
	s_mov_b32 s7, -1
                                        ; implicit-def: $vgpr9
.LBB144_1816:
	s_mov_b32 s14, 0
.LBB144_1817:
	s_and_b32 vcc_lo, exec_lo, s14
	s_cbranch_vccz .LBB144_1821
; %bb.1818:
	s_cmp_eq_u32 s3, 29
	s_cbranch_scc0 .LBB144_1820
; %bb.1819:
	global_load_dwordx2 v[13:14], v[7:8], off
	s_mov_b32 s7, 0
	s_mov_b32 s11, -1
	s_mov_b32 s14, 0
	s_waitcnt vmcnt(0)
	v_ffbh_u32_e32 v9, v14
	v_min_u32_e32 v9, 32, v9
	v_lshlrev_b64 v[13:14], v9, v[13:14]
	v_sub_nc_u32_e32 v9, 32, v9
	v_min_u32_e32 v13, 1, v13
	v_or_b32_e32 v13, v14, v13
	v_cvt_f32_u32_e32 v13, v13
	v_ldexp_f32 v9, v13, v9
	s_branch .LBB144_1822
.LBB144_1820:
	s_mov_b32 s7, -1
                                        ; implicit-def: $vgpr9
.LBB144_1821:
	s_mov_b32 s14, 0
.LBB144_1822:
	s_and_b32 vcc_lo, exec_lo, s14
	s_cbranch_vccz .LBB144_1840
; %bb.1823:
	s_cmp_lt_i32 s3, 27
	s_cbranch_scc1 .LBB144_1826
; %bb.1824:
	s_cmp_gt_i32 s3, 27
	s_cbranch_scc0 .LBB144_1827
; %bb.1825:
	global_load_dword v9, v[7:8], off
	s_mov_b32 s11, 0
	s_waitcnt vmcnt(0)
	v_cvt_f32_u32_e32 v9, v9
	s_branch .LBB144_1828
.LBB144_1826:
	s_mov_b32 s11, -1
                                        ; implicit-def: $vgpr9
	s_branch .LBB144_1831
.LBB144_1827:
	s_mov_b32 s11, -1
                                        ; implicit-def: $vgpr9
.LBB144_1828:
	s_andn2_b32 vcc_lo, exec_lo, s11
	s_cbranch_vccnz .LBB144_1830
; %bb.1829:
	global_load_ushort v9, v[7:8], off
	s_waitcnt vmcnt(0)
	v_cvt_f32_u32_e32 v9, v9
.LBB144_1830:
	s_mov_b32 s11, 0
.LBB144_1831:
	s_andn2_b32 vcc_lo, exec_lo, s11
	s_cbranch_vccnz .LBB144_1839
; %bb.1832:
	global_load_ubyte v13, v[7:8], off
	s_mov_b32 s11, 0
	s_mov_b32 s14, exec_lo
	s_waitcnt vmcnt(0)
	v_cmpx_lt_i16_e32 0x7f, v13
	s_xor_b32 s14, exec_lo, s14
	s_cbranch_execz .LBB144_1853
; %bb.1833:
	s_mov_b32 s11, -1
	s_mov_b32 s15, exec_lo
	v_cmpx_eq_u16_e32 0x80, v13
; %bb.1834:
	s_xor_b32 s11, exec_lo, -1
; %bb.1835:
	s_or_b32 exec_lo, exec_lo, s15
	s_and_b32 s11, s11, exec_lo
	s_or_saveexec_b32 s14, s14
	v_mov_b32_e32 v9, 0x7f800001
	s_xor_b32 exec_lo, exec_lo, s14
	s_cbranch_execnz .LBB144_1854
.LBB144_1836:
	s_or_b32 exec_lo, exec_lo, s14
	s_and_saveexec_b32 s14, s11
	s_cbranch_execz .LBB144_1838
.LBB144_1837:
	v_and_b32_e32 v9, 0xffff, v13
	v_lshlrev_b32_e32 v13, 24, v13
	v_and_b32_e32 v14, 7, v9
	v_bfe_u32 v17, v9, 3, 4
	v_and_b32_e32 v13, 0x80000000, v13
	v_ffbh_u32_e32 v15, v14
	v_cmp_eq_u32_e32 vcc_lo, 0, v17
	v_min_u32_e32 v15, 32, v15
	v_subrev_nc_u32_e32 v16, 28, v15
	v_sub_nc_u32_e32 v15, 29, v15
	v_lshlrev_b32_e32 v9, v16, v9
	v_cndmask_b32_e32 v15, v17, v15, vcc_lo
	v_and_b32_e32 v9, 7, v9
	v_cndmask_b32_e32 v9, v14, v9, vcc_lo
	v_lshl_add_u32 v14, v15, 23, 0x3b800000
	v_lshlrev_b32_e32 v9, 20, v9
	v_or3_b32 v9, v13, v14, v9
.LBB144_1838:
	s_or_b32 exec_lo, exec_lo, s14
.LBB144_1839:
	s_mov_b32 s11, -1
.LBB144_1840:
	s_mov_b32 s14, 0
.LBB144_1841:
	s_and_b32 vcc_lo, exec_lo, s14
	s_cbranch_vccz .LBB144_1874
; %bb.1842:
	s_cmp_gt_i32 s3, 22
	s_cbranch_scc0 .LBB144_1852
; %bb.1843:
	s_cmp_lt_i32 s3, 24
	s_cbranch_scc1 .LBB144_1855
; %bb.1844:
	s_cmp_gt_i32 s3, 24
	s_cbranch_scc0 .LBB144_1856
; %bb.1845:
	global_load_ubyte v13, v[7:8], off
	s_mov_b32 s11, exec_lo
	s_waitcnt vmcnt(0)
	v_cmpx_lt_i16_e32 0x7f, v13
	s_xor_b32 s11, exec_lo, s11
	s_cbranch_execz .LBB144_1868
; %bb.1846:
	s_mov_b32 s10, -1
	s_mov_b32 s14, exec_lo
	v_cmpx_eq_u16_e32 0x80, v13
; %bb.1847:
	s_xor_b32 s10, exec_lo, -1
; %bb.1848:
	s_or_b32 exec_lo, exec_lo, s14
	s_and_b32 s10, s10, exec_lo
	s_or_saveexec_b32 s11, s11
	v_mov_b32_e32 v9, 0x7f800001
	s_xor_b32 exec_lo, exec_lo, s11
	s_cbranch_execnz .LBB144_1869
.LBB144_1849:
	s_or_b32 exec_lo, exec_lo, s11
	s_and_saveexec_b32 s11, s10
	s_cbranch_execz .LBB144_1851
.LBB144_1850:
	v_and_b32_e32 v9, 0xffff, v13
	v_lshlrev_b32_e32 v13, 24, v13
	v_and_b32_e32 v14, 3, v9
	v_bfe_u32 v17, v9, 2, 5
	v_and_b32_e32 v13, 0x80000000, v13
	v_ffbh_u32_e32 v15, v14
	v_cmp_eq_u32_e32 vcc_lo, 0, v17
	v_min_u32_e32 v15, 32, v15
	v_subrev_nc_u32_e32 v16, 29, v15
	v_sub_nc_u32_e32 v15, 30, v15
	v_lshlrev_b32_e32 v9, v16, v9
	v_cndmask_b32_e32 v15, v17, v15, vcc_lo
	v_and_b32_e32 v9, 3, v9
	v_cndmask_b32_e32 v9, v14, v9, vcc_lo
	v_lshl_add_u32 v14, v15, 23, 0x37800000
	v_lshlrev_b32_e32 v9, 21, v9
	v_or3_b32 v9, v13, v14, v9
.LBB144_1851:
	s_or_b32 exec_lo, exec_lo, s11
	s_mov_b32 s10, 0
	s_branch .LBB144_1857
.LBB144_1852:
	s_mov_b32 s10, -1
                                        ; implicit-def: $vgpr9
	s_branch .LBB144_1863
.LBB144_1853:
	s_or_saveexec_b32 s14, s14
	v_mov_b32_e32 v9, 0x7f800001
	s_xor_b32 exec_lo, exec_lo, s14
	s_cbranch_execz .LBB144_1836
.LBB144_1854:
	v_cmp_ne_u16_e32 vcc_lo, 0, v13
	v_mov_b32_e32 v9, 0
	s_andn2_b32 s11, s11, exec_lo
	s_and_b32 s15, vcc_lo, exec_lo
	s_or_b32 s11, s11, s15
	s_or_b32 exec_lo, exec_lo, s14
	s_and_saveexec_b32 s14, s11
	s_cbranch_execnz .LBB144_1837
	s_branch .LBB144_1838
.LBB144_1855:
	s_mov_b32 s10, -1
                                        ; implicit-def: $vgpr9
	s_branch .LBB144_1860
.LBB144_1856:
	s_mov_b32 s10, -1
                                        ; implicit-def: $vgpr9
.LBB144_1857:
	s_and_b32 vcc_lo, exec_lo, s10
	s_cbranch_vccz .LBB144_1859
; %bb.1858:
	global_load_ubyte v9, v[7:8], off
	s_waitcnt vmcnt(0)
	v_lshlrev_b32_e32 v9, 24, v9
	v_and_b32_e32 v13, 0x7f000000, v9
	v_ffbh_u32_e32 v14, v13
	v_add_nc_u32_e32 v16, 0x1000000, v13
	v_cmp_ne_u32_e32 vcc_lo, 0, v13
	v_min_u32_e32 v14, 32, v14
	v_sub_nc_u32_e64 v14, v14, 4 clamp
	v_lshlrev_b32_e32 v15, v14, v13
	v_lshlrev_b32_e32 v14, 23, v14
	v_lshrrev_b32_e32 v15, 4, v15
	v_sub_nc_u32_e32 v14, v15, v14
	v_ashrrev_i32_e32 v15, 8, v16
	v_add_nc_u32_e32 v14, 0x3c000000, v14
	v_and_or_b32 v14, 0x7f800000, v15, v14
	v_cndmask_b32_e32 v13, 0, v14, vcc_lo
	v_and_or_b32 v9, 0x80000000, v9, v13
.LBB144_1859:
	s_mov_b32 s10, 0
.LBB144_1860:
	s_andn2_b32 vcc_lo, exec_lo, s10
	s_cbranch_vccnz .LBB144_1862
; %bb.1861:
	global_load_ubyte v9, v[7:8], off
	s_waitcnt vmcnt(0)
	v_lshlrev_b32_e32 v13, 25, v9
	v_lshlrev_b16 v9, 8, v9
	v_lshrrev_b32_e32 v14, 4, v13
	v_and_or_b32 v15, 0x7f00, v9, 0.5
	v_cmp_gt_u32_e32 vcc_lo, 0x8000000, v13
	v_bfe_i32 v9, v9, 0, 16
	v_or_b32_e32 v14, 0x70000000, v14
	v_add_f32_e32 v15, -0.5, v15
	v_mul_f32_e32 v14, 0x7800000, v14
	v_cndmask_b32_e32 v13, v14, v15, vcc_lo
	v_and_or_b32 v9, 0x80000000, v9, v13
.LBB144_1862:
	s_mov_b32 s10, 0
	s_mov_b32 s11, -1
.LBB144_1863:
	s_andn2_b32 vcc_lo, exec_lo, s10
	s_mov_b32 s10, 0
	s_cbranch_vccnz .LBB144_1874
; %bb.1864:
	s_cmp_gt_i32 s3, 14
	s_cbranch_scc0 .LBB144_1867
; %bb.1865:
	s_cmp_eq_u32 s3, 15
	s_cbranch_scc0 .LBB144_1870
; %bb.1866:
	global_load_ushort v9, v[7:8], off
	s_mov_b32 s7, 0
	s_mov_b32 s11, -1
	s_waitcnt vmcnt(0)
	v_lshlrev_b32_e32 v9, 16, v9
	s_branch .LBB144_1872
.LBB144_1867:
	s_mov_b32 s10, -1
	s_branch .LBB144_1871
.LBB144_1868:
	s_or_saveexec_b32 s11, s11
	v_mov_b32_e32 v9, 0x7f800001
	s_xor_b32 exec_lo, exec_lo, s11
	s_cbranch_execz .LBB144_1849
.LBB144_1869:
	v_cmp_ne_u16_e32 vcc_lo, 0, v13
	v_mov_b32_e32 v9, 0
	s_andn2_b32 s10, s10, exec_lo
	s_and_b32 s14, vcc_lo, exec_lo
	s_or_b32 s10, s10, s14
	s_or_b32 exec_lo, exec_lo, s11
	s_and_saveexec_b32 s11, s10
	s_cbranch_execnz .LBB144_1850
	s_branch .LBB144_1851
.LBB144_1870:
	s_mov_b32 s7, -1
.LBB144_1871:
                                        ; implicit-def: $vgpr9
.LBB144_1872:
	s_and_b32 vcc_lo, exec_lo, s10
	s_mov_b32 s10, 0
	s_cbranch_vccz .LBB144_1874
; %bb.1873:
	s_cmp_lg_u32 s3, 11
	s_mov_b32 s10, -1
	s_cselect_b32 s7, -1, 0
.LBB144_1874:
	s_and_b32 vcc_lo, exec_lo, s7
	s_cbranch_vccnz .LBB144_2445
; %bb.1875:
	s_andn2_b32 vcc_lo, exec_lo, s10
	s_cbranch_vccnz .LBB144_1877
.LBB144_1876:
	global_load_ubyte v9, v[7:8], off
	s_mov_b32 s11, -1
	s_waitcnt vmcnt(0)
	v_cmp_ne_u16_e32 vcc_lo, 0, v9
	v_cndmask_b32_e64 v9, 0, 1.0, vcc_lo
.LBB144_1877:
	s_mov_b32 s3, 0
.LBB144_1878:
	s_and_b32 vcc_lo, exec_lo, s3
	s_cbranch_vccz .LBB144_1927
; %bb.1879:
	s_and_b32 s3, 0xffff, s4
	s_cmp_lt_i32 s3, 5
	s_cbranch_scc1 .LBB144_1884
; %bb.1880:
	s_cmp_lt_i32 s3, 8
	s_cbranch_scc1 .LBB144_1885
; %bb.1881:
	;; [unrolled: 3-line block ×3, first 2 shown]
	s_cmp_gt_i32 s3, 9
	s_cbranch_scc0 .LBB144_1887
; %bb.1883:
	global_load_dwordx2 v[13:14], v[7:8], off
	s_mov_b32 s4, 0
	s_waitcnt vmcnt(0)
	v_cvt_f32_f64_e32 v9, v[13:14]
	s_branch .LBB144_1888
.LBB144_1884:
	s_mov_b32 s4, -1
                                        ; implicit-def: $vgpr9
	s_branch .LBB144_1906
.LBB144_1885:
	s_mov_b32 s4, -1
                                        ; implicit-def: $vgpr9
	s_branch .LBB144_1894
.LBB144_1886:
	s_mov_b32 s4, -1
                                        ; implicit-def: $vgpr9
	s_branch .LBB144_1891
.LBB144_1887:
	s_mov_b32 s4, -1
                                        ; implicit-def: $vgpr9
.LBB144_1888:
	s_andn2_b32 vcc_lo, exec_lo, s4
	s_cbranch_vccnz .LBB144_1890
; %bb.1889:
	global_load_dword v9, v[7:8], off
.LBB144_1890:
	s_mov_b32 s4, 0
.LBB144_1891:
	s_andn2_b32 vcc_lo, exec_lo, s4
	s_cbranch_vccnz .LBB144_1893
; %bb.1892:
	global_load_dword v9, v[7:8], off
	s_waitcnt vmcnt(0)
	v_cvt_f32_f16_e32 v9, v9
.LBB144_1893:
	s_mov_b32 s4, 0
.LBB144_1894:
	s_andn2_b32 vcc_lo, exec_lo, s4
	s_cbranch_vccnz .LBB144_1905
; %bb.1895:
	s_cmp_lt_i32 s3, 6
	s_cbranch_scc1 .LBB144_1898
; %bb.1896:
	s_cmp_gt_i32 s3, 6
	s_cbranch_scc0 .LBB144_1899
; %bb.1897:
	global_load_dwordx2 v[13:14], v[7:8], off
	s_mov_b32 s4, 0
	s_waitcnt vmcnt(0)
	v_cvt_f32_f64_e32 v9, v[13:14]
	s_branch .LBB144_1900
.LBB144_1898:
	s_mov_b32 s4, -1
                                        ; implicit-def: $vgpr9
	s_branch .LBB144_1903
.LBB144_1899:
	s_mov_b32 s4, -1
                                        ; implicit-def: $vgpr9
.LBB144_1900:
	s_andn2_b32 vcc_lo, exec_lo, s4
	s_cbranch_vccnz .LBB144_1902
; %bb.1901:
	global_load_dword v9, v[7:8], off
.LBB144_1902:
	s_mov_b32 s4, 0
.LBB144_1903:
	s_andn2_b32 vcc_lo, exec_lo, s4
	s_cbranch_vccnz .LBB144_1905
; %bb.1904:
	global_load_ushort v9, v[7:8], off
	s_waitcnt vmcnt(0)
	v_cvt_f32_f16_e32 v9, v9
.LBB144_1905:
	s_mov_b32 s4, 0
.LBB144_1906:
	s_andn2_b32 vcc_lo, exec_lo, s4
	s_cbranch_vccnz .LBB144_1926
; %bb.1907:
	s_cmp_lt_i32 s3, 2
	s_cbranch_scc1 .LBB144_1911
; %bb.1908:
	s_cmp_lt_i32 s3, 3
	s_cbranch_scc1 .LBB144_1912
; %bb.1909:
	s_cmp_gt_i32 s3, 3
	s_cbranch_scc0 .LBB144_1913
; %bb.1910:
	global_load_dwordx2 v[13:14], v[7:8], off
	s_mov_b32 s4, 0
	s_waitcnt vmcnt(0)
	v_xor_b32_e32 v9, v13, v14
	v_ffbh_i32_e32 v15, v14
	v_ashrrev_i32_e32 v9, 31, v9
	v_add_nc_u32_e32 v15, -1, v15
	v_add_nc_u32_e32 v9, 32, v9
	v_min_u32_e32 v9, v15, v9
	v_lshlrev_b64 v[13:14], v9, v[13:14]
	v_sub_nc_u32_e32 v9, 32, v9
	v_min_u32_e32 v13, 1, v13
	v_or_b32_e32 v13, v14, v13
	v_cvt_f32_i32_e32 v13, v13
	v_ldexp_f32 v9, v13, v9
	s_branch .LBB144_1914
.LBB144_1911:
	s_mov_b32 s4, -1
                                        ; implicit-def: $vgpr9
	s_branch .LBB144_1920
.LBB144_1912:
	s_mov_b32 s4, -1
                                        ; implicit-def: $vgpr9
	s_branch .LBB144_1917
.LBB144_1913:
	s_mov_b32 s4, -1
                                        ; implicit-def: $vgpr9
.LBB144_1914:
	s_andn2_b32 vcc_lo, exec_lo, s4
	s_cbranch_vccnz .LBB144_1916
; %bb.1915:
	global_load_dword v9, v[7:8], off
	s_waitcnt vmcnt(0)
	v_cvt_f32_i32_e32 v9, v9
.LBB144_1916:
	s_mov_b32 s4, 0
.LBB144_1917:
	s_andn2_b32 vcc_lo, exec_lo, s4
	s_cbranch_vccnz .LBB144_1919
; %bb.1918:
	global_load_sshort v9, v[7:8], off
	s_waitcnt vmcnt(0)
	v_cvt_f32_i32_e32 v9, v9
.LBB144_1919:
	s_mov_b32 s4, 0
.LBB144_1920:
	s_andn2_b32 vcc_lo, exec_lo, s4
	s_cbranch_vccnz .LBB144_1926
; %bb.1921:
	s_cmp_gt_i32 s3, 0
	s_mov_b32 s3, 0
	s_cbranch_scc0 .LBB144_1923
; %bb.1922:
	global_load_sbyte v9, v[7:8], off
	s_waitcnt vmcnt(0)
	v_cvt_f32_i32_e32 v9, v9
	s_branch .LBB144_1924
.LBB144_1923:
	s_mov_b32 s3, -1
                                        ; implicit-def: $vgpr9
.LBB144_1924:
	s_andn2_b32 vcc_lo, exec_lo, s3
	s_cbranch_vccnz .LBB144_1926
; %bb.1925:
	global_load_ubyte v7, v[7:8], off
	s_waitcnt vmcnt(0)
	v_cvt_f32_ubyte0_e32 v9, v7
.LBB144_1926:
	s_mov_b32 s11, -1
.LBB144_1927:
	s_andn2_b32 vcc_lo, exec_lo, s11
	s_cbranch_vccnz .LBB144_2399
; %bb.1928:
	s_waitcnt vmcnt(0)
	v_and_b32_e32 v7, 0x7fffffff, v9
	s_mov_b32 s4, exec_lo
                                        ; implicit-def: $vgpr13
	v_cmpx_ngt_f32_e64 0x3c800000, |v9|
	s_xor_b32 s4, exec_lo, s4
	s_cbranch_execz .LBB144_1958
; %bb.1929:
	s_mov_b32 s7, exec_lo
                                        ; implicit-def: $vgpr13
	v_cmpx_nlt_f32_e64 |v9|, 2.0
	s_xor_b32 s7, exec_lo, s7
	s_cbranch_execz .LBB144_1939
; %bb.1930:
	v_cmp_ngt_f32_e64 s3, 0x41000000, |v9|
                                        ; implicit-def: $vgpr13
	s_and_saveexec_b32 s10, s3
	s_xor_b32 s3, exec_lo, s10
	s_cbranch_execz .LBB144_1936
; %bb.1931:
	v_cmp_ngt_f32_e64 s10, 0x5c800000, |v9|
                                        ; implicit-def: $vgpr13
	s_and_saveexec_b32 s11, s10
	s_xor_b32 s10, exec_lo, s11
	s_cbranch_execz .LBB144_1933
; %bb.1932:
	v_cmp_gt_f32_e64 s11, 0x800000, |v9|
	v_cndmask_b32_e64 v8, 0, 32, s11
	v_ldexp_f32 v8, |v9|, v8
	v_log_f32_e32 v8, v8
	v_mul_f32_e32 v13, 0x3f317217, v8
	v_cmp_gt_f32_e64 vcc_lo, 0x7f800000, |v8|
	v_fma_f32 v14, 0x3f317217, v8, -v13
	v_fmamk_f32 v14, v8, 0x3377d1cf, v14
	v_add_f32_e32 v13, v13, v14
	v_cndmask_b32_e32 v8, v8, v13, vcc_lo
	v_cndmask_b32_e64 v13, 0, 0x41b17218, s11
	v_sub_f32_e32 v8, v8, v13
	v_fma_f32 v13, |v9|, v8, -|v9|
.LBB144_1933:
	s_andn2_saveexec_b32 s10, s10
	s_cbranch_execz .LBB144_1935
; %bb.1934:
	v_cmp_gt_f32_e64 s11, 0x800000, |v9|
	v_rcp_f32_e64 v13, |v9|
	s_mov_b32 s14, 0xbad5c4e8
	v_cndmask_b32_e64 v8, 0, 32, s11
	v_ldexp_f32 v8, |v9|, v8
	v_mul_f32_e32 v14, v13, v13
	v_log_f32_e32 v8, v8
	v_fmaak_f32 v16, s14, v14, 0x3a5b3dd2
	v_fmaak_f32 v16, v14, v16, 0xba1c065c
	v_mul_f32_e32 v15, 0x3f317217, v8
	v_fmaak_f32 v16, v14, v16, 0x3a500cfd
	v_cmp_gt_f32_e64 vcc_lo, 0x7f800000, |v8|
	v_fma_f32 v17, 0x3f317217, v8, -v15
	v_fmaak_f32 v16, v14, v16, 0xbb360b61
	v_fmamk_f32 v17, v8, 0x3377d1cf, v17
	v_fmaak_f32 v14, v14, v16, 0x3daaaaab
	v_add_f32_e32 v15, v15, v17
	v_fmaak_f32 v13, v13, v14, 0x3ed67f1d
	v_add_f32_e64 v14, |v9|, -0.5
	v_cndmask_b32_e32 v8, v8, v15, vcc_lo
	v_cndmask_b32_e64 v15, 0, 0x41b17218, s11
	v_sub_f32_e32 v8, v8, v15
	v_add_f32_e32 v8, -1.0, v8
	v_fmac_f32_e32 v13, v14, v8
.LBB144_1935:
	s_or_b32 exec_lo, exec_lo, s10
.LBB144_1936:
	s_andn2_saveexec_b32 s10, s3
	s_cbranch_execz .LBB144_1938
; %bb.1937:
	v_cvt_i32_f32_e32 v8, v7
	s_mov_b32 s3, 0x36f5d7bd
	s_mov_b32 s11, 0x3805ff67
	v_cvt_f32_i32_e32 v13, v8
	v_cmp_lt_i32_e32 vcc_lo, 2, v8
	v_sub_f32_e64 v13, |v9|, v13
	v_add_f32_e32 v14, 2.0, v13
	v_add_f32_e32 v15, 0x40400000, v13
	v_add_f32_e32 v16, 4.0, v13
	v_add_f32_e32 v17, 0x40a00000, v13
	v_cndmask_b32_e32 v14, 1.0, v14, vcc_lo
	v_cmp_lt_i32_e32 vcc_lo, 3, v8
	v_cndmask_b32_e32 v15, 1.0, v15, vcc_lo
	v_cmp_lt_i32_e32 vcc_lo, 4, v8
	v_mul_f32_e32 v14, v14, v15
	v_cndmask_b32_e32 v16, 1.0, v16, vcc_lo
	v_cmp_lt_i32_e32 vcc_lo, 5, v8
	v_add_f32_e32 v15, 0x40c00000, v13
	v_mul_f32_e32 v14, v16, v14
	v_cndmask_b32_e32 v17, 1.0, v17, vcc_lo
	v_cmp_lt_i32_e32 vcc_lo, 6, v8
	v_fmaak_f32 v16, s11, v13, 0x3af135b4
	v_mul_f32_e32 v14, v17, v14
	v_cndmask_b32_e32 v8, 1.0, v15, vcc_lo
	v_mul_f32_e32 v8, v8, v14
	v_fmaak_f32 v14, s3, v13, 0x3a4beed6
	v_cmp_gt_f32_e32 vcc_lo, 0x800000, v8
	v_fmaak_f32 v14, v13, v14, 0x3c98bf54
	v_cndmask_b32_e64 v15, 0, 32, vcc_lo
	v_fmaak_f32 v14, v13, v14, 0x3e300f6e
	v_ldexp_f32 v8, v8, v15
	v_fmaak_f32 v15, v13, v16, 0x3cda40e4
	v_fmaak_f32 v14, v13, v14, 0x3f38d0c5
	v_log_f32_e32 v8, v8
	v_fmaak_f32 v15, v13, v15, 0x3e15dce6
	v_fmaak_f32 v14, v13, v14, 0x3fb22d3b
	;; [unrolled: 1-line block ×3, first 2 shown]
	v_fma_f32 v14, v13, v14, 1.0
	v_mul_f32_e32 v16, 0x3f317217, v8
	v_fmaak_f32 v15, v13, v15, 0x3e5c245a
	v_rcp_f32_e32 v14, v14
	v_cmp_gt_f32_e64 s3, 0x7f800000, |v8|
	v_fma_f32 v17, 0x3f317217, v8, -v16
	v_fmaak_f32 v15, v13, v15, 0xbd9e233f
	v_fmamk_f32 v17, v8, 0x3377d1cf, v17
	v_mul_f32_e32 v15, v13, v15
	v_add_f32_e32 v16, v16, v17
	v_mul_f32_e32 v14, v15, v14
	v_cndmask_b32_e64 v15, 0, 0x41b17218, vcc_lo
	v_cndmask_b32_e64 v8, v8, v16, s3
	v_fmac_f32_e32 v14, 0.5, v13
	v_sub_f32_e32 v8, v8, v15
	v_add_f32_e32 v13, v8, v14
.LBB144_1938:
	s_or_b32 exec_lo, exec_lo, s10
.LBB144_1939:
	s_andn2_saveexec_b32 s7, s7
	s_cbranch_execz .LBB144_1957
; %bb.1940:
	s_mov_b32 s10, exec_lo
                                        ; implicit-def: $vgpr13
                                        ; implicit-def: $vgpr14
                                        ; implicit-def: $vgpr8
	v_cmpx_ge_f32_e64 0x3f666666, |v9|
	s_xor_b32 s10, exec_lo, s10
	s_cbranch_execz .LBB144_1942
; %bb.1941:
	v_cmp_gt_f32_e64 s3, 0x800000, |v9|
	v_sub_f32_e64 v15, 1.0, |v9|
	v_cmp_gt_f32_e64 vcc_lo, 0x3f3b4a23, |v9|
	v_cndmask_b32_e64 v8, 0, 32, s3
	v_cndmask_b32_e64 v16, 0, 0x41b17218, s3
	v_ldexp_f32 v8, |v9|, v8
	v_log_f32_e32 v8, v8
	v_mul_f32_e32 v13, 0x3f317217, v8
	v_cmp_gt_f32_e64 s3, 0x7f800000, |v8|
	v_fma_f32 v14, 0x3f317217, v8, -v13
	v_fmamk_f32 v14, v8, 0x3377d1cf, v14
	v_add_f32_e32 v13, v13, v14
	v_add_f32_e64 v14, 0xbeec5b0c, |v9|
	v_cndmask_b32_e64 v8, v8, v13, s3
	v_cndmask_b32_e32 v13, v15, v14, vcc_lo
	v_cndmask_b32_e64 v14, 0, 1, vcc_lo
	v_cmp_gt_f32_e64 s3, 0x3e6d3309, |v9|
	v_sub_f32_e32 v15, v8, v16
	v_cndmask_b32_e64 v8, v13, |v9|, s3
	v_cndmask_b32_e64 v14, v14, 2, s3
	v_xor_b32_e32 v13, 0x80000000, v15
.LBB144_1942:
	s_andn2_saveexec_b32 s3, s10
	s_cbranch_execz .LBB144_1944
; %bb.1943:
	v_sub_f32_e64 v8, 2.0, |v9|
	v_add_f32_e64 v13, 0xbfbb16c3, |v9|
	v_cmp_gt_f32_e64 vcc_lo, 0x3fdda512, |v9|
	v_add_f32_e64 v14, |v9|, -1.0
	v_cndmask_b32_e32 v13, v8, v13, vcc_lo
	v_cndmask_b32_e64 v8, v8, 1.0, vcc_lo
	v_cmp_gt_f32_e64 vcc_lo, 0x3f9d70a4, |v9|
	v_cvt_i32_f32_e32 v15, v8
	v_cndmask_b32_e32 v8, v13, v14, vcc_lo
	v_mov_b32_e32 v13, 0
	v_cndmask_b32_e64 v14, v15, 2, vcc_lo
.LBB144_1944:
	s_or_b32 exec_lo, exec_lo, s3
	s_mov_b32 s3, exec_lo
	v_cmpx_lt_i32_e32 0, v14
	s_xor_b32 s3, exec_lo, s3
	s_cbranch_execz .LBB144_1952
; %bb.1945:
	s_mov_b32 s10, exec_lo
	v_cmpx_lt_i32_e32 1, v14
	s_xor_b32 s10, exec_lo, s10
	s_cbranch_execz .LBB144_1949
; %bb.1946:
	s_mov_b32 s11, exec_lo
	v_cmpx_eq_u32_e32 2, v14
	s_cbranch_execz .LBB144_1948
; %bb.1947:
	s_mov_b32 s14, 0x3b52d5db
	v_fmaak_f32 v14, s14, v8, 0x3dd572af
	s_mov_b32 s14, 0x3c5b3c5e
	v_fmaak_f32 v15, s14, v8, 0x3e6a7578
	v_fmaak_f32 v14, v8, v14, 0x3f44efdf
	;; [unrolled: 1-line block ×7, first 2 shown]
	v_fma_f32 v14, v8, v14, 1.0
	v_fmaak_f32 v15, v8, v15, 0xbd9e233f
	v_rcp_f32_e32 v14, v14
	v_mul_f32_e32 v15, v8, v15
	v_mul_f32_e32 v14, v15, v14
	v_fmac_f32_e32 v14, -0.5, v8
	v_add_f32_e32 v13, v13, v14
.LBB144_1948:
	s_or_b32 exec_lo, exec_lo, s11
                                        ; implicit-def: $vgpr8
.LBB144_1949:
	s_andn2_saveexec_b32 s10, s10
	s_cbranch_execz .LBB144_1951
; %bb.1950:
	v_mul_f32_e32 v14, v8, v8
	s_mov_b32 s11, 0xb9a3f927
	s_mov_b32 s14, 0x39afe9f7
	v_mul_f32_e32 v15, v8, v14
	v_fmaak_f32 v16, s11, v15, 0x3a66f867
	v_fmaak_f32 v17, s14, v15, 0xba0d3085
	s_mov_b32 s11, 0x39a57b6b
	v_fmaak_f32 v18, s11, v15, 0xbab7f476
	v_fmaak_f32 v16, v15, v16, 0xbb7177fe
	;; [unrolled: 1-line block ×9, first 2 shown]
	v_fmac_f32_e32 v16, v8, v17
	v_fmaak_f32 v8, v15, v18, 0x3ef7b95e
	v_fma_f32 v15, v15, -v16, 0xa2863e55
	v_fma_f32 v8, v14, v8, -v15
	v_add_f32_e32 v8, 0xbdf8cdce, v8
	v_add_f32_e32 v13, v13, v8
.LBB144_1951:
	s_or_b32 exec_lo, exec_lo, s10
                                        ; implicit-def: $vgpr14
                                        ; implicit-def: $vgpr8
.LBB144_1952:
	s_andn2_saveexec_b32 s3, s3
	s_cbranch_execz .LBB144_1956
; %bb.1953:
	s_mov_b32 s10, exec_lo
	v_cmpx_eq_u32_e32 0, v14
	s_cbranch_execz .LBB144_1955
; %bb.1954:
	v_mul_f32_e32 v14, v8, v8
	s_mov_b32 s11, 0x383c2c75
	v_fmaak_f32 v15, s11, v14, 0x38e28445
	s_mov_b32 s11, 0x37d383a2
	v_fmaak_f32 v16, s11, v14, 0x39679767
	v_fmaak_f32 v15, v14, v15, 0x3a05b634
	;; [unrolled: 1-line block ×9, first 2 shown]
	v_mul_f32_e32 v14, v14, v15
	v_fmac_f32_e32 v14, v8, v16
	v_fmac_f32_e32 v14, -0.5, v8
	v_add_f32_e32 v13, v13, v14
.LBB144_1955:
	s_or_b32 exec_lo, exec_lo, s10
.LBB144_1956:
	s_or_b32 exec_lo, exec_lo, s3
.LBB144_1957:
	s_or_b32 exec_lo, exec_lo, s7
.LBB144_1958:
	s_andn2_saveexec_b32 s3, s4
	s_cbranch_execz .LBB144_1960
; %bb.1959:
	v_cmp_gt_f32_e64 s4, 0x800000, |v9|
	s_mov_b32 s7, 0x3e8a8991
	v_fma_f32 v15, |v9|, s7, 0xbecd26ab
	v_cndmask_b32_e64 v8, 0, 32, s4
	v_ldexp_f32 v8, |v9|, v8
	v_log_f32_e32 v8, v8
	v_mul_f32_e32 v13, 0x3f317217, v8
	v_cmp_gt_f32_e64 vcc_lo, 0x7f800000, |v8|
	v_fma_f32 v14, 0x3f317217, v8, -v13
	v_fmamk_f32 v14, v8, 0x3377d1cf, v14
	v_add_f32_e32 v13, v13, v14
	v_fma_f32 v14, |v9|, v15, 0x3f528d33
	v_cndmask_b32_e32 v8, v8, v13, vcc_lo
	v_cndmask_b32_e64 v13, 0, 0x41b17218, s4
	v_fma_f32 v14, |v9|, v14, 0xbf13c468
	v_sub_f32_e32 v8, v8, v13
	v_fma_f32 v13, |v9|, v14, -v8
.LBB144_1960:
	s_or_b32 exec_lo, exec_lo, s3
	v_cmp_le_f32_e64 s3, 0, v9
	s_mov_b32 s4, exec_lo
	v_cmpx_nle_f32_e32 0, v9
	s_xor_b32 s7, exec_lo, s4
	s_cbranch_execz .LBB144_1964
; %bb.1961:
	v_cmp_gt_f32_e64 s4, 0x4b000000, |v9|
	v_cmp_lt_f32_e64 s10, 0x35000000, |v9|
	s_and_b32 s4, s4, s10
	s_and_saveexec_b32 s10, s4
	s_cbranch_execz .LBB144_1963
; %bb.1962:
	v_mul_f32_e64 v8, |v9|, 0.5
	v_cmp_gt_f32_e64 s4, |v9|, 1.0
	s_mov_b32 s11, 0x3d4be544
	v_xor_b32_e32 v7, v7, v9
	v_floor_f32_e32 v14, v8
	v_cmp_neq_f32_e32 vcc_lo, 0x7f800000, v8
	v_sub_f32_e32 v14, v8, v14
	v_min_f32_e32 v14, 0x3f7fffff, v14
	v_add_f32_e32 v14, v14, v14
	v_cndmask_b32_e32 v8, 0, v14, vcc_lo
	v_cndmask_b32_e64 v8, |v9|, v8, s4
	s_mov_b32 s4, 0x3e75aa41
	v_add_f32_e32 v14, v8, v8
	v_rndne_f32_e32 v14, v14
	v_fmac_f32_e32 v8, -0.5, v14
	v_cvt_i32_f32_e32 v14, v14
	v_mul_f32_e32 v15, v8, v8
	v_fmaak_f32 v16, s4, v15, 0xbf1f24be
	v_fmaak_f32 v17, s11, v15, 0x3e642e9d
	v_mul_f32_e32 v18, v8, v15
	v_fmaak_f32 v16, v15, v16, 0x40234736
	v_fmaak_f32 v17, v15, v17, 0xbfaad1da
	;; [unrolled: 1-line block ×4, first 2 shown]
	v_mul_f32_e32 v16, v18, v16
	v_fmaak_f32 v17, v15, v17, 0xc09de9e6
	v_and_b32_e32 v18, 1, v14
	v_lshlrev_b32_e32 v14, 30, v14
	v_fmamk_f32 v8, v8, 0x40490fdb, v16
	v_fma_f32 v15, v15, v17, 1.0
	v_cmp_eq_u32_e32 vcc_lo, 0, v18
	v_and_b32_e32 v14, 0x80000000, v14
	v_cndmask_b32_e32 v8, v15, v8, vcc_lo
	v_xor3_b32 v7, v7, v14, v8
	v_mul_f32_e32 v7, v9, v7
	v_frexp_mant_f32_e64 v8, |v7|
	v_frexp_exp_i32_f32_e32 v7, v7
	v_rcp_f32_e32 v8, v8
	v_sub_nc_u32_e32 v7, 2, v7
	v_mul_f32_e32 v8, 0x3f490fdb, v8
	v_ldexp_f32 v7, v8, v7
	v_cmp_gt_f32_e32 vcc_lo, 0x800000, v7
	v_cndmask_b32_e64 v8, 0, 32, vcc_lo
	v_ldexp_f32 v7, v7, v8
	v_log_f32_e32 v7, v7
	v_mul_f32_e32 v8, 0x3f317217, v7
	v_cmp_gt_f32_e64 s4, 0x7f800000, |v7|
	v_fma_f32 v14, 0x3f317217, v7, -v8
	v_fmamk_f32 v14, v7, 0x3377d1cf, v14
	v_add_f32_e32 v8, v8, v14
	v_floor_f32_e32 v14, v9
	v_cndmask_b32_e64 v7, v7, v8, s4
	v_cndmask_b32_e64 v8, 0, 0x41b17218, vcc_lo
	v_sub_f32_e32 v14, v9, v14
	v_sub_f32_e32 v7, v7, v8
	v_min_f32_e32 v8, 0x3f7fffff, v14
	v_sub_f32_e32 v7, v7, v13
	v_cmp_neq_f32_e32 vcc_lo, 0, v8
	v_cndmask_b32_e32 v13, 0x7f800000, v7, vcc_lo
.LBB144_1963:
	s_or_b32 exec_lo, exec_lo, s10
.LBB144_1964:
	s_andn2_saveexec_b32 s7, s7
; %bb.1965:
	v_cmp_eq_f32_e32 vcc_lo, 1.0, v9
	v_cmp_eq_f32_e64 s4, 2.0, v9
	s_or_b32 s4, vcc_lo, s4
	v_cndmask_b32_e64 v13, v13, 0, s4
; %bb.1966:
	s_or_b32 exec_lo, exec_lo, s7
	v_cmp_gt_f32_e64 s4, 0x4b000000, |v1|
	s_or_b32 vcc_lo, s0, s4
	v_cmp_class_f32_e64 s0, v1, 0x264
	v_cndmask_b32_e32 v5, 0x7f800000, v5, vcc_lo
	v_cmp_u_f32_e32 vcc_lo, v1, v1
	s_bfe_u32 s4, s6, 0x80008
	s_cmp_lt_i32 s4, 11
	v_cndmask_b32_e64 v5, v5, 0x7f800000, s0
	v_cndmask_b32_e32 v7, v5, v1, vcc_lo
	v_add_co_u32 v5, s0, s8, v6
	v_add_co_ci_u32_e64 v6, null, s9, 0, s0
	s_cbranch_scc1 .LBB144_2044
; %bb.1967:
	s_and_b32 s7, 0xffff, s4
	s_mov_b32 s14, -1
	s_mov_b32 s10, 0
	s_cmp_gt_i32 s7, 25
	s_mov_b32 s11, 0
	s_mov_b32 s0, 0
	s_cbranch_scc0 .LBB144_2000
; %bb.1968:
	s_cmp_gt_i32 s7, 28
	s_cbranch_scc0 .LBB144_1983
; %bb.1969:
	s_cmp_gt_i32 s7, 43
	;; [unrolled: 3-line block ×3, first 2 shown]
	s_cbranch_scc0 .LBB144_1973
; %bb.1971:
	s_mov_b32 s0, -1
	s_mov_b32 s14, 0
	s_cmp_eq_u32 s7, 46
	s_cbranch_scc0 .LBB144_1973
; %bb.1972:
	v_bfe_u32 v1, v7, 16, 1
	v_cmp_o_f32_e32 vcc_lo, v7, v7
	v_mov_b32_e32 v8, 0x7fc0
	s_mov_b32 s0, 0
	s_mov_b32 s11, -1
	v_add3_u32 v1, v7, v1, 0x7fff
	v_cndmask_b32_sdwa v1, v8, v1, vcc_lo dst_sel:DWORD dst_unused:UNUSED_PAD src0_sel:DWORD src1_sel:WORD_1
	global_store_dword v[5:6], v1, off
.LBB144_1973:
	s_and_b32 vcc_lo, exec_lo, s14
	s_cbranch_vccz .LBB144_1978
; %bb.1974:
	s_cmp_eq_u32 s7, 44
	s_mov_b32 s0, -1
	s_cbranch_scc0 .LBB144_1978
; %bb.1975:
	v_bfe_u32 v8, v7, 23, 8
	v_mov_b32_e32 v1, 0xff
	s_mov_b32 s11, exec_lo
	v_cmpx_ne_u32_e32 0xff, v8
	s_cbranch_execz .LBB144_1977
; %bb.1976:
	v_and_b32_e32 v1, 0x400000, v7
	v_and_or_b32 v8, 0x3fffff, v7, v8
	v_cmp_ne_u32_e32 vcc_lo, 0, v1
	v_cmp_ne_u32_e64 s0, 0, v8
	v_lshrrev_b32_e32 v1, 23, v7
	s_and_b32 s0, vcc_lo, s0
	v_cndmask_b32_e64 v8, 0, 1, s0
	v_add_nc_u32_e32 v1, v1, v8
.LBB144_1977:
	s_or_b32 exec_lo, exec_lo, s11
	s_mov_b32 s0, 0
	s_mov_b32 s11, -1
	global_store_byte v[5:6], v1, off
.LBB144_1978:
	s_mov_b32 s14, 0
.LBB144_1979:
	s_and_b32 vcc_lo, exec_lo, s14
	s_cbranch_vccz .LBB144_1982
; %bb.1980:
	s_cmp_eq_u32 s7, 29
	s_mov_b32 s0, -1
	s_cbranch_scc0 .LBB144_1982
; %bb.1981:
	v_trunc_f32_e32 v1, v7
	s_mov_b32 s0, 0
	s_mov_b32 s11, -1
	v_mul_f32_e32 v8, 0x2f800000, v1
	v_floor_f32_e32 v8, v8
	v_fmamk_f32 v1, v8, 0xcf800000, v1
	v_cvt_u32_f32_e32 v15, v8
	v_cvt_u32_f32_e32 v14, v1
	global_store_dwordx2 v[5:6], v[14:15], off
.LBB144_1982:
	s_mov_b32 s14, 0
.LBB144_1983:
	s_and_b32 vcc_lo, exec_lo, s14
	s_cbranch_vccz .LBB144_1999
; %bb.1984:
	s_cmp_lt_i32 s7, 27
	s_mov_b32 s11, -1
	s_cbranch_scc1 .LBB144_1990
; %bb.1985:
	v_cvt_u32_f32_e32 v1, v7
	s_cmp_gt_i32 s7, 27
	s_cbranch_scc0 .LBB144_1987
; %bb.1986:
	s_mov_b32 s11, 0
	global_store_dword v[5:6], v1, off
.LBB144_1987:
	s_andn2_b32 vcc_lo, exec_lo, s11
	s_cbranch_vccnz .LBB144_1989
; %bb.1988:
	global_store_short v[5:6], v1, off
.LBB144_1989:
	s_mov_b32 s11, 0
.LBB144_1990:
	s_andn2_b32 vcc_lo, exec_lo, s11
	s_cbranch_vccnz .LBB144_1998
; %bb.1991:
	v_and_b32_e32 v1, 0x7fffffff, v7
	v_mov_b32_e32 v8, 0x80
	s_mov_b32 s11, exec_lo
	v_cmpx_gt_u32_e32 0x43800000, v1
	s_cbranch_execz .LBB144_1997
; %bb.1992:
	v_cmp_lt_u32_e32 vcc_lo, 0x3bffffff, v1
	s_mov_b32 s14, 0
                                        ; implicit-def: $vgpr1
	s_and_saveexec_b32 s15, vcc_lo
	s_xor_b32 s15, exec_lo, s15
	s_cbranch_execz .LBB144_2446
; %bb.1993:
	v_bfe_u32 v1, v7, 20, 1
	s_mov_b32 s14, exec_lo
	v_add3_u32 v1, v7, v1, 0x487ffff
	v_lshrrev_b32_e32 v1, 20, v1
	s_andn2_saveexec_b32 s15, s15
	s_cbranch_execnz .LBB144_2447
.LBB144_1994:
	s_or_b32 exec_lo, exec_lo, s15
	v_mov_b32_e32 v8, 0
	s_and_saveexec_b32 s15, s14
.LBB144_1995:
	v_lshrrev_b32_e32 v8, 24, v7
	v_and_or_b32 v8, 0x80, v8, v1
.LBB144_1996:
	s_or_b32 exec_lo, exec_lo, s15
.LBB144_1997:
	s_or_b32 exec_lo, exec_lo, s11
	global_store_byte v[5:6], v8, off
.LBB144_1998:
	s_mov_b32 s11, -1
.LBB144_1999:
	s_mov_b32 s14, 0
.LBB144_2000:
	s_and_b32 vcc_lo, exec_lo, s14
	s_cbranch_vccz .LBB144_2040
; %bb.2001:
	s_cmp_gt_i32 s7, 22
	s_mov_b32 s10, -1
	s_cbranch_scc0 .LBB144_2033
; %bb.2002:
	s_cmp_lt_i32 s7, 24
	s_cbranch_scc1 .LBB144_2022
; %bb.2003:
	s_cmp_gt_i32 s7, 24
	s_cbranch_scc0 .LBB144_2011
; %bb.2004:
	v_and_b32_e32 v1, 0x7fffffff, v7
	v_mov_b32_e32 v8, 0x80
	s_mov_b32 s10, exec_lo
	v_cmpx_gt_u32_e32 0x47800000, v1
	s_cbranch_execz .LBB144_2010
; %bb.2005:
	v_cmp_lt_u32_e32 vcc_lo, 0x37ffffff, v1
	s_mov_b32 s11, 0
                                        ; implicit-def: $vgpr1
	s_and_saveexec_b32 s14, vcc_lo
	s_xor_b32 s14, exec_lo, s14
	s_cbranch_execz .LBB144_2449
; %bb.2006:
	v_bfe_u32 v1, v7, 21, 1
	s_mov_b32 s11, exec_lo
	v_add3_u32 v1, v7, v1, 0x88fffff
	v_lshrrev_b32_e32 v1, 21, v1
	s_andn2_saveexec_b32 s14, s14
	s_cbranch_execnz .LBB144_2450
.LBB144_2007:
	s_or_b32 exec_lo, exec_lo, s14
	v_mov_b32_e32 v8, 0
	s_and_saveexec_b32 s14, s11
.LBB144_2008:
	v_lshrrev_b32_e32 v8, 24, v7
	v_and_or_b32 v8, 0x80, v8, v1
.LBB144_2009:
	s_or_b32 exec_lo, exec_lo, s14
.LBB144_2010:
	s_or_b32 exec_lo, exec_lo, s10
	s_mov_b32 s10, 0
	global_store_byte v[5:6], v8, off
.LBB144_2011:
	s_and_b32 vcc_lo, exec_lo, s10
	s_cbranch_vccz .LBB144_2021
; %bb.2012:
	v_and_b32_e32 v8, 0x7fffffff, v7
	s_mov_b32 s10, exec_lo
                                        ; implicit-def: $vgpr1
	v_cmpx_gt_u32_e32 0x43f00000, v8
	s_xor_b32 s10, exec_lo, s10
	s_cbranch_execz .LBB144_2018
; %bb.2013:
	s_mov_b32 s11, exec_lo
                                        ; implicit-def: $vgpr1
	v_cmpx_lt_u32_e32 0x3c7fffff, v8
	s_xor_b32 s11, exec_lo, s11
; %bb.2014:
	v_bfe_u32 v1, v7, 20, 1
	v_add3_u32 v1, v7, v1, 0x407ffff
	v_and_b32_e32 v8, 0xff00000, v1
	v_lshrrev_b32_e32 v1, 20, v1
	v_cmp_ne_u32_e32 vcc_lo, 0x7f00000, v8
	v_cndmask_b32_e32 v1, 0x7e, v1, vcc_lo
; %bb.2015:
	s_andn2_saveexec_b32 s11, s11
; %bb.2016:
	v_add_f32_e64 v1, 0x46800000, |v7|
; %bb.2017:
	s_or_b32 exec_lo, exec_lo, s11
                                        ; implicit-def: $vgpr8
.LBB144_2018:
	s_andn2_saveexec_b32 s10, s10
; %bb.2019:
	v_mov_b32_e32 v1, 0x7f
	v_cmp_lt_u32_e32 vcc_lo, 0x7f800000, v8
	v_cndmask_b32_e32 v1, 0x7e, v1, vcc_lo
; %bb.2020:
	s_or_b32 exec_lo, exec_lo, s10
	v_lshrrev_b32_e32 v8, 24, v7
	v_and_or_b32 v1, 0x80, v8, v1
	global_store_byte v[5:6], v1, off
.LBB144_2021:
	s_mov_b32 s10, 0
.LBB144_2022:
	s_andn2_b32 vcc_lo, exec_lo, s10
	s_cbranch_vccnz .LBB144_2032
; %bb.2023:
	v_and_b32_e32 v8, 0x7fffffff, v7
	s_mov_b32 s10, exec_lo
                                        ; implicit-def: $vgpr1
	v_cmpx_gt_u32_e32 0x47800000, v8
	s_xor_b32 s10, exec_lo, s10
	s_cbranch_execz .LBB144_2029
; %bb.2024:
	s_mov_b32 s11, exec_lo
                                        ; implicit-def: $vgpr1
	v_cmpx_lt_u32_e32 0x387fffff, v8
	s_xor_b32 s11, exec_lo, s11
; %bb.2025:
	v_bfe_u32 v1, v7, 21, 1
	v_add3_u32 v1, v7, v1, 0x80fffff
	v_lshrrev_b32_e32 v1, 21, v1
; %bb.2026:
	s_andn2_saveexec_b32 s11, s11
; %bb.2027:
	v_add_f32_e64 v1, 0x43000000, |v7|
; %bb.2028:
	s_or_b32 exec_lo, exec_lo, s11
                                        ; implicit-def: $vgpr8
.LBB144_2029:
	s_andn2_saveexec_b32 s10, s10
; %bb.2030:
	v_mov_b32_e32 v1, 0x7f
	v_cmp_lt_u32_e32 vcc_lo, 0x7f800000, v8
	v_cndmask_b32_e32 v1, 0x7c, v1, vcc_lo
; %bb.2031:
	s_or_b32 exec_lo, exec_lo, s10
	v_lshrrev_b32_e32 v8, 24, v7
	v_and_or_b32 v1, 0x80, v8, v1
	global_store_byte v[5:6], v1, off
.LBB144_2032:
	s_mov_b32 s10, 0
	s_mov_b32 s11, -1
.LBB144_2033:
	s_andn2_b32 vcc_lo, exec_lo, s10
	s_mov_b32 s10, 0
	s_cbranch_vccnz .LBB144_2040
; %bb.2034:
	s_cmp_gt_i32 s7, 14
	s_mov_b32 s10, -1
	s_cbranch_scc0 .LBB144_2038
; %bb.2035:
	s_cmp_eq_u32 s7, 15
	s_mov_b32 s0, -1
	s_cbranch_scc0 .LBB144_2037
; %bb.2036:
	v_bfe_u32 v1, v7, 16, 1
	v_cmp_o_f32_e32 vcc_lo, v7, v7
	v_mov_b32_e32 v8, 0x7fc0
	s_mov_b32 s0, 0
	s_mov_b32 s11, -1
	v_add3_u32 v1, v7, v1, 0x7fff
	v_cndmask_b32_sdwa v1, v8, v1, vcc_lo dst_sel:DWORD dst_unused:UNUSED_PAD src0_sel:DWORD src1_sel:WORD_1
	global_store_short v[5:6], v1, off
.LBB144_2037:
	s_mov_b32 s10, 0
.LBB144_2038:
	s_and_b32 vcc_lo, exec_lo, s10
	s_mov_b32 s10, 0
	s_cbranch_vccz .LBB144_2040
; %bb.2039:
	s_cmp_lg_u32 s7, 11
	s_mov_b32 s10, -1
	s_cselect_b32 s0, -1, 0
.LBB144_2040:
	s_and_b32 vcc_lo, exec_lo, s0
	s_cbranch_vccnz .LBB144_2448
; %bb.2041:
	s_andn2_b32 vcc_lo, exec_lo, s10
	s_cbranch_vccnz .LBB144_2043
.LBB144_2042:
	v_cmp_neq_f32_e32 vcc_lo, 0, v7
	s_mov_b32 s11, -1
	v_cndmask_b32_e64 v1, 0, 1, vcc_lo
	global_store_byte v[5:6], v1, off
.LBB144_2043:
	s_mov_b32 s0, 0
	s_branch .LBB144_2045
.LBB144_2044:
	s_mov_b32 s0, -1
	s_mov_b32 s11, 0
.LBB144_2045:
	s_and_b32 vcc_lo, exec_lo, s0
	s_cbranch_vccz .LBB144_2084
; %bb.2046:
	s_and_b32 s0, 0xffff, s4
	s_mov_b32 s4, -1
	s_cmp_lt_i32 s0, 5
	s_cbranch_scc1 .LBB144_2067
; %bb.2047:
	s_cmp_lt_i32 s0, 8
	s_cbranch_scc1 .LBB144_2057
; %bb.2048:
	;; [unrolled: 3-line block ×3, first 2 shown]
	s_cmp_gt_i32 s0, 9
	s_cbranch_scc0 .LBB144_2051
; %bb.2050:
	v_cvt_f64_f32_e32 v[14:15], v7
	v_mov_b32_e32 v16, 0
	s_mov_b32 s4, 0
	v_mov_b32_e32 v17, v16
	global_store_dwordx4 v[5:6], v[14:17], off
.LBB144_2051:
	s_andn2_b32 vcc_lo, exec_lo, s4
	s_cbranch_vccnz .LBB144_2053
; %bb.2052:
	v_mov_b32_e32 v8, 0
	global_store_dwordx2 v[5:6], v[7:8], off
.LBB144_2053:
	s_mov_b32 s4, 0
.LBB144_2054:
	s_andn2_b32 vcc_lo, exec_lo, s4
	s_cbranch_vccnz .LBB144_2056
; %bb.2055:
	v_cvt_f16_f32_e32 v1, v7
	v_and_b32_e32 v1, 0xffff, v1
	global_store_dword v[5:6], v1, off
.LBB144_2056:
	s_mov_b32 s4, 0
.LBB144_2057:
	s_andn2_b32 vcc_lo, exec_lo, s4
	s_cbranch_vccnz .LBB144_2066
; %bb.2058:
	s_cmp_lt_i32 s0, 6
	s_mov_b32 s4, -1
	s_cbranch_scc1 .LBB144_2064
; %bb.2059:
	s_cmp_gt_i32 s0, 6
	s_cbranch_scc0 .LBB144_2061
; %bb.2060:
	v_cvt_f64_f32_e32 v[14:15], v7
	s_mov_b32 s4, 0
	global_store_dwordx2 v[5:6], v[14:15], off
.LBB144_2061:
	s_andn2_b32 vcc_lo, exec_lo, s4
	s_cbranch_vccnz .LBB144_2063
; %bb.2062:
	global_store_dword v[5:6], v7, off
.LBB144_2063:
	s_mov_b32 s4, 0
.LBB144_2064:
	s_andn2_b32 vcc_lo, exec_lo, s4
	s_cbranch_vccnz .LBB144_2066
; %bb.2065:
	v_cvt_f16_f32_e32 v1, v7
	global_store_short v[5:6], v1, off
.LBB144_2066:
	s_mov_b32 s4, 0
.LBB144_2067:
	s_andn2_b32 vcc_lo, exec_lo, s4
	s_cbranch_vccnz .LBB144_2083
; %bb.2068:
	s_cmp_lt_i32 s0, 2
	s_mov_b32 s4, -1
	s_cbranch_scc1 .LBB144_2078
; %bb.2069:
	s_cmp_lt_i32 s0, 3
	s_cbranch_scc1 .LBB144_2075
; %bb.2070:
	s_cmp_gt_i32 s0, 3
	s_cbranch_scc0 .LBB144_2072
; %bb.2071:
	v_trunc_f32_e32 v1, v7
	s_mov_b32 s4, 0
	v_mul_f32_e64 v8, 0x2f800000, |v1|
	v_floor_f32_e32 v8, v8
	v_fma_f32 v14, 0xcf800000, v8, |v1|
	v_ashrrev_i32_e32 v1, 31, v1
	v_cvt_u32_f32_e32 v8, v8
	v_cvt_u32_f32_e32 v14, v14
	v_xor_b32_e32 v8, v8, v1
	v_xor_b32_e32 v14, v14, v1
	v_sub_co_u32 v14, vcc_lo, v14, v1
	v_sub_co_ci_u32_e64 v15, null, v8, v1, vcc_lo
	global_store_dwordx2 v[5:6], v[14:15], off
.LBB144_2072:
	s_andn2_b32 vcc_lo, exec_lo, s4
	s_cbranch_vccnz .LBB144_2074
; %bb.2073:
	v_cvt_i32_f32_e32 v1, v7
	global_store_dword v[5:6], v1, off
.LBB144_2074:
	s_mov_b32 s4, 0
.LBB144_2075:
	s_andn2_b32 vcc_lo, exec_lo, s4
	s_cbranch_vccnz .LBB144_2077
; %bb.2076:
	v_cvt_i32_f32_e32 v1, v7
	global_store_short v[5:6], v1, off
.LBB144_2077:
	s_mov_b32 s4, 0
.LBB144_2078:
	s_andn2_b32 vcc_lo, exec_lo, s4
	s_cbranch_vccnz .LBB144_2083
; %bb.2079:
	s_cmp_gt_i32 s0, 0
	s_mov_b32 s0, -1
	s_cbranch_scc0 .LBB144_2081
; %bb.2080:
	v_cvt_i32_f32_e32 v1, v7
	s_mov_b32 s0, 0
	global_store_byte v[5:6], v1, off
.LBB144_2081:
	s_andn2_b32 vcc_lo, exec_lo, s0
	s_cbranch_vccnz .LBB144_2083
; %bb.2082:
	v_trunc_f32_e32 v1, v7
	v_mul_f32_e64 v7, 0x2f800000, |v1|
	v_floor_f32_e32 v7, v7
	v_fma_f32 v7, 0xcf800000, v7, |v1|
	v_ashrrev_i32_e32 v1, 31, v1
	v_cvt_u32_f32_e32 v7, v7
	v_xor_b32_e32 v7, v7, v1
	v_sub_nc_u32_e32 v1, v7, v1
	global_store_byte v[5:6], v1, off
.LBB144_2083:
	s_mov_b32 s11, -1
.LBB144_2084:
	s_andn2_b32 vcc_lo, exec_lo, s11
	s_cbranch_vccnz .LBB144_2399
; %bb.2085:
	v_cmp_gt_f32_e64 s0, 0x4b000000, |v3|
	s_or_b32 vcc_lo, s1, s0
	v_cmp_class_f32_e64 s0, v3, 0x264
	v_cndmask_b32_e32 v1, 0x7f800000, v11, vcc_lo
	v_cmp_u_f32_e32 vcc_lo, v3, v3
	v_cndmask_b32_e64 v1, v1, 0x7f800000, s0
	s_lshr_b32 s0, s6, 8
	s_and_b32 s1, s0, 0xff
	s_cmp_lt_i32 s1, 11
	v_cndmask_b32_e32 v5, v1, v3, vcc_lo
	v_add_co_u32 v3, s0, s8, v4
	v_add_co_ci_u32_e64 v4, null, s9, 0, s0
	s_cbranch_scc1 .LBB144_2163
; %bb.2086:
	s_and_b32 s4, 0xffff, s1
	s_mov_b32 s10, -1
	s_mov_b32 s6, 0
	s_cmp_gt_i32 s4, 25
	s_mov_b32 s7, 0
	s_mov_b32 s0, 0
	s_cbranch_scc0 .LBB144_2119
; %bb.2087:
	s_cmp_gt_i32 s4, 28
	s_cbranch_scc0 .LBB144_2102
; %bb.2088:
	s_cmp_gt_i32 s4, 43
	;; [unrolled: 3-line block ×3, first 2 shown]
	s_cbranch_scc0 .LBB144_2092
; %bb.2090:
	s_mov_b32 s0, -1
	s_mov_b32 s10, 0
	s_cmp_eq_u32 s4, 46
	s_cbranch_scc0 .LBB144_2092
; %bb.2091:
	v_bfe_u32 v1, v5, 16, 1
	v_cmp_o_f32_e32 vcc_lo, v5, v5
	v_mov_b32_e32 v6, 0x7fc0
	s_mov_b32 s0, 0
	s_mov_b32 s7, -1
	v_add3_u32 v1, v5, v1, 0x7fff
	v_cndmask_b32_sdwa v1, v6, v1, vcc_lo dst_sel:DWORD dst_unused:UNUSED_PAD src0_sel:DWORD src1_sel:WORD_1
	global_store_dword v[3:4], v1, off
.LBB144_2092:
	s_and_b32 vcc_lo, exec_lo, s10
	s_cbranch_vccz .LBB144_2097
; %bb.2093:
	s_cmp_eq_u32 s4, 44
	s_mov_b32 s0, -1
	s_cbranch_scc0 .LBB144_2097
; %bb.2094:
	v_bfe_u32 v6, v5, 23, 8
	v_mov_b32_e32 v1, 0xff
	s_mov_b32 s7, exec_lo
	v_cmpx_ne_u32_e32 0xff, v6
	s_cbranch_execz .LBB144_2096
; %bb.2095:
	v_and_b32_e32 v1, 0x400000, v5
	v_and_or_b32 v6, 0x3fffff, v5, v6
	v_cmp_ne_u32_e32 vcc_lo, 0, v1
	v_cmp_ne_u32_e64 s0, 0, v6
	v_lshrrev_b32_e32 v1, 23, v5
	s_and_b32 s0, vcc_lo, s0
	v_cndmask_b32_e64 v6, 0, 1, s0
	v_add_nc_u32_e32 v1, v1, v6
.LBB144_2096:
	s_or_b32 exec_lo, exec_lo, s7
	s_mov_b32 s0, 0
	s_mov_b32 s7, -1
	global_store_byte v[3:4], v1, off
.LBB144_2097:
	s_mov_b32 s10, 0
.LBB144_2098:
	s_and_b32 vcc_lo, exec_lo, s10
	s_cbranch_vccz .LBB144_2101
; %bb.2099:
	s_cmp_eq_u32 s4, 29
	s_mov_b32 s0, -1
	s_cbranch_scc0 .LBB144_2101
; %bb.2100:
	v_trunc_f32_e32 v1, v5
	s_mov_b32 s0, 0
	s_mov_b32 s7, -1
	v_mul_f32_e32 v6, 0x2f800000, v1
	v_floor_f32_e32 v6, v6
	v_fmamk_f32 v1, v6, 0xcf800000, v1
	v_cvt_u32_f32_e32 v7, v6
	v_cvt_u32_f32_e32 v6, v1
	global_store_dwordx2 v[3:4], v[6:7], off
.LBB144_2101:
	s_mov_b32 s10, 0
.LBB144_2102:
	s_and_b32 vcc_lo, exec_lo, s10
	s_cbranch_vccz .LBB144_2118
; %bb.2103:
	s_cmp_lt_i32 s4, 27
	s_mov_b32 s7, -1
	s_cbranch_scc1 .LBB144_2109
; %bb.2104:
	s_cmp_gt_i32 s4, 27
	s_cbranch_scc0 .LBB144_2106
; %bb.2105:
	v_cvt_u32_f32_e32 v1, v5
	s_mov_b32 s7, 0
	global_store_dword v[3:4], v1, off
.LBB144_2106:
	s_andn2_b32 vcc_lo, exec_lo, s7
	s_cbranch_vccnz .LBB144_2108
; %bb.2107:
	v_cvt_u32_f32_e32 v1, v5
	global_store_short v[3:4], v1, off
.LBB144_2108:
	s_mov_b32 s7, 0
.LBB144_2109:
	s_andn2_b32 vcc_lo, exec_lo, s7
	s_cbranch_vccnz .LBB144_2117
; %bb.2110:
	v_and_b32_e32 v1, 0x7fffffff, v5
	v_mov_b32_e32 v6, 0x80
	s_mov_b32 s7, exec_lo
	v_cmpx_gt_u32_e32 0x43800000, v1
	s_cbranch_execz .LBB144_2116
; %bb.2111:
	v_cmp_lt_u32_e32 vcc_lo, 0x3bffffff, v1
	s_mov_b32 s10, 0
                                        ; implicit-def: $vgpr1
	s_and_saveexec_b32 s11, vcc_lo
	s_xor_b32 s11, exec_lo, s11
	s_cbranch_execz .LBB144_2451
; %bb.2112:
	v_bfe_u32 v1, v5, 20, 1
	s_mov_b32 s10, exec_lo
	v_add3_u32 v1, v5, v1, 0x487ffff
	v_lshrrev_b32_e32 v1, 20, v1
	s_andn2_saveexec_b32 s11, s11
	s_cbranch_execnz .LBB144_2452
.LBB144_2113:
	s_or_b32 exec_lo, exec_lo, s11
	v_mov_b32_e32 v6, 0
	s_and_saveexec_b32 s11, s10
.LBB144_2114:
	v_lshrrev_b32_e32 v6, 24, v5
	v_and_or_b32 v6, 0x80, v6, v1
.LBB144_2115:
	s_or_b32 exec_lo, exec_lo, s11
.LBB144_2116:
	s_or_b32 exec_lo, exec_lo, s7
	global_store_byte v[3:4], v6, off
.LBB144_2117:
	s_mov_b32 s7, -1
.LBB144_2118:
	s_mov_b32 s10, 0
.LBB144_2119:
	s_and_b32 vcc_lo, exec_lo, s10
	s_cbranch_vccz .LBB144_2159
; %bb.2120:
	s_cmp_gt_i32 s4, 22
	s_mov_b32 s6, -1
	s_cbranch_scc0 .LBB144_2152
; %bb.2121:
	s_cmp_lt_i32 s4, 24
	s_cbranch_scc1 .LBB144_2141
; %bb.2122:
	s_cmp_gt_i32 s4, 24
	s_cbranch_scc0 .LBB144_2130
; %bb.2123:
	v_and_b32_e32 v1, 0x7fffffff, v5
	v_mov_b32_e32 v6, 0x80
	s_mov_b32 s6, exec_lo
	v_cmpx_gt_u32_e32 0x47800000, v1
	s_cbranch_execz .LBB144_2129
; %bb.2124:
	v_cmp_lt_u32_e32 vcc_lo, 0x37ffffff, v1
	s_mov_b32 s7, 0
                                        ; implicit-def: $vgpr1
	s_and_saveexec_b32 s10, vcc_lo
	s_xor_b32 s10, exec_lo, s10
	s_cbranch_execz .LBB144_2454
; %bb.2125:
	v_bfe_u32 v1, v5, 21, 1
	s_mov_b32 s7, exec_lo
	v_add3_u32 v1, v5, v1, 0x88fffff
	v_lshrrev_b32_e32 v1, 21, v1
	s_andn2_saveexec_b32 s10, s10
	s_cbranch_execnz .LBB144_2455
.LBB144_2126:
	s_or_b32 exec_lo, exec_lo, s10
	v_mov_b32_e32 v6, 0
	s_and_saveexec_b32 s10, s7
.LBB144_2127:
	v_lshrrev_b32_e32 v6, 24, v5
	v_and_or_b32 v6, 0x80, v6, v1
.LBB144_2128:
	s_or_b32 exec_lo, exec_lo, s10
.LBB144_2129:
	s_or_b32 exec_lo, exec_lo, s6
	s_mov_b32 s6, 0
	global_store_byte v[3:4], v6, off
.LBB144_2130:
	s_and_b32 vcc_lo, exec_lo, s6
	s_cbranch_vccz .LBB144_2140
; %bb.2131:
	v_and_b32_e32 v6, 0x7fffffff, v5
	s_mov_b32 s6, exec_lo
                                        ; implicit-def: $vgpr1
	v_cmpx_gt_u32_e32 0x43f00000, v6
	s_xor_b32 s6, exec_lo, s6
	s_cbranch_execz .LBB144_2137
; %bb.2132:
	s_mov_b32 s7, exec_lo
                                        ; implicit-def: $vgpr1
	v_cmpx_lt_u32_e32 0x3c7fffff, v6
	s_xor_b32 s7, exec_lo, s7
; %bb.2133:
	v_bfe_u32 v1, v5, 20, 1
	v_add3_u32 v1, v5, v1, 0x407ffff
	v_and_b32_e32 v6, 0xff00000, v1
	v_lshrrev_b32_e32 v1, 20, v1
	v_cmp_ne_u32_e32 vcc_lo, 0x7f00000, v6
	v_cndmask_b32_e32 v1, 0x7e, v1, vcc_lo
; %bb.2134:
	s_andn2_saveexec_b32 s7, s7
; %bb.2135:
	v_add_f32_e64 v1, 0x46800000, |v5|
; %bb.2136:
	s_or_b32 exec_lo, exec_lo, s7
                                        ; implicit-def: $vgpr6
.LBB144_2137:
	s_andn2_saveexec_b32 s6, s6
; %bb.2138:
	v_mov_b32_e32 v1, 0x7f
	v_cmp_lt_u32_e32 vcc_lo, 0x7f800000, v6
	v_cndmask_b32_e32 v1, 0x7e, v1, vcc_lo
; %bb.2139:
	s_or_b32 exec_lo, exec_lo, s6
	v_lshrrev_b32_e32 v6, 24, v5
	v_and_or_b32 v1, 0x80, v6, v1
	global_store_byte v[3:4], v1, off
.LBB144_2140:
	s_mov_b32 s6, 0
.LBB144_2141:
	s_andn2_b32 vcc_lo, exec_lo, s6
	s_cbranch_vccnz .LBB144_2151
; %bb.2142:
	v_and_b32_e32 v6, 0x7fffffff, v5
	s_mov_b32 s6, exec_lo
                                        ; implicit-def: $vgpr1
	v_cmpx_gt_u32_e32 0x47800000, v6
	s_xor_b32 s6, exec_lo, s6
	s_cbranch_execz .LBB144_2148
; %bb.2143:
	s_mov_b32 s7, exec_lo
                                        ; implicit-def: $vgpr1
	v_cmpx_lt_u32_e32 0x387fffff, v6
	s_xor_b32 s7, exec_lo, s7
; %bb.2144:
	v_bfe_u32 v1, v5, 21, 1
	v_add3_u32 v1, v5, v1, 0x80fffff
	v_lshrrev_b32_e32 v1, 21, v1
; %bb.2145:
	s_andn2_saveexec_b32 s7, s7
; %bb.2146:
	v_add_f32_e64 v1, 0x43000000, |v5|
; %bb.2147:
	s_or_b32 exec_lo, exec_lo, s7
                                        ; implicit-def: $vgpr6
.LBB144_2148:
	s_andn2_saveexec_b32 s6, s6
; %bb.2149:
	v_mov_b32_e32 v1, 0x7f
	v_cmp_lt_u32_e32 vcc_lo, 0x7f800000, v6
	v_cndmask_b32_e32 v1, 0x7c, v1, vcc_lo
; %bb.2150:
	s_or_b32 exec_lo, exec_lo, s6
	v_lshrrev_b32_e32 v6, 24, v5
	v_and_or_b32 v1, 0x80, v6, v1
	global_store_byte v[3:4], v1, off
.LBB144_2151:
	s_mov_b32 s6, 0
	s_mov_b32 s7, -1
.LBB144_2152:
	s_andn2_b32 vcc_lo, exec_lo, s6
	s_mov_b32 s6, 0
	s_cbranch_vccnz .LBB144_2159
; %bb.2153:
	s_cmp_gt_i32 s4, 14
	s_mov_b32 s6, -1
	s_cbranch_scc0 .LBB144_2157
; %bb.2154:
	s_cmp_eq_u32 s4, 15
	s_mov_b32 s0, -1
	s_cbranch_scc0 .LBB144_2156
; %bb.2155:
	v_bfe_u32 v1, v5, 16, 1
	v_cmp_o_f32_e32 vcc_lo, v5, v5
	v_mov_b32_e32 v6, 0x7fc0
	s_mov_b32 s0, 0
	s_mov_b32 s7, -1
	v_add3_u32 v1, v5, v1, 0x7fff
	v_cndmask_b32_sdwa v1, v6, v1, vcc_lo dst_sel:DWORD dst_unused:UNUSED_PAD src0_sel:DWORD src1_sel:WORD_1
	global_store_short v[3:4], v1, off
.LBB144_2156:
	s_mov_b32 s6, 0
.LBB144_2157:
	s_and_b32 vcc_lo, exec_lo, s6
	s_mov_b32 s6, 0
	s_cbranch_vccz .LBB144_2159
; %bb.2158:
	s_cmp_lg_u32 s4, 11
	s_mov_b32 s6, -1
	s_cselect_b32 s0, -1, 0
.LBB144_2159:
	s_and_b32 vcc_lo, exec_lo, s0
	s_cbranch_vccnz .LBB144_2453
; %bb.2160:
	s_andn2_b32 vcc_lo, exec_lo, s6
	s_cbranch_vccnz .LBB144_2162
.LBB144_2161:
	v_cmp_neq_f32_e32 vcc_lo, 0, v5
	s_mov_b32 s7, -1
	v_cndmask_b32_e64 v1, 0, 1, vcc_lo
	global_store_byte v[3:4], v1, off
.LBB144_2162:
	s_mov_b32 s0, 0
	s_branch .LBB144_2164
.LBB144_2163:
	s_mov_b32 s0, -1
	s_mov_b32 s7, 0
.LBB144_2164:
	s_and_b32 vcc_lo, exec_lo, s0
	s_cbranch_vccz .LBB144_2203
; %bb.2165:
	s_and_b32 s0, 0xffff, s1
	s_mov_b32 s4, -1
	s_cmp_lt_i32 s0, 5
	s_cbranch_scc1 .LBB144_2186
; %bb.2166:
	s_cmp_lt_i32 s0, 8
	s_cbranch_scc1 .LBB144_2176
; %bb.2167:
	s_cmp_lt_i32 s0, 9
	s_cbranch_scc1 .LBB144_2173
; %bb.2168:
	s_cmp_gt_i32 s0, 9
	s_cbranch_scc0 .LBB144_2170
; %bb.2169:
	v_cvt_f64_f32_e32 v[14:15], v5
	v_mov_b32_e32 v16, 0
	s_mov_b32 s4, 0
	v_mov_b32_e32 v17, v16
	global_store_dwordx4 v[3:4], v[14:17], off
.LBB144_2170:
	s_andn2_b32 vcc_lo, exec_lo, s4
	s_cbranch_vccnz .LBB144_2172
; %bb.2171:
	v_mov_b32_e32 v6, 0
	global_store_dwordx2 v[3:4], v[5:6], off
.LBB144_2172:
	s_mov_b32 s4, 0
.LBB144_2173:
	s_andn2_b32 vcc_lo, exec_lo, s4
	s_cbranch_vccnz .LBB144_2175
; %bb.2174:
	v_cvt_f16_f32_e32 v1, v5
	v_and_b32_e32 v1, 0xffff, v1
	global_store_dword v[3:4], v1, off
.LBB144_2175:
	s_mov_b32 s4, 0
.LBB144_2176:
	s_andn2_b32 vcc_lo, exec_lo, s4
	s_cbranch_vccnz .LBB144_2185
; %bb.2177:
	s_cmp_lt_i32 s0, 6
	s_mov_b32 s4, -1
	s_cbranch_scc1 .LBB144_2183
; %bb.2178:
	s_cmp_gt_i32 s0, 6
	s_cbranch_scc0 .LBB144_2180
; %bb.2179:
	v_cvt_f64_f32_e32 v[6:7], v5
	s_mov_b32 s4, 0
	global_store_dwordx2 v[3:4], v[6:7], off
.LBB144_2180:
	s_andn2_b32 vcc_lo, exec_lo, s4
	s_cbranch_vccnz .LBB144_2182
; %bb.2181:
	global_store_dword v[3:4], v5, off
.LBB144_2182:
	s_mov_b32 s4, 0
.LBB144_2183:
	s_andn2_b32 vcc_lo, exec_lo, s4
	s_cbranch_vccnz .LBB144_2185
; %bb.2184:
	v_cvt_f16_f32_e32 v1, v5
	global_store_short v[3:4], v1, off
.LBB144_2185:
	s_mov_b32 s4, 0
.LBB144_2186:
	s_andn2_b32 vcc_lo, exec_lo, s4
	s_cbranch_vccnz .LBB144_2202
; %bb.2187:
	s_cmp_lt_i32 s0, 2
	s_mov_b32 s4, -1
	s_cbranch_scc1 .LBB144_2197
; %bb.2188:
	s_cmp_lt_i32 s0, 3
	s_cbranch_scc1 .LBB144_2194
; %bb.2189:
	s_cmp_gt_i32 s0, 3
	s_cbranch_scc0 .LBB144_2191
; %bb.2190:
	v_trunc_f32_e32 v1, v5
	s_mov_b32 s4, 0
	v_mul_f32_e64 v6, 0x2f800000, |v1|
	v_floor_f32_e32 v6, v6
	v_fma_f32 v7, 0xcf800000, v6, |v1|
	v_ashrrev_i32_e32 v1, 31, v1
	v_cvt_u32_f32_e32 v6, v6
	v_cvt_u32_f32_e32 v7, v7
	v_xor_b32_e32 v8, v6, v1
	v_xor_b32_e32 v7, v7, v1
	v_sub_co_u32 v6, vcc_lo, v7, v1
	v_sub_co_ci_u32_e64 v7, null, v8, v1, vcc_lo
	global_store_dwordx2 v[3:4], v[6:7], off
.LBB144_2191:
	s_andn2_b32 vcc_lo, exec_lo, s4
	s_cbranch_vccnz .LBB144_2193
; %bb.2192:
	v_cvt_i32_f32_e32 v1, v5
	global_store_dword v[3:4], v1, off
.LBB144_2193:
	s_mov_b32 s4, 0
.LBB144_2194:
	s_andn2_b32 vcc_lo, exec_lo, s4
	s_cbranch_vccnz .LBB144_2196
; %bb.2195:
	v_cvt_i32_f32_e32 v1, v5
	global_store_short v[3:4], v1, off
.LBB144_2196:
	s_mov_b32 s4, 0
.LBB144_2197:
	s_andn2_b32 vcc_lo, exec_lo, s4
	s_cbranch_vccnz .LBB144_2202
; %bb.2198:
	s_cmp_gt_i32 s0, 0
	s_mov_b32 s0, -1
	s_cbranch_scc0 .LBB144_2200
; %bb.2199:
	v_cvt_i32_f32_e32 v1, v5
	s_mov_b32 s0, 0
	global_store_byte v[3:4], v1, off
.LBB144_2200:
	s_andn2_b32 vcc_lo, exec_lo, s0
	s_cbranch_vccnz .LBB144_2202
; %bb.2201:
	v_trunc_f32_e32 v1, v5
	v_mul_f32_e64 v5, 0x2f800000, |v1|
	v_floor_f32_e32 v5, v5
	v_fma_f32 v5, 0xcf800000, v5, |v1|
	v_ashrrev_i32_e32 v1, 31, v1
	v_cvt_u32_f32_e32 v5, v5
	v_xor_b32_e32 v5, v5, v1
	v_sub_nc_u32_e32 v1, v5, v1
	global_store_byte v[3:4], v1, off
.LBB144_2202:
	s_mov_b32 s7, -1
.LBB144_2203:
	s_andn2_b32 vcc_lo, exec_lo, s7
	s_cbranch_vccnz .LBB144_2399
; %bb.2204:
	v_cmp_gt_f32_e64 s0, 0x4b000000, |v10|
	s_or_b32 vcc_lo, s2, s0
	v_cmp_class_f32_e64 s0, v10, 0x264
	v_cndmask_b32_e32 v1, 0x7f800000, v12, vcc_lo
	v_cmp_u_f32_e32 vcc_lo, v10, v10
	s_cmp_lt_i32 s1, 11
	v_cndmask_b32_e64 v1, v1, 0x7f800000, s0
	v_cndmask_b32_e32 v3, v1, v10, vcc_lo
	v_add_co_u32 v1, s0, s8, v2
	v_add_co_ci_u32_e64 v2, null, s9, 0, s0
	s_cbranch_scc1 .LBB144_2282
; %bb.2205:
	s_and_b32 s2, 0xffff, s1
	s_mov_b32 s7, -1
	s_mov_b32 s4, 0
	s_cmp_gt_i32 s2, 25
	s_mov_b32 s6, 0
	s_mov_b32 s0, 0
	s_cbranch_scc0 .LBB144_2238
; %bb.2206:
	s_cmp_gt_i32 s2, 28
	s_cbranch_scc0 .LBB144_2221
; %bb.2207:
	s_cmp_gt_i32 s2, 43
	;; [unrolled: 3-line block ×3, first 2 shown]
	s_cbranch_scc0 .LBB144_2211
; %bb.2209:
	s_mov_b32 s0, -1
	s_mov_b32 s7, 0
	s_cmp_eq_u32 s2, 46
	s_cbranch_scc0 .LBB144_2211
; %bb.2210:
	v_bfe_u32 v4, v3, 16, 1
	v_cmp_o_f32_e32 vcc_lo, v3, v3
	v_mov_b32_e32 v5, 0x7fc0
	s_mov_b32 s0, 0
	s_mov_b32 s6, -1
	v_add3_u32 v4, v3, v4, 0x7fff
	v_cndmask_b32_sdwa v4, v5, v4, vcc_lo dst_sel:DWORD dst_unused:UNUSED_PAD src0_sel:DWORD src1_sel:WORD_1
	global_store_dword v[1:2], v4, off
.LBB144_2211:
	s_and_b32 vcc_lo, exec_lo, s7
	s_cbranch_vccz .LBB144_2216
; %bb.2212:
	s_cmp_eq_u32 s2, 44
	s_mov_b32 s0, -1
	s_cbranch_scc0 .LBB144_2216
; %bb.2213:
	v_bfe_u32 v5, v3, 23, 8
	v_mov_b32_e32 v4, 0xff
	s_mov_b32 s6, exec_lo
	v_cmpx_ne_u32_e32 0xff, v5
	s_cbranch_execz .LBB144_2215
; %bb.2214:
	v_and_b32_e32 v4, 0x400000, v3
	v_and_or_b32 v5, 0x3fffff, v3, v5
	v_cmp_ne_u32_e32 vcc_lo, 0, v4
	v_cmp_ne_u32_e64 s0, 0, v5
	v_lshrrev_b32_e32 v4, 23, v3
	s_and_b32 s0, vcc_lo, s0
	v_cndmask_b32_e64 v5, 0, 1, s0
	v_add_nc_u32_e32 v4, v4, v5
.LBB144_2215:
	s_or_b32 exec_lo, exec_lo, s6
	s_mov_b32 s0, 0
	s_mov_b32 s6, -1
	global_store_byte v[1:2], v4, off
.LBB144_2216:
	s_mov_b32 s7, 0
.LBB144_2217:
	s_and_b32 vcc_lo, exec_lo, s7
	s_cbranch_vccz .LBB144_2220
; %bb.2218:
	s_cmp_eq_u32 s2, 29
	s_mov_b32 s0, -1
	s_cbranch_scc0 .LBB144_2220
; %bb.2219:
	v_trunc_f32_e32 v4, v3
	s_mov_b32 s0, 0
	s_mov_b32 s6, -1
	v_mul_f32_e32 v5, 0x2f800000, v4
	v_floor_f32_e32 v5, v5
	v_fmamk_f32 v4, v5, 0xcf800000, v4
	v_cvt_u32_f32_e32 v5, v5
	v_cvt_u32_f32_e32 v4, v4
	global_store_dwordx2 v[1:2], v[4:5], off
.LBB144_2220:
	s_mov_b32 s7, 0
.LBB144_2221:
	s_and_b32 vcc_lo, exec_lo, s7
	s_cbranch_vccz .LBB144_2237
; %bb.2222:
	s_cmp_lt_i32 s2, 27
	s_mov_b32 s6, -1
	s_cbranch_scc1 .LBB144_2228
; %bb.2223:
	v_cvt_u32_f32_e32 v4, v3
	s_cmp_gt_i32 s2, 27
	s_cbranch_scc0 .LBB144_2225
; %bb.2224:
	s_mov_b32 s6, 0
	global_store_dword v[1:2], v4, off
.LBB144_2225:
	s_andn2_b32 vcc_lo, exec_lo, s6
	s_cbranch_vccnz .LBB144_2227
; %bb.2226:
	global_store_short v[1:2], v4, off
.LBB144_2227:
	s_mov_b32 s6, 0
.LBB144_2228:
	s_andn2_b32 vcc_lo, exec_lo, s6
	s_cbranch_vccnz .LBB144_2236
; %bb.2229:
	v_and_b32_e32 v4, 0x7fffffff, v3
	v_mov_b32_e32 v5, 0x80
	s_mov_b32 s6, exec_lo
	v_cmpx_gt_u32_e32 0x43800000, v4
	s_cbranch_execz .LBB144_2235
; %bb.2230:
	v_cmp_lt_u32_e32 vcc_lo, 0x3bffffff, v4
	s_mov_b32 s7, 0
                                        ; implicit-def: $vgpr4
	s_and_saveexec_b32 s10, vcc_lo
	s_xor_b32 s10, exec_lo, s10
	s_cbranch_execz .LBB144_2456
; %bb.2231:
	v_bfe_u32 v4, v3, 20, 1
	s_mov_b32 s7, exec_lo
	v_add3_u32 v4, v3, v4, 0x487ffff
	v_lshrrev_b32_e32 v4, 20, v4
	s_andn2_saveexec_b32 s10, s10
	s_cbranch_execnz .LBB144_2457
.LBB144_2232:
	s_or_b32 exec_lo, exec_lo, s10
	v_mov_b32_e32 v5, 0
	s_and_saveexec_b32 s10, s7
.LBB144_2233:
	v_lshrrev_b32_e32 v5, 24, v3
	v_and_or_b32 v5, 0x80, v5, v4
.LBB144_2234:
	s_or_b32 exec_lo, exec_lo, s10
.LBB144_2235:
	s_or_b32 exec_lo, exec_lo, s6
	global_store_byte v[1:2], v5, off
.LBB144_2236:
	s_mov_b32 s6, -1
.LBB144_2237:
	s_mov_b32 s7, 0
.LBB144_2238:
	s_and_b32 vcc_lo, exec_lo, s7
	s_cbranch_vccz .LBB144_2278
; %bb.2239:
	s_cmp_gt_i32 s2, 22
	s_mov_b32 s4, -1
	s_cbranch_scc0 .LBB144_2271
; %bb.2240:
	s_cmp_lt_i32 s2, 24
	s_cbranch_scc1 .LBB144_2260
; %bb.2241:
	s_cmp_gt_i32 s2, 24
	s_cbranch_scc0 .LBB144_2249
; %bb.2242:
	v_and_b32_e32 v4, 0x7fffffff, v3
	v_mov_b32_e32 v5, 0x80
	s_mov_b32 s4, exec_lo
	v_cmpx_gt_u32_e32 0x47800000, v4
	s_cbranch_execz .LBB144_2248
; %bb.2243:
	v_cmp_lt_u32_e32 vcc_lo, 0x37ffffff, v4
	s_mov_b32 s6, 0
                                        ; implicit-def: $vgpr4
	s_and_saveexec_b32 s7, vcc_lo
	s_xor_b32 s7, exec_lo, s7
	s_cbranch_execz .LBB144_2459
; %bb.2244:
	v_bfe_u32 v4, v3, 21, 1
	s_mov_b32 s6, exec_lo
	v_add3_u32 v4, v3, v4, 0x88fffff
	v_lshrrev_b32_e32 v4, 21, v4
	s_andn2_saveexec_b32 s7, s7
	s_cbranch_execnz .LBB144_2460
.LBB144_2245:
	s_or_b32 exec_lo, exec_lo, s7
	v_mov_b32_e32 v5, 0
	s_and_saveexec_b32 s7, s6
.LBB144_2246:
	v_lshrrev_b32_e32 v5, 24, v3
	v_and_or_b32 v5, 0x80, v5, v4
.LBB144_2247:
	s_or_b32 exec_lo, exec_lo, s7
.LBB144_2248:
	s_or_b32 exec_lo, exec_lo, s4
	s_mov_b32 s4, 0
	global_store_byte v[1:2], v5, off
.LBB144_2249:
	s_and_b32 vcc_lo, exec_lo, s4
	s_cbranch_vccz .LBB144_2259
; %bb.2250:
	v_and_b32_e32 v5, 0x7fffffff, v3
	s_mov_b32 s4, exec_lo
                                        ; implicit-def: $vgpr4
	v_cmpx_gt_u32_e32 0x43f00000, v5
	s_xor_b32 s4, exec_lo, s4
	s_cbranch_execz .LBB144_2256
; %bb.2251:
	s_mov_b32 s6, exec_lo
                                        ; implicit-def: $vgpr4
	v_cmpx_lt_u32_e32 0x3c7fffff, v5
	s_xor_b32 s6, exec_lo, s6
; %bb.2252:
	v_bfe_u32 v4, v3, 20, 1
	v_add3_u32 v4, v3, v4, 0x407ffff
	v_and_b32_e32 v5, 0xff00000, v4
	v_lshrrev_b32_e32 v4, 20, v4
	v_cmp_ne_u32_e32 vcc_lo, 0x7f00000, v5
	v_cndmask_b32_e32 v4, 0x7e, v4, vcc_lo
; %bb.2253:
	s_andn2_saveexec_b32 s6, s6
; %bb.2254:
	v_add_f32_e64 v4, 0x46800000, |v3|
; %bb.2255:
	s_or_b32 exec_lo, exec_lo, s6
                                        ; implicit-def: $vgpr5
.LBB144_2256:
	s_andn2_saveexec_b32 s4, s4
; %bb.2257:
	v_mov_b32_e32 v4, 0x7f
	v_cmp_lt_u32_e32 vcc_lo, 0x7f800000, v5
	v_cndmask_b32_e32 v4, 0x7e, v4, vcc_lo
; %bb.2258:
	s_or_b32 exec_lo, exec_lo, s4
	v_lshrrev_b32_e32 v5, 24, v3
	v_and_or_b32 v4, 0x80, v5, v4
	global_store_byte v[1:2], v4, off
.LBB144_2259:
	s_mov_b32 s4, 0
.LBB144_2260:
	s_andn2_b32 vcc_lo, exec_lo, s4
	s_cbranch_vccnz .LBB144_2270
; %bb.2261:
	v_and_b32_e32 v5, 0x7fffffff, v3
	s_mov_b32 s4, exec_lo
                                        ; implicit-def: $vgpr4
	v_cmpx_gt_u32_e32 0x47800000, v5
	s_xor_b32 s4, exec_lo, s4
	s_cbranch_execz .LBB144_2267
; %bb.2262:
	s_mov_b32 s6, exec_lo
                                        ; implicit-def: $vgpr4
	v_cmpx_lt_u32_e32 0x387fffff, v5
	s_xor_b32 s6, exec_lo, s6
; %bb.2263:
	v_bfe_u32 v4, v3, 21, 1
	v_add3_u32 v4, v3, v4, 0x80fffff
	v_lshrrev_b32_e32 v4, 21, v4
; %bb.2264:
	s_andn2_saveexec_b32 s6, s6
; %bb.2265:
	v_add_f32_e64 v4, 0x43000000, |v3|
; %bb.2266:
	s_or_b32 exec_lo, exec_lo, s6
                                        ; implicit-def: $vgpr5
.LBB144_2267:
	s_andn2_saveexec_b32 s4, s4
; %bb.2268:
	v_mov_b32_e32 v4, 0x7f
	v_cmp_lt_u32_e32 vcc_lo, 0x7f800000, v5
	v_cndmask_b32_e32 v4, 0x7c, v4, vcc_lo
; %bb.2269:
	s_or_b32 exec_lo, exec_lo, s4
	v_lshrrev_b32_e32 v5, 24, v3
	v_and_or_b32 v4, 0x80, v5, v4
	global_store_byte v[1:2], v4, off
.LBB144_2270:
	s_mov_b32 s4, 0
	s_mov_b32 s6, -1
.LBB144_2271:
	s_andn2_b32 vcc_lo, exec_lo, s4
	s_mov_b32 s4, 0
	s_cbranch_vccnz .LBB144_2278
; %bb.2272:
	s_cmp_gt_i32 s2, 14
	s_mov_b32 s4, -1
	s_cbranch_scc0 .LBB144_2276
; %bb.2273:
	s_cmp_eq_u32 s2, 15
	s_mov_b32 s0, -1
	s_cbranch_scc0 .LBB144_2275
; %bb.2274:
	v_bfe_u32 v4, v3, 16, 1
	v_cmp_o_f32_e32 vcc_lo, v3, v3
	v_mov_b32_e32 v5, 0x7fc0
	s_mov_b32 s0, 0
	s_mov_b32 s6, -1
	v_add3_u32 v4, v3, v4, 0x7fff
	v_cndmask_b32_sdwa v4, v5, v4, vcc_lo dst_sel:DWORD dst_unused:UNUSED_PAD src0_sel:DWORD src1_sel:WORD_1
	global_store_short v[1:2], v4, off
.LBB144_2275:
	s_mov_b32 s4, 0
.LBB144_2276:
	s_and_b32 vcc_lo, exec_lo, s4
	s_mov_b32 s4, 0
	s_cbranch_vccz .LBB144_2278
; %bb.2277:
	s_cmp_lg_u32 s2, 11
	s_mov_b32 s4, -1
	s_cselect_b32 s0, -1, 0
.LBB144_2278:
	s_and_b32 vcc_lo, exec_lo, s0
	s_cbranch_vccnz .LBB144_2458
; %bb.2279:
	s_andn2_b32 vcc_lo, exec_lo, s4
	s_cbranch_vccnz .LBB144_2281
.LBB144_2280:
	v_cmp_neq_f32_e32 vcc_lo, 0, v3
	s_mov_b32 s6, -1
	v_cndmask_b32_e64 v4, 0, 1, vcc_lo
	global_store_byte v[1:2], v4, off
.LBB144_2281:
	s_mov_b32 s0, 0
	s_branch .LBB144_2283
.LBB144_2282:
	s_mov_b32 s0, -1
	s_mov_b32 s6, 0
.LBB144_2283:
	s_and_b32 vcc_lo, exec_lo, s0
	s_cbranch_vccz .LBB144_2322
; %bb.2284:
	s_and_b32 s0, 0xffff, s1
	s_mov_b32 s2, -1
	s_cmp_lt_i32 s0, 5
	s_cbranch_scc1 .LBB144_2305
; %bb.2285:
	s_cmp_lt_i32 s0, 8
	s_cbranch_scc1 .LBB144_2295
; %bb.2286:
	;; [unrolled: 3-line block ×3, first 2 shown]
	s_cmp_gt_i32 s0, 9
	s_cbranch_scc0 .LBB144_2289
; %bb.2288:
	v_cvt_f64_f32_e32 v[4:5], v3
	v_mov_b32_e32 v6, 0
	s_mov_b32 s2, 0
	v_mov_b32_e32 v7, v6
	global_store_dwordx4 v[1:2], v[4:7], off
.LBB144_2289:
	s_andn2_b32 vcc_lo, exec_lo, s2
	s_cbranch_vccnz .LBB144_2291
; %bb.2290:
	v_mov_b32_e32 v4, 0
	global_store_dwordx2 v[1:2], v[3:4], off
.LBB144_2291:
	s_mov_b32 s2, 0
.LBB144_2292:
	s_andn2_b32 vcc_lo, exec_lo, s2
	s_cbranch_vccnz .LBB144_2294
; %bb.2293:
	v_cvt_f16_f32_e32 v4, v3
	v_and_b32_e32 v4, 0xffff, v4
	global_store_dword v[1:2], v4, off
.LBB144_2294:
	s_mov_b32 s2, 0
.LBB144_2295:
	s_andn2_b32 vcc_lo, exec_lo, s2
	s_cbranch_vccnz .LBB144_2304
; %bb.2296:
	s_cmp_lt_i32 s0, 6
	s_mov_b32 s2, -1
	s_cbranch_scc1 .LBB144_2302
; %bb.2297:
	s_cmp_gt_i32 s0, 6
	s_cbranch_scc0 .LBB144_2299
; %bb.2298:
	v_cvt_f64_f32_e32 v[4:5], v3
	s_mov_b32 s2, 0
	global_store_dwordx2 v[1:2], v[4:5], off
.LBB144_2299:
	s_andn2_b32 vcc_lo, exec_lo, s2
	s_cbranch_vccnz .LBB144_2301
; %bb.2300:
	global_store_dword v[1:2], v3, off
.LBB144_2301:
	s_mov_b32 s2, 0
.LBB144_2302:
	s_andn2_b32 vcc_lo, exec_lo, s2
	s_cbranch_vccnz .LBB144_2304
; %bb.2303:
	v_cvt_f16_f32_e32 v4, v3
	global_store_short v[1:2], v4, off
.LBB144_2304:
	s_mov_b32 s2, 0
.LBB144_2305:
	s_andn2_b32 vcc_lo, exec_lo, s2
	s_cbranch_vccnz .LBB144_2321
; %bb.2306:
	s_cmp_lt_i32 s0, 2
	s_mov_b32 s2, -1
	s_cbranch_scc1 .LBB144_2316
; %bb.2307:
	s_cmp_lt_i32 s0, 3
	s_cbranch_scc1 .LBB144_2313
; %bb.2308:
	s_cmp_gt_i32 s0, 3
	s_cbranch_scc0 .LBB144_2310
; %bb.2309:
	v_trunc_f32_e32 v4, v3
	s_mov_b32 s2, 0
	v_mul_f32_e64 v5, 0x2f800000, |v4|
	v_ashrrev_i32_e32 v7, 31, v4
	v_floor_f32_e32 v5, v5
	v_fma_f32 v6, 0xcf800000, v5, |v4|
	v_cvt_u32_f32_e32 v5, v5
	v_cvt_u32_f32_e32 v4, v6
	v_xor_b32_e32 v5, v5, v7
	v_xor_b32_e32 v4, v4, v7
	v_sub_co_u32 v4, vcc_lo, v4, v7
	v_sub_co_ci_u32_e64 v5, null, v5, v7, vcc_lo
	global_store_dwordx2 v[1:2], v[4:5], off
.LBB144_2310:
	s_andn2_b32 vcc_lo, exec_lo, s2
	s_cbranch_vccnz .LBB144_2312
; %bb.2311:
	v_cvt_i32_f32_e32 v4, v3
	global_store_dword v[1:2], v4, off
.LBB144_2312:
	s_mov_b32 s2, 0
.LBB144_2313:
	s_andn2_b32 vcc_lo, exec_lo, s2
	s_cbranch_vccnz .LBB144_2315
; %bb.2314:
	v_cvt_i32_f32_e32 v4, v3
	global_store_short v[1:2], v4, off
.LBB144_2315:
	s_mov_b32 s2, 0
.LBB144_2316:
	s_andn2_b32 vcc_lo, exec_lo, s2
	s_cbranch_vccnz .LBB144_2321
; %bb.2317:
	s_cmp_gt_i32 s0, 0
	s_mov_b32 s0, -1
	s_cbranch_scc0 .LBB144_2319
; %bb.2318:
	v_cvt_i32_f32_e32 v4, v3
	s_mov_b32 s0, 0
	global_store_byte v[1:2], v4, off
.LBB144_2319:
	s_andn2_b32 vcc_lo, exec_lo, s0
	s_cbranch_vccnz .LBB144_2321
; %bb.2320:
	v_trunc_f32_e32 v3, v3
	v_mul_f32_e64 v4, 0x2f800000, |v3|
	v_floor_f32_e32 v4, v4
	v_fma_f32 v4, 0xcf800000, v4, |v3|
	v_ashrrev_i32_e32 v3, 31, v3
	v_cvt_u32_f32_e32 v4, v4
	v_xor_b32_e32 v4, v4, v3
	v_sub_nc_u32_e32 v3, v4, v3
	global_store_byte v[1:2], v3, off
.LBB144_2321:
	s_mov_b32 s6, -1
.LBB144_2322:
	s_andn2_b32 vcc_lo, exec_lo, s6
	s_cbranch_vccnz .LBB144_2399
; %bb.2323:
	v_cmp_gt_f32_e64 s0, 0x4b000000, |v9|
	s_or_b32 vcc_lo, s3, s0
	v_cmp_class_f32_e64 s0, v9, 0x264
	v_cndmask_b32_e32 v1, 0x7f800000, v13, vcc_lo
	v_cmp_u_f32_e32 vcc_lo, v9, v9
	s_cmp_lt_i32 s1, 11
	v_cndmask_b32_e64 v1, v1, 0x7f800000, s0
	v_add_co_u32 v0, s0, s8, v0
	v_cndmask_b32_e32 v2, v1, v9, vcc_lo
	v_add_co_ci_u32_e64 v1, null, s9, 0, s0
	s_cbranch_scc1 .LBB144_2444
; %bb.2324:
	s_and_b32 s2, 0xffff, s1
	s_mov_b32 s4, -1
	s_mov_b32 s3, 0
	s_cmp_gt_i32 s2, 25
	s_mov_b32 s0, 0
	s_cbranch_scc0 .LBB144_2357
; %bb.2325:
	s_cmp_gt_i32 s2, 28
	s_cbranch_scc0 .LBB144_2341
; %bb.2326:
	s_cmp_gt_i32 s2, 43
	;; [unrolled: 3-line block ×3, first 2 shown]
	s_cbranch_scc0 .LBB144_2331
; %bb.2328:
	s_cmp_eq_u32 s2, 46
	s_mov_b32 s0, -1
	s_cbranch_scc0 .LBB144_2330
; %bb.2329:
	v_bfe_u32 v3, v2, 16, 1
	v_cmp_o_f32_e32 vcc_lo, v2, v2
	v_mov_b32_e32 v4, 0x7fc0
	s_mov_b32 s0, 0
	v_add3_u32 v3, v2, v3, 0x7fff
	v_cndmask_b32_sdwa v3, v4, v3, vcc_lo dst_sel:DWORD dst_unused:UNUSED_PAD src0_sel:DWORD src1_sel:WORD_1
	global_store_dword v[0:1], v3, off
.LBB144_2330:
	s_mov_b32 s4, 0
.LBB144_2331:
	s_and_b32 vcc_lo, exec_lo, s4
	s_cbranch_vccz .LBB144_2336
; %bb.2332:
	s_cmp_eq_u32 s2, 44
	s_mov_b32 s0, -1
	s_cbranch_scc0 .LBB144_2336
; %bb.2333:
	v_bfe_u32 v4, v2, 23, 8
	v_mov_b32_e32 v3, 0xff
	s_mov_b32 s4, exec_lo
	v_cmpx_ne_u32_e32 0xff, v4
	s_cbranch_execz .LBB144_2335
; %bb.2334:
	v_and_b32_e32 v3, 0x400000, v2
	v_and_or_b32 v4, 0x3fffff, v2, v4
	v_cmp_ne_u32_e32 vcc_lo, 0, v3
	v_cmp_ne_u32_e64 s0, 0, v4
	v_lshrrev_b32_e32 v3, 23, v2
	s_and_b32 s0, vcc_lo, s0
	v_cndmask_b32_e64 v4, 0, 1, s0
	v_add_nc_u32_e32 v3, v3, v4
.LBB144_2335:
	s_or_b32 exec_lo, exec_lo, s4
	s_mov_b32 s0, 0
	global_store_byte v[0:1], v3, off
.LBB144_2336:
	s_mov_b32 s4, 0
.LBB144_2337:
	s_and_b32 vcc_lo, exec_lo, s4
	s_cbranch_vccz .LBB144_2340
; %bb.2338:
	s_cmp_eq_u32 s2, 29
	s_mov_b32 s0, -1
	s_cbranch_scc0 .LBB144_2340
; %bb.2339:
	v_trunc_f32_e32 v3, v2
	s_mov_b32 s0, 0
	v_mul_f32_e32 v4, 0x2f800000, v3
	v_floor_f32_e32 v4, v4
	v_fmamk_f32 v3, v4, 0xcf800000, v3
	v_cvt_u32_f32_e32 v4, v4
	v_cvt_u32_f32_e32 v3, v3
	global_store_dwordx2 v[0:1], v[3:4], off
.LBB144_2340:
	s_mov_b32 s4, 0
.LBB144_2341:
	s_and_b32 vcc_lo, exec_lo, s4
	s_cbranch_vccz .LBB144_2356
; %bb.2342:
	s_cmp_lt_i32 s2, 27
	s_mov_b32 s4, -1
	s_cbranch_scc1 .LBB144_2348
; %bb.2343:
	s_cmp_gt_i32 s2, 27
	s_cbranch_scc0 .LBB144_2345
; %bb.2344:
	v_cvt_u32_f32_e32 v3, v2
	s_mov_b32 s4, 0
	global_store_dword v[0:1], v3, off
.LBB144_2345:
	s_andn2_b32 vcc_lo, exec_lo, s4
	s_cbranch_vccnz .LBB144_2347
; %bb.2346:
	v_cvt_u32_f32_e32 v3, v2
	global_store_short v[0:1], v3, off
.LBB144_2347:
	s_mov_b32 s4, 0
.LBB144_2348:
	s_andn2_b32 vcc_lo, exec_lo, s4
	s_cbranch_vccnz .LBB144_2356
; %bb.2349:
	v_and_b32_e32 v3, 0x7fffffff, v2
	v_mov_b32_e32 v4, 0x80
	s_mov_b32 s4, exec_lo
	v_cmpx_gt_u32_e32 0x43800000, v3
	s_cbranch_execz .LBB144_2355
; %bb.2350:
	v_cmp_lt_u32_e32 vcc_lo, 0x3bffffff, v3
	s_mov_b32 s6, 0
                                        ; implicit-def: $vgpr3
	s_and_saveexec_b32 s7, vcc_lo
	s_xor_b32 s7, exec_lo, s7
	s_cbranch_execz .LBB144_2461
; %bb.2351:
	v_bfe_u32 v3, v2, 20, 1
	s_mov_b32 s6, exec_lo
	v_add3_u32 v3, v2, v3, 0x487ffff
	v_lshrrev_b32_e32 v3, 20, v3
	s_andn2_saveexec_b32 s7, s7
	s_cbranch_execnz .LBB144_2462
.LBB144_2352:
	s_or_b32 exec_lo, exec_lo, s7
	v_mov_b32_e32 v4, 0
	s_and_saveexec_b32 s7, s6
.LBB144_2353:
	v_lshrrev_b32_e32 v4, 24, v2
	v_and_or_b32 v4, 0x80, v4, v3
.LBB144_2354:
	s_or_b32 exec_lo, exec_lo, s7
.LBB144_2355:
	s_or_b32 exec_lo, exec_lo, s4
	global_store_byte v[0:1], v4, off
.LBB144_2356:
	s_mov_b32 s4, 0
.LBB144_2357:
	s_and_b32 vcc_lo, exec_lo, s4
	s_cbranch_vccz .LBB144_2397
; %bb.2358:
	s_cmp_gt_i32 s2, 22
	s_mov_b32 s3, -1
	s_cbranch_scc0 .LBB144_2390
; %bb.2359:
	s_cmp_lt_i32 s2, 24
	s_cbranch_scc1 .LBB144_2379
; %bb.2360:
	s_cmp_gt_i32 s2, 24
	s_cbranch_scc0 .LBB144_2368
; %bb.2361:
	v_and_b32_e32 v3, 0x7fffffff, v2
	v_mov_b32_e32 v4, 0x80
	s_mov_b32 s3, exec_lo
	v_cmpx_gt_u32_e32 0x47800000, v3
	s_cbranch_execz .LBB144_2367
; %bb.2362:
	v_cmp_lt_u32_e32 vcc_lo, 0x37ffffff, v3
	s_mov_b32 s4, 0
                                        ; implicit-def: $vgpr3
	s_and_saveexec_b32 s6, vcc_lo
	s_xor_b32 s6, exec_lo, s6
	s_cbranch_execz .LBB144_2464
; %bb.2363:
	v_bfe_u32 v3, v2, 21, 1
	s_mov_b32 s4, exec_lo
	v_add3_u32 v3, v2, v3, 0x88fffff
	v_lshrrev_b32_e32 v3, 21, v3
	s_andn2_saveexec_b32 s6, s6
	s_cbranch_execnz .LBB144_2465
.LBB144_2364:
	s_or_b32 exec_lo, exec_lo, s6
	v_mov_b32_e32 v4, 0
	s_and_saveexec_b32 s6, s4
.LBB144_2365:
	v_lshrrev_b32_e32 v4, 24, v2
	v_and_or_b32 v4, 0x80, v4, v3
.LBB144_2366:
	s_or_b32 exec_lo, exec_lo, s6
.LBB144_2367:
	s_or_b32 exec_lo, exec_lo, s3
	s_mov_b32 s3, 0
	global_store_byte v[0:1], v4, off
.LBB144_2368:
	s_and_b32 vcc_lo, exec_lo, s3
	s_cbranch_vccz .LBB144_2378
; %bb.2369:
	v_and_b32_e32 v4, 0x7fffffff, v2
	s_mov_b32 s3, exec_lo
                                        ; implicit-def: $vgpr3
	v_cmpx_gt_u32_e32 0x43f00000, v4
	s_xor_b32 s3, exec_lo, s3
	s_cbranch_execz .LBB144_2375
; %bb.2370:
	s_mov_b32 s4, exec_lo
                                        ; implicit-def: $vgpr3
	v_cmpx_lt_u32_e32 0x3c7fffff, v4
	s_xor_b32 s4, exec_lo, s4
; %bb.2371:
	v_bfe_u32 v3, v2, 20, 1
	v_add3_u32 v3, v2, v3, 0x407ffff
	v_and_b32_e32 v4, 0xff00000, v3
	v_lshrrev_b32_e32 v3, 20, v3
	v_cmp_ne_u32_e32 vcc_lo, 0x7f00000, v4
	v_cndmask_b32_e32 v3, 0x7e, v3, vcc_lo
; %bb.2372:
	s_andn2_saveexec_b32 s4, s4
; %bb.2373:
	v_add_f32_e64 v3, 0x46800000, |v2|
; %bb.2374:
	s_or_b32 exec_lo, exec_lo, s4
                                        ; implicit-def: $vgpr4
.LBB144_2375:
	s_andn2_saveexec_b32 s3, s3
; %bb.2376:
	v_mov_b32_e32 v3, 0x7f
	v_cmp_lt_u32_e32 vcc_lo, 0x7f800000, v4
	v_cndmask_b32_e32 v3, 0x7e, v3, vcc_lo
; %bb.2377:
	s_or_b32 exec_lo, exec_lo, s3
	v_lshrrev_b32_e32 v4, 24, v2
	v_and_or_b32 v3, 0x80, v4, v3
	global_store_byte v[0:1], v3, off
.LBB144_2378:
	s_mov_b32 s3, 0
.LBB144_2379:
	s_andn2_b32 vcc_lo, exec_lo, s3
	s_cbranch_vccnz .LBB144_2389
; %bb.2380:
	v_and_b32_e32 v4, 0x7fffffff, v2
	s_mov_b32 s3, exec_lo
                                        ; implicit-def: $vgpr3
	v_cmpx_gt_u32_e32 0x47800000, v4
	s_xor_b32 s3, exec_lo, s3
	s_cbranch_execz .LBB144_2386
; %bb.2381:
	s_mov_b32 s4, exec_lo
                                        ; implicit-def: $vgpr3
	v_cmpx_lt_u32_e32 0x387fffff, v4
	s_xor_b32 s4, exec_lo, s4
; %bb.2382:
	v_bfe_u32 v3, v2, 21, 1
	v_add3_u32 v3, v2, v3, 0x80fffff
	v_lshrrev_b32_e32 v3, 21, v3
; %bb.2383:
	s_andn2_saveexec_b32 s4, s4
; %bb.2384:
	v_add_f32_e64 v3, 0x43000000, |v2|
; %bb.2385:
	s_or_b32 exec_lo, exec_lo, s4
                                        ; implicit-def: $vgpr4
.LBB144_2386:
	s_andn2_saveexec_b32 s3, s3
; %bb.2387:
	v_mov_b32_e32 v3, 0x7f
	v_cmp_lt_u32_e32 vcc_lo, 0x7f800000, v4
	v_cndmask_b32_e32 v3, 0x7c, v3, vcc_lo
; %bb.2388:
	s_or_b32 exec_lo, exec_lo, s3
	v_lshrrev_b32_e32 v4, 24, v2
	v_and_or_b32 v3, 0x80, v4, v3
	global_store_byte v[0:1], v3, off
.LBB144_2389:
	s_mov_b32 s3, 0
.LBB144_2390:
	s_andn2_b32 vcc_lo, exec_lo, s3
	s_mov_b32 s3, 0
	s_cbranch_vccnz .LBB144_2397
; %bb.2391:
	s_cmp_gt_i32 s2, 14
	s_mov_b32 s3, -1
	s_cbranch_scc0 .LBB144_2395
; %bb.2392:
	s_cmp_eq_u32 s2, 15
	s_mov_b32 s0, -1
	s_cbranch_scc0 .LBB144_2394
; %bb.2393:
	v_bfe_u32 v3, v2, 16, 1
	v_cmp_o_f32_e32 vcc_lo, v2, v2
	v_mov_b32_e32 v4, 0x7fc0
	s_mov_b32 s0, 0
	v_add3_u32 v3, v2, v3, 0x7fff
	v_cndmask_b32_sdwa v3, v4, v3, vcc_lo dst_sel:DWORD dst_unused:UNUSED_PAD src0_sel:DWORD src1_sel:WORD_1
	global_store_short v[0:1], v3, off
.LBB144_2394:
	s_mov_b32 s3, 0
.LBB144_2395:
	s_and_b32 vcc_lo, exec_lo, s3
	s_mov_b32 s3, 0
	s_cbranch_vccz .LBB144_2397
; %bb.2396:
	s_cmp_lg_u32 s2, 11
	s_mov_b32 s3, -1
	s_cselect_b32 s0, -1, 0
.LBB144_2397:
	s_and_b32 vcc_lo, exec_lo, s0
	s_cbranch_vccnz .LBB144_2463
.LBB144_2398:
	s_mov_b32 s0, 0
	s_branch .LBB144_2400
.LBB144_2399:
	s_mov_b32 s0, 0
	s_mov_b32 s3, 0
                                        ; implicit-def: $vgpr0_vgpr1
                                        ; implicit-def: $sgpr1
                                        ; implicit-def: $vgpr2
.LBB144_2400:
	s_andn2_b32 s2, s12, exec_lo
	s_and_b32 s4, s5, exec_lo
	s_and_b32 s0, s0, exec_lo
	;; [unrolled: 1-line block ×3, first 2 shown]
	s_or_b32 s12, s2, s4
.LBB144_2401:
	s_or_b32 exec_lo, exec_lo, s13
	s_and_saveexec_b32 s2, s12
	s_cbranch_execz .LBB144_2404
; %bb.2402:
	; divergent unreachable
	s_or_b32 exec_lo, exec_lo, s2
	s_and_saveexec_b32 s2, s26
	s_xor_b32 s2, exec_lo, s2
	s_cbranch_execnz .LBB144_2405
.LBB144_2403:
	s_or_b32 exec_lo, exec_lo, s2
	s_and_saveexec_b32 s2, s0
	s_cbranch_execnz .LBB144_2406
	s_branch .LBB144_2443
.LBB144_2404:
	s_or_b32 exec_lo, exec_lo, s2
	s_and_saveexec_b32 s2, s26
	s_xor_b32 s2, exec_lo, s2
	s_cbranch_execz .LBB144_2403
.LBB144_2405:
	v_cmp_neq_f32_e32 vcc_lo, 0, v2
	s_waitcnt vmcnt(0)
	v_cndmask_b32_e64 v3, 0, 1, vcc_lo
	global_store_byte v[0:1], v3, off
	s_or_b32 exec_lo, exec_lo, s2
	s_and_saveexec_b32 s2, s0
	s_cbranch_execz .LBB144_2443
.LBB144_2406:
	s_sext_i32_i16 s2, s1
	s_mov_b32 s0, -1
	s_cmp_lt_i32 s2, 5
	s_cbranch_scc1 .LBB144_2427
; %bb.2407:
	s_cmp_lt_i32 s2, 8
	s_cbranch_scc1 .LBB144_2417
; %bb.2408:
	;; [unrolled: 3-line block ×3, first 2 shown]
	s_cmp_gt_i32 s2, 9
	s_cbranch_scc0 .LBB144_2411
; %bb.2410:
	s_waitcnt vmcnt(0)
	v_cvt_f64_f32_e32 v[3:4], v2
	v_mov_b32_e32 v5, 0
	s_mov_b32 s0, 0
	v_mov_b32_e32 v6, v5
	global_store_dwordx4 v[0:1], v[3:6], off
.LBB144_2411:
	s_andn2_b32 vcc_lo, exec_lo, s0
	s_cbranch_vccnz .LBB144_2413
; %bb.2412:
	s_waitcnt vmcnt(0)
	v_mov_b32_e32 v3, 0
	global_store_dwordx2 v[0:1], v[2:3], off
.LBB144_2413:
	s_mov_b32 s0, 0
.LBB144_2414:
	s_andn2_b32 vcc_lo, exec_lo, s0
	s_cbranch_vccnz .LBB144_2416
; %bb.2415:
	s_waitcnt vmcnt(0)
	v_cvt_f16_f32_e32 v3, v2
	v_and_b32_e32 v3, 0xffff, v3
	global_store_dword v[0:1], v3, off
.LBB144_2416:
	s_mov_b32 s0, 0
.LBB144_2417:
	s_andn2_b32 vcc_lo, exec_lo, s0
	s_cbranch_vccnz .LBB144_2426
; %bb.2418:
	s_sext_i32_i16 s2, s1
	s_mov_b32 s0, -1
	s_cmp_lt_i32 s2, 6
	s_cbranch_scc1 .LBB144_2424
; %bb.2419:
	s_cmp_gt_i32 s2, 6
	s_cbranch_scc0 .LBB144_2421
; %bb.2420:
	s_waitcnt vmcnt(0)
	v_cvt_f64_f32_e32 v[3:4], v2
	s_mov_b32 s0, 0
	global_store_dwordx2 v[0:1], v[3:4], off
.LBB144_2421:
	s_andn2_b32 vcc_lo, exec_lo, s0
	s_cbranch_vccnz .LBB144_2423
; %bb.2422:
	s_waitcnt vmcnt(0)
	global_store_dword v[0:1], v2, off
.LBB144_2423:
	s_mov_b32 s0, 0
.LBB144_2424:
	s_andn2_b32 vcc_lo, exec_lo, s0
	s_cbranch_vccnz .LBB144_2426
; %bb.2425:
	s_waitcnt vmcnt(0)
	v_cvt_f16_f32_e32 v3, v2
	global_store_short v[0:1], v3, off
.LBB144_2426:
	s_mov_b32 s0, 0
.LBB144_2427:
	s_andn2_b32 vcc_lo, exec_lo, s0
	s_cbranch_vccnz .LBB144_2443
; %bb.2428:
	s_sext_i32_i16 s2, s1
	s_mov_b32 s0, -1
	s_cmp_lt_i32 s2, 2
	s_cbranch_scc1 .LBB144_2438
; %bb.2429:
	s_cmp_lt_i32 s2, 3
	s_cbranch_scc1 .LBB144_2435
; %bb.2430:
	s_cmp_gt_i32 s2, 3
	s_cbranch_scc0 .LBB144_2432
; %bb.2431:
	s_waitcnt vmcnt(0)
	v_trunc_f32_e32 v3, v2
	s_mov_b32 s0, 0
	v_mul_f32_e64 v4, 0x2f800000, |v3|
	v_ashrrev_i32_e32 v6, 31, v3
	v_floor_f32_e32 v4, v4
	v_fma_f32 v5, 0xcf800000, v4, |v3|
	v_cvt_u32_f32_e32 v4, v4
	v_cvt_u32_f32_e32 v3, v5
	v_xor_b32_e32 v4, v4, v6
	v_xor_b32_e32 v3, v3, v6
	v_sub_co_u32 v3, vcc_lo, v3, v6
	v_sub_co_ci_u32_e64 v4, null, v4, v6, vcc_lo
	global_store_dwordx2 v[0:1], v[3:4], off
.LBB144_2432:
	s_andn2_b32 vcc_lo, exec_lo, s0
	s_cbranch_vccnz .LBB144_2434
; %bb.2433:
	s_waitcnt vmcnt(0)
	v_cvt_i32_f32_e32 v3, v2
	global_store_dword v[0:1], v3, off
.LBB144_2434:
	s_mov_b32 s0, 0
.LBB144_2435:
	s_andn2_b32 vcc_lo, exec_lo, s0
	s_cbranch_vccnz .LBB144_2437
; %bb.2436:
	s_waitcnt vmcnt(0)
	v_cvt_i32_f32_e32 v3, v2
	global_store_short v[0:1], v3, off
.LBB144_2437:
	s_mov_b32 s0, 0
.LBB144_2438:
	s_andn2_b32 vcc_lo, exec_lo, s0
	s_cbranch_vccnz .LBB144_2443
; %bb.2439:
	s_sext_i32_i16 s0, s1
	s_cmp_gt_i32 s0, 0
	s_mov_b32 s0, -1
	s_cbranch_scc0 .LBB144_2441
; %bb.2440:
	s_waitcnt vmcnt(0)
	v_cvt_i32_f32_e32 v3, v2
	s_mov_b32 s0, 0
	global_store_byte v[0:1], v3, off
.LBB144_2441:
	s_andn2_b32 vcc_lo, exec_lo, s0
	s_cbranch_vccnz .LBB144_2443
; %bb.2442:
	v_trunc_f32_e32 v2, v2
	s_waitcnt vmcnt(0)
	v_mul_f32_e64 v3, 0x2f800000, |v2|
	v_floor_f32_e32 v3, v3
	v_fma_f32 v3, 0xcf800000, v3, |v2|
	v_ashrrev_i32_e32 v2, 31, v2
	v_cvt_u32_f32_e32 v3, v3
	v_xor_b32_e32 v3, v3, v2
	v_sub_nc_u32_e32 v2, v3, v2
	global_store_byte v[0:1], v2, off
	s_endpgm
.LBB144_2443:
	s_endpgm
.LBB144_2444:
	s_mov_b32 s3, 0
	s_mov_b32 s0, -1
	s_branch .LBB144_2400
.LBB144_2445:
	s_or_b32 s5, s5, exec_lo
	s_trap 2
	s_cbranch_execz .LBB144_1876
	s_branch .LBB144_1877
.LBB144_2446:
	s_andn2_saveexec_b32 s15, s15
	s_cbranch_execz .LBB144_1994
.LBB144_2447:
	v_add_f32_e64 v1, 0x46000000, |v7|
	s_andn2_b32 s14, s14, exec_lo
	v_and_b32_e32 v1, 0xff, v1
	v_cmp_ne_u32_e32 vcc_lo, 0, v1
	s_and_b32 s16, vcc_lo, exec_lo
	s_or_b32 s14, s14, s16
	s_or_b32 exec_lo, exec_lo, s15
	v_mov_b32_e32 v8, 0
	s_and_saveexec_b32 s15, s14
	s_cbranch_execnz .LBB144_1995
	s_branch .LBB144_1996
.LBB144_2448:
	s_or_b32 s5, s5, exec_lo
	s_trap 2
	s_cbranch_execz .LBB144_2042
	s_branch .LBB144_2043
.LBB144_2449:
	s_andn2_saveexec_b32 s14, s14
	s_cbranch_execz .LBB144_2007
.LBB144_2450:
	v_add_f32_e64 v1, 0x42800000, |v7|
	s_andn2_b32 s11, s11, exec_lo
	v_and_b32_e32 v1, 0xff, v1
	v_cmp_ne_u32_e32 vcc_lo, 0, v1
	s_and_b32 s15, vcc_lo, exec_lo
	s_or_b32 s11, s11, s15
	s_or_b32 exec_lo, exec_lo, s14
	v_mov_b32_e32 v8, 0
	s_and_saveexec_b32 s14, s11
	s_cbranch_execnz .LBB144_2008
	s_branch .LBB144_2009
.LBB144_2451:
	s_andn2_saveexec_b32 s11, s11
	s_cbranch_execz .LBB144_2113
.LBB144_2452:
	v_add_f32_e64 v1, 0x46000000, |v5|
	s_andn2_b32 s10, s10, exec_lo
	v_and_b32_e32 v1, 0xff, v1
	v_cmp_ne_u32_e32 vcc_lo, 0, v1
	s_and_b32 s14, vcc_lo, exec_lo
	s_or_b32 s10, s10, s14
	s_or_b32 exec_lo, exec_lo, s11
	v_mov_b32_e32 v6, 0
	s_and_saveexec_b32 s11, s10
	s_cbranch_execnz .LBB144_2114
	s_branch .LBB144_2115
.LBB144_2453:
	s_or_b32 s5, s5, exec_lo
	s_trap 2
	s_cbranch_execz .LBB144_2161
	s_branch .LBB144_2162
.LBB144_2454:
	s_andn2_saveexec_b32 s10, s10
	s_cbranch_execz .LBB144_2126
.LBB144_2455:
	v_add_f32_e64 v1, 0x42800000, |v5|
	s_andn2_b32 s7, s7, exec_lo
	v_and_b32_e32 v1, 0xff, v1
	v_cmp_ne_u32_e32 vcc_lo, 0, v1
	s_and_b32 s11, vcc_lo, exec_lo
	s_or_b32 s7, s7, s11
	s_or_b32 exec_lo, exec_lo, s10
	v_mov_b32_e32 v6, 0
	s_and_saveexec_b32 s10, s7
	s_cbranch_execnz .LBB144_2127
	s_branch .LBB144_2128
.LBB144_2456:
	s_andn2_saveexec_b32 s10, s10
	s_cbranch_execz .LBB144_2232
.LBB144_2457:
	v_add_f32_e64 v4, 0x46000000, |v3|
	s_andn2_b32 s7, s7, exec_lo
	v_and_b32_e32 v4, 0xff, v4
	v_cmp_ne_u32_e32 vcc_lo, 0, v4
	s_and_b32 s11, vcc_lo, exec_lo
	s_or_b32 s7, s7, s11
	s_or_b32 exec_lo, exec_lo, s10
	v_mov_b32_e32 v5, 0
	s_and_saveexec_b32 s10, s7
	s_cbranch_execnz .LBB144_2233
	s_branch .LBB144_2234
.LBB144_2458:
	s_or_b32 s5, s5, exec_lo
	s_trap 2
	s_cbranch_execz .LBB144_2280
	s_branch .LBB144_2281
.LBB144_2459:
	s_andn2_saveexec_b32 s7, s7
	s_cbranch_execz .LBB144_2245
.LBB144_2460:
	v_add_f32_e64 v4, 0x42800000, |v3|
	s_andn2_b32 s6, s6, exec_lo
	v_and_b32_e32 v4, 0xff, v4
	v_cmp_ne_u32_e32 vcc_lo, 0, v4
	s_and_b32 s10, vcc_lo, exec_lo
	s_or_b32 s6, s6, s10
	s_or_b32 exec_lo, exec_lo, s7
	v_mov_b32_e32 v5, 0
	s_and_saveexec_b32 s7, s6
	s_cbranch_execnz .LBB144_2246
	s_branch .LBB144_2247
.LBB144_2461:
	s_andn2_saveexec_b32 s7, s7
	s_cbranch_execz .LBB144_2352
.LBB144_2462:
	v_add_f32_e64 v3, 0x46000000, |v2|
	s_andn2_b32 s6, s6, exec_lo
	v_and_b32_e32 v3, 0xff, v3
	v_cmp_ne_u32_e32 vcc_lo, 0, v3
	s_and_b32 s8, vcc_lo, exec_lo
	s_or_b32 s6, s6, s8
	s_or_b32 exec_lo, exec_lo, s7
	v_mov_b32_e32 v4, 0
	s_and_saveexec_b32 s7, s6
	s_cbranch_execnz .LBB144_2353
	s_branch .LBB144_2354
.LBB144_2463:
	s_mov_b32 s3, 0
	s_or_b32 s5, s5, exec_lo
	s_trap 2
	s_branch .LBB144_2398
.LBB144_2464:
	s_andn2_saveexec_b32 s6, s6
	s_cbranch_execz .LBB144_2364
.LBB144_2465:
	v_add_f32_e64 v3, 0x42800000, |v2|
	s_andn2_b32 s4, s4, exec_lo
	v_and_b32_e32 v3, 0xff, v3
	v_cmp_ne_u32_e32 vcc_lo, 0, v3
	s_and_b32 s7, vcc_lo, exec_lo
	s_or_b32 s4, s4, s7
	s_or_b32 exec_lo, exec_lo, s6
	v_mov_b32_e32 v4, 0
	s_and_saveexec_b32 s6, s4
	s_cbranch_execnz .LBB144_2365
	s_branch .LBB144_2366
	.section	.rodata,"a",@progbits
	.p2align	6, 0x0
	.amdhsa_kernel _ZN2at6native32elementwise_kernel_manual_unrollILi128ELi4EZNS0_15gpu_kernel_implIZZZNS0_18lgamma_kernel_cudaERNS_18TensorIteratorBaseEENKUlvE_clEvENKUlvE0_clEvEUlfE_EEvS4_RKT_EUlibE0_EEviT1_
		.amdhsa_group_segment_fixed_size 0
		.amdhsa_private_segment_fixed_size 0
		.amdhsa_kernarg_size 360
		.amdhsa_user_sgpr_count 6
		.amdhsa_user_sgpr_private_segment_buffer 1
		.amdhsa_user_sgpr_dispatch_ptr 0
		.amdhsa_user_sgpr_queue_ptr 0
		.amdhsa_user_sgpr_kernarg_segment_ptr 1
		.amdhsa_user_sgpr_dispatch_id 0
		.amdhsa_user_sgpr_flat_scratch_init 0
		.amdhsa_user_sgpr_private_segment_size 0
		.amdhsa_wavefront_size32 1
		.amdhsa_uses_dynamic_stack 0
		.amdhsa_system_sgpr_private_segment_wavefront_offset 0
		.amdhsa_system_sgpr_workgroup_id_x 1
		.amdhsa_system_sgpr_workgroup_id_y 0
		.amdhsa_system_sgpr_workgroup_id_z 0
		.amdhsa_system_sgpr_workgroup_info 0
		.amdhsa_system_vgpr_workitem_id 0
		.amdhsa_next_free_vgpr 19
		.amdhsa_next_free_sgpr 68
		.amdhsa_reserve_vcc 1
		.amdhsa_reserve_flat_scratch 0
		.amdhsa_float_round_mode_32 0
		.amdhsa_float_round_mode_16_64 0
		.amdhsa_float_denorm_mode_32 3
		.amdhsa_float_denorm_mode_16_64 3
		.amdhsa_dx10_clamp 1
		.amdhsa_ieee_mode 1
		.amdhsa_fp16_overflow 0
		.amdhsa_workgroup_processor_mode 1
		.amdhsa_memory_ordered 1
		.amdhsa_forward_progress 1
		.amdhsa_shared_vgpr_count 0
		.amdhsa_exception_fp_ieee_invalid_op 0
		.amdhsa_exception_fp_denorm_src 0
		.amdhsa_exception_fp_ieee_div_zero 0
		.amdhsa_exception_fp_ieee_overflow 0
		.amdhsa_exception_fp_ieee_underflow 0
		.amdhsa_exception_fp_ieee_inexact 0
		.amdhsa_exception_int_div_zero 0
	.end_amdhsa_kernel
	.section	.text._ZN2at6native32elementwise_kernel_manual_unrollILi128ELi4EZNS0_15gpu_kernel_implIZZZNS0_18lgamma_kernel_cudaERNS_18TensorIteratorBaseEENKUlvE_clEvENKUlvE0_clEvEUlfE_EEvS4_RKT_EUlibE0_EEviT1_,"axG",@progbits,_ZN2at6native32elementwise_kernel_manual_unrollILi128ELi4EZNS0_15gpu_kernel_implIZZZNS0_18lgamma_kernel_cudaERNS_18TensorIteratorBaseEENKUlvE_clEvENKUlvE0_clEvEUlfE_EEvS4_RKT_EUlibE0_EEviT1_,comdat
.Lfunc_end144:
	.size	_ZN2at6native32elementwise_kernel_manual_unrollILi128ELi4EZNS0_15gpu_kernel_implIZZZNS0_18lgamma_kernel_cudaERNS_18TensorIteratorBaseEENKUlvE_clEvENKUlvE0_clEvEUlfE_EEvS4_RKT_EUlibE0_EEviT1_, .Lfunc_end144-_ZN2at6native32elementwise_kernel_manual_unrollILi128ELi4EZNS0_15gpu_kernel_implIZZZNS0_18lgamma_kernel_cudaERNS_18TensorIteratorBaseEENKUlvE_clEvENKUlvE0_clEvEUlfE_EEvS4_RKT_EUlibE0_EEviT1_
                                        ; -- End function
	.set _ZN2at6native32elementwise_kernel_manual_unrollILi128ELi4EZNS0_15gpu_kernel_implIZZZNS0_18lgamma_kernel_cudaERNS_18TensorIteratorBaseEENKUlvE_clEvENKUlvE0_clEvEUlfE_EEvS4_RKT_EUlibE0_EEviT1_.num_vgpr, 19
	.set _ZN2at6native32elementwise_kernel_manual_unrollILi128ELi4EZNS0_15gpu_kernel_implIZZZNS0_18lgamma_kernel_cudaERNS_18TensorIteratorBaseEENKUlvE_clEvENKUlvE0_clEvEUlfE_EEvS4_RKT_EUlibE0_EEviT1_.num_agpr, 0
	.set _ZN2at6native32elementwise_kernel_manual_unrollILi128ELi4EZNS0_15gpu_kernel_implIZZZNS0_18lgamma_kernel_cudaERNS_18TensorIteratorBaseEENKUlvE_clEvENKUlvE0_clEvEUlfE_EEvS4_RKT_EUlibE0_EEviT1_.numbered_sgpr, 68
	.set _ZN2at6native32elementwise_kernel_manual_unrollILi128ELi4EZNS0_15gpu_kernel_implIZZZNS0_18lgamma_kernel_cudaERNS_18TensorIteratorBaseEENKUlvE_clEvENKUlvE0_clEvEUlfE_EEvS4_RKT_EUlibE0_EEviT1_.num_named_barrier, 0
	.set _ZN2at6native32elementwise_kernel_manual_unrollILi128ELi4EZNS0_15gpu_kernel_implIZZZNS0_18lgamma_kernel_cudaERNS_18TensorIteratorBaseEENKUlvE_clEvENKUlvE0_clEvEUlfE_EEvS4_RKT_EUlibE0_EEviT1_.private_seg_size, 0
	.set _ZN2at6native32elementwise_kernel_manual_unrollILi128ELi4EZNS0_15gpu_kernel_implIZZZNS0_18lgamma_kernel_cudaERNS_18TensorIteratorBaseEENKUlvE_clEvENKUlvE0_clEvEUlfE_EEvS4_RKT_EUlibE0_EEviT1_.uses_vcc, 1
	.set _ZN2at6native32elementwise_kernel_manual_unrollILi128ELi4EZNS0_15gpu_kernel_implIZZZNS0_18lgamma_kernel_cudaERNS_18TensorIteratorBaseEENKUlvE_clEvENKUlvE0_clEvEUlfE_EEvS4_RKT_EUlibE0_EEviT1_.uses_flat_scratch, 0
	.set _ZN2at6native32elementwise_kernel_manual_unrollILi128ELi4EZNS0_15gpu_kernel_implIZZZNS0_18lgamma_kernel_cudaERNS_18TensorIteratorBaseEENKUlvE_clEvENKUlvE0_clEvEUlfE_EEvS4_RKT_EUlibE0_EEviT1_.has_dyn_sized_stack, 0
	.set _ZN2at6native32elementwise_kernel_manual_unrollILi128ELi4EZNS0_15gpu_kernel_implIZZZNS0_18lgamma_kernel_cudaERNS_18TensorIteratorBaseEENKUlvE_clEvENKUlvE0_clEvEUlfE_EEvS4_RKT_EUlibE0_EEviT1_.has_recursion, 0
	.set _ZN2at6native32elementwise_kernel_manual_unrollILi128ELi4EZNS0_15gpu_kernel_implIZZZNS0_18lgamma_kernel_cudaERNS_18TensorIteratorBaseEENKUlvE_clEvENKUlvE0_clEvEUlfE_EEvS4_RKT_EUlibE0_EEviT1_.has_indirect_call, 0
	.section	.AMDGPU.csdata,"",@progbits
; Kernel info:
; codeLenInByte = 55072
; TotalNumSgprs: 70
; NumVgprs: 19
; ScratchSize: 0
; MemoryBound: 1
; FloatMode: 240
; IeeeMode: 1
; LDSByteSize: 0 bytes/workgroup (compile time only)
; SGPRBlocks: 0
; VGPRBlocks: 2
; NumSGPRsForWavesPerEU: 70
; NumVGPRsForWavesPerEU: 19
; Occupancy: 16
; WaveLimiterHint : 1
; COMPUTE_PGM_RSRC2:SCRATCH_EN: 0
; COMPUTE_PGM_RSRC2:USER_SGPR: 6
; COMPUTE_PGM_RSRC2:TRAP_HANDLER: 0
; COMPUTE_PGM_RSRC2:TGID_X_EN: 1
; COMPUTE_PGM_RSRC2:TGID_Y_EN: 0
; COMPUTE_PGM_RSRC2:TGID_Z_EN: 0
; COMPUTE_PGM_RSRC2:TIDIG_COMP_CNT: 0
	.text
	.p2align	2                               ; -- Begin function _ZN2at6native25elementwise_kernel_helperILb0EZZZNS0_18lgamma_kernel_cudaERNS_18TensorIteratorBaseEENKUlvE_clEvENKUlvE1_clEvEUlN3c104HalfEE_NS0_6memory8policies11unroll_baseILi256ESt5arrayIPcLm2EE23TrivialOffsetCalculatorILi1EjESG_NS9_15LoadWithoutCastENS9_16StoreWithoutCastELi8ELi1EEEEEvT0_T1_
	.type	_ZN2at6native25elementwise_kernel_helperILb0EZZZNS0_18lgamma_kernel_cudaERNS_18TensorIteratorBaseEENKUlvE_clEvENKUlvE1_clEvEUlN3c104HalfEE_NS0_6memory8policies11unroll_baseILi256ESt5arrayIPcLm2EE23TrivialOffsetCalculatorILi1EjESG_NS9_15LoadWithoutCastENS9_16StoreWithoutCastELi8ELi1EEEEEvT0_T1_,@function
_ZN2at6native25elementwise_kernel_helperILb0EZZZNS0_18lgamma_kernel_cudaERNS_18TensorIteratorBaseEENKUlvE_clEvENKUlvE1_clEvEUlN3c104HalfEE_NS0_6memory8policies11unroll_baseILi256ESt5arrayIPcLm2EE23TrivialOffsetCalculatorILi1EjESG_NS9_15LoadWithoutCastENS9_16StoreWithoutCastELi8ELi1EEEEEvT0_T1_: ; @_ZN2at6native25elementwise_kernel_helperILb0EZZZNS0_18lgamma_kernel_cudaERNS_18TensorIteratorBaseEENKUlvE_clEvENKUlvE1_clEvEUlN3c104HalfEE_NS0_6memory8policies11unroll_baseILi256ESt5arrayIPcLm2EE23TrivialOffsetCalculatorILi1EjESG_NS9_15LoadWithoutCastENS9_16StoreWithoutCastELi8ELi1EEEEEvT0_T1_
; %bb.0:
	s_waitcnt vmcnt(0) expcnt(0) lgkmcnt(0)
	v_and_b32_e32 v7, 0x3ff, v31
	s_lshl_b32 s7, s12, 11
	v_mov_b32_e32 v12, 0
	v_mov_b32_e32 v15, 0
	v_cmp_lt_i32_e32 vcc_lo, v7, v4
	v_or_b32_e32 v5, s7, v7
	v_add_nc_u32_e32 v8, 0x100, v7
	v_mov_b32_e32 v16, v7
	s_and_saveexec_b32 s5, vcc_lo
	s_cbranch_execz .LBB145_2
; %bb.1:
	v_mov_b32_e32 v6, 0
	v_add_nc_u32_e32 v16, 0x100, v7
	v_lshlrev_b64 v[9:10], 1, v[5:6]
	v_add_co_u32 v9, s4, v2, v9
	v_add_co_ci_u32_e64 v10, null, v3, v10, s4
	flat_load_ushort v15, v[9:10]
.LBB145_2:
	s_or_b32 exec_lo, exec_lo, s5
	s_mov_b32 s5, exec_lo
	v_cmpx_lt_i32_e64 v16, v4
	s_cbranch_execz .LBB145_4
; %bb.3:
	v_add_nc_u32_e32 v9, s7, v16
	v_mov_b32_e32 v10, 0
	v_add_nc_u32_e32 v16, 0x100, v16
	v_lshlrev_b64 v[9:10], 1, v[9:10]
	v_add_co_u32 v9, s4, v2, v9
	v_add_co_ci_u32_e64 v10, null, v3, v10, s4
	flat_load_ushort v12, v[9:10]
.LBB145_4:
	s_or_b32 exec_lo, exec_lo, s5
	v_mov_b32_e32 v13, 0
	v_mov_b32_e32 v14, 0
	s_mov_b32 s5, exec_lo
	v_cmpx_lt_i32_e64 v16, v4
	s_cbranch_execz .LBB145_6
; %bb.5:
	v_add_nc_u32_e32 v9, s7, v16
	v_mov_b32_e32 v10, 0
	v_add_nc_u32_e32 v16, 0x100, v16
	v_lshlrev_b64 v[9:10], 1, v[9:10]
	v_add_co_u32 v9, s4, v2, v9
	v_add_co_ci_u32_e64 v10, null, v3, v10, s4
	flat_load_ushort v14, v[9:10]
.LBB145_6:
	s_or_b32 exec_lo, exec_lo, s5
	s_mov_b32 s5, exec_lo
	v_cmpx_lt_i32_e64 v16, v4
	s_cbranch_execz .LBB145_8
; %bb.7:
	v_add_nc_u32_e32 v9, s7, v16
	v_mov_b32_e32 v10, 0
	v_add_nc_u32_e32 v16, 0x100, v16
	v_lshlrev_b64 v[9:10], 1, v[9:10]
	v_add_co_u32 v9, s4, v2, v9
	v_add_co_ci_u32_e64 v10, null, v3, v10, s4
	flat_load_ushort v13, v[9:10]
.LBB145_8:
	s_or_b32 exec_lo, exec_lo, s5
	v_mov_b32_e32 v10, 0
	v_mov_b32_e32 v11, 0
	s_mov_b32 s5, exec_lo
	v_cmpx_lt_i32_e64 v16, v4
	s_cbranch_execz .LBB145_10
; %bb.9:
	v_add_nc_u32_e32 v17, s7, v16
	v_mov_b32_e32 v18, 0
	v_add_nc_u32_e32 v16, 0x100, v16
	v_lshlrev_b64 v[17:18], 1, v[17:18]
	v_add_co_u32 v17, s4, v2, v17
	v_add_co_ci_u32_e64 v18, null, v3, v18, s4
	flat_load_ushort v11, v[17:18]
.LBB145_10:
	s_or_b32 exec_lo, exec_lo, s5
	s_mov_b32 s5, exec_lo
	v_cmpx_lt_i32_e64 v16, v4
	s_cbranch_execz .LBB145_12
; %bb.11:
	v_add_nc_u32_e32 v9, s7, v16
	v_mov_b32_e32 v10, 0
	v_add_nc_u32_e32 v16, 0x100, v16
	v_lshlrev_b64 v[9:10], 1, v[9:10]
	v_add_co_u32 v9, s4, v2, v9
	v_add_co_ci_u32_e64 v10, null, v3, v10, s4
	flat_load_ushort v10, v[9:10]
.LBB145_12:
	s_or_b32 exec_lo, exec_lo, s5
	v_mov_b32_e32 v6, 0
	v_mov_b32_e32 v9, 0
	s_mov_b32 s5, exec_lo
	v_cmpx_lt_i32_e64 v16, v4
	s_cbranch_execz .LBB145_16
; %bb.13:
	v_add_nc_u32_e32 v17, s7, v16
	v_mov_b32_e32 v18, 0
	v_add_nc_u32_e32 v16, 0x100, v16
	v_lshlrev_b64 v[17:18], 1, v[17:18]
	v_add_co_u32 v17, s4, v2, v17
	v_add_co_ci_u32_e64 v18, null, v3, v18, s4
	flat_load_ushort v9, v[17:18]
	s_or_b32 exec_lo, exec_lo, s5
	s_mov_b32 s5, exec_lo
	v_cmpx_lt_i32_e64 v16, v4
	s_cbranch_execnz .LBB145_17
.LBB145_14:
	s_or_b32 exec_lo, exec_lo, s5
                                        ; implicit-def: $vgpr2
	s_and_saveexec_b32 s8, vcc_lo
	s_cbranch_execnz .LBB145_18
.LBB145_15:
	s_or_b32 exec_lo, exec_lo, s8
	s_mov_b32 s8, exec_lo
                                        ; implicit-def: $vgpr3
	v_cmpx_lt_i32_e64 v8, v4
	s_cbranch_execz .LBB145_96
	s_branch .LBB145_57
.LBB145_16:
	s_or_b32 exec_lo, exec_lo, s5
	s_mov_b32 s5, exec_lo
	v_cmpx_lt_i32_e64 v16, v4
	s_cbranch_execz .LBB145_14
.LBB145_17:
	v_add_nc_u32_e32 v16, s7, v16
	v_mov_b32_e32 v17, 0
	v_lshlrev_b64 v[16:17], 1, v[16:17]
	v_add_co_u32 v2, s4, v2, v16
	v_add_co_ci_u32_e64 v3, null, v3, v17, s4
	flat_load_ushort v6, v[2:3]
	s_or_b32 exec_lo, exec_lo, s5
                                        ; implicit-def: $vgpr2
	s_and_saveexec_b32 s8, vcc_lo
	s_cbranch_execz .LBB145_15
.LBB145_18:
	s_waitcnt vmcnt(0) lgkmcnt(0)
	v_cvt_f32_f16_e32 v2, v15
                                        ; implicit-def: $vgpr16
	s_mov_b32 s5, exec_lo
	v_and_b32_e32 v3, 0x7fffffff, v2
	v_cmpx_ngt_f32_e64 0x3c800000, |v2|
	s_xor_b32 s6, exec_lo, s5
	s_cbranch_execz .LBB145_48
; %bb.19:
                                        ; implicit-def: $vgpr16
	s_mov_b32 s5, exec_lo
	v_cmpx_nlt_f32_e64 |v2|, 2.0
	s_xor_b32 s9, exec_lo, s5
	s_cbranch_execz .LBB145_29
; %bb.20:
	s_mov_b32 s5, exec_lo
                                        ; implicit-def: $vgpr16
	v_cmpx_ngt_f32_e64 0x41000000, |v2|
	s_xor_b32 s5, exec_lo, s5
	s_cbranch_execz .LBB145_26
; %bb.21:
	s_mov_b32 s10, exec_lo
                                        ; implicit-def: $vgpr16
	v_cmpx_ngt_f32_e64 0x5c800000, |v2|
	s_xor_b32 s10, exec_lo, s10
	s_cbranch_execz .LBB145_23
; %bb.22:
	v_cmp_gt_f32_e64 s11, 0x800000, |v2|
	v_cndmask_b32_e64 v16, 0, 32, s11
	v_ldexp_f32 v16, |v2|, v16
	v_log_f32_e32 v16, v16
	v_mul_f32_e32 v17, 0x3f317217, v16
	v_cmp_gt_f32_e64 s4, 0x7f800000, |v16|
	v_fma_f32 v18, 0x3f317217, v16, -v17
	v_fmamk_f32 v18, v16, 0x3377d1cf, v18
	v_add_f32_e32 v17, v17, v18
	v_cndmask_b32_e64 v16, v16, v17, s4
	v_cndmask_b32_e64 v17, 0, 0x41b17218, s11
	v_sub_f32_e32 v16, v16, v17
	v_fma_f32 v16, |v2|, v16, -|v2|
.LBB145_23:
	s_andn2_saveexec_b32 s10, s10
	s_cbranch_execz .LBB145_25
; %bb.24:
	v_cmp_gt_f32_e64 s11, 0x800000, |v2|
	v_rcp_f32_e64 v17, |v2|
	s_mov_b32 s4, 0xbad5c4e8
	v_cndmask_b32_e64 v16, 0, 32, s11
	v_ldexp_f32 v16, |v2|, v16
	v_mul_f32_e32 v18, v17, v17
	v_log_f32_e32 v16, v16
	v_fmaak_f32 v20, s4, v18, 0x3a5b3dd2
	v_fmaak_f32 v20, v18, v20, 0xba1c065c
	v_mul_f32_e32 v19, 0x3f317217, v16
	v_fmaak_f32 v20, v18, v20, 0x3a500cfd
	v_cmp_gt_f32_e64 s4, 0x7f800000, |v16|
	v_fma_f32 v21, 0x3f317217, v16, -v19
	v_fmaak_f32 v20, v18, v20, 0xbb360b61
	v_fmamk_f32 v21, v16, 0x3377d1cf, v21
	v_fmaak_f32 v18, v18, v20, 0x3daaaaab
	v_add_f32_e32 v19, v19, v21
	v_cndmask_b32_e64 v16, v16, v19, s4
	v_cndmask_b32_e64 v19, 0, 0x41b17218, s11
	v_sub_f32_e32 v19, v16, v19
	v_fmaak_f32 v16, v17, v18, 0x3ed67f1d
	v_add_f32_e64 v17, |v2|, -0.5
	v_add_f32_e32 v18, -1.0, v19
	v_fmac_f32_e32 v16, v17, v18
.LBB145_25:
	s_or_b32 exec_lo, exec_lo, s10
.LBB145_26:
	s_andn2_saveexec_b32 s10, s5
	s_cbranch_execz .LBB145_28
; %bb.27:
	v_cvt_i32_f32_e32 v16, v3
	s_mov_b32 s5, 0x3805ff67
	v_cvt_f32_i32_e32 v17, v16
	v_cmp_lt_i32_e64 s4, 2, v16
	v_sub_f32_e64 v17, |v2|, v17
	v_add_f32_e32 v18, 2.0, v17
	v_add_f32_e32 v19, 0x40400000, v17
	v_add_f32_e32 v20, 4.0, v17
	v_add_f32_e32 v21, 0x40a00000, v17
	v_cndmask_b32_e64 v18, 1.0, v18, s4
	v_cmp_lt_i32_e64 s4, 3, v16
	v_cndmask_b32_e64 v19, 1.0, v19, s4
	v_cmp_lt_i32_e64 s4, 4, v16
	v_mul_f32_e32 v18, v18, v19
	v_cndmask_b32_e64 v20, 1.0, v20, s4
	v_cmp_lt_i32_e64 s4, 5, v16
	v_add_f32_e32 v19, 0x40c00000, v17
	v_mul_f32_e32 v18, v20, v18
	v_cndmask_b32_e64 v21, 1.0, v21, s4
	v_cmp_lt_i32_e64 s4, 6, v16
	v_fmaak_f32 v20, s5, v17, 0x3af135b4
	v_mul_f32_e32 v18, v21, v18
	v_cndmask_b32_e64 v16, 1.0, v19, s4
	s_mov_b32 s4, 0x36f5d7bd
	v_mul_f32_e32 v16, v16, v18
	v_fmaak_f32 v18, s4, v17, 0x3a4beed6
	v_cmp_gt_f32_e64 s4, 0x800000, v16
	v_fmaak_f32 v18, v17, v18, 0x3c98bf54
	v_cndmask_b32_e64 v19, 0, 32, s4
	v_fmaak_f32 v18, v17, v18, 0x3e300f6e
	v_ldexp_f32 v16, v16, v19
	v_fmaak_f32 v19, v17, v20, 0x3cda40e4
	v_fmaak_f32 v18, v17, v18, 0x3f38d0c5
	v_log_f32_e32 v16, v16
	v_fmaak_f32 v19, v17, v19, 0x3e15dce6
	v_fmaak_f32 v18, v17, v18, 0x3fb22d3b
	;; [unrolled: 1-line block ×3, first 2 shown]
	v_fma_f32 v18, v17, v18, 1.0
	v_mul_f32_e32 v20, 0x3f317217, v16
	v_fmaak_f32 v19, v17, v19, 0x3e5c245a
	v_rcp_f32_e32 v18, v18
	v_cmp_gt_f32_e64 s5, 0x7f800000, |v16|
	v_fma_f32 v21, 0x3f317217, v16, -v20
	v_fmaak_f32 v19, v17, v19, 0xbd9e233f
	v_fmamk_f32 v21, v16, 0x3377d1cf, v21
	v_mul_f32_e32 v19, v17, v19
	v_add_f32_e32 v20, v20, v21
	v_mul_f32_e32 v18, v19, v18
	v_cndmask_b32_e64 v19, 0, 0x41b17218, s4
	v_cndmask_b32_e64 v16, v16, v20, s5
	v_fmac_f32_e32 v18, 0.5, v17
	v_sub_f32_e32 v16, v16, v19
	v_add_f32_e32 v16, v16, v18
.LBB145_28:
	s_or_b32 exec_lo, exec_lo, s10
.LBB145_29:
	s_andn2_saveexec_b32 s9, s9
	s_cbranch_execz .LBB145_47
; %bb.30:
                                        ; implicit-def: $vgpr16
                                        ; implicit-def: $vgpr18
                                        ; implicit-def: $vgpr17
	s_mov_b32 s5, exec_lo
	v_cmpx_ge_f32_e64 0x3f666666, |v2|
	s_xor_b32 s10, exec_lo, s5
	s_cbranch_execz .LBB145_32
; %bb.31:
	v_cmp_gt_f32_e64 s5, 0x800000, |v2|
	v_sub_f32_e64 v19, 1.0, |v2|
	v_cmp_gt_f32_e64 s4, 0x3f3b4a23, |v2|
	v_cndmask_b32_e64 v16, 0, 32, s5
	v_cndmask_b32_e64 v20, 0, 0x41b17218, s5
	v_ldexp_f32 v16, |v2|, v16
	v_log_f32_e32 v16, v16
	v_mul_f32_e32 v17, 0x3f317217, v16
	v_cmp_gt_f32_e64 s5, 0x7f800000, |v16|
	v_fma_f32 v18, 0x3f317217, v16, -v17
	v_fmamk_f32 v18, v16, 0x3377d1cf, v18
	v_add_f32_e32 v17, v17, v18
	v_add_f32_e64 v18, 0xbeec5b0c, |v2|
	v_cndmask_b32_e64 v16, v16, v17, s5
	v_cndmask_b32_e64 v17, v19, v18, s4
	;; [unrolled: 1-line block ×3, first 2 shown]
	v_cmp_gt_f32_e64 s4, 0x3e6d3309, |v2|
	v_sub_f32_e32 v16, v16, v20
	v_cndmask_b32_e64 v17, v17, |v2|, s4
	v_cndmask_b32_e64 v18, v18, 2, s4
	v_xor_b32_e32 v16, 0x80000000, v16
.LBB145_32:
	s_andn2_saveexec_b32 s5, s10
	s_cbranch_execz .LBB145_34
; %bb.33:
	v_sub_f32_e64 v16, 2.0, |v2|
	v_add_f32_e64 v17, 0xbfbb16c3, |v2|
	v_cmp_gt_f32_e64 s4, 0x3fdda512, |v2|
	v_add_f32_e64 v18, |v2|, -1.0
	v_cndmask_b32_e64 v17, v16, v17, s4
	v_cndmask_b32_e64 v16, v16, 1.0, s4
	v_cmp_gt_f32_e64 s4, 0x3f9d70a4, |v2|
	v_cvt_i32_f32_e32 v16, v16
	v_cndmask_b32_e64 v17, v17, v18, s4
	v_cndmask_b32_e64 v18, v16, 2, s4
	v_mov_b32_e32 v16, 0
.LBB145_34:
	s_or_b32 exec_lo, exec_lo, s5
	s_mov_b32 s5, exec_lo
	v_cmpx_lt_i32_e32 0, v18
	s_xor_b32 s5, exec_lo, s5
	s_cbranch_execz .LBB145_42
; %bb.35:
	s_mov_b32 s10, exec_lo
	v_cmpx_lt_i32_e32 1, v18
	s_xor_b32 s10, exec_lo, s10
	s_cbranch_execz .LBB145_39
; %bb.36:
	s_mov_b32 s11, exec_lo
	v_cmpx_eq_u32_e32 2, v18
	s_cbranch_execz .LBB145_38
; %bb.37:
	s_mov_b32 s4, 0x3b52d5db
	v_fmaak_f32 v18, s4, v17, 0x3dd572af
	s_mov_b32 s4, 0x3c5b3c5e
	v_fmaak_f32 v19, s4, v17, 0x3e6a7578
	v_fmaak_f32 v18, v17, v18, 0x3f44efdf
	;; [unrolled: 1-line block ×7, first 2 shown]
	v_fma_f32 v18, v17, v18, 1.0
	v_fmaak_f32 v19, v17, v19, 0xbd9e233f
	v_rcp_f32_e32 v18, v18
	v_mul_f32_e32 v19, v17, v19
	v_mul_f32_e32 v18, v19, v18
	v_fmac_f32_e32 v18, -0.5, v17
	v_add_f32_e32 v16, v16, v18
.LBB145_38:
	s_or_b32 exec_lo, exec_lo, s11
                                        ; implicit-def: $vgpr17
.LBB145_39:
	s_andn2_saveexec_b32 s4, s10
	s_cbranch_execz .LBB145_41
; %bb.40:
	v_mul_f32_e32 v18, v17, v17
	s_mov_b32 s10, 0xb9a3f927
	s_mov_b32 s11, 0x39afe9f7
	v_mul_f32_e32 v19, v17, v18
	v_fmaak_f32 v20, s10, v19, 0x3a66f867
	v_fmaak_f32 v21, s11, v19, 0xba0d3085
	s_mov_b32 s10, 0x39a57b6b
	v_fmaak_f32 v22, s10, v19, 0xbab7f476
	v_fmaak_f32 v20, v19, v20, 0xbb7177fe
	;; [unrolled: 1-line block ×9, first 2 shown]
	v_fmac_f32_e32 v20, v17, v21
	v_fmaak_f32 v17, v19, v22, 0x3ef7b95e
	v_fma_f32 v19, v19, -v20, 0xa2863e55
	v_fma_f32 v17, v18, v17, -v19
	v_add_f32_e32 v17, 0xbdf8cdce, v17
	v_add_f32_e32 v16, v16, v17
.LBB145_41:
	s_or_b32 exec_lo, exec_lo, s4
                                        ; implicit-def: $vgpr18
                                        ; implicit-def: $vgpr17
.LBB145_42:
	s_andn2_saveexec_b32 s5, s5
	s_cbranch_execz .LBB145_46
; %bb.43:
	s_mov_b32 s10, exec_lo
	v_cmpx_eq_u32_e32 0, v18
	s_cbranch_execz .LBB145_45
; %bb.44:
	v_mul_f32_e32 v18, v17, v17
	s_mov_b32 s4, 0x383c2c75
	v_fmaak_f32 v19, s4, v18, 0x38e28445
	s_mov_b32 s4, 0x37d383a2
	v_fmaak_f32 v20, s4, v18, 0x39679767
	v_fmaak_f32 v19, v18, v19, 0x3a05b634
	;; [unrolled: 1-line block ×9, first 2 shown]
	v_mul_f32_e32 v18, v18, v19
	v_fmac_f32_e32 v18, v17, v20
	v_fmac_f32_e32 v18, -0.5, v17
	v_add_f32_e32 v16, v16, v18
.LBB145_45:
	s_or_b32 exec_lo, exec_lo, s10
.LBB145_46:
	s_or_b32 exec_lo, exec_lo, s5
.LBB145_47:
	s_or_b32 exec_lo, exec_lo, s9
.LBB145_48:
	s_andn2_saveexec_b32 s5, s6
	s_cbranch_execz .LBB145_50
; %bb.49:
	v_cmp_gt_f32_e64 s6, 0x800000, |v2|
	s_mov_b32 s4, 0x3e8a8991
	v_fma_f32 v19, |v2|, s4, 0xbecd26ab
	v_cndmask_b32_e64 v16, 0, 32, s6
	v_ldexp_f32 v16, |v2|, v16
	v_log_f32_e32 v16, v16
	v_mul_f32_e32 v17, 0x3f317217, v16
	v_cmp_gt_f32_e64 s4, 0x7f800000, |v16|
	v_fma_f32 v18, 0x3f317217, v16, -v17
	v_fmamk_f32 v18, v16, 0x3377d1cf, v18
	v_add_f32_e32 v17, v17, v18
	v_fma_f32 v18, |v2|, v19, 0x3f528d33
	v_cndmask_b32_e64 v16, v16, v17, s4
	v_cndmask_b32_e64 v17, 0, 0x41b17218, s6
	v_fma_f32 v18, |v2|, v18, 0xbf13c468
	v_sub_f32_e32 v16, v16, v17
	v_fma_f32 v16, |v2|, v18, -v16
.LBB145_50:
	s_or_b32 exec_lo, exec_lo, s5
	v_cmp_le_f16_e64 s4, 0, v15
	s_mov_b32 s6, exec_lo
	v_cmpx_nle_f16_e32 0, v15
	s_xor_b32 s9, exec_lo, s6
	s_cbranch_execz .LBB145_54
; %bb.51:
	v_cmp_gt_f32_e64 s5, 0x4b000000, |v2|
	v_cmp_lt_f32_e64 s6, 0x35000000, |v2|
	s_and_b32 s5, s5, s6
	s_and_saveexec_b32 s10, s5
	s_cbranch_execz .LBB145_53
; %bb.52:
	v_mul_f32_e64 v17, |v2|, 0.5
	s_mov_b32 s6, 0x3d4be544
	v_xor_b32_e32 v3, v3, v2
	v_floor_f32_e32 v18, v17
	v_cmp_neq_f32_e64 s5, 0x7f800000, v17
	v_sub_f32_e32 v18, v17, v18
	v_min_f32_e32 v18, 0x3f7fffff, v18
	v_add_f32_e32 v18, v18, v18
	v_cndmask_b32_e64 v17, 0, v18, s5
	v_cmp_gt_f32_e64 s5, |v2|, 1.0
	v_cndmask_b32_e64 v17, |v2|, v17, s5
	s_mov_b32 s5, 0x3e75aa41
	v_add_f32_e32 v18, v17, v17
	v_rndne_f32_e32 v18, v18
	v_fmac_f32_e32 v17, -0.5, v18
	v_cvt_i32_f32_e32 v18, v18
	v_mul_f32_e32 v19, v17, v17
	v_fmaak_f32 v20, s5, v19, 0xbf1f24be
	v_fmaak_f32 v21, s6, v19, 0x3e642e9d
	v_mul_f32_e32 v22, v17, v19
	v_fmaak_f32 v20, v19, v20, 0x40234736
	v_fmaak_f32 v21, v19, v21, 0xbfaad1da
	;; [unrolled: 1-line block ×4, first 2 shown]
	v_mul_f32_e32 v20, v22, v20
	v_fmaak_f32 v21, v19, v21, 0xc09de9e6
	v_and_b32_e32 v22, 1, v18
	v_lshlrev_b32_e32 v18, 30, v18
	v_fmamk_f32 v17, v17, 0x40490fdb, v20
	v_fma_f32 v19, v19, v21, 1.0
	v_cmp_eq_u32_e64 s5, 0, v22
	v_and_b32_e32 v18, 0x80000000, v18
	v_cndmask_b32_e64 v17, v19, v17, s5
	v_xor3_b32 v3, v3, v18, v17
	v_mul_f32_e32 v3, v2, v3
	v_frexp_mant_f32_e64 v17, |v3|
	v_frexp_exp_i32_f32_e32 v3, v3
	v_rcp_f32_e32 v17, v17
	v_sub_nc_u32_e32 v3, 2, v3
	v_mul_f32_e32 v17, 0x3f490fdb, v17
	v_ldexp_f32 v3, v17, v3
	v_cmp_gt_f32_e64 s5, 0x800000, v3
	v_cndmask_b32_e64 v17, 0, 32, s5
	v_ldexp_f32 v3, v3, v17
	v_log_f32_e32 v3, v3
	v_mul_f32_e32 v17, 0x3f317217, v3
	v_cmp_gt_f32_e64 s6, 0x7f800000, |v3|
	v_fma_f32 v18, 0x3f317217, v3, -v17
	v_fmamk_f32 v18, v3, 0x3377d1cf, v18
	v_add_f32_e32 v17, v17, v18
	v_floor_f32_e32 v18, v2
	v_cndmask_b32_e64 v3, v3, v17, s6
	v_cndmask_b32_e64 v17, 0, 0x41b17218, s5
	v_sub_f32_e32 v18, v2, v18
	v_sub_f32_e32 v3, v3, v17
	v_min_f32_e32 v17, 0x3f7fffff, v18
	v_sub_f32_e32 v3, v3, v16
	v_cmp_neq_f32_e64 s5, 0, v17
	v_cndmask_b32_e64 v16, 0x7f800000, v3, s5
.LBB145_53:
	s_or_b32 exec_lo, exec_lo, s10
.LBB145_54:
	s_andn2_saveexec_b32 s9, s9
; %bb.55:
	v_cmp_eq_f16_e64 s5, 1.0, v15
	v_cmp_eq_f16_e64 s6, 2.0, v15
	s_or_b32 s5, s5, s6
	v_cndmask_b32_e64 v16, v16, 0, s5
; %bb.56:
	s_or_b32 exec_lo, exec_lo, s9
	v_cmp_gt_f32_e64 s5, 0x4b000000, |v2|
	v_cvt_f16_f32_e32 v3, v16
	s_or_b32 s4, s4, s5
	v_cndmask_b32_e64 v3, 0x7c00, v3, s4
	v_cmp_class_f32_e64 s4, v2, 0x264
	v_cndmask_b32_e64 v2, v3, 0x7c00, s4
	v_cmp_u_f16_e64 s4, v15, v15
	v_cndmask_b32_e64 v2, v2, v15, s4
	s_or_b32 exec_lo, exec_lo, s8
	s_mov_b32 s8, exec_lo
                                        ; implicit-def: $vgpr3
	v_cmpx_lt_i32_e64 v8, v4
	s_cbranch_execz .LBB145_96
.LBB145_57:
	s_waitcnt vmcnt(0) lgkmcnt(0)
	v_cvt_f32_f16_e32 v3, v12
                                        ; implicit-def: $vgpr16
	s_mov_b32 s5, exec_lo
	v_and_b32_e32 v15, 0x7fffffff, v3
	v_cmpx_ngt_f32_e64 0x3c800000, |v3|
	s_xor_b32 s6, exec_lo, s5
	s_cbranch_execz .LBB145_87
; %bb.58:
                                        ; implicit-def: $vgpr16
	s_mov_b32 s5, exec_lo
	v_cmpx_nlt_f32_e64 |v3|, 2.0
	s_xor_b32 s9, exec_lo, s5
	s_cbranch_execz .LBB145_68
; %bb.59:
	s_mov_b32 s5, exec_lo
                                        ; implicit-def: $vgpr16
	v_cmpx_ngt_f32_e64 0x41000000, |v3|
	s_xor_b32 s5, exec_lo, s5
	s_cbranch_execz .LBB145_65
; %bb.60:
	s_mov_b32 s10, exec_lo
                                        ; implicit-def: $vgpr16
	v_cmpx_ngt_f32_e64 0x5c800000, |v3|
	s_xor_b32 s10, exec_lo, s10
	s_cbranch_execz .LBB145_62
; %bb.61:
	v_cmp_gt_f32_e64 s11, 0x800000, |v3|
	v_cndmask_b32_e64 v16, 0, 32, s11
	v_ldexp_f32 v16, |v3|, v16
	v_log_f32_e32 v16, v16
	v_mul_f32_e32 v17, 0x3f317217, v16
	v_cmp_gt_f32_e64 s4, 0x7f800000, |v16|
	v_fma_f32 v18, 0x3f317217, v16, -v17
	v_fmamk_f32 v18, v16, 0x3377d1cf, v18
	v_add_f32_e32 v17, v17, v18
	v_cndmask_b32_e64 v16, v16, v17, s4
	v_cndmask_b32_e64 v17, 0, 0x41b17218, s11
	v_sub_f32_e32 v16, v16, v17
	v_fma_f32 v16, |v3|, v16, -|v3|
.LBB145_62:
	s_andn2_saveexec_b32 s10, s10
	s_cbranch_execz .LBB145_64
; %bb.63:
	v_cmp_gt_f32_e64 s11, 0x800000, |v3|
	v_rcp_f32_e64 v17, |v3|
	s_mov_b32 s4, 0xbad5c4e8
	v_cndmask_b32_e64 v16, 0, 32, s11
	v_ldexp_f32 v16, |v3|, v16
	v_mul_f32_e32 v18, v17, v17
	v_log_f32_e32 v16, v16
	v_fmaak_f32 v20, s4, v18, 0x3a5b3dd2
	v_fmaak_f32 v20, v18, v20, 0xba1c065c
	v_mul_f32_e32 v19, 0x3f317217, v16
	v_fmaak_f32 v20, v18, v20, 0x3a500cfd
	v_cmp_gt_f32_e64 s4, 0x7f800000, |v16|
	v_fma_f32 v21, 0x3f317217, v16, -v19
	v_fmaak_f32 v20, v18, v20, 0xbb360b61
	v_fmamk_f32 v21, v16, 0x3377d1cf, v21
	v_fmaak_f32 v18, v18, v20, 0x3daaaaab
	v_add_f32_e32 v19, v19, v21
	v_cndmask_b32_e64 v16, v16, v19, s4
	v_cndmask_b32_e64 v19, 0, 0x41b17218, s11
	v_sub_f32_e32 v19, v16, v19
	v_fmaak_f32 v16, v17, v18, 0x3ed67f1d
	v_add_f32_e64 v17, |v3|, -0.5
	v_add_f32_e32 v18, -1.0, v19
	v_fmac_f32_e32 v16, v17, v18
.LBB145_64:
	s_or_b32 exec_lo, exec_lo, s10
.LBB145_65:
	s_andn2_saveexec_b32 s10, s5
	s_cbranch_execz .LBB145_67
; %bb.66:
	v_cvt_i32_f32_e32 v16, v15
	s_mov_b32 s5, 0x3805ff67
	v_cvt_f32_i32_e32 v17, v16
	v_cmp_lt_i32_e64 s4, 2, v16
	v_sub_f32_e64 v17, |v3|, v17
	v_add_f32_e32 v18, 2.0, v17
	v_add_f32_e32 v19, 0x40400000, v17
	v_add_f32_e32 v20, 4.0, v17
	v_add_f32_e32 v21, 0x40a00000, v17
	v_cndmask_b32_e64 v18, 1.0, v18, s4
	v_cmp_lt_i32_e64 s4, 3, v16
	v_cndmask_b32_e64 v19, 1.0, v19, s4
	v_cmp_lt_i32_e64 s4, 4, v16
	v_mul_f32_e32 v18, v18, v19
	v_cndmask_b32_e64 v20, 1.0, v20, s4
	v_cmp_lt_i32_e64 s4, 5, v16
	v_add_f32_e32 v19, 0x40c00000, v17
	v_mul_f32_e32 v18, v20, v18
	v_cndmask_b32_e64 v21, 1.0, v21, s4
	v_cmp_lt_i32_e64 s4, 6, v16
	v_fmaak_f32 v20, s5, v17, 0x3af135b4
	v_mul_f32_e32 v18, v21, v18
	v_cndmask_b32_e64 v16, 1.0, v19, s4
	s_mov_b32 s4, 0x36f5d7bd
	v_mul_f32_e32 v16, v16, v18
	v_fmaak_f32 v18, s4, v17, 0x3a4beed6
	v_cmp_gt_f32_e64 s4, 0x800000, v16
	v_fmaak_f32 v18, v17, v18, 0x3c98bf54
	v_cndmask_b32_e64 v19, 0, 32, s4
	v_fmaak_f32 v18, v17, v18, 0x3e300f6e
	v_ldexp_f32 v16, v16, v19
	v_fmaak_f32 v19, v17, v20, 0x3cda40e4
	v_fmaak_f32 v18, v17, v18, 0x3f38d0c5
	v_log_f32_e32 v16, v16
	v_fmaak_f32 v19, v17, v19, 0x3e15dce6
	v_fmaak_f32 v18, v17, v18, 0x3fb22d3b
	;; [unrolled: 1-line block ×3, first 2 shown]
	v_fma_f32 v18, v17, v18, 1.0
	v_mul_f32_e32 v20, 0x3f317217, v16
	v_fmaak_f32 v19, v17, v19, 0x3e5c245a
	v_rcp_f32_e32 v18, v18
	v_cmp_gt_f32_e64 s5, 0x7f800000, |v16|
	v_fma_f32 v21, 0x3f317217, v16, -v20
	v_fmaak_f32 v19, v17, v19, 0xbd9e233f
	v_fmamk_f32 v21, v16, 0x3377d1cf, v21
	v_mul_f32_e32 v19, v17, v19
	v_add_f32_e32 v20, v20, v21
	v_mul_f32_e32 v18, v19, v18
	v_cndmask_b32_e64 v19, 0, 0x41b17218, s4
	v_cndmask_b32_e64 v16, v16, v20, s5
	v_fmac_f32_e32 v18, 0.5, v17
	v_sub_f32_e32 v16, v16, v19
	v_add_f32_e32 v16, v16, v18
.LBB145_67:
	s_or_b32 exec_lo, exec_lo, s10
.LBB145_68:
	s_andn2_saveexec_b32 s9, s9
	s_cbranch_execz .LBB145_86
; %bb.69:
                                        ; implicit-def: $vgpr16
                                        ; implicit-def: $vgpr18
                                        ; implicit-def: $vgpr17
	s_mov_b32 s5, exec_lo
	v_cmpx_ge_f32_e64 0x3f666666, |v3|
	s_xor_b32 s10, exec_lo, s5
	s_cbranch_execz .LBB145_71
; %bb.70:
	v_cmp_gt_f32_e64 s5, 0x800000, |v3|
	v_sub_f32_e64 v19, 1.0, |v3|
	v_cmp_gt_f32_e64 s4, 0x3f3b4a23, |v3|
	v_cndmask_b32_e64 v16, 0, 32, s5
	v_cndmask_b32_e64 v20, 0, 0x41b17218, s5
	v_ldexp_f32 v16, |v3|, v16
	v_log_f32_e32 v16, v16
	v_mul_f32_e32 v17, 0x3f317217, v16
	v_cmp_gt_f32_e64 s5, 0x7f800000, |v16|
	v_fma_f32 v18, 0x3f317217, v16, -v17
	v_fmamk_f32 v18, v16, 0x3377d1cf, v18
	v_add_f32_e32 v17, v17, v18
	v_add_f32_e64 v18, 0xbeec5b0c, |v3|
	v_cndmask_b32_e64 v16, v16, v17, s5
	v_cndmask_b32_e64 v17, v19, v18, s4
	;; [unrolled: 1-line block ×3, first 2 shown]
	v_cmp_gt_f32_e64 s4, 0x3e6d3309, |v3|
	v_sub_f32_e32 v16, v16, v20
	v_cndmask_b32_e64 v17, v17, |v3|, s4
	v_cndmask_b32_e64 v18, v18, 2, s4
	v_xor_b32_e32 v16, 0x80000000, v16
.LBB145_71:
	s_andn2_saveexec_b32 s5, s10
	s_cbranch_execz .LBB145_73
; %bb.72:
	v_sub_f32_e64 v16, 2.0, |v3|
	v_add_f32_e64 v17, 0xbfbb16c3, |v3|
	v_cmp_gt_f32_e64 s4, 0x3fdda512, |v3|
	v_add_f32_e64 v18, |v3|, -1.0
	v_cndmask_b32_e64 v17, v16, v17, s4
	v_cndmask_b32_e64 v16, v16, 1.0, s4
	v_cmp_gt_f32_e64 s4, 0x3f9d70a4, |v3|
	v_cvt_i32_f32_e32 v16, v16
	v_cndmask_b32_e64 v17, v17, v18, s4
	v_cndmask_b32_e64 v18, v16, 2, s4
	v_mov_b32_e32 v16, 0
.LBB145_73:
	s_or_b32 exec_lo, exec_lo, s5
	s_mov_b32 s5, exec_lo
	v_cmpx_lt_i32_e32 0, v18
	s_xor_b32 s5, exec_lo, s5
	s_cbranch_execz .LBB145_81
; %bb.74:
	s_mov_b32 s10, exec_lo
	v_cmpx_lt_i32_e32 1, v18
	s_xor_b32 s10, exec_lo, s10
	s_cbranch_execz .LBB145_78
; %bb.75:
	s_mov_b32 s11, exec_lo
	v_cmpx_eq_u32_e32 2, v18
	s_cbranch_execz .LBB145_77
; %bb.76:
	s_mov_b32 s4, 0x3b52d5db
	v_fmaak_f32 v18, s4, v17, 0x3dd572af
	s_mov_b32 s4, 0x3c5b3c5e
	v_fmaak_f32 v19, s4, v17, 0x3e6a7578
	v_fmaak_f32 v18, v17, v18, 0x3f44efdf
	;; [unrolled: 1-line block ×7, first 2 shown]
	v_fma_f32 v18, v17, v18, 1.0
	v_fmaak_f32 v19, v17, v19, 0xbd9e233f
	v_rcp_f32_e32 v18, v18
	v_mul_f32_e32 v19, v17, v19
	v_mul_f32_e32 v18, v19, v18
	v_fmac_f32_e32 v18, -0.5, v17
	v_add_f32_e32 v16, v16, v18
.LBB145_77:
	s_or_b32 exec_lo, exec_lo, s11
                                        ; implicit-def: $vgpr17
.LBB145_78:
	s_andn2_saveexec_b32 s4, s10
	s_cbranch_execz .LBB145_80
; %bb.79:
	v_mul_f32_e32 v18, v17, v17
	s_mov_b32 s10, 0xb9a3f927
	s_mov_b32 s11, 0x39afe9f7
	v_mul_f32_e32 v19, v17, v18
	v_fmaak_f32 v20, s10, v19, 0x3a66f867
	v_fmaak_f32 v21, s11, v19, 0xba0d3085
	s_mov_b32 s10, 0x39a57b6b
	v_fmaak_f32 v22, s10, v19, 0xbab7f476
	v_fmaak_f32 v20, v19, v20, 0xbb7177fe
	;; [unrolled: 1-line block ×9, first 2 shown]
	v_fmac_f32_e32 v20, v17, v21
	v_fmaak_f32 v17, v19, v22, 0x3ef7b95e
	v_fma_f32 v19, v19, -v20, 0xa2863e55
	v_fma_f32 v17, v18, v17, -v19
	v_add_f32_e32 v17, 0xbdf8cdce, v17
	v_add_f32_e32 v16, v16, v17
.LBB145_80:
	s_or_b32 exec_lo, exec_lo, s4
                                        ; implicit-def: $vgpr18
                                        ; implicit-def: $vgpr17
.LBB145_81:
	s_andn2_saveexec_b32 s5, s5
	s_cbranch_execz .LBB145_85
; %bb.82:
	s_mov_b32 s10, exec_lo
	v_cmpx_eq_u32_e32 0, v18
	s_cbranch_execz .LBB145_84
; %bb.83:
	v_mul_f32_e32 v18, v17, v17
	s_mov_b32 s4, 0x383c2c75
	v_fmaak_f32 v19, s4, v18, 0x38e28445
	s_mov_b32 s4, 0x37d383a2
	v_fmaak_f32 v20, s4, v18, 0x39679767
	v_fmaak_f32 v19, v18, v19, 0x3a05b634
	;; [unrolled: 1-line block ×9, first 2 shown]
	v_mul_f32_e32 v18, v18, v19
	v_fmac_f32_e32 v18, v17, v20
	v_fmac_f32_e32 v18, -0.5, v17
	v_add_f32_e32 v16, v16, v18
.LBB145_84:
	s_or_b32 exec_lo, exec_lo, s10
.LBB145_85:
	s_or_b32 exec_lo, exec_lo, s5
.LBB145_86:
	s_or_b32 exec_lo, exec_lo, s9
.LBB145_87:
	s_andn2_saveexec_b32 s5, s6
	s_cbranch_execz .LBB145_89
; %bb.88:
	v_cmp_gt_f32_e64 s6, 0x800000, |v3|
	s_mov_b32 s4, 0x3e8a8991
	v_fma_f32 v19, |v3|, s4, 0xbecd26ab
	v_cndmask_b32_e64 v16, 0, 32, s6
	v_ldexp_f32 v16, |v3|, v16
	v_log_f32_e32 v16, v16
	v_mul_f32_e32 v17, 0x3f317217, v16
	v_cmp_gt_f32_e64 s4, 0x7f800000, |v16|
	v_fma_f32 v18, 0x3f317217, v16, -v17
	v_fmamk_f32 v18, v16, 0x3377d1cf, v18
	v_add_f32_e32 v17, v17, v18
	v_fma_f32 v18, |v3|, v19, 0x3f528d33
	v_cndmask_b32_e64 v16, v16, v17, s4
	v_cndmask_b32_e64 v17, 0, 0x41b17218, s6
	v_fma_f32 v18, |v3|, v18, 0xbf13c468
	v_sub_f32_e32 v16, v16, v17
	v_fma_f32 v16, |v3|, v18, -v16
.LBB145_89:
	s_or_b32 exec_lo, exec_lo, s5
	v_cmp_le_f16_e64 s4, 0, v12
	s_mov_b32 s6, exec_lo
	v_cmpx_nle_f16_e32 0, v12
	s_xor_b32 s9, exec_lo, s6
	s_cbranch_execz .LBB145_93
; %bb.90:
	v_cmp_gt_f32_e64 s5, 0x4b000000, |v3|
	v_cmp_lt_f32_e64 s6, 0x35000000, |v3|
	s_and_b32 s5, s5, s6
	s_and_saveexec_b32 s10, s5
	s_cbranch_execz .LBB145_92
; %bb.91:
	v_mul_f32_e64 v17, |v3|, 0.5
	s_mov_b32 s6, 0x3d4be544
	v_xor_b32_e32 v15, v15, v3
	v_floor_f32_e32 v18, v17
	v_cmp_neq_f32_e64 s5, 0x7f800000, v17
	v_sub_f32_e32 v18, v17, v18
	v_min_f32_e32 v18, 0x3f7fffff, v18
	v_add_f32_e32 v18, v18, v18
	v_cndmask_b32_e64 v17, 0, v18, s5
	v_cmp_gt_f32_e64 s5, |v3|, 1.0
	v_cndmask_b32_e64 v17, |v3|, v17, s5
	s_mov_b32 s5, 0x3e75aa41
	v_add_f32_e32 v18, v17, v17
	v_rndne_f32_e32 v18, v18
	v_fmac_f32_e32 v17, -0.5, v18
	v_cvt_i32_f32_e32 v18, v18
	v_mul_f32_e32 v19, v17, v17
	v_fmaak_f32 v20, s5, v19, 0xbf1f24be
	v_fmaak_f32 v21, s6, v19, 0x3e642e9d
	v_mul_f32_e32 v22, v17, v19
	v_fmaak_f32 v20, v19, v20, 0x40234736
	v_fmaak_f32 v21, v19, v21, 0xbfaad1da
	;; [unrolled: 1-line block ×4, first 2 shown]
	v_mul_f32_e32 v20, v22, v20
	v_fmaak_f32 v21, v19, v21, 0xc09de9e6
	v_and_b32_e32 v22, 1, v18
	v_lshlrev_b32_e32 v18, 30, v18
	v_fmamk_f32 v17, v17, 0x40490fdb, v20
	v_fma_f32 v19, v19, v21, 1.0
	v_cmp_eq_u32_e64 s5, 0, v22
	v_and_b32_e32 v18, 0x80000000, v18
	v_cndmask_b32_e64 v17, v19, v17, s5
	v_xor3_b32 v15, v15, v18, v17
	v_mul_f32_e32 v15, v3, v15
	v_frexp_mant_f32_e64 v17, |v15|
	v_frexp_exp_i32_f32_e32 v15, v15
	v_rcp_f32_e32 v17, v17
	v_sub_nc_u32_e32 v15, 2, v15
	v_mul_f32_e32 v17, 0x3f490fdb, v17
	v_ldexp_f32 v15, v17, v15
	v_cmp_gt_f32_e64 s5, 0x800000, v15
	v_cndmask_b32_e64 v17, 0, 32, s5
	v_ldexp_f32 v15, v15, v17
	v_log_f32_e32 v15, v15
	v_mul_f32_e32 v17, 0x3f317217, v15
	v_cmp_gt_f32_e64 s6, 0x7f800000, |v15|
	v_fma_f32 v18, 0x3f317217, v15, -v17
	v_fmamk_f32 v18, v15, 0x3377d1cf, v18
	v_add_f32_e32 v17, v17, v18
	v_floor_f32_e32 v18, v3
	v_cndmask_b32_e64 v15, v15, v17, s6
	v_cndmask_b32_e64 v17, 0, 0x41b17218, s5
	v_sub_f32_e32 v18, v3, v18
	v_sub_f32_e32 v15, v15, v17
	v_min_f32_e32 v17, 0x3f7fffff, v18
	v_sub_f32_e32 v15, v15, v16
	v_cmp_neq_f32_e64 s5, 0, v17
	v_cndmask_b32_e64 v16, 0x7f800000, v15, s5
.LBB145_92:
	s_or_b32 exec_lo, exec_lo, s10
.LBB145_93:
	s_andn2_saveexec_b32 s9, s9
; %bb.94:
	v_cmp_eq_f16_e64 s5, 1.0, v12
	v_cmp_eq_f16_e64 s6, 2.0, v12
	s_or_b32 s5, s5, s6
	v_cndmask_b32_e64 v16, v16, 0, s5
; %bb.95:
	s_or_b32 exec_lo, exec_lo, s9
	v_cmp_gt_f32_e64 s5, 0x4b000000, |v3|
	v_cvt_f16_f32_e32 v15, v16
	s_or_b32 s4, s4, s5
	v_cndmask_b32_e64 v15, 0x7c00, v15, s4
	v_cmp_class_f32_e64 s4, v3, 0x264
	v_cndmask_b32_e64 v3, v15, 0x7c00, s4
	v_cmp_u_f16_e64 s4, v12, v12
	v_cndmask_b32_e64 v3, v3, v12, s4
.LBB145_96:
	s_or_b32 exec_lo, exec_lo, s8
	s_waitcnt vmcnt(0) lgkmcnt(0)
	v_add_nc_u32_e32 v12, 0x200, v7
	v_cmp_lt_i32_e64 s4, v12, v4
                                        ; implicit-def: $vgpr12
	s_and_saveexec_b32 s8, s4
	s_cbranch_execz .LBB145_136
; %bb.97:
	v_cvt_f32_f16_e32 v12, v14
                                        ; implicit-def: $vgpr16
	s_mov_b32 s5, exec_lo
	v_and_b32_e32 v15, 0x7fffffff, v12
	v_cmpx_ngt_f32_e64 0x3c800000, |v12|
	s_xor_b32 s6, exec_lo, s5
	s_cbranch_execz .LBB145_127
; %bb.98:
                                        ; implicit-def: $vgpr16
	s_mov_b32 s5, exec_lo
	v_cmpx_nlt_f32_e64 |v12|, 2.0
	s_xor_b32 s9, exec_lo, s5
	s_cbranch_execz .LBB145_108
; %bb.99:
	s_mov_b32 s5, exec_lo
                                        ; implicit-def: $vgpr16
	v_cmpx_ngt_f32_e64 0x41000000, |v12|
	s_xor_b32 s5, exec_lo, s5
	s_cbranch_execz .LBB145_105
; %bb.100:
	s_mov_b32 s10, exec_lo
                                        ; implicit-def: $vgpr16
	v_cmpx_ngt_f32_e64 0x5c800000, |v12|
	s_xor_b32 s10, exec_lo, s10
	s_cbranch_execz .LBB145_102
; %bb.101:
	v_cmp_gt_f32_e64 s11, 0x800000, |v12|
	v_cndmask_b32_e64 v16, 0, 32, s11
	v_ldexp_f32 v16, |v12|, v16
	v_log_f32_e32 v16, v16
	v_mul_f32_e32 v17, 0x3f317217, v16
	v_cmp_gt_f32_e64 s4, 0x7f800000, |v16|
	v_fma_f32 v18, 0x3f317217, v16, -v17
	v_fmamk_f32 v18, v16, 0x3377d1cf, v18
	v_add_f32_e32 v17, v17, v18
	v_cndmask_b32_e64 v16, v16, v17, s4
	v_cndmask_b32_e64 v17, 0, 0x41b17218, s11
	v_sub_f32_e32 v16, v16, v17
	v_fma_f32 v16, |v12|, v16, -|v12|
.LBB145_102:
	s_andn2_saveexec_b32 s10, s10
	s_cbranch_execz .LBB145_104
; %bb.103:
	v_cmp_gt_f32_e64 s11, 0x800000, |v12|
	v_rcp_f32_e64 v17, |v12|
	s_mov_b32 s4, 0xbad5c4e8
	v_cndmask_b32_e64 v16, 0, 32, s11
	v_ldexp_f32 v16, |v12|, v16
	v_mul_f32_e32 v18, v17, v17
	v_log_f32_e32 v16, v16
	v_fmaak_f32 v20, s4, v18, 0x3a5b3dd2
	v_fmaak_f32 v20, v18, v20, 0xba1c065c
	v_mul_f32_e32 v19, 0x3f317217, v16
	v_fmaak_f32 v20, v18, v20, 0x3a500cfd
	v_cmp_gt_f32_e64 s4, 0x7f800000, |v16|
	v_fma_f32 v21, 0x3f317217, v16, -v19
	v_fmaak_f32 v20, v18, v20, 0xbb360b61
	v_fmamk_f32 v21, v16, 0x3377d1cf, v21
	v_fmaak_f32 v18, v18, v20, 0x3daaaaab
	v_add_f32_e32 v19, v19, v21
	v_cndmask_b32_e64 v16, v16, v19, s4
	v_cndmask_b32_e64 v19, 0, 0x41b17218, s11
	v_sub_f32_e32 v19, v16, v19
	v_fmaak_f32 v16, v17, v18, 0x3ed67f1d
	v_add_f32_e64 v17, |v12|, -0.5
	v_add_f32_e32 v18, -1.0, v19
	v_fmac_f32_e32 v16, v17, v18
.LBB145_104:
	s_or_b32 exec_lo, exec_lo, s10
.LBB145_105:
	s_andn2_saveexec_b32 s10, s5
	s_cbranch_execz .LBB145_107
; %bb.106:
	v_cvt_i32_f32_e32 v16, v15
	s_mov_b32 s5, 0x3805ff67
	v_cvt_f32_i32_e32 v17, v16
	v_cmp_lt_i32_e64 s4, 2, v16
	v_sub_f32_e64 v17, |v12|, v17
	v_add_f32_e32 v18, 2.0, v17
	v_add_f32_e32 v19, 0x40400000, v17
	v_add_f32_e32 v20, 4.0, v17
	v_add_f32_e32 v21, 0x40a00000, v17
	v_cndmask_b32_e64 v18, 1.0, v18, s4
	v_cmp_lt_i32_e64 s4, 3, v16
	v_cndmask_b32_e64 v19, 1.0, v19, s4
	v_cmp_lt_i32_e64 s4, 4, v16
	v_mul_f32_e32 v18, v18, v19
	v_cndmask_b32_e64 v20, 1.0, v20, s4
	v_cmp_lt_i32_e64 s4, 5, v16
	v_add_f32_e32 v19, 0x40c00000, v17
	v_mul_f32_e32 v18, v20, v18
	v_cndmask_b32_e64 v21, 1.0, v21, s4
	v_cmp_lt_i32_e64 s4, 6, v16
	v_fmaak_f32 v20, s5, v17, 0x3af135b4
	v_mul_f32_e32 v18, v21, v18
	v_cndmask_b32_e64 v16, 1.0, v19, s4
	s_mov_b32 s4, 0x36f5d7bd
	v_mul_f32_e32 v16, v16, v18
	v_fmaak_f32 v18, s4, v17, 0x3a4beed6
	v_cmp_gt_f32_e64 s4, 0x800000, v16
	v_fmaak_f32 v18, v17, v18, 0x3c98bf54
	v_cndmask_b32_e64 v19, 0, 32, s4
	v_fmaak_f32 v18, v17, v18, 0x3e300f6e
	v_ldexp_f32 v16, v16, v19
	v_fmaak_f32 v19, v17, v20, 0x3cda40e4
	v_fmaak_f32 v18, v17, v18, 0x3f38d0c5
	v_log_f32_e32 v16, v16
	v_fmaak_f32 v19, v17, v19, 0x3e15dce6
	v_fmaak_f32 v18, v17, v18, 0x3fb22d3b
	;; [unrolled: 1-line block ×3, first 2 shown]
	v_fma_f32 v18, v17, v18, 1.0
	v_mul_f32_e32 v20, 0x3f317217, v16
	v_fmaak_f32 v19, v17, v19, 0x3e5c245a
	v_rcp_f32_e32 v18, v18
	v_cmp_gt_f32_e64 s5, 0x7f800000, |v16|
	v_fma_f32 v21, 0x3f317217, v16, -v20
	v_fmaak_f32 v19, v17, v19, 0xbd9e233f
	v_fmamk_f32 v21, v16, 0x3377d1cf, v21
	v_mul_f32_e32 v19, v17, v19
	v_add_f32_e32 v20, v20, v21
	v_mul_f32_e32 v18, v19, v18
	v_cndmask_b32_e64 v19, 0, 0x41b17218, s4
	v_cndmask_b32_e64 v16, v16, v20, s5
	v_fmac_f32_e32 v18, 0.5, v17
	v_sub_f32_e32 v16, v16, v19
	v_add_f32_e32 v16, v16, v18
.LBB145_107:
	s_or_b32 exec_lo, exec_lo, s10
.LBB145_108:
	s_andn2_saveexec_b32 s9, s9
	s_cbranch_execz .LBB145_126
; %bb.109:
                                        ; implicit-def: $vgpr16
                                        ; implicit-def: $vgpr18
                                        ; implicit-def: $vgpr17
	s_mov_b32 s5, exec_lo
	v_cmpx_ge_f32_e64 0x3f666666, |v12|
	s_xor_b32 s10, exec_lo, s5
	s_cbranch_execz .LBB145_111
; %bb.110:
	v_cmp_gt_f32_e64 s5, 0x800000, |v12|
	v_sub_f32_e64 v19, 1.0, |v12|
	v_cmp_gt_f32_e64 s4, 0x3f3b4a23, |v12|
	v_cndmask_b32_e64 v16, 0, 32, s5
	v_cndmask_b32_e64 v20, 0, 0x41b17218, s5
	v_ldexp_f32 v16, |v12|, v16
	v_log_f32_e32 v16, v16
	v_mul_f32_e32 v17, 0x3f317217, v16
	v_cmp_gt_f32_e64 s5, 0x7f800000, |v16|
	v_fma_f32 v18, 0x3f317217, v16, -v17
	v_fmamk_f32 v18, v16, 0x3377d1cf, v18
	v_add_f32_e32 v17, v17, v18
	v_add_f32_e64 v18, 0xbeec5b0c, |v12|
	v_cndmask_b32_e64 v16, v16, v17, s5
	v_cndmask_b32_e64 v17, v19, v18, s4
	;; [unrolled: 1-line block ×3, first 2 shown]
	v_cmp_gt_f32_e64 s4, 0x3e6d3309, |v12|
	v_sub_f32_e32 v16, v16, v20
	v_cndmask_b32_e64 v17, v17, |v12|, s4
	v_cndmask_b32_e64 v18, v18, 2, s4
	v_xor_b32_e32 v16, 0x80000000, v16
.LBB145_111:
	s_andn2_saveexec_b32 s5, s10
	s_cbranch_execz .LBB145_113
; %bb.112:
	v_sub_f32_e64 v16, 2.0, |v12|
	v_add_f32_e64 v17, 0xbfbb16c3, |v12|
	v_cmp_gt_f32_e64 s4, 0x3fdda512, |v12|
	v_add_f32_e64 v18, |v12|, -1.0
	v_cndmask_b32_e64 v17, v16, v17, s4
	v_cndmask_b32_e64 v16, v16, 1.0, s4
	v_cmp_gt_f32_e64 s4, 0x3f9d70a4, |v12|
	v_cvt_i32_f32_e32 v16, v16
	v_cndmask_b32_e64 v17, v17, v18, s4
	v_cndmask_b32_e64 v18, v16, 2, s4
	v_mov_b32_e32 v16, 0
.LBB145_113:
	s_or_b32 exec_lo, exec_lo, s5
	s_mov_b32 s5, exec_lo
	v_cmpx_lt_i32_e32 0, v18
	s_xor_b32 s5, exec_lo, s5
	s_cbranch_execz .LBB145_121
; %bb.114:
	s_mov_b32 s10, exec_lo
	v_cmpx_lt_i32_e32 1, v18
	s_xor_b32 s10, exec_lo, s10
	s_cbranch_execz .LBB145_118
; %bb.115:
	s_mov_b32 s11, exec_lo
	v_cmpx_eq_u32_e32 2, v18
	s_cbranch_execz .LBB145_117
; %bb.116:
	s_mov_b32 s4, 0x3b52d5db
	v_fmaak_f32 v18, s4, v17, 0x3dd572af
	s_mov_b32 s4, 0x3c5b3c5e
	v_fmaak_f32 v19, s4, v17, 0x3e6a7578
	v_fmaak_f32 v18, v17, v18, 0x3f44efdf
	;; [unrolled: 1-line block ×7, first 2 shown]
	v_fma_f32 v18, v17, v18, 1.0
	v_fmaak_f32 v19, v17, v19, 0xbd9e233f
	v_rcp_f32_e32 v18, v18
	v_mul_f32_e32 v19, v17, v19
	v_mul_f32_e32 v18, v19, v18
	v_fmac_f32_e32 v18, -0.5, v17
	v_add_f32_e32 v16, v16, v18
.LBB145_117:
	s_or_b32 exec_lo, exec_lo, s11
                                        ; implicit-def: $vgpr17
.LBB145_118:
	s_andn2_saveexec_b32 s4, s10
	s_cbranch_execz .LBB145_120
; %bb.119:
	v_mul_f32_e32 v18, v17, v17
	s_mov_b32 s10, 0xb9a3f927
	s_mov_b32 s11, 0x39afe9f7
	v_mul_f32_e32 v19, v17, v18
	v_fmaak_f32 v20, s10, v19, 0x3a66f867
	v_fmaak_f32 v21, s11, v19, 0xba0d3085
	s_mov_b32 s10, 0x39a57b6b
	v_fmaak_f32 v22, s10, v19, 0xbab7f476
	v_fmaak_f32 v20, v19, v20, 0xbb7177fe
	;; [unrolled: 1-line block ×9, first 2 shown]
	v_fmac_f32_e32 v20, v17, v21
	v_fmaak_f32 v17, v19, v22, 0x3ef7b95e
	v_fma_f32 v19, v19, -v20, 0xa2863e55
	v_fma_f32 v17, v18, v17, -v19
	v_add_f32_e32 v17, 0xbdf8cdce, v17
	v_add_f32_e32 v16, v16, v17
.LBB145_120:
	s_or_b32 exec_lo, exec_lo, s4
                                        ; implicit-def: $vgpr18
                                        ; implicit-def: $vgpr17
.LBB145_121:
	s_andn2_saveexec_b32 s5, s5
	s_cbranch_execz .LBB145_125
; %bb.122:
	s_mov_b32 s10, exec_lo
	v_cmpx_eq_u32_e32 0, v18
	s_cbranch_execz .LBB145_124
; %bb.123:
	v_mul_f32_e32 v18, v17, v17
	s_mov_b32 s4, 0x383c2c75
	v_fmaak_f32 v19, s4, v18, 0x38e28445
	s_mov_b32 s4, 0x37d383a2
	v_fmaak_f32 v20, s4, v18, 0x39679767
	v_fmaak_f32 v19, v18, v19, 0x3a05b634
	;; [unrolled: 1-line block ×9, first 2 shown]
	v_mul_f32_e32 v18, v18, v19
	v_fmac_f32_e32 v18, v17, v20
	v_fmac_f32_e32 v18, -0.5, v17
	v_add_f32_e32 v16, v16, v18
.LBB145_124:
	s_or_b32 exec_lo, exec_lo, s10
.LBB145_125:
	s_or_b32 exec_lo, exec_lo, s5
.LBB145_126:
	s_or_b32 exec_lo, exec_lo, s9
.LBB145_127:
	s_andn2_saveexec_b32 s5, s6
	s_cbranch_execz .LBB145_129
; %bb.128:
	v_cmp_gt_f32_e64 s6, 0x800000, |v12|
	s_mov_b32 s4, 0x3e8a8991
	v_fma_f32 v19, |v12|, s4, 0xbecd26ab
	v_cndmask_b32_e64 v16, 0, 32, s6
	v_ldexp_f32 v16, |v12|, v16
	v_log_f32_e32 v16, v16
	v_mul_f32_e32 v17, 0x3f317217, v16
	v_cmp_gt_f32_e64 s4, 0x7f800000, |v16|
	v_fma_f32 v18, 0x3f317217, v16, -v17
	v_fmamk_f32 v18, v16, 0x3377d1cf, v18
	v_add_f32_e32 v17, v17, v18
	v_fma_f32 v18, |v12|, v19, 0x3f528d33
	v_cndmask_b32_e64 v16, v16, v17, s4
	v_cndmask_b32_e64 v17, 0, 0x41b17218, s6
	v_fma_f32 v18, |v12|, v18, 0xbf13c468
	v_sub_f32_e32 v16, v16, v17
	v_fma_f32 v16, |v12|, v18, -v16
.LBB145_129:
	s_or_b32 exec_lo, exec_lo, s5
	v_cmp_le_f16_e64 s4, 0, v14
	s_mov_b32 s6, exec_lo
	v_cmpx_nle_f16_e32 0, v14
	s_xor_b32 s9, exec_lo, s6
	s_cbranch_execz .LBB145_133
; %bb.130:
	v_cmp_gt_f32_e64 s5, 0x4b000000, |v12|
	v_cmp_lt_f32_e64 s6, 0x35000000, |v12|
	s_and_b32 s5, s5, s6
	s_and_saveexec_b32 s10, s5
	s_cbranch_execz .LBB145_132
; %bb.131:
	v_mul_f32_e64 v17, |v12|, 0.5
	s_mov_b32 s6, 0x3d4be544
	v_xor_b32_e32 v15, v15, v12
	v_floor_f32_e32 v18, v17
	v_cmp_neq_f32_e64 s5, 0x7f800000, v17
	v_sub_f32_e32 v18, v17, v18
	v_min_f32_e32 v18, 0x3f7fffff, v18
	v_add_f32_e32 v18, v18, v18
	v_cndmask_b32_e64 v17, 0, v18, s5
	v_cmp_gt_f32_e64 s5, |v12|, 1.0
	v_cndmask_b32_e64 v17, |v12|, v17, s5
	s_mov_b32 s5, 0x3e75aa41
	v_add_f32_e32 v18, v17, v17
	v_rndne_f32_e32 v18, v18
	v_fmac_f32_e32 v17, -0.5, v18
	v_cvt_i32_f32_e32 v18, v18
	v_mul_f32_e32 v19, v17, v17
	v_fmaak_f32 v20, s5, v19, 0xbf1f24be
	v_fmaak_f32 v21, s6, v19, 0x3e642e9d
	v_mul_f32_e32 v22, v17, v19
	v_fmaak_f32 v20, v19, v20, 0x40234736
	v_fmaak_f32 v21, v19, v21, 0xbfaad1da
	;; [unrolled: 1-line block ×4, first 2 shown]
	v_mul_f32_e32 v20, v22, v20
	v_fmaak_f32 v21, v19, v21, 0xc09de9e6
	v_and_b32_e32 v22, 1, v18
	v_lshlrev_b32_e32 v18, 30, v18
	v_fmamk_f32 v17, v17, 0x40490fdb, v20
	v_fma_f32 v19, v19, v21, 1.0
	v_cmp_eq_u32_e64 s5, 0, v22
	v_and_b32_e32 v18, 0x80000000, v18
	v_cndmask_b32_e64 v17, v19, v17, s5
	v_xor3_b32 v15, v15, v18, v17
	v_mul_f32_e32 v15, v12, v15
	v_frexp_mant_f32_e64 v17, |v15|
	v_frexp_exp_i32_f32_e32 v15, v15
	v_rcp_f32_e32 v17, v17
	v_sub_nc_u32_e32 v15, 2, v15
	v_mul_f32_e32 v17, 0x3f490fdb, v17
	v_ldexp_f32 v15, v17, v15
	v_cmp_gt_f32_e64 s5, 0x800000, v15
	v_cndmask_b32_e64 v17, 0, 32, s5
	v_ldexp_f32 v15, v15, v17
	v_log_f32_e32 v15, v15
	v_mul_f32_e32 v17, 0x3f317217, v15
	v_cmp_gt_f32_e64 s6, 0x7f800000, |v15|
	v_fma_f32 v18, 0x3f317217, v15, -v17
	v_fmamk_f32 v18, v15, 0x3377d1cf, v18
	v_add_f32_e32 v17, v17, v18
	v_floor_f32_e32 v18, v12
	v_cndmask_b32_e64 v15, v15, v17, s6
	v_cndmask_b32_e64 v17, 0, 0x41b17218, s5
	v_sub_f32_e32 v18, v12, v18
	v_sub_f32_e32 v15, v15, v17
	v_min_f32_e32 v17, 0x3f7fffff, v18
	v_sub_f32_e32 v15, v15, v16
	v_cmp_neq_f32_e64 s5, 0, v17
	v_cndmask_b32_e64 v16, 0x7f800000, v15, s5
.LBB145_132:
	s_or_b32 exec_lo, exec_lo, s10
.LBB145_133:
	s_andn2_saveexec_b32 s9, s9
; %bb.134:
	v_cmp_eq_f16_e64 s5, 1.0, v14
	v_cmp_eq_f16_e64 s6, 2.0, v14
	s_or_b32 s5, s5, s6
	v_cndmask_b32_e64 v16, v16, 0, s5
; %bb.135:
	s_or_b32 exec_lo, exec_lo, s9
	v_cmp_gt_f32_e64 s5, 0x4b000000, |v12|
	v_cvt_f16_f32_e32 v15, v16
	s_or_b32 s4, s4, s5
	v_cndmask_b32_e64 v15, 0x7c00, v15, s4
	v_cmp_class_f32_e64 s4, v12, 0x264
	v_cndmask_b32_e64 v12, v15, 0x7c00, s4
	v_cmp_u_f16_e64 s4, v14, v14
	v_cndmask_b32_e64 v12, v12, v14, s4
.LBB145_136:
	s_or_b32 exec_lo, exec_lo, s8
	v_add_nc_u32_e32 v14, 0x300, v7
	v_cmp_lt_i32_e64 s4, v14, v4
                                        ; implicit-def: $vgpr14
	s_and_saveexec_b32 s8, s4
	s_cbranch_execz .LBB145_176
; %bb.137:
	v_cvt_f32_f16_e32 v14, v13
                                        ; implicit-def: $vgpr16
	s_mov_b32 s5, exec_lo
	v_and_b32_e32 v15, 0x7fffffff, v14
	v_cmpx_ngt_f32_e64 0x3c800000, |v14|
	s_xor_b32 s6, exec_lo, s5
	s_cbranch_execz .LBB145_167
; %bb.138:
                                        ; implicit-def: $vgpr16
	s_mov_b32 s5, exec_lo
	v_cmpx_nlt_f32_e64 |v14|, 2.0
	s_xor_b32 s9, exec_lo, s5
	s_cbranch_execz .LBB145_148
; %bb.139:
	s_mov_b32 s5, exec_lo
                                        ; implicit-def: $vgpr16
	v_cmpx_ngt_f32_e64 0x41000000, |v14|
	s_xor_b32 s5, exec_lo, s5
	s_cbranch_execz .LBB145_145
; %bb.140:
	s_mov_b32 s10, exec_lo
                                        ; implicit-def: $vgpr16
	v_cmpx_ngt_f32_e64 0x5c800000, |v14|
	s_xor_b32 s10, exec_lo, s10
	s_cbranch_execz .LBB145_142
; %bb.141:
	v_cmp_gt_f32_e64 s11, 0x800000, |v14|
	v_cndmask_b32_e64 v16, 0, 32, s11
	v_ldexp_f32 v16, |v14|, v16
	v_log_f32_e32 v16, v16
	v_mul_f32_e32 v17, 0x3f317217, v16
	v_cmp_gt_f32_e64 s4, 0x7f800000, |v16|
	v_fma_f32 v18, 0x3f317217, v16, -v17
	v_fmamk_f32 v18, v16, 0x3377d1cf, v18
	v_add_f32_e32 v17, v17, v18
	v_cndmask_b32_e64 v16, v16, v17, s4
	v_cndmask_b32_e64 v17, 0, 0x41b17218, s11
	v_sub_f32_e32 v16, v16, v17
	v_fma_f32 v16, |v14|, v16, -|v14|
.LBB145_142:
	s_andn2_saveexec_b32 s10, s10
	s_cbranch_execz .LBB145_144
; %bb.143:
	v_cmp_gt_f32_e64 s11, 0x800000, |v14|
	v_rcp_f32_e64 v17, |v14|
	s_mov_b32 s4, 0xbad5c4e8
	v_cndmask_b32_e64 v16, 0, 32, s11
	v_ldexp_f32 v16, |v14|, v16
	v_mul_f32_e32 v18, v17, v17
	v_log_f32_e32 v16, v16
	v_fmaak_f32 v20, s4, v18, 0x3a5b3dd2
	v_fmaak_f32 v20, v18, v20, 0xba1c065c
	v_mul_f32_e32 v19, 0x3f317217, v16
	v_fmaak_f32 v20, v18, v20, 0x3a500cfd
	v_cmp_gt_f32_e64 s4, 0x7f800000, |v16|
	v_fma_f32 v21, 0x3f317217, v16, -v19
	v_fmaak_f32 v20, v18, v20, 0xbb360b61
	v_fmamk_f32 v21, v16, 0x3377d1cf, v21
	v_fmaak_f32 v18, v18, v20, 0x3daaaaab
	v_add_f32_e32 v19, v19, v21
	v_cndmask_b32_e64 v16, v16, v19, s4
	v_cndmask_b32_e64 v19, 0, 0x41b17218, s11
	v_sub_f32_e32 v19, v16, v19
	v_fmaak_f32 v16, v17, v18, 0x3ed67f1d
	v_add_f32_e64 v17, |v14|, -0.5
	v_add_f32_e32 v18, -1.0, v19
	v_fmac_f32_e32 v16, v17, v18
.LBB145_144:
	s_or_b32 exec_lo, exec_lo, s10
.LBB145_145:
	s_andn2_saveexec_b32 s10, s5
	s_cbranch_execz .LBB145_147
; %bb.146:
	v_cvt_i32_f32_e32 v16, v15
	s_mov_b32 s5, 0x3805ff67
	v_cvt_f32_i32_e32 v17, v16
	v_cmp_lt_i32_e64 s4, 2, v16
	v_sub_f32_e64 v17, |v14|, v17
	v_add_f32_e32 v18, 2.0, v17
	v_add_f32_e32 v19, 0x40400000, v17
	v_add_f32_e32 v20, 4.0, v17
	v_add_f32_e32 v21, 0x40a00000, v17
	v_cndmask_b32_e64 v18, 1.0, v18, s4
	v_cmp_lt_i32_e64 s4, 3, v16
	v_cndmask_b32_e64 v19, 1.0, v19, s4
	v_cmp_lt_i32_e64 s4, 4, v16
	v_mul_f32_e32 v18, v18, v19
	v_cndmask_b32_e64 v20, 1.0, v20, s4
	v_cmp_lt_i32_e64 s4, 5, v16
	v_add_f32_e32 v19, 0x40c00000, v17
	v_mul_f32_e32 v18, v20, v18
	v_cndmask_b32_e64 v21, 1.0, v21, s4
	v_cmp_lt_i32_e64 s4, 6, v16
	v_fmaak_f32 v20, s5, v17, 0x3af135b4
	v_mul_f32_e32 v18, v21, v18
	v_cndmask_b32_e64 v16, 1.0, v19, s4
	s_mov_b32 s4, 0x36f5d7bd
	v_mul_f32_e32 v16, v16, v18
	v_fmaak_f32 v18, s4, v17, 0x3a4beed6
	v_cmp_gt_f32_e64 s4, 0x800000, v16
	v_fmaak_f32 v18, v17, v18, 0x3c98bf54
	v_cndmask_b32_e64 v19, 0, 32, s4
	v_fmaak_f32 v18, v17, v18, 0x3e300f6e
	v_ldexp_f32 v16, v16, v19
	v_fmaak_f32 v19, v17, v20, 0x3cda40e4
	v_fmaak_f32 v18, v17, v18, 0x3f38d0c5
	v_log_f32_e32 v16, v16
	v_fmaak_f32 v19, v17, v19, 0x3e15dce6
	v_fmaak_f32 v18, v17, v18, 0x3fb22d3b
	;; [unrolled: 1-line block ×3, first 2 shown]
	v_fma_f32 v18, v17, v18, 1.0
	v_mul_f32_e32 v20, 0x3f317217, v16
	v_fmaak_f32 v19, v17, v19, 0x3e5c245a
	v_rcp_f32_e32 v18, v18
	v_cmp_gt_f32_e64 s5, 0x7f800000, |v16|
	v_fma_f32 v21, 0x3f317217, v16, -v20
	v_fmaak_f32 v19, v17, v19, 0xbd9e233f
	v_fmamk_f32 v21, v16, 0x3377d1cf, v21
	v_mul_f32_e32 v19, v17, v19
	v_add_f32_e32 v20, v20, v21
	v_mul_f32_e32 v18, v19, v18
	v_cndmask_b32_e64 v19, 0, 0x41b17218, s4
	v_cndmask_b32_e64 v16, v16, v20, s5
	v_fmac_f32_e32 v18, 0.5, v17
	v_sub_f32_e32 v16, v16, v19
	v_add_f32_e32 v16, v16, v18
.LBB145_147:
	s_or_b32 exec_lo, exec_lo, s10
.LBB145_148:
	s_andn2_saveexec_b32 s9, s9
	s_cbranch_execz .LBB145_166
; %bb.149:
                                        ; implicit-def: $vgpr16
                                        ; implicit-def: $vgpr18
                                        ; implicit-def: $vgpr17
	s_mov_b32 s5, exec_lo
	v_cmpx_ge_f32_e64 0x3f666666, |v14|
	s_xor_b32 s10, exec_lo, s5
	s_cbranch_execz .LBB145_151
; %bb.150:
	v_cmp_gt_f32_e64 s5, 0x800000, |v14|
	v_sub_f32_e64 v19, 1.0, |v14|
	v_cmp_gt_f32_e64 s4, 0x3f3b4a23, |v14|
	v_cndmask_b32_e64 v16, 0, 32, s5
	v_cndmask_b32_e64 v20, 0, 0x41b17218, s5
	v_ldexp_f32 v16, |v14|, v16
	v_log_f32_e32 v16, v16
	v_mul_f32_e32 v17, 0x3f317217, v16
	v_cmp_gt_f32_e64 s5, 0x7f800000, |v16|
	v_fma_f32 v18, 0x3f317217, v16, -v17
	v_fmamk_f32 v18, v16, 0x3377d1cf, v18
	v_add_f32_e32 v17, v17, v18
	v_add_f32_e64 v18, 0xbeec5b0c, |v14|
	v_cndmask_b32_e64 v16, v16, v17, s5
	v_cndmask_b32_e64 v17, v19, v18, s4
	;; [unrolled: 1-line block ×3, first 2 shown]
	v_cmp_gt_f32_e64 s4, 0x3e6d3309, |v14|
	v_sub_f32_e32 v16, v16, v20
	v_cndmask_b32_e64 v17, v17, |v14|, s4
	v_cndmask_b32_e64 v18, v18, 2, s4
	v_xor_b32_e32 v16, 0x80000000, v16
.LBB145_151:
	s_andn2_saveexec_b32 s5, s10
	s_cbranch_execz .LBB145_153
; %bb.152:
	v_sub_f32_e64 v16, 2.0, |v14|
	v_add_f32_e64 v17, 0xbfbb16c3, |v14|
	v_cmp_gt_f32_e64 s4, 0x3fdda512, |v14|
	v_add_f32_e64 v18, |v14|, -1.0
	v_cndmask_b32_e64 v17, v16, v17, s4
	v_cndmask_b32_e64 v16, v16, 1.0, s4
	v_cmp_gt_f32_e64 s4, 0x3f9d70a4, |v14|
	v_cvt_i32_f32_e32 v16, v16
	v_cndmask_b32_e64 v17, v17, v18, s4
	v_cndmask_b32_e64 v18, v16, 2, s4
	v_mov_b32_e32 v16, 0
.LBB145_153:
	s_or_b32 exec_lo, exec_lo, s5
	s_mov_b32 s5, exec_lo
	v_cmpx_lt_i32_e32 0, v18
	s_xor_b32 s5, exec_lo, s5
	s_cbranch_execz .LBB145_161
; %bb.154:
	s_mov_b32 s10, exec_lo
	v_cmpx_lt_i32_e32 1, v18
	s_xor_b32 s10, exec_lo, s10
	s_cbranch_execz .LBB145_158
; %bb.155:
	s_mov_b32 s11, exec_lo
	v_cmpx_eq_u32_e32 2, v18
	s_cbranch_execz .LBB145_157
; %bb.156:
	s_mov_b32 s4, 0x3b52d5db
	v_fmaak_f32 v18, s4, v17, 0x3dd572af
	s_mov_b32 s4, 0x3c5b3c5e
	v_fmaak_f32 v19, s4, v17, 0x3e6a7578
	v_fmaak_f32 v18, v17, v18, 0x3f44efdf
	;; [unrolled: 1-line block ×7, first 2 shown]
	v_fma_f32 v18, v17, v18, 1.0
	v_fmaak_f32 v19, v17, v19, 0xbd9e233f
	v_rcp_f32_e32 v18, v18
	v_mul_f32_e32 v19, v17, v19
	v_mul_f32_e32 v18, v19, v18
	v_fmac_f32_e32 v18, -0.5, v17
	v_add_f32_e32 v16, v16, v18
.LBB145_157:
	s_or_b32 exec_lo, exec_lo, s11
                                        ; implicit-def: $vgpr17
.LBB145_158:
	s_andn2_saveexec_b32 s4, s10
	s_cbranch_execz .LBB145_160
; %bb.159:
	v_mul_f32_e32 v18, v17, v17
	s_mov_b32 s10, 0xb9a3f927
	s_mov_b32 s11, 0x39afe9f7
	v_mul_f32_e32 v19, v17, v18
	v_fmaak_f32 v20, s10, v19, 0x3a66f867
	v_fmaak_f32 v21, s11, v19, 0xba0d3085
	s_mov_b32 s10, 0x39a57b6b
	v_fmaak_f32 v22, s10, v19, 0xbab7f476
	v_fmaak_f32 v20, v19, v20, 0xbb7177fe
	;; [unrolled: 1-line block ×9, first 2 shown]
	v_fmac_f32_e32 v20, v17, v21
	v_fmaak_f32 v17, v19, v22, 0x3ef7b95e
	v_fma_f32 v19, v19, -v20, 0xa2863e55
	v_fma_f32 v17, v18, v17, -v19
	v_add_f32_e32 v17, 0xbdf8cdce, v17
	v_add_f32_e32 v16, v16, v17
.LBB145_160:
	s_or_b32 exec_lo, exec_lo, s4
                                        ; implicit-def: $vgpr18
                                        ; implicit-def: $vgpr17
.LBB145_161:
	s_andn2_saveexec_b32 s5, s5
	s_cbranch_execz .LBB145_165
; %bb.162:
	s_mov_b32 s10, exec_lo
	v_cmpx_eq_u32_e32 0, v18
	s_cbranch_execz .LBB145_164
; %bb.163:
	v_mul_f32_e32 v18, v17, v17
	s_mov_b32 s4, 0x383c2c75
	v_fmaak_f32 v19, s4, v18, 0x38e28445
	s_mov_b32 s4, 0x37d383a2
	v_fmaak_f32 v20, s4, v18, 0x39679767
	v_fmaak_f32 v19, v18, v19, 0x3a05b634
	;; [unrolled: 1-line block ×9, first 2 shown]
	v_mul_f32_e32 v18, v18, v19
	v_fmac_f32_e32 v18, v17, v20
	v_fmac_f32_e32 v18, -0.5, v17
	v_add_f32_e32 v16, v16, v18
.LBB145_164:
	s_or_b32 exec_lo, exec_lo, s10
.LBB145_165:
	s_or_b32 exec_lo, exec_lo, s5
.LBB145_166:
	s_or_b32 exec_lo, exec_lo, s9
.LBB145_167:
	s_andn2_saveexec_b32 s5, s6
	s_cbranch_execz .LBB145_169
; %bb.168:
	v_cmp_gt_f32_e64 s6, 0x800000, |v14|
	s_mov_b32 s4, 0x3e8a8991
	v_fma_f32 v19, |v14|, s4, 0xbecd26ab
	v_cndmask_b32_e64 v16, 0, 32, s6
	v_ldexp_f32 v16, |v14|, v16
	v_log_f32_e32 v16, v16
	v_mul_f32_e32 v17, 0x3f317217, v16
	v_cmp_gt_f32_e64 s4, 0x7f800000, |v16|
	v_fma_f32 v18, 0x3f317217, v16, -v17
	v_fmamk_f32 v18, v16, 0x3377d1cf, v18
	v_add_f32_e32 v17, v17, v18
	v_fma_f32 v18, |v14|, v19, 0x3f528d33
	v_cndmask_b32_e64 v16, v16, v17, s4
	v_cndmask_b32_e64 v17, 0, 0x41b17218, s6
	v_fma_f32 v18, |v14|, v18, 0xbf13c468
	v_sub_f32_e32 v16, v16, v17
	v_fma_f32 v16, |v14|, v18, -v16
.LBB145_169:
	s_or_b32 exec_lo, exec_lo, s5
	v_cmp_le_f16_e64 s4, 0, v13
	s_mov_b32 s6, exec_lo
	v_cmpx_nle_f16_e32 0, v13
	s_xor_b32 s9, exec_lo, s6
	s_cbranch_execz .LBB145_173
; %bb.170:
	v_cmp_gt_f32_e64 s5, 0x4b000000, |v14|
	v_cmp_lt_f32_e64 s6, 0x35000000, |v14|
	s_and_b32 s5, s5, s6
	s_and_saveexec_b32 s10, s5
	s_cbranch_execz .LBB145_172
; %bb.171:
	v_mul_f32_e64 v17, |v14|, 0.5
	s_mov_b32 s6, 0x3d4be544
	v_xor_b32_e32 v15, v15, v14
	v_floor_f32_e32 v18, v17
	v_cmp_neq_f32_e64 s5, 0x7f800000, v17
	v_sub_f32_e32 v18, v17, v18
	v_min_f32_e32 v18, 0x3f7fffff, v18
	v_add_f32_e32 v18, v18, v18
	v_cndmask_b32_e64 v17, 0, v18, s5
	v_cmp_gt_f32_e64 s5, |v14|, 1.0
	v_cndmask_b32_e64 v17, |v14|, v17, s5
	s_mov_b32 s5, 0x3e75aa41
	v_add_f32_e32 v18, v17, v17
	v_rndne_f32_e32 v18, v18
	v_fmac_f32_e32 v17, -0.5, v18
	v_cvt_i32_f32_e32 v18, v18
	v_mul_f32_e32 v19, v17, v17
	v_fmaak_f32 v20, s5, v19, 0xbf1f24be
	v_fmaak_f32 v21, s6, v19, 0x3e642e9d
	v_mul_f32_e32 v22, v17, v19
	v_fmaak_f32 v20, v19, v20, 0x40234736
	v_fmaak_f32 v21, v19, v21, 0xbfaad1da
	;; [unrolled: 1-line block ×4, first 2 shown]
	v_mul_f32_e32 v20, v22, v20
	v_fmaak_f32 v21, v19, v21, 0xc09de9e6
	v_and_b32_e32 v22, 1, v18
	v_lshlrev_b32_e32 v18, 30, v18
	v_fmamk_f32 v17, v17, 0x40490fdb, v20
	v_fma_f32 v19, v19, v21, 1.0
	v_cmp_eq_u32_e64 s5, 0, v22
	v_and_b32_e32 v18, 0x80000000, v18
	v_cndmask_b32_e64 v17, v19, v17, s5
	v_xor3_b32 v15, v15, v18, v17
	v_mul_f32_e32 v15, v14, v15
	v_frexp_mant_f32_e64 v17, |v15|
	v_frexp_exp_i32_f32_e32 v15, v15
	v_rcp_f32_e32 v17, v17
	v_sub_nc_u32_e32 v15, 2, v15
	v_mul_f32_e32 v17, 0x3f490fdb, v17
	v_ldexp_f32 v15, v17, v15
	v_cmp_gt_f32_e64 s5, 0x800000, v15
	v_cndmask_b32_e64 v17, 0, 32, s5
	v_ldexp_f32 v15, v15, v17
	v_log_f32_e32 v15, v15
	v_mul_f32_e32 v17, 0x3f317217, v15
	v_cmp_gt_f32_e64 s6, 0x7f800000, |v15|
	v_fma_f32 v18, 0x3f317217, v15, -v17
	v_fmamk_f32 v18, v15, 0x3377d1cf, v18
	v_add_f32_e32 v17, v17, v18
	v_floor_f32_e32 v18, v14
	v_cndmask_b32_e64 v15, v15, v17, s6
	v_cndmask_b32_e64 v17, 0, 0x41b17218, s5
	v_sub_f32_e32 v18, v14, v18
	v_sub_f32_e32 v15, v15, v17
	v_min_f32_e32 v17, 0x3f7fffff, v18
	v_sub_f32_e32 v15, v15, v16
	v_cmp_neq_f32_e64 s5, 0, v17
	v_cndmask_b32_e64 v16, 0x7f800000, v15, s5
.LBB145_172:
	s_or_b32 exec_lo, exec_lo, s10
.LBB145_173:
	s_andn2_saveexec_b32 s9, s9
; %bb.174:
	v_cmp_eq_f16_e64 s5, 1.0, v13
	v_cmp_eq_f16_e64 s6, 2.0, v13
	s_or_b32 s5, s5, s6
	v_cndmask_b32_e64 v16, v16, 0, s5
; %bb.175:
	s_or_b32 exec_lo, exec_lo, s9
	v_cmp_gt_f32_e64 s5, 0x4b000000, |v14|
	v_cvt_f16_f32_e32 v15, v16
	s_or_b32 s4, s4, s5
	v_cndmask_b32_e64 v15, 0x7c00, v15, s4
	v_cmp_class_f32_e64 s4, v14, 0x264
	v_cndmask_b32_e64 v14, v15, 0x7c00, s4
	v_cmp_u_f16_e64 s4, v13, v13
	v_cndmask_b32_e64 v14, v14, v13, s4
.LBB145_176:
	s_or_b32 exec_lo, exec_lo, s8
	v_or_b32_e32 v13, 0x400, v7
	v_cmp_lt_i32_e64 s4, v13, v4
                                        ; implicit-def: $vgpr13
	s_and_saveexec_b32 s8, s4
	s_cbranch_execz .LBB145_216
; %bb.177:
	v_cvt_f32_f16_e32 v13, v11
                                        ; implicit-def: $vgpr16
	s_mov_b32 s5, exec_lo
	v_and_b32_e32 v15, 0x7fffffff, v13
	v_cmpx_ngt_f32_e64 0x3c800000, |v13|
	s_xor_b32 s6, exec_lo, s5
	s_cbranch_execz .LBB145_207
; %bb.178:
                                        ; implicit-def: $vgpr16
	s_mov_b32 s5, exec_lo
	v_cmpx_nlt_f32_e64 |v13|, 2.0
	s_xor_b32 s9, exec_lo, s5
	s_cbranch_execz .LBB145_188
; %bb.179:
	s_mov_b32 s5, exec_lo
                                        ; implicit-def: $vgpr16
	v_cmpx_ngt_f32_e64 0x41000000, |v13|
	s_xor_b32 s5, exec_lo, s5
	s_cbranch_execz .LBB145_185
; %bb.180:
	s_mov_b32 s10, exec_lo
                                        ; implicit-def: $vgpr16
	v_cmpx_ngt_f32_e64 0x5c800000, |v13|
	s_xor_b32 s10, exec_lo, s10
	s_cbranch_execz .LBB145_182
; %bb.181:
	v_cmp_gt_f32_e64 s11, 0x800000, |v13|
	v_cndmask_b32_e64 v16, 0, 32, s11
	v_ldexp_f32 v16, |v13|, v16
	v_log_f32_e32 v16, v16
	v_mul_f32_e32 v17, 0x3f317217, v16
	v_cmp_gt_f32_e64 s4, 0x7f800000, |v16|
	v_fma_f32 v18, 0x3f317217, v16, -v17
	v_fmamk_f32 v18, v16, 0x3377d1cf, v18
	v_add_f32_e32 v17, v17, v18
	v_cndmask_b32_e64 v16, v16, v17, s4
	v_cndmask_b32_e64 v17, 0, 0x41b17218, s11
	v_sub_f32_e32 v16, v16, v17
	v_fma_f32 v16, |v13|, v16, -|v13|
.LBB145_182:
	s_andn2_saveexec_b32 s10, s10
	s_cbranch_execz .LBB145_184
; %bb.183:
	v_cmp_gt_f32_e64 s11, 0x800000, |v13|
	v_rcp_f32_e64 v17, |v13|
	s_mov_b32 s4, 0xbad5c4e8
	v_cndmask_b32_e64 v16, 0, 32, s11
	v_ldexp_f32 v16, |v13|, v16
	v_mul_f32_e32 v18, v17, v17
	v_log_f32_e32 v16, v16
	v_fmaak_f32 v20, s4, v18, 0x3a5b3dd2
	v_fmaak_f32 v20, v18, v20, 0xba1c065c
	v_mul_f32_e32 v19, 0x3f317217, v16
	v_fmaak_f32 v20, v18, v20, 0x3a500cfd
	v_cmp_gt_f32_e64 s4, 0x7f800000, |v16|
	v_fma_f32 v21, 0x3f317217, v16, -v19
	v_fmaak_f32 v20, v18, v20, 0xbb360b61
	v_fmamk_f32 v21, v16, 0x3377d1cf, v21
	v_fmaak_f32 v18, v18, v20, 0x3daaaaab
	v_add_f32_e32 v19, v19, v21
	v_cndmask_b32_e64 v16, v16, v19, s4
	v_cndmask_b32_e64 v19, 0, 0x41b17218, s11
	v_sub_f32_e32 v19, v16, v19
	v_fmaak_f32 v16, v17, v18, 0x3ed67f1d
	v_add_f32_e64 v17, |v13|, -0.5
	v_add_f32_e32 v18, -1.0, v19
	v_fmac_f32_e32 v16, v17, v18
.LBB145_184:
	s_or_b32 exec_lo, exec_lo, s10
.LBB145_185:
	s_andn2_saveexec_b32 s10, s5
	s_cbranch_execz .LBB145_187
; %bb.186:
	v_cvt_i32_f32_e32 v16, v15
	s_mov_b32 s5, 0x3805ff67
	v_cvt_f32_i32_e32 v17, v16
	v_cmp_lt_i32_e64 s4, 2, v16
	v_sub_f32_e64 v17, |v13|, v17
	v_add_f32_e32 v18, 2.0, v17
	v_add_f32_e32 v19, 0x40400000, v17
	v_add_f32_e32 v20, 4.0, v17
	v_add_f32_e32 v21, 0x40a00000, v17
	v_cndmask_b32_e64 v18, 1.0, v18, s4
	v_cmp_lt_i32_e64 s4, 3, v16
	v_cndmask_b32_e64 v19, 1.0, v19, s4
	v_cmp_lt_i32_e64 s4, 4, v16
	v_mul_f32_e32 v18, v18, v19
	v_cndmask_b32_e64 v20, 1.0, v20, s4
	v_cmp_lt_i32_e64 s4, 5, v16
	v_add_f32_e32 v19, 0x40c00000, v17
	v_mul_f32_e32 v18, v20, v18
	v_cndmask_b32_e64 v21, 1.0, v21, s4
	v_cmp_lt_i32_e64 s4, 6, v16
	v_fmaak_f32 v20, s5, v17, 0x3af135b4
	v_mul_f32_e32 v18, v21, v18
	v_cndmask_b32_e64 v16, 1.0, v19, s4
	s_mov_b32 s4, 0x36f5d7bd
	v_mul_f32_e32 v16, v16, v18
	v_fmaak_f32 v18, s4, v17, 0x3a4beed6
	v_cmp_gt_f32_e64 s4, 0x800000, v16
	v_fmaak_f32 v18, v17, v18, 0x3c98bf54
	v_cndmask_b32_e64 v19, 0, 32, s4
	v_fmaak_f32 v18, v17, v18, 0x3e300f6e
	v_ldexp_f32 v16, v16, v19
	v_fmaak_f32 v19, v17, v20, 0x3cda40e4
	v_fmaak_f32 v18, v17, v18, 0x3f38d0c5
	v_log_f32_e32 v16, v16
	v_fmaak_f32 v19, v17, v19, 0x3e15dce6
	v_fmaak_f32 v18, v17, v18, 0x3fb22d3b
	;; [unrolled: 1-line block ×3, first 2 shown]
	v_fma_f32 v18, v17, v18, 1.0
	v_mul_f32_e32 v20, 0x3f317217, v16
	v_fmaak_f32 v19, v17, v19, 0x3e5c245a
	v_rcp_f32_e32 v18, v18
	v_cmp_gt_f32_e64 s5, 0x7f800000, |v16|
	v_fma_f32 v21, 0x3f317217, v16, -v20
	v_fmaak_f32 v19, v17, v19, 0xbd9e233f
	v_fmamk_f32 v21, v16, 0x3377d1cf, v21
	v_mul_f32_e32 v19, v17, v19
	v_add_f32_e32 v20, v20, v21
	v_mul_f32_e32 v18, v19, v18
	v_cndmask_b32_e64 v19, 0, 0x41b17218, s4
	v_cndmask_b32_e64 v16, v16, v20, s5
	v_fmac_f32_e32 v18, 0.5, v17
	v_sub_f32_e32 v16, v16, v19
	v_add_f32_e32 v16, v16, v18
.LBB145_187:
	s_or_b32 exec_lo, exec_lo, s10
.LBB145_188:
	s_andn2_saveexec_b32 s9, s9
	s_cbranch_execz .LBB145_206
; %bb.189:
                                        ; implicit-def: $vgpr16
                                        ; implicit-def: $vgpr18
                                        ; implicit-def: $vgpr17
	s_mov_b32 s5, exec_lo
	v_cmpx_ge_f32_e64 0x3f666666, |v13|
	s_xor_b32 s10, exec_lo, s5
	s_cbranch_execz .LBB145_191
; %bb.190:
	v_cmp_gt_f32_e64 s5, 0x800000, |v13|
	v_sub_f32_e64 v19, 1.0, |v13|
	v_cmp_gt_f32_e64 s4, 0x3f3b4a23, |v13|
	v_cndmask_b32_e64 v16, 0, 32, s5
	v_cndmask_b32_e64 v20, 0, 0x41b17218, s5
	v_ldexp_f32 v16, |v13|, v16
	v_log_f32_e32 v16, v16
	v_mul_f32_e32 v17, 0x3f317217, v16
	v_cmp_gt_f32_e64 s5, 0x7f800000, |v16|
	v_fma_f32 v18, 0x3f317217, v16, -v17
	v_fmamk_f32 v18, v16, 0x3377d1cf, v18
	v_add_f32_e32 v17, v17, v18
	v_add_f32_e64 v18, 0xbeec5b0c, |v13|
	v_cndmask_b32_e64 v16, v16, v17, s5
	v_cndmask_b32_e64 v17, v19, v18, s4
	;; [unrolled: 1-line block ×3, first 2 shown]
	v_cmp_gt_f32_e64 s4, 0x3e6d3309, |v13|
	v_sub_f32_e32 v16, v16, v20
	v_cndmask_b32_e64 v17, v17, |v13|, s4
	v_cndmask_b32_e64 v18, v18, 2, s4
	v_xor_b32_e32 v16, 0x80000000, v16
.LBB145_191:
	s_andn2_saveexec_b32 s5, s10
	s_cbranch_execz .LBB145_193
; %bb.192:
	v_sub_f32_e64 v16, 2.0, |v13|
	v_add_f32_e64 v17, 0xbfbb16c3, |v13|
	v_cmp_gt_f32_e64 s4, 0x3fdda512, |v13|
	v_add_f32_e64 v18, |v13|, -1.0
	v_cndmask_b32_e64 v17, v16, v17, s4
	v_cndmask_b32_e64 v16, v16, 1.0, s4
	v_cmp_gt_f32_e64 s4, 0x3f9d70a4, |v13|
	v_cvt_i32_f32_e32 v16, v16
	v_cndmask_b32_e64 v17, v17, v18, s4
	v_cndmask_b32_e64 v18, v16, 2, s4
	v_mov_b32_e32 v16, 0
.LBB145_193:
	s_or_b32 exec_lo, exec_lo, s5
	s_mov_b32 s5, exec_lo
	v_cmpx_lt_i32_e32 0, v18
	s_xor_b32 s5, exec_lo, s5
	s_cbranch_execz .LBB145_201
; %bb.194:
	s_mov_b32 s10, exec_lo
	v_cmpx_lt_i32_e32 1, v18
	s_xor_b32 s10, exec_lo, s10
	s_cbranch_execz .LBB145_198
; %bb.195:
	s_mov_b32 s11, exec_lo
	v_cmpx_eq_u32_e32 2, v18
	s_cbranch_execz .LBB145_197
; %bb.196:
	s_mov_b32 s4, 0x3b52d5db
	v_fmaak_f32 v18, s4, v17, 0x3dd572af
	s_mov_b32 s4, 0x3c5b3c5e
	v_fmaak_f32 v19, s4, v17, 0x3e6a7578
	v_fmaak_f32 v18, v17, v18, 0x3f44efdf
	;; [unrolled: 1-line block ×7, first 2 shown]
	v_fma_f32 v18, v17, v18, 1.0
	v_fmaak_f32 v19, v17, v19, 0xbd9e233f
	v_rcp_f32_e32 v18, v18
	v_mul_f32_e32 v19, v17, v19
	v_mul_f32_e32 v18, v19, v18
	v_fmac_f32_e32 v18, -0.5, v17
	v_add_f32_e32 v16, v16, v18
.LBB145_197:
	s_or_b32 exec_lo, exec_lo, s11
                                        ; implicit-def: $vgpr17
.LBB145_198:
	s_andn2_saveexec_b32 s4, s10
	s_cbranch_execz .LBB145_200
; %bb.199:
	v_mul_f32_e32 v18, v17, v17
	s_mov_b32 s10, 0xb9a3f927
	s_mov_b32 s11, 0x39afe9f7
	v_mul_f32_e32 v19, v17, v18
	v_fmaak_f32 v20, s10, v19, 0x3a66f867
	v_fmaak_f32 v21, s11, v19, 0xba0d3085
	s_mov_b32 s10, 0x39a57b6b
	v_fmaak_f32 v22, s10, v19, 0xbab7f476
	v_fmaak_f32 v20, v19, v20, 0xbb7177fe
	;; [unrolled: 1-line block ×9, first 2 shown]
	v_fmac_f32_e32 v20, v17, v21
	v_fmaak_f32 v17, v19, v22, 0x3ef7b95e
	v_fma_f32 v19, v19, -v20, 0xa2863e55
	v_fma_f32 v17, v18, v17, -v19
	v_add_f32_e32 v17, 0xbdf8cdce, v17
	v_add_f32_e32 v16, v16, v17
.LBB145_200:
	s_or_b32 exec_lo, exec_lo, s4
                                        ; implicit-def: $vgpr18
                                        ; implicit-def: $vgpr17
.LBB145_201:
	s_andn2_saveexec_b32 s5, s5
	s_cbranch_execz .LBB145_205
; %bb.202:
	s_mov_b32 s10, exec_lo
	v_cmpx_eq_u32_e32 0, v18
	s_cbranch_execz .LBB145_204
; %bb.203:
	v_mul_f32_e32 v18, v17, v17
	s_mov_b32 s4, 0x383c2c75
	v_fmaak_f32 v19, s4, v18, 0x38e28445
	s_mov_b32 s4, 0x37d383a2
	v_fmaak_f32 v20, s4, v18, 0x39679767
	v_fmaak_f32 v19, v18, v19, 0x3a05b634
	;; [unrolled: 1-line block ×9, first 2 shown]
	v_mul_f32_e32 v18, v18, v19
	v_fmac_f32_e32 v18, v17, v20
	v_fmac_f32_e32 v18, -0.5, v17
	v_add_f32_e32 v16, v16, v18
.LBB145_204:
	s_or_b32 exec_lo, exec_lo, s10
.LBB145_205:
	s_or_b32 exec_lo, exec_lo, s5
.LBB145_206:
	s_or_b32 exec_lo, exec_lo, s9
.LBB145_207:
	s_andn2_saveexec_b32 s5, s6
	s_cbranch_execz .LBB145_209
; %bb.208:
	v_cmp_gt_f32_e64 s6, 0x800000, |v13|
	s_mov_b32 s4, 0x3e8a8991
	v_fma_f32 v19, |v13|, s4, 0xbecd26ab
	v_cndmask_b32_e64 v16, 0, 32, s6
	v_ldexp_f32 v16, |v13|, v16
	v_log_f32_e32 v16, v16
	v_mul_f32_e32 v17, 0x3f317217, v16
	v_cmp_gt_f32_e64 s4, 0x7f800000, |v16|
	v_fma_f32 v18, 0x3f317217, v16, -v17
	v_fmamk_f32 v18, v16, 0x3377d1cf, v18
	v_add_f32_e32 v17, v17, v18
	v_fma_f32 v18, |v13|, v19, 0x3f528d33
	v_cndmask_b32_e64 v16, v16, v17, s4
	v_cndmask_b32_e64 v17, 0, 0x41b17218, s6
	v_fma_f32 v18, |v13|, v18, 0xbf13c468
	v_sub_f32_e32 v16, v16, v17
	v_fma_f32 v16, |v13|, v18, -v16
.LBB145_209:
	s_or_b32 exec_lo, exec_lo, s5
	v_cmp_le_f16_e64 s4, 0, v11
	s_mov_b32 s6, exec_lo
	v_cmpx_nle_f16_e32 0, v11
	s_xor_b32 s9, exec_lo, s6
	s_cbranch_execz .LBB145_213
; %bb.210:
	v_cmp_gt_f32_e64 s5, 0x4b000000, |v13|
	v_cmp_lt_f32_e64 s6, 0x35000000, |v13|
	s_and_b32 s5, s5, s6
	s_and_saveexec_b32 s10, s5
	s_cbranch_execz .LBB145_212
; %bb.211:
	v_mul_f32_e64 v17, |v13|, 0.5
	s_mov_b32 s6, 0x3d4be544
	v_xor_b32_e32 v15, v15, v13
	v_floor_f32_e32 v18, v17
	v_cmp_neq_f32_e64 s5, 0x7f800000, v17
	v_sub_f32_e32 v18, v17, v18
	v_min_f32_e32 v18, 0x3f7fffff, v18
	v_add_f32_e32 v18, v18, v18
	v_cndmask_b32_e64 v17, 0, v18, s5
	v_cmp_gt_f32_e64 s5, |v13|, 1.0
	v_cndmask_b32_e64 v17, |v13|, v17, s5
	s_mov_b32 s5, 0x3e75aa41
	v_add_f32_e32 v18, v17, v17
	v_rndne_f32_e32 v18, v18
	v_fmac_f32_e32 v17, -0.5, v18
	v_cvt_i32_f32_e32 v18, v18
	v_mul_f32_e32 v19, v17, v17
	v_fmaak_f32 v20, s5, v19, 0xbf1f24be
	v_fmaak_f32 v21, s6, v19, 0x3e642e9d
	v_mul_f32_e32 v22, v17, v19
	v_fmaak_f32 v20, v19, v20, 0x40234736
	v_fmaak_f32 v21, v19, v21, 0xbfaad1da
	;; [unrolled: 1-line block ×4, first 2 shown]
	v_mul_f32_e32 v20, v22, v20
	v_fmaak_f32 v21, v19, v21, 0xc09de9e6
	v_and_b32_e32 v22, 1, v18
	v_lshlrev_b32_e32 v18, 30, v18
	v_fmamk_f32 v17, v17, 0x40490fdb, v20
	v_fma_f32 v19, v19, v21, 1.0
	v_cmp_eq_u32_e64 s5, 0, v22
	v_and_b32_e32 v18, 0x80000000, v18
	v_cndmask_b32_e64 v17, v19, v17, s5
	v_xor3_b32 v15, v15, v18, v17
	v_mul_f32_e32 v15, v13, v15
	v_frexp_mant_f32_e64 v17, |v15|
	v_frexp_exp_i32_f32_e32 v15, v15
	v_rcp_f32_e32 v17, v17
	v_sub_nc_u32_e32 v15, 2, v15
	v_mul_f32_e32 v17, 0x3f490fdb, v17
	v_ldexp_f32 v15, v17, v15
	v_cmp_gt_f32_e64 s5, 0x800000, v15
	v_cndmask_b32_e64 v17, 0, 32, s5
	v_ldexp_f32 v15, v15, v17
	v_log_f32_e32 v15, v15
	v_mul_f32_e32 v17, 0x3f317217, v15
	v_cmp_gt_f32_e64 s6, 0x7f800000, |v15|
	v_fma_f32 v18, 0x3f317217, v15, -v17
	v_fmamk_f32 v18, v15, 0x3377d1cf, v18
	v_add_f32_e32 v17, v17, v18
	v_floor_f32_e32 v18, v13
	v_cndmask_b32_e64 v15, v15, v17, s6
	v_cndmask_b32_e64 v17, 0, 0x41b17218, s5
	v_sub_f32_e32 v18, v13, v18
	v_sub_f32_e32 v15, v15, v17
	v_min_f32_e32 v17, 0x3f7fffff, v18
	v_sub_f32_e32 v15, v15, v16
	v_cmp_neq_f32_e64 s5, 0, v17
	v_cndmask_b32_e64 v16, 0x7f800000, v15, s5
.LBB145_212:
	s_or_b32 exec_lo, exec_lo, s10
.LBB145_213:
	s_andn2_saveexec_b32 s9, s9
; %bb.214:
	v_cmp_eq_f16_e64 s5, 1.0, v11
	v_cmp_eq_f16_e64 s6, 2.0, v11
	s_or_b32 s5, s5, s6
	v_cndmask_b32_e64 v16, v16, 0, s5
; %bb.215:
	s_or_b32 exec_lo, exec_lo, s9
	v_cmp_gt_f32_e64 s5, 0x4b000000, |v13|
	v_cvt_f16_f32_e32 v15, v16
	s_or_b32 s4, s4, s5
	v_cndmask_b32_e64 v15, 0x7c00, v15, s4
	v_cmp_class_f32_e64 s4, v13, 0x264
	v_cndmask_b32_e64 v13, v15, 0x7c00, s4
	v_cmp_u_f16_e64 s4, v11, v11
	v_cndmask_b32_e64 v13, v13, v11, s4
.LBB145_216:
	s_or_b32 exec_lo, exec_lo, s8
	v_add_nc_u32_e32 v11, 0x500, v7
	v_cmp_lt_i32_e64 s4, v11, v4
                                        ; implicit-def: $vgpr11
	s_and_saveexec_b32 s8, s4
	s_cbranch_execz .LBB145_256
; %bb.217:
	v_cvt_f32_f16_e32 v11, v10
                                        ; implicit-def: $vgpr16
	s_mov_b32 s5, exec_lo
	v_and_b32_e32 v15, 0x7fffffff, v11
	v_cmpx_ngt_f32_e64 0x3c800000, |v11|
	s_xor_b32 s6, exec_lo, s5
	s_cbranch_execz .LBB145_247
; %bb.218:
                                        ; implicit-def: $vgpr16
	s_mov_b32 s5, exec_lo
	v_cmpx_nlt_f32_e64 |v11|, 2.0
	s_xor_b32 s9, exec_lo, s5
	s_cbranch_execz .LBB145_228
; %bb.219:
	s_mov_b32 s5, exec_lo
                                        ; implicit-def: $vgpr16
	v_cmpx_ngt_f32_e64 0x41000000, |v11|
	s_xor_b32 s5, exec_lo, s5
	s_cbranch_execz .LBB145_225
; %bb.220:
	s_mov_b32 s10, exec_lo
                                        ; implicit-def: $vgpr16
	v_cmpx_ngt_f32_e64 0x5c800000, |v11|
	s_xor_b32 s10, exec_lo, s10
	s_cbranch_execz .LBB145_222
; %bb.221:
	v_cmp_gt_f32_e64 s11, 0x800000, |v11|
	v_cndmask_b32_e64 v16, 0, 32, s11
	v_ldexp_f32 v16, |v11|, v16
	v_log_f32_e32 v16, v16
	v_mul_f32_e32 v17, 0x3f317217, v16
	v_cmp_gt_f32_e64 s4, 0x7f800000, |v16|
	v_fma_f32 v18, 0x3f317217, v16, -v17
	v_fmamk_f32 v18, v16, 0x3377d1cf, v18
	v_add_f32_e32 v17, v17, v18
	v_cndmask_b32_e64 v16, v16, v17, s4
	v_cndmask_b32_e64 v17, 0, 0x41b17218, s11
	v_sub_f32_e32 v16, v16, v17
	v_fma_f32 v16, |v11|, v16, -|v11|
.LBB145_222:
	s_andn2_saveexec_b32 s10, s10
	s_cbranch_execz .LBB145_224
; %bb.223:
	v_cmp_gt_f32_e64 s11, 0x800000, |v11|
	v_rcp_f32_e64 v17, |v11|
	s_mov_b32 s4, 0xbad5c4e8
	v_cndmask_b32_e64 v16, 0, 32, s11
	v_ldexp_f32 v16, |v11|, v16
	v_mul_f32_e32 v18, v17, v17
	v_log_f32_e32 v16, v16
	v_fmaak_f32 v20, s4, v18, 0x3a5b3dd2
	v_fmaak_f32 v20, v18, v20, 0xba1c065c
	v_mul_f32_e32 v19, 0x3f317217, v16
	v_fmaak_f32 v20, v18, v20, 0x3a500cfd
	v_cmp_gt_f32_e64 s4, 0x7f800000, |v16|
	v_fma_f32 v21, 0x3f317217, v16, -v19
	v_fmaak_f32 v20, v18, v20, 0xbb360b61
	v_fmamk_f32 v21, v16, 0x3377d1cf, v21
	v_fmaak_f32 v18, v18, v20, 0x3daaaaab
	v_add_f32_e32 v19, v19, v21
	v_cndmask_b32_e64 v16, v16, v19, s4
	v_cndmask_b32_e64 v19, 0, 0x41b17218, s11
	v_sub_f32_e32 v19, v16, v19
	v_fmaak_f32 v16, v17, v18, 0x3ed67f1d
	v_add_f32_e64 v17, |v11|, -0.5
	v_add_f32_e32 v18, -1.0, v19
	v_fmac_f32_e32 v16, v17, v18
.LBB145_224:
	s_or_b32 exec_lo, exec_lo, s10
.LBB145_225:
	s_andn2_saveexec_b32 s10, s5
	s_cbranch_execz .LBB145_227
; %bb.226:
	v_cvt_i32_f32_e32 v16, v15
	s_mov_b32 s5, 0x3805ff67
	v_cvt_f32_i32_e32 v17, v16
	v_cmp_lt_i32_e64 s4, 2, v16
	v_sub_f32_e64 v17, |v11|, v17
	v_add_f32_e32 v18, 2.0, v17
	v_add_f32_e32 v19, 0x40400000, v17
	v_add_f32_e32 v20, 4.0, v17
	v_add_f32_e32 v21, 0x40a00000, v17
	v_cndmask_b32_e64 v18, 1.0, v18, s4
	v_cmp_lt_i32_e64 s4, 3, v16
	v_cndmask_b32_e64 v19, 1.0, v19, s4
	v_cmp_lt_i32_e64 s4, 4, v16
	v_mul_f32_e32 v18, v18, v19
	v_cndmask_b32_e64 v20, 1.0, v20, s4
	v_cmp_lt_i32_e64 s4, 5, v16
	v_add_f32_e32 v19, 0x40c00000, v17
	v_mul_f32_e32 v18, v20, v18
	v_cndmask_b32_e64 v21, 1.0, v21, s4
	v_cmp_lt_i32_e64 s4, 6, v16
	v_fmaak_f32 v20, s5, v17, 0x3af135b4
	v_mul_f32_e32 v18, v21, v18
	v_cndmask_b32_e64 v16, 1.0, v19, s4
	s_mov_b32 s4, 0x36f5d7bd
	v_mul_f32_e32 v16, v16, v18
	v_fmaak_f32 v18, s4, v17, 0x3a4beed6
	v_cmp_gt_f32_e64 s4, 0x800000, v16
	v_fmaak_f32 v18, v17, v18, 0x3c98bf54
	v_cndmask_b32_e64 v19, 0, 32, s4
	v_fmaak_f32 v18, v17, v18, 0x3e300f6e
	v_ldexp_f32 v16, v16, v19
	v_fmaak_f32 v19, v17, v20, 0x3cda40e4
	v_fmaak_f32 v18, v17, v18, 0x3f38d0c5
	v_log_f32_e32 v16, v16
	v_fmaak_f32 v19, v17, v19, 0x3e15dce6
	v_fmaak_f32 v18, v17, v18, 0x3fb22d3b
	;; [unrolled: 1-line block ×3, first 2 shown]
	v_fma_f32 v18, v17, v18, 1.0
	v_mul_f32_e32 v20, 0x3f317217, v16
	v_fmaak_f32 v19, v17, v19, 0x3e5c245a
	v_rcp_f32_e32 v18, v18
	v_cmp_gt_f32_e64 s5, 0x7f800000, |v16|
	v_fma_f32 v21, 0x3f317217, v16, -v20
	v_fmaak_f32 v19, v17, v19, 0xbd9e233f
	v_fmamk_f32 v21, v16, 0x3377d1cf, v21
	v_mul_f32_e32 v19, v17, v19
	v_add_f32_e32 v20, v20, v21
	v_mul_f32_e32 v18, v19, v18
	v_cndmask_b32_e64 v19, 0, 0x41b17218, s4
	v_cndmask_b32_e64 v16, v16, v20, s5
	v_fmac_f32_e32 v18, 0.5, v17
	v_sub_f32_e32 v16, v16, v19
	v_add_f32_e32 v16, v16, v18
.LBB145_227:
	s_or_b32 exec_lo, exec_lo, s10
.LBB145_228:
	s_andn2_saveexec_b32 s9, s9
	s_cbranch_execz .LBB145_246
; %bb.229:
                                        ; implicit-def: $vgpr16
                                        ; implicit-def: $vgpr18
                                        ; implicit-def: $vgpr17
	s_mov_b32 s5, exec_lo
	v_cmpx_ge_f32_e64 0x3f666666, |v11|
	s_xor_b32 s10, exec_lo, s5
	s_cbranch_execz .LBB145_231
; %bb.230:
	v_cmp_gt_f32_e64 s5, 0x800000, |v11|
	v_sub_f32_e64 v19, 1.0, |v11|
	v_cmp_gt_f32_e64 s4, 0x3f3b4a23, |v11|
	v_cndmask_b32_e64 v16, 0, 32, s5
	v_cndmask_b32_e64 v20, 0, 0x41b17218, s5
	v_ldexp_f32 v16, |v11|, v16
	v_log_f32_e32 v16, v16
	v_mul_f32_e32 v17, 0x3f317217, v16
	v_cmp_gt_f32_e64 s5, 0x7f800000, |v16|
	v_fma_f32 v18, 0x3f317217, v16, -v17
	v_fmamk_f32 v18, v16, 0x3377d1cf, v18
	v_add_f32_e32 v17, v17, v18
	v_add_f32_e64 v18, 0xbeec5b0c, |v11|
	v_cndmask_b32_e64 v16, v16, v17, s5
	v_cndmask_b32_e64 v17, v19, v18, s4
	;; [unrolled: 1-line block ×3, first 2 shown]
	v_cmp_gt_f32_e64 s4, 0x3e6d3309, |v11|
	v_sub_f32_e32 v16, v16, v20
	v_cndmask_b32_e64 v17, v17, |v11|, s4
	v_cndmask_b32_e64 v18, v18, 2, s4
	v_xor_b32_e32 v16, 0x80000000, v16
.LBB145_231:
	s_andn2_saveexec_b32 s5, s10
	s_cbranch_execz .LBB145_233
; %bb.232:
	v_sub_f32_e64 v16, 2.0, |v11|
	v_add_f32_e64 v17, 0xbfbb16c3, |v11|
	v_cmp_gt_f32_e64 s4, 0x3fdda512, |v11|
	v_add_f32_e64 v18, |v11|, -1.0
	v_cndmask_b32_e64 v17, v16, v17, s4
	v_cndmask_b32_e64 v16, v16, 1.0, s4
	v_cmp_gt_f32_e64 s4, 0x3f9d70a4, |v11|
	v_cvt_i32_f32_e32 v16, v16
	v_cndmask_b32_e64 v17, v17, v18, s4
	v_cndmask_b32_e64 v18, v16, 2, s4
	v_mov_b32_e32 v16, 0
.LBB145_233:
	s_or_b32 exec_lo, exec_lo, s5
	s_mov_b32 s5, exec_lo
	v_cmpx_lt_i32_e32 0, v18
	s_xor_b32 s5, exec_lo, s5
	s_cbranch_execz .LBB145_241
; %bb.234:
	s_mov_b32 s10, exec_lo
	v_cmpx_lt_i32_e32 1, v18
	s_xor_b32 s10, exec_lo, s10
	s_cbranch_execz .LBB145_238
; %bb.235:
	s_mov_b32 s11, exec_lo
	v_cmpx_eq_u32_e32 2, v18
	s_cbranch_execz .LBB145_237
; %bb.236:
	s_mov_b32 s4, 0x3b52d5db
	v_fmaak_f32 v18, s4, v17, 0x3dd572af
	s_mov_b32 s4, 0x3c5b3c5e
	v_fmaak_f32 v19, s4, v17, 0x3e6a7578
	v_fmaak_f32 v18, v17, v18, 0x3f44efdf
	;; [unrolled: 1-line block ×7, first 2 shown]
	v_fma_f32 v18, v17, v18, 1.0
	v_fmaak_f32 v19, v17, v19, 0xbd9e233f
	v_rcp_f32_e32 v18, v18
	v_mul_f32_e32 v19, v17, v19
	v_mul_f32_e32 v18, v19, v18
	v_fmac_f32_e32 v18, -0.5, v17
	v_add_f32_e32 v16, v16, v18
.LBB145_237:
	s_or_b32 exec_lo, exec_lo, s11
                                        ; implicit-def: $vgpr17
.LBB145_238:
	s_andn2_saveexec_b32 s4, s10
	s_cbranch_execz .LBB145_240
; %bb.239:
	v_mul_f32_e32 v18, v17, v17
	s_mov_b32 s10, 0xb9a3f927
	s_mov_b32 s11, 0x39afe9f7
	v_mul_f32_e32 v19, v17, v18
	v_fmaak_f32 v20, s10, v19, 0x3a66f867
	v_fmaak_f32 v21, s11, v19, 0xba0d3085
	s_mov_b32 s10, 0x39a57b6b
	v_fmaak_f32 v22, s10, v19, 0xbab7f476
	v_fmaak_f32 v20, v19, v20, 0xbb7177fe
	;; [unrolled: 1-line block ×9, first 2 shown]
	v_fmac_f32_e32 v20, v17, v21
	v_fmaak_f32 v17, v19, v22, 0x3ef7b95e
	v_fma_f32 v19, v19, -v20, 0xa2863e55
	v_fma_f32 v17, v18, v17, -v19
	v_add_f32_e32 v17, 0xbdf8cdce, v17
	v_add_f32_e32 v16, v16, v17
.LBB145_240:
	s_or_b32 exec_lo, exec_lo, s4
                                        ; implicit-def: $vgpr18
                                        ; implicit-def: $vgpr17
.LBB145_241:
	s_andn2_saveexec_b32 s5, s5
	s_cbranch_execz .LBB145_245
; %bb.242:
	s_mov_b32 s10, exec_lo
	v_cmpx_eq_u32_e32 0, v18
	s_cbranch_execz .LBB145_244
; %bb.243:
	v_mul_f32_e32 v18, v17, v17
	s_mov_b32 s4, 0x383c2c75
	v_fmaak_f32 v19, s4, v18, 0x38e28445
	s_mov_b32 s4, 0x37d383a2
	v_fmaak_f32 v20, s4, v18, 0x39679767
	v_fmaak_f32 v19, v18, v19, 0x3a05b634
	;; [unrolled: 1-line block ×9, first 2 shown]
	v_mul_f32_e32 v18, v18, v19
	v_fmac_f32_e32 v18, v17, v20
	v_fmac_f32_e32 v18, -0.5, v17
	v_add_f32_e32 v16, v16, v18
.LBB145_244:
	s_or_b32 exec_lo, exec_lo, s10
.LBB145_245:
	s_or_b32 exec_lo, exec_lo, s5
.LBB145_246:
	s_or_b32 exec_lo, exec_lo, s9
.LBB145_247:
	s_andn2_saveexec_b32 s5, s6
	s_cbranch_execz .LBB145_249
; %bb.248:
	v_cmp_gt_f32_e64 s6, 0x800000, |v11|
	s_mov_b32 s4, 0x3e8a8991
	v_fma_f32 v19, |v11|, s4, 0xbecd26ab
	v_cndmask_b32_e64 v16, 0, 32, s6
	v_ldexp_f32 v16, |v11|, v16
	v_log_f32_e32 v16, v16
	v_mul_f32_e32 v17, 0x3f317217, v16
	v_cmp_gt_f32_e64 s4, 0x7f800000, |v16|
	v_fma_f32 v18, 0x3f317217, v16, -v17
	v_fmamk_f32 v18, v16, 0x3377d1cf, v18
	v_add_f32_e32 v17, v17, v18
	v_fma_f32 v18, |v11|, v19, 0x3f528d33
	v_cndmask_b32_e64 v16, v16, v17, s4
	v_cndmask_b32_e64 v17, 0, 0x41b17218, s6
	v_fma_f32 v18, |v11|, v18, 0xbf13c468
	v_sub_f32_e32 v16, v16, v17
	v_fma_f32 v16, |v11|, v18, -v16
.LBB145_249:
	s_or_b32 exec_lo, exec_lo, s5
	v_cmp_le_f16_e64 s4, 0, v10
	s_mov_b32 s6, exec_lo
	v_cmpx_nle_f16_e32 0, v10
	s_xor_b32 s9, exec_lo, s6
	s_cbranch_execz .LBB145_253
; %bb.250:
	v_cmp_gt_f32_e64 s5, 0x4b000000, |v11|
	v_cmp_lt_f32_e64 s6, 0x35000000, |v11|
	s_and_b32 s5, s5, s6
	s_and_saveexec_b32 s10, s5
	s_cbranch_execz .LBB145_252
; %bb.251:
	v_mul_f32_e64 v17, |v11|, 0.5
	s_mov_b32 s6, 0x3d4be544
	v_xor_b32_e32 v15, v15, v11
	v_floor_f32_e32 v18, v17
	v_cmp_neq_f32_e64 s5, 0x7f800000, v17
	v_sub_f32_e32 v18, v17, v18
	v_min_f32_e32 v18, 0x3f7fffff, v18
	v_add_f32_e32 v18, v18, v18
	v_cndmask_b32_e64 v17, 0, v18, s5
	v_cmp_gt_f32_e64 s5, |v11|, 1.0
	v_cndmask_b32_e64 v17, |v11|, v17, s5
	s_mov_b32 s5, 0x3e75aa41
	v_add_f32_e32 v18, v17, v17
	v_rndne_f32_e32 v18, v18
	v_fmac_f32_e32 v17, -0.5, v18
	v_cvt_i32_f32_e32 v18, v18
	v_mul_f32_e32 v19, v17, v17
	v_fmaak_f32 v20, s5, v19, 0xbf1f24be
	v_fmaak_f32 v21, s6, v19, 0x3e642e9d
	v_mul_f32_e32 v22, v17, v19
	v_fmaak_f32 v20, v19, v20, 0x40234736
	v_fmaak_f32 v21, v19, v21, 0xbfaad1da
	;; [unrolled: 1-line block ×4, first 2 shown]
	v_mul_f32_e32 v20, v22, v20
	v_fmaak_f32 v21, v19, v21, 0xc09de9e6
	v_and_b32_e32 v22, 1, v18
	v_lshlrev_b32_e32 v18, 30, v18
	v_fmamk_f32 v17, v17, 0x40490fdb, v20
	v_fma_f32 v19, v19, v21, 1.0
	v_cmp_eq_u32_e64 s5, 0, v22
	v_and_b32_e32 v18, 0x80000000, v18
	v_cndmask_b32_e64 v17, v19, v17, s5
	v_xor3_b32 v15, v15, v18, v17
	v_mul_f32_e32 v15, v11, v15
	v_frexp_mant_f32_e64 v17, |v15|
	v_frexp_exp_i32_f32_e32 v15, v15
	v_rcp_f32_e32 v17, v17
	v_sub_nc_u32_e32 v15, 2, v15
	v_mul_f32_e32 v17, 0x3f490fdb, v17
	v_ldexp_f32 v15, v17, v15
	v_cmp_gt_f32_e64 s5, 0x800000, v15
	v_cndmask_b32_e64 v17, 0, 32, s5
	v_ldexp_f32 v15, v15, v17
	v_log_f32_e32 v15, v15
	v_mul_f32_e32 v17, 0x3f317217, v15
	v_cmp_gt_f32_e64 s6, 0x7f800000, |v15|
	v_fma_f32 v18, 0x3f317217, v15, -v17
	v_fmamk_f32 v18, v15, 0x3377d1cf, v18
	v_add_f32_e32 v17, v17, v18
	v_floor_f32_e32 v18, v11
	v_cndmask_b32_e64 v15, v15, v17, s6
	v_cndmask_b32_e64 v17, 0, 0x41b17218, s5
	v_sub_f32_e32 v18, v11, v18
	v_sub_f32_e32 v15, v15, v17
	v_min_f32_e32 v17, 0x3f7fffff, v18
	v_sub_f32_e32 v15, v15, v16
	v_cmp_neq_f32_e64 s5, 0, v17
	v_cndmask_b32_e64 v16, 0x7f800000, v15, s5
.LBB145_252:
	s_or_b32 exec_lo, exec_lo, s10
.LBB145_253:
	s_andn2_saveexec_b32 s9, s9
; %bb.254:
	v_cmp_eq_f16_e64 s5, 1.0, v10
	v_cmp_eq_f16_e64 s6, 2.0, v10
	s_or_b32 s5, s5, s6
	v_cndmask_b32_e64 v16, v16, 0, s5
; %bb.255:
	s_or_b32 exec_lo, exec_lo, s9
	v_cmp_gt_f32_e64 s5, 0x4b000000, |v11|
	v_cvt_f16_f32_e32 v15, v16
	s_or_b32 s4, s4, s5
	v_cndmask_b32_e64 v15, 0x7c00, v15, s4
	v_cmp_class_f32_e64 s4, v11, 0x264
	v_cndmask_b32_e64 v11, v15, 0x7c00, s4
	v_cmp_u_f16_e64 s4, v10, v10
	v_cndmask_b32_e64 v11, v11, v10, s4
.LBB145_256:
	s_or_b32 exec_lo, exec_lo, s8
	v_add_nc_u32_e32 v10, 0x600, v7
	v_cmp_lt_i32_e64 s4, v10, v4
                                        ; implicit-def: $vgpr10
	s_and_saveexec_b32 s8, s4
	s_cbranch_execz .LBB145_296
; %bb.257:
	v_cvt_f32_f16_e32 v10, v9
                                        ; implicit-def: $vgpr16
	s_mov_b32 s5, exec_lo
	v_and_b32_e32 v15, 0x7fffffff, v10
	v_cmpx_ngt_f32_e64 0x3c800000, |v10|
	s_xor_b32 s6, exec_lo, s5
	s_cbranch_execz .LBB145_287
; %bb.258:
                                        ; implicit-def: $vgpr16
	s_mov_b32 s5, exec_lo
	v_cmpx_nlt_f32_e64 |v10|, 2.0
	s_xor_b32 s9, exec_lo, s5
	s_cbranch_execz .LBB145_268
; %bb.259:
	s_mov_b32 s5, exec_lo
                                        ; implicit-def: $vgpr16
	v_cmpx_ngt_f32_e64 0x41000000, |v10|
	s_xor_b32 s5, exec_lo, s5
	s_cbranch_execz .LBB145_265
; %bb.260:
	s_mov_b32 s10, exec_lo
                                        ; implicit-def: $vgpr16
	v_cmpx_ngt_f32_e64 0x5c800000, |v10|
	s_xor_b32 s10, exec_lo, s10
	s_cbranch_execz .LBB145_262
; %bb.261:
	v_cmp_gt_f32_e64 s11, 0x800000, |v10|
	v_cndmask_b32_e64 v16, 0, 32, s11
	v_ldexp_f32 v16, |v10|, v16
	v_log_f32_e32 v16, v16
	v_mul_f32_e32 v17, 0x3f317217, v16
	v_cmp_gt_f32_e64 s4, 0x7f800000, |v16|
	v_fma_f32 v18, 0x3f317217, v16, -v17
	v_fmamk_f32 v18, v16, 0x3377d1cf, v18
	v_add_f32_e32 v17, v17, v18
	v_cndmask_b32_e64 v16, v16, v17, s4
	v_cndmask_b32_e64 v17, 0, 0x41b17218, s11
	v_sub_f32_e32 v16, v16, v17
	v_fma_f32 v16, |v10|, v16, -|v10|
.LBB145_262:
	s_andn2_saveexec_b32 s10, s10
	s_cbranch_execz .LBB145_264
; %bb.263:
	v_cmp_gt_f32_e64 s11, 0x800000, |v10|
	v_rcp_f32_e64 v17, |v10|
	s_mov_b32 s4, 0xbad5c4e8
	v_cndmask_b32_e64 v16, 0, 32, s11
	v_ldexp_f32 v16, |v10|, v16
	v_mul_f32_e32 v18, v17, v17
	v_log_f32_e32 v16, v16
	v_fmaak_f32 v20, s4, v18, 0x3a5b3dd2
	v_fmaak_f32 v20, v18, v20, 0xba1c065c
	v_mul_f32_e32 v19, 0x3f317217, v16
	v_fmaak_f32 v20, v18, v20, 0x3a500cfd
	v_cmp_gt_f32_e64 s4, 0x7f800000, |v16|
	v_fma_f32 v21, 0x3f317217, v16, -v19
	v_fmaak_f32 v20, v18, v20, 0xbb360b61
	v_fmamk_f32 v21, v16, 0x3377d1cf, v21
	v_fmaak_f32 v18, v18, v20, 0x3daaaaab
	v_add_f32_e32 v19, v19, v21
	v_cndmask_b32_e64 v16, v16, v19, s4
	v_cndmask_b32_e64 v19, 0, 0x41b17218, s11
	v_sub_f32_e32 v19, v16, v19
	v_fmaak_f32 v16, v17, v18, 0x3ed67f1d
	v_add_f32_e64 v17, |v10|, -0.5
	v_add_f32_e32 v18, -1.0, v19
	v_fmac_f32_e32 v16, v17, v18
.LBB145_264:
	s_or_b32 exec_lo, exec_lo, s10
.LBB145_265:
	s_andn2_saveexec_b32 s10, s5
	s_cbranch_execz .LBB145_267
; %bb.266:
	v_cvt_i32_f32_e32 v16, v15
	s_mov_b32 s5, 0x3805ff67
	v_cvt_f32_i32_e32 v17, v16
	v_cmp_lt_i32_e64 s4, 2, v16
	v_sub_f32_e64 v17, |v10|, v17
	v_add_f32_e32 v18, 2.0, v17
	v_add_f32_e32 v19, 0x40400000, v17
	v_add_f32_e32 v20, 4.0, v17
	v_add_f32_e32 v21, 0x40a00000, v17
	v_cndmask_b32_e64 v18, 1.0, v18, s4
	v_cmp_lt_i32_e64 s4, 3, v16
	v_cndmask_b32_e64 v19, 1.0, v19, s4
	v_cmp_lt_i32_e64 s4, 4, v16
	v_mul_f32_e32 v18, v18, v19
	v_cndmask_b32_e64 v20, 1.0, v20, s4
	v_cmp_lt_i32_e64 s4, 5, v16
	v_add_f32_e32 v19, 0x40c00000, v17
	v_mul_f32_e32 v18, v20, v18
	v_cndmask_b32_e64 v21, 1.0, v21, s4
	v_cmp_lt_i32_e64 s4, 6, v16
	v_fmaak_f32 v20, s5, v17, 0x3af135b4
	v_mul_f32_e32 v18, v21, v18
	v_cndmask_b32_e64 v16, 1.0, v19, s4
	s_mov_b32 s4, 0x36f5d7bd
	v_mul_f32_e32 v16, v16, v18
	v_fmaak_f32 v18, s4, v17, 0x3a4beed6
	v_cmp_gt_f32_e64 s4, 0x800000, v16
	v_fmaak_f32 v18, v17, v18, 0x3c98bf54
	v_cndmask_b32_e64 v19, 0, 32, s4
	v_fmaak_f32 v18, v17, v18, 0x3e300f6e
	v_ldexp_f32 v16, v16, v19
	v_fmaak_f32 v19, v17, v20, 0x3cda40e4
	v_fmaak_f32 v18, v17, v18, 0x3f38d0c5
	v_log_f32_e32 v16, v16
	v_fmaak_f32 v19, v17, v19, 0x3e15dce6
	v_fmaak_f32 v18, v17, v18, 0x3fb22d3b
	;; [unrolled: 1-line block ×3, first 2 shown]
	v_fma_f32 v18, v17, v18, 1.0
	v_mul_f32_e32 v20, 0x3f317217, v16
	v_fmaak_f32 v19, v17, v19, 0x3e5c245a
	v_rcp_f32_e32 v18, v18
	v_cmp_gt_f32_e64 s5, 0x7f800000, |v16|
	v_fma_f32 v21, 0x3f317217, v16, -v20
	v_fmaak_f32 v19, v17, v19, 0xbd9e233f
	v_fmamk_f32 v21, v16, 0x3377d1cf, v21
	v_mul_f32_e32 v19, v17, v19
	v_add_f32_e32 v20, v20, v21
	v_mul_f32_e32 v18, v19, v18
	v_cndmask_b32_e64 v19, 0, 0x41b17218, s4
	v_cndmask_b32_e64 v16, v16, v20, s5
	v_fmac_f32_e32 v18, 0.5, v17
	v_sub_f32_e32 v16, v16, v19
	v_add_f32_e32 v16, v16, v18
.LBB145_267:
	s_or_b32 exec_lo, exec_lo, s10
.LBB145_268:
	s_andn2_saveexec_b32 s9, s9
	s_cbranch_execz .LBB145_286
; %bb.269:
                                        ; implicit-def: $vgpr16
                                        ; implicit-def: $vgpr18
                                        ; implicit-def: $vgpr17
	s_mov_b32 s5, exec_lo
	v_cmpx_ge_f32_e64 0x3f666666, |v10|
	s_xor_b32 s10, exec_lo, s5
	s_cbranch_execz .LBB145_271
; %bb.270:
	v_cmp_gt_f32_e64 s5, 0x800000, |v10|
	v_sub_f32_e64 v19, 1.0, |v10|
	v_cmp_gt_f32_e64 s4, 0x3f3b4a23, |v10|
	v_cndmask_b32_e64 v16, 0, 32, s5
	v_cndmask_b32_e64 v20, 0, 0x41b17218, s5
	v_ldexp_f32 v16, |v10|, v16
	v_log_f32_e32 v16, v16
	v_mul_f32_e32 v17, 0x3f317217, v16
	v_cmp_gt_f32_e64 s5, 0x7f800000, |v16|
	v_fma_f32 v18, 0x3f317217, v16, -v17
	v_fmamk_f32 v18, v16, 0x3377d1cf, v18
	v_add_f32_e32 v17, v17, v18
	v_add_f32_e64 v18, 0xbeec5b0c, |v10|
	v_cndmask_b32_e64 v16, v16, v17, s5
	v_cndmask_b32_e64 v17, v19, v18, s4
	;; [unrolled: 1-line block ×3, first 2 shown]
	v_cmp_gt_f32_e64 s4, 0x3e6d3309, |v10|
	v_sub_f32_e32 v16, v16, v20
	v_cndmask_b32_e64 v17, v17, |v10|, s4
	v_cndmask_b32_e64 v18, v18, 2, s4
	v_xor_b32_e32 v16, 0x80000000, v16
.LBB145_271:
	s_andn2_saveexec_b32 s5, s10
	s_cbranch_execz .LBB145_273
; %bb.272:
	v_sub_f32_e64 v16, 2.0, |v10|
	v_add_f32_e64 v17, 0xbfbb16c3, |v10|
	v_cmp_gt_f32_e64 s4, 0x3fdda512, |v10|
	v_add_f32_e64 v18, |v10|, -1.0
	v_cndmask_b32_e64 v17, v16, v17, s4
	v_cndmask_b32_e64 v16, v16, 1.0, s4
	v_cmp_gt_f32_e64 s4, 0x3f9d70a4, |v10|
	v_cvt_i32_f32_e32 v16, v16
	v_cndmask_b32_e64 v17, v17, v18, s4
	v_cndmask_b32_e64 v18, v16, 2, s4
	v_mov_b32_e32 v16, 0
.LBB145_273:
	s_or_b32 exec_lo, exec_lo, s5
	s_mov_b32 s5, exec_lo
	v_cmpx_lt_i32_e32 0, v18
	s_xor_b32 s5, exec_lo, s5
	s_cbranch_execz .LBB145_281
; %bb.274:
	s_mov_b32 s10, exec_lo
	v_cmpx_lt_i32_e32 1, v18
	s_xor_b32 s10, exec_lo, s10
	s_cbranch_execz .LBB145_278
; %bb.275:
	s_mov_b32 s11, exec_lo
	v_cmpx_eq_u32_e32 2, v18
	s_cbranch_execz .LBB145_277
; %bb.276:
	s_mov_b32 s4, 0x3b52d5db
	v_fmaak_f32 v18, s4, v17, 0x3dd572af
	s_mov_b32 s4, 0x3c5b3c5e
	v_fmaak_f32 v19, s4, v17, 0x3e6a7578
	v_fmaak_f32 v18, v17, v18, 0x3f44efdf
	;; [unrolled: 1-line block ×7, first 2 shown]
	v_fma_f32 v18, v17, v18, 1.0
	v_fmaak_f32 v19, v17, v19, 0xbd9e233f
	v_rcp_f32_e32 v18, v18
	v_mul_f32_e32 v19, v17, v19
	v_mul_f32_e32 v18, v19, v18
	v_fmac_f32_e32 v18, -0.5, v17
	v_add_f32_e32 v16, v16, v18
.LBB145_277:
	s_or_b32 exec_lo, exec_lo, s11
                                        ; implicit-def: $vgpr17
.LBB145_278:
	s_andn2_saveexec_b32 s4, s10
	s_cbranch_execz .LBB145_280
; %bb.279:
	v_mul_f32_e32 v18, v17, v17
	s_mov_b32 s10, 0xb9a3f927
	s_mov_b32 s11, 0x39afe9f7
	v_mul_f32_e32 v19, v17, v18
	v_fmaak_f32 v20, s10, v19, 0x3a66f867
	v_fmaak_f32 v21, s11, v19, 0xba0d3085
	s_mov_b32 s10, 0x39a57b6b
	v_fmaak_f32 v22, s10, v19, 0xbab7f476
	v_fmaak_f32 v20, v19, v20, 0xbb7177fe
	;; [unrolled: 1-line block ×9, first 2 shown]
	v_fmac_f32_e32 v20, v17, v21
	v_fmaak_f32 v17, v19, v22, 0x3ef7b95e
	v_fma_f32 v19, v19, -v20, 0xa2863e55
	v_fma_f32 v17, v18, v17, -v19
	v_add_f32_e32 v17, 0xbdf8cdce, v17
	v_add_f32_e32 v16, v16, v17
.LBB145_280:
	s_or_b32 exec_lo, exec_lo, s4
                                        ; implicit-def: $vgpr18
                                        ; implicit-def: $vgpr17
.LBB145_281:
	s_andn2_saveexec_b32 s5, s5
	s_cbranch_execz .LBB145_285
; %bb.282:
	s_mov_b32 s10, exec_lo
	v_cmpx_eq_u32_e32 0, v18
	s_cbranch_execz .LBB145_284
; %bb.283:
	v_mul_f32_e32 v18, v17, v17
	s_mov_b32 s4, 0x383c2c75
	v_fmaak_f32 v19, s4, v18, 0x38e28445
	s_mov_b32 s4, 0x37d383a2
	v_fmaak_f32 v20, s4, v18, 0x39679767
	v_fmaak_f32 v19, v18, v19, 0x3a05b634
	;; [unrolled: 1-line block ×9, first 2 shown]
	v_mul_f32_e32 v18, v18, v19
	v_fmac_f32_e32 v18, v17, v20
	v_fmac_f32_e32 v18, -0.5, v17
	v_add_f32_e32 v16, v16, v18
.LBB145_284:
	s_or_b32 exec_lo, exec_lo, s10
.LBB145_285:
	s_or_b32 exec_lo, exec_lo, s5
.LBB145_286:
	s_or_b32 exec_lo, exec_lo, s9
.LBB145_287:
	s_andn2_saveexec_b32 s5, s6
	s_cbranch_execz .LBB145_289
; %bb.288:
	v_cmp_gt_f32_e64 s6, 0x800000, |v10|
	s_mov_b32 s4, 0x3e8a8991
	v_fma_f32 v19, |v10|, s4, 0xbecd26ab
	v_cndmask_b32_e64 v16, 0, 32, s6
	v_ldexp_f32 v16, |v10|, v16
	v_log_f32_e32 v16, v16
	v_mul_f32_e32 v17, 0x3f317217, v16
	v_cmp_gt_f32_e64 s4, 0x7f800000, |v16|
	v_fma_f32 v18, 0x3f317217, v16, -v17
	v_fmamk_f32 v18, v16, 0x3377d1cf, v18
	v_add_f32_e32 v17, v17, v18
	v_fma_f32 v18, |v10|, v19, 0x3f528d33
	v_cndmask_b32_e64 v16, v16, v17, s4
	v_cndmask_b32_e64 v17, 0, 0x41b17218, s6
	v_fma_f32 v18, |v10|, v18, 0xbf13c468
	v_sub_f32_e32 v16, v16, v17
	v_fma_f32 v16, |v10|, v18, -v16
.LBB145_289:
	s_or_b32 exec_lo, exec_lo, s5
	v_cmp_le_f16_e64 s4, 0, v9
	s_mov_b32 s6, exec_lo
	v_cmpx_nle_f16_e32 0, v9
	s_xor_b32 s9, exec_lo, s6
	s_cbranch_execz .LBB145_293
; %bb.290:
	v_cmp_gt_f32_e64 s5, 0x4b000000, |v10|
	v_cmp_lt_f32_e64 s6, 0x35000000, |v10|
	s_and_b32 s5, s5, s6
	s_and_saveexec_b32 s10, s5
	s_cbranch_execz .LBB145_292
; %bb.291:
	v_mul_f32_e64 v17, |v10|, 0.5
	s_mov_b32 s6, 0x3d4be544
	v_xor_b32_e32 v15, v15, v10
	v_floor_f32_e32 v18, v17
	v_cmp_neq_f32_e64 s5, 0x7f800000, v17
	v_sub_f32_e32 v18, v17, v18
	v_min_f32_e32 v18, 0x3f7fffff, v18
	v_add_f32_e32 v18, v18, v18
	v_cndmask_b32_e64 v17, 0, v18, s5
	v_cmp_gt_f32_e64 s5, |v10|, 1.0
	v_cndmask_b32_e64 v17, |v10|, v17, s5
	s_mov_b32 s5, 0x3e75aa41
	v_add_f32_e32 v18, v17, v17
	v_rndne_f32_e32 v18, v18
	v_fmac_f32_e32 v17, -0.5, v18
	v_cvt_i32_f32_e32 v18, v18
	v_mul_f32_e32 v19, v17, v17
	v_fmaak_f32 v20, s5, v19, 0xbf1f24be
	v_fmaak_f32 v21, s6, v19, 0x3e642e9d
	v_mul_f32_e32 v22, v17, v19
	v_fmaak_f32 v20, v19, v20, 0x40234736
	v_fmaak_f32 v21, v19, v21, 0xbfaad1da
	v_fmaak_f32 v20, v19, v20, 0xc0a55e0e
	v_fmaak_f32 v21, v19, v21, 0x4081e0d3
	v_mul_f32_e32 v20, v22, v20
	v_fmaak_f32 v21, v19, v21, 0xc09de9e6
	v_and_b32_e32 v22, 1, v18
	v_lshlrev_b32_e32 v18, 30, v18
	v_fmamk_f32 v17, v17, 0x40490fdb, v20
	v_fma_f32 v19, v19, v21, 1.0
	v_cmp_eq_u32_e64 s5, 0, v22
	v_and_b32_e32 v18, 0x80000000, v18
	v_cndmask_b32_e64 v17, v19, v17, s5
	v_xor3_b32 v15, v15, v18, v17
	v_mul_f32_e32 v15, v10, v15
	v_frexp_mant_f32_e64 v17, |v15|
	v_frexp_exp_i32_f32_e32 v15, v15
	v_rcp_f32_e32 v17, v17
	v_sub_nc_u32_e32 v15, 2, v15
	v_mul_f32_e32 v17, 0x3f490fdb, v17
	v_ldexp_f32 v15, v17, v15
	v_cmp_gt_f32_e64 s5, 0x800000, v15
	v_cndmask_b32_e64 v17, 0, 32, s5
	v_ldexp_f32 v15, v15, v17
	v_log_f32_e32 v15, v15
	v_mul_f32_e32 v17, 0x3f317217, v15
	v_cmp_gt_f32_e64 s6, 0x7f800000, |v15|
	v_fma_f32 v18, 0x3f317217, v15, -v17
	v_fmamk_f32 v18, v15, 0x3377d1cf, v18
	v_add_f32_e32 v17, v17, v18
	v_floor_f32_e32 v18, v10
	v_cndmask_b32_e64 v15, v15, v17, s6
	v_cndmask_b32_e64 v17, 0, 0x41b17218, s5
	v_sub_f32_e32 v18, v10, v18
	v_sub_f32_e32 v15, v15, v17
	v_min_f32_e32 v17, 0x3f7fffff, v18
	v_sub_f32_e32 v15, v15, v16
	v_cmp_neq_f32_e64 s5, 0, v17
	v_cndmask_b32_e64 v16, 0x7f800000, v15, s5
.LBB145_292:
	s_or_b32 exec_lo, exec_lo, s10
.LBB145_293:
	s_andn2_saveexec_b32 s9, s9
; %bb.294:
	v_cmp_eq_f16_e64 s5, 1.0, v9
	v_cmp_eq_f16_e64 s6, 2.0, v9
	s_or_b32 s5, s5, s6
	v_cndmask_b32_e64 v16, v16, 0, s5
; %bb.295:
	s_or_b32 exec_lo, exec_lo, s9
	v_cmp_gt_f32_e64 s5, 0x4b000000, |v10|
	v_cvt_f16_f32_e32 v15, v16
	s_or_b32 s4, s4, s5
	v_cndmask_b32_e64 v15, 0x7c00, v15, s4
	v_cmp_class_f32_e64 s4, v10, 0x264
	v_cndmask_b32_e64 v10, v15, 0x7c00, s4
	v_cmp_u_f16_e64 s4, v9, v9
	v_cndmask_b32_e64 v10, v10, v9, s4
.LBB145_296:
	s_or_b32 exec_lo, exec_lo, s8
	v_add_nc_u32_e32 v9, 0x700, v7
	v_cmp_lt_i32_e64 s4, v9, v4
                                        ; implicit-def: $vgpr9
	s_and_saveexec_b32 s8, s4
	s_cbranch_execz .LBB145_344
; %bb.297:
	v_cvt_f32_f16_e32 v9, v6
                                        ; implicit-def: $vgpr16
	s_mov_b32 s5, exec_lo
	v_and_b32_e32 v15, 0x7fffffff, v9
	v_cmpx_ngt_f32_e64 0x3c800000, |v9|
	s_xor_b32 s6, exec_lo, s5
	s_cbranch_execz .LBB145_327
; %bb.298:
                                        ; implicit-def: $vgpr16
	s_mov_b32 s5, exec_lo
	v_cmpx_nlt_f32_e64 |v9|, 2.0
	s_xor_b32 s9, exec_lo, s5
	s_cbranch_execz .LBB145_308
; %bb.299:
	s_mov_b32 s5, exec_lo
                                        ; implicit-def: $vgpr16
	v_cmpx_ngt_f32_e64 0x41000000, |v9|
	s_xor_b32 s5, exec_lo, s5
	s_cbranch_execz .LBB145_305
; %bb.300:
	s_mov_b32 s10, exec_lo
                                        ; implicit-def: $vgpr16
	v_cmpx_ngt_f32_e64 0x5c800000, |v9|
	s_xor_b32 s10, exec_lo, s10
	s_cbranch_execz .LBB145_302
; %bb.301:
	v_cmp_gt_f32_e64 s11, 0x800000, |v9|
	v_cndmask_b32_e64 v16, 0, 32, s11
	v_ldexp_f32 v16, |v9|, v16
	v_log_f32_e32 v16, v16
	v_mul_f32_e32 v17, 0x3f317217, v16
	v_cmp_gt_f32_e64 s4, 0x7f800000, |v16|
	v_fma_f32 v18, 0x3f317217, v16, -v17
	v_fmamk_f32 v18, v16, 0x3377d1cf, v18
	v_add_f32_e32 v17, v17, v18
	v_cndmask_b32_e64 v16, v16, v17, s4
	v_cndmask_b32_e64 v17, 0, 0x41b17218, s11
	v_sub_f32_e32 v16, v16, v17
	v_fma_f32 v16, |v9|, v16, -|v9|
.LBB145_302:
	s_andn2_saveexec_b32 s10, s10
	s_cbranch_execz .LBB145_304
; %bb.303:
	v_cmp_gt_f32_e64 s11, 0x800000, |v9|
	v_rcp_f32_e64 v17, |v9|
	s_mov_b32 s4, 0xbad5c4e8
	v_cndmask_b32_e64 v16, 0, 32, s11
	v_ldexp_f32 v16, |v9|, v16
	v_mul_f32_e32 v18, v17, v17
	v_log_f32_e32 v16, v16
	v_fmaak_f32 v20, s4, v18, 0x3a5b3dd2
	v_fmaak_f32 v20, v18, v20, 0xba1c065c
	v_mul_f32_e32 v19, 0x3f317217, v16
	v_fmaak_f32 v20, v18, v20, 0x3a500cfd
	v_cmp_gt_f32_e64 s4, 0x7f800000, |v16|
	v_fma_f32 v21, 0x3f317217, v16, -v19
	v_fmaak_f32 v20, v18, v20, 0xbb360b61
	v_fmamk_f32 v21, v16, 0x3377d1cf, v21
	v_fmaak_f32 v18, v18, v20, 0x3daaaaab
	v_add_f32_e32 v19, v19, v21
	v_cndmask_b32_e64 v16, v16, v19, s4
	v_cndmask_b32_e64 v19, 0, 0x41b17218, s11
	v_sub_f32_e32 v19, v16, v19
	v_fmaak_f32 v16, v17, v18, 0x3ed67f1d
	v_add_f32_e64 v17, |v9|, -0.5
	v_add_f32_e32 v18, -1.0, v19
	v_fmac_f32_e32 v16, v17, v18
.LBB145_304:
	s_or_b32 exec_lo, exec_lo, s10
.LBB145_305:
	s_andn2_saveexec_b32 s10, s5
	s_cbranch_execz .LBB145_307
; %bb.306:
	v_cvt_i32_f32_e32 v16, v15
	s_mov_b32 s5, 0x3805ff67
	v_cvt_f32_i32_e32 v17, v16
	v_cmp_lt_i32_e64 s4, 2, v16
	v_sub_f32_e64 v17, |v9|, v17
	v_add_f32_e32 v18, 2.0, v17
	v_add_f32_e32 v19, 0x40400000, v17
	v_add_f32_e32 v20, 4.0, v17
	v_add_f32_e32 v21, 0x40a00000, v17
	v_cndmask_b32_e64 v18, 1.0, v18, s4
	v_cmp_lt_i32_e64 s4, 3, v16
	v_cndmask_b32_e64 v19, 1.0, v19, s4
	v_cmp_lt_i32_e64 s4, 4, v16
	v_mul_f32_e32 v18, v18, v19
	v_cndmask_b32_e64 v20, 1.0, v20, s4
	v_cmp_lt_i32_e64 s4, 5, v16
	v_add_f32_e32 v19, 0x40c00000, v17
	v_mul_f32_e32 v18, v20, v18
	v_cndmask_b32_e64 v21, 1.0, v21, s4
	v_cmp_lt_i32_e64 s4, 6, v16
	v_fmaak_f32 v20, s5, v17, 0x3af135b4
	v_mul_f32_e32 v18, v21, v18
	v_cndmask_b32_e64 v16, 1.0, v19, s4
	s_mov_b32 s4, 0x36f5d7bd
	v_mul_f32_e32 v16, v16, v18
	v_fmaak_f32 v18, s4, v17, 0x3a4beed6
	v_cmp_gt_f32_e64 s4, 0x800000, v16
	v_fmaak_f32 v18, v17, v18, 0x3c98bf54
	v_cndmask_b32_e64 v19, 0, 32, s4
	v_fmaak_f32 v18, v17, v18, 0x3e300f6e
	v_ldexp_f32 v16, v16, v19
	v_fmaak_f32 v19, v17, v20, 0x3cda40e4
	v_fmaak_f32 v18, v17, v18, 0x3f38d0c5
	v_log_f32_e32 v16, v16
	v_fmaak_f32 v19, v17, v19, 0x3e15dce6
	v_fmaak_f32 v18, v17, v18, 0x3fb22d3b
	;; [unrolled: 1-line block ×3, first 2 shown]
	v_fma_f32 v18, v17, v18, 1.0
	v_mul_f32_e32 v20, 0x3f317217, v16
	v_fmaak_f32 v19, v17, v19, 0x3e5c245a
	v_rcp_f32_e32 v18, v18
	v_cmp_gt_f32_e64 s5, 0x7f800000, |v16|
	v_fma_f32 v21, 0x3f317217, v16, -v20
	v_fmaak_f32 v19, v17, v19, 0xbd9e233f
	v_fmamk_f32 v21, v16, 0x3377d1cf, v21
	v_mul_f32_e32 v19, v17, v19
	v_add_f32_e32 v20, v20, v21
	v_mul_f32_e32 v18, v19, v18
	v_cndmask_b32_e64 v19, 0, 0x41b17218, s4
	v_cndmask_b32_e64 v16, v16, v20, s5
	v_fmac_f32_e32 v18, 0.5, v17
	v_sub_f32_e32 v16, v16, v19
	v_add_f32_e32 v16, v16, v18
.LBB145_307:
	s_or_b32 exec_lo, exec_lo, s10
.LBB145_308:
	s_andn2_saveexec_b32 s9, s9
	s_cbranch_execz .LBB145_326
; %bb.309:
                                        ; implicit-def: $vgpr16
                                        ; implicit-def: $vgpr18
                                        ; implicit-def: $vgpr17
	s_mov_b32 s5, exec_lo
	v_cmpx_ge_f32_e64 0x3f666666, |v9|
	s_xor_b32 s10, exec_lo, s5
	s_cbranch_execz .LBB145_311
; %bb.310:
	v_cmp_gt_f32_e64 s5, 0x800000, |v9|
	v_sub_f32_e64 v19, 1.0, |v9|
	v_cmp_gt_f32_e64 s4, 0x3f3b4a23, |v9|
	v_cndmask_b32_e64 v16, 0, 32, s5
	v_cndmask_b32_e64 v20, 0, 0x41b17218, s5
	v_ldexp_f32 v16, |v9|, v16
	v_log_f32_e32 v16, v16
	v_mul_f32_e32 v17, 0x3f317217, v16
	v_cmp_gt_f32_e64 s5, 0x7f800000, |v16|
	v_fma_f32 v18, 0x3f317217, v16, -v17
	v_fmamk_f32 v18, v16, 0x3377d1cf, v18
	v_add_f32_e32 v17, v17, v18
	v_add_f32_e64 v18, 0xbeec5b0c, |v9|
	v_cndmask_b32_e64 v16, v16, v17, s5
	v_cndmask_b32_e64 v17, v19, v18, s4
	;; [unrolled: 1-line block ×3, first 2 shown]
	v_cmp_gt_f32_e64 s4, 0x3e6d3309, |v9|
	v_sub_f32_e32 v16, v16, v20
	v_cndmask_b32_e64 v17, v17, |v9|, s4
	v_cndmask_b32_e64 v18, v18, 2, s4
	v_xor_b32_e32 v16, 0x80000000, v16
.LBB145_311:
	s_andn2_saveexec_b32 s5, s10
	s_cbranch_execz .LBB145_313
; %bb.312:
	v_sub_f32_e64 v16, 2.0, |v9|
	v_add_f32_e64 v17, 0xbfbb16c3, |v9|
	v_cmp_gt_f32_e64 s4, 0x3fdda512, |v9|
	v_add_f32_e64 v18, |v9|, -1.0
	v_cndmask_b32_e64 v17, v16, v17, s4
	v_cndmask_b32_e64 v16, v16, 1.0, s4
	v_cmp_gt_f32_e64 s4, 0x3f9d70a4, |v9|
	v_cvt_i32_f32_e32 v16, v16
	v_cndmask_b32_e64 v17, v17, v18, s4
	v_cndmask_b32_e64 v18, v16, 2, s4
	v_mov_b32_e32 v16, 0
.LBB145_313:
	s_or_b32 exec_lo, exec_lo, s5
	s_mov_b32 s5, exec_lo
	v_cmpx_lt_i32_e32 0, v18
	s_xor_b32 s5, exec_lo, s5
	s_cbranch_execz .LBB145_321
; %bb.314:
	s_mov_b32 s10, exec_lo
	v_cmpx_lt_i32_e32 1, v18
	s_xor_b32 s10, exec_lo, s10
	s_cbranch_execz .LBB145_318
; %bb.315:
	s_mov_b32 s11, exec_lo
	v_cmpx_eq_u32_e32 2, v18
	s_cbranch_execz .LBB145_317
; %bb.316:
	s_mov_b32 s4, 0x3b52d5db
	v_fmaak_f32 v18, s4, v17, 0x3dd572af
	s_mov_b32 s4, 0x3c5b3c5e
	v_fmaak_f32 v19, s4, v17, 0x3e6a7578
	v_fmaak_f32 v18, v17, v18, 0x3f44efdf
	;; [unrolled: 1-line block ×7, first 2 shown]
	v_fma_f32 v18, v17, v18, 1.0
	v_fmaak_f32 v19, v17, v19, 0xbd9e233f
	v_rcp_f32_e32 v18, v18
	v_mul_f32_e32 v19, v17, v19
	v_mul_f32_e32 v18, v19, v18
	v_fmac_f32_e32 v18, -0.5, v17
	v_add_f32_e32 v16, v16, v18
.LBB145_317:
	s_or_b32 exec_lo, exec_lo, s11
                                        ; implicit-def: $vgpr17
.LBB145_318:
	s_andn2_saveexec_b32 s4, s10
	s_cbranch_execz .LBB145_320
; %bb.319:
	v_mul_f32_e32 v18, v17, v17
	s_mov_b32 s10, 0xb9a3f927
	s_mov_b32 s11, 0x39afe9f7
	v_mul_f32_e32 v19, v17, v18
	v_fmaak_f32 v20, s10, v19, 0x3a66f867
	v_fmaak_f32 v21, s11, v19, 0xba0d3085
	s_mov_b32 s10, 0x39a57b6b
	v_fmaak_f32 v22, s10, v19, 0xbab7f476
	v_fmaak_f32 v20, v19, v20, 0xbb7177fe
	;; [unrolled: 1-line block ×9, first 2 shown]
	v_fmac_f32_e32 v20, v17, v21
	v_fmaak_f32 v17, v19, v22, 0x3ef7b95e
	v_fma_f32 v19, v19, -v20, 0xa2863e55
	v_fma_f32 v17, v18, v17, -v19
	v_add_f32_e32 v17, 0xbdf8cdce, v17
	v_add_f32_e32 v16, v16, v17
.LBB145_320:
	s_or_b32 exec_lo, exec_lo, s4
                                        ; implicit-def: $vgpr18
                                        ; implicit-def: $vgpr17
.LBB145_321:
	s_andn2_saveexec_b32 s5, s5
	s_cbranch_execz .LBB145_325
; %bb.322:
	s_mov_b32 s10, exec_lo
	v_cmpx_eq_u32_e32 0, v18
	s_cbranch_execz .LBB145_324
; %bb.323:
	v_mul_f32_e32 v18, v17, v17
	s_mov_b32 s4, 0x383c2c75
	v_fmaak_f32 v19, s4, v18, 0x38e28445
	s_mov_b32 s4, 0x37d383a2
	v_fmaak_f32 v20, s4, v18, 0x39679767
	v_fmaak_f32 v19, v18, v19, 0x3a05b634
	;; [unrolled: 1-line block ×9, first 2 shown]
	v_mul_f32_e32 v18, v18, v19
	v_fmac_f32_e32 v18, v17, v20
	v_fmac_f32_e32 v18, -0.5, v17
	v_add_f32_e32 v16, v16, v18
.LBB145_324:
	s_or_b32 exec_lo, exec_lo, s10
.LBB145_325:
	s_or_b32 exec_lo, exec_lo, s5
.LBB145_326:
	s_or_b32 exec_lo, exec_lo, s9
.LBB145_327:
	s_andn2_saveexec_b32 s5, s6
	s_cbranch_execz .LBB145_329
; %bb.328:
	v_cmp_gt_f32_e64 s6, 0x800000, |v9|
	s_mov_b32 s4, 0x3e8a8991
	v_fma_f32 v19, |v9|, s4, 0xbecd26ab
	v_cndmask_b32_e64 v16, 0, 32, s6
	v_ldexp_f32 v16, |v9|, v16
	v_log_f32_e32 v16, v16
	v_mul_f32_e32 v17, 0x3f317217, v16
	v_cmp_gt_f32_e64 s4, 0x7f800000, |v16|
	v_fma_f32 v18, 0x3f317217, v16, -v17
	v_fmamk_f32 v18, v16, 0x3377d1cf, v18
	v_add_f32_e32 v17, v17, v18
	v_fma_f32 v18, |v9|, v19, 0x3f528d33
	v_cndmask_b32_e64 v16, v16, v17, s4
	v_cndmask_b32_e64 v17, 0, 0x41b17218, s6
	v_fma_f32 v18, |v9|, v18, 0xbf13c468
	v_sub_f32_e32 v16, v16, v17
	v_fma_f32 v16, |v9|, v18, -v16
.LBB145_329:
	s_or_b32 exec_lo, exec_lo, s5
	v_cmp_le_f16_e64 s4, 0, v6
	s_mov_b32 s6, exec_lo
	v_cmpx_nle_f16_e32 0, v6
	s_xor_b32 s9, exec_lo, s6
	s_cbranch_execz .LBB145_333
; %bb.330:
	v_cmp_gt_f32_e64 s5, 0x4b000000, |v9|
	v_cmp_lt_f32_e64 s6, 0x35000000, |v9|
	s_and_b32 s5, s5, s6
	s_and_saveexec_b32 s10, s5
	s_cbranch_execz .LBB145_332
; %bb.331:
	v_mul_f32_e64 v17, |v9|, 0.5
	s_mov_b32 s6, 0x3d4be544
	v_xor_b32_e32 v15, v15, v9
	v_floor_f32_e32 v18, v17
	v_cmp_neq_f32_e64 s5, 0x7f800000, v17
	v_sub_f32_e32 v18, v17, v18
	v_min_f32_e32 v18, 0x3f7fffff, v18
	v_add_f32_e32 v18, v18, v18
	v_cndmask_b32_e64 v17, 0, v18, s5
	v_cmp_gt_f32_e64 s5, |v9|, 1.0
	v_cndmask_b32_e64 v17, |v9|, v17, s5
	s_mov_b32 s5, 0x3e75aa41
	v_add_f32_e32 v18, v17, v17
	v_rndne_f32_e32 v18, v18
	v_fmac_f32_e32 v17, -0.5, v18
	v_cvt_i32_f32_e32 v18, v18
	v_mul_f32_e32 v19, v17, v17
	v_fmaak_f32 v20, s5, v19, 0xbf1f24be
	v_fmaak_f32 v21, s6, v19, 0x3e642e9d
	v_mul_f32_e32 v22, v17, v19
	v_fmaak_f32 v20, v19, v20, 0x40234736
	v_fmaak_f32 v21, v19, v21, 0xbfaad1da
	;; [unrolled: 1-line block ×4, first 2 shown]
	v_mul_f32_e32 v20, v22, v20
	v_fmaak_f32 v21, v19, v21, 0xc09de9e6
	v_and_b32_e32 v22, 1, v18
	v_lshlrev_b32_e32 v18, 30, v18
	v_fmamk_f32 v17, v17, 0x40490fdb, v20
	v_fma_f32 v19, v19, v21, 1.0
	v_cmp_eq_u32_e64 s5, 0, v22
	v_and_b32_e32 v18, 0x80000000, v18
	v_cndmask_b32_e64 v17, v19, v17, s5
	v_xor3_b32 v15, v15, v18, v17
	v_mul_f32_e32 v15, v9, v15
	v_frexp_mant_f32_e64 v17, |v15|
	v_frexp_exp_i32_f32_e32 v15, v15
	v_rcp_f32_e32 v17, v17
	v_sub_nc_u32_e32 v15, 2, v15
	v_mul_f32_e32 v17, 0x3f490fdb, v17
	v_ldexp_f32 v15, v17, v15
	v_cmp_gt_f32_e64 s5, 0x800000, v15
	v_cndmask_b32_e64 v17, 0, 32, s5
	v_ldexp_f32 v15, v15, v17
	v_log_f32_e32 v15, v15
	v_mul_f32_e32 v17, 0x3f317217, v15
	v_cmp_gt_f32_e64 s6, 0x7f800000, |v15|
	v_fma_f32 v18, 0x3f317217, v15, -v17
	v_fmamk_f32 v18, v15, 0x3377d1cf, v18
	v_add_f32_e32 v17, v17, v18
	v_floor_f32_e32 v18, v9
	v_cndmask_b32_e64 v15, v15, v17, s6
	v_cndmask_b32_e64 v17, 0, 0x41b17218, s5
	v_sub_f32_e32 v18, v9, v18
	v_sub_f32_e32 v15, v15, v17
	v_min_f32_e32 v17, 0x3f7fffff, v18
	v_sub_f32_e32 v15, v15, v16
	v_cmp_neq_f32_e64 s5, 0, v17
	v_cndmask_b32_e64 v16, 0x7f800000, v15, s5
.LBB145_332:
	s_or_b32 exec_lo, exec_lo, s10
.LBB145_333:
	s_andn2_saveexec_b32 s9, s9
; %bb.334:
	v_cmp_eq_f16_e64 s5, 1.0, v6
	v_cmp_eq_f16_e64 s6, 2.0, v6
	s_or_b32 s5, s5, s6
	v_cndmask_b32_e64 v16, v16, 0, s5
; %bb.335:
	s_or_b32 exec_lo, exec_lo, s9
	v_cmp_gt_f32_e64 s5, 0x4b000000, |v9|
	v_cvt_f16_f32_e32 v15, v16
	s_or_b32 s4, s4, s5
	v_cndmask_b32_e64 v15, 0x7c00, v15, s4
	v_cmp_class_f32_e64 s4, v9, 0x264
	v_cndmask_b32_e64 v9, v15, 0x7c00, s4
	v_cmp_u_f16_e64 s4, v6, v6
	v_cndmask_b32_e64 v9, v9, v6, s4
	s_or_b32 exec_lo, exec_lo, s8
	s_and_saveexec_b32 s4, vcc_lo
	s_xor_b32 s4, exec_lo, s4
	s_cbranch_execnz .LBB145_345
.LBB145_336:
	s_or_b32 exec_lo, exec_lo, s4
	s_mov_b32 s4, exec_lo
	v_cmpx_lt_i32_e64 v7, v4
	s_cbranch_execz .LBB145_346
.LBB145_337:
	v_add_nc_u32_e32 v5, s7, v7
	v_mov_b32_e32 v6, 0
	v_add_nc_u32_e32 v7, 0x100, v7
	v_lshlrev_b64 v[5:6], 1, v[5:6]
	v_add_co_u32 v5, vcc_lo, v0, v5
	v_add_co_ci_u32_e64 v6, null, v1, v6, vcc_lo
	flat_store_short v[5:6], v3
	s_or_b32 exec_lo, exec_lo, s4
	s_mov_b32 s4, exec_lo
	v_cmpx_lt_i32_e64 v7, v4
	s_cbranch_execnz .LBB145_347
.LBB145_338:
	s_or_b32 exec_lo, exec_lo, s4
	s_mov_b32 s4, exec_lo
	v_cmpx_lt_i32_e64 v7, v4
	s_cbranch_execz .LBB145_348
.LBB145_339:
	v_add_nc_u32_e32 v2, s7, v7
	v_mov_b32_e32 v3, 0
	v_add_nc_u32_e32 v7, 0x100, v7
	v_lshlrev_b64 v[2:3], 1, v[2:3]
	v_add_co_u32 v2, vcc_lo, v0, v2
	v_add_co_ci_u32_e64 v3, null, v1, v3, vcc_lo
	flat_store_short v[2:3], v14
	s_or_b32 exec_lo, exec_lo, s4
	s_mov_b32 s4, exec_lo
	v_cmpx_lt_i32_e64 v7, v4
	s_cbranch_execnz .LBB145_349
.LBB145_340:
	s_or_b32 exec_lo, exec_lo, s4
	s_mov_b32 s4, exec_lo
	v_cmpx_lt_i32_e64 v7, v4
	s_cbranch_execz .LBB145_350
.LBB145_341:
	v_add_nc_u32_e32 v2, s7, v7
	v_mov_b32_e32 v3, 0
	v_add_nc_u32_e32 v7, 0x100, v7
	v_lshlrev_b64 v[2:3], 1, v[2:3]
	v_add_co_u32 v2, vcc_lo, v0, v2
	v_add_co_ci_u32_e64 v3, null, v1, v3, vcc_lo
	flat_store_short v[2:3], v11
	s_or_b32 exec_lo, exec_lo, s4
	s_mov_b32 s4, exec_lo
	v_cmpx_lt_i32_e64 v7, v4
	s_cbranch_execnz .LBB145_351
.LBB145_342:
	s_or_b32 exec_lo, exec_lo, s4
	s_mov_b32 s4, exec_lo
	v_cmpx_lt_i32_e64 v7, v4
	s_cbranch_execz .LBB145_352
.LBB145_343:
	v_add_nc_u32_e32 v2, s7, v7
	v_mov_b32_e32 v3, 0
	v_lshlrev_b64 v[2:3], 1, v[2:3]
	v_add_co_u32 v0, vcc_lo, v0, v2
	v_add_co_ci_u32_e64 v1, null, v1, v3, vcc_lo
	flat_store_short v[0:1], v9
	s_or_b32 exec_lo, exec_lo, s4
	s_waitcnt lgkmcnt(0)
	s_setpc_b64 s[30:31]
.LBB145_344:
	s_or_b32 exec_lo, exec_lo, s8
	s_and_saveexec_b32 s4, vcc_lo
	s_xor_b32 s4, exec_lo, s4
	s_cbranch_execz .LBB145_336
.LBB145_345:
	v_mov_b32_e32 v6, 0
	v_mov_b32_e32 v7, v8
	v_lshlrev_b64 v[5:6], 1, v[5:6]
	v_add_co_u32 v5, vcc_lo, v0, v5
	v_add_co_ci_u32_e64 v6, null, v1, v6, vcc_lo
	flat_store_short v[5:6], v2
	s_or_b32 exec_lo, exec_lo, s4
	s_mov_b32 s4, exec_lo
	v_cmpx_lt_i32_e64 v7, v4
	s_cbranch_execnz .LBB145_337
.LBB145_346:
	s_or_b32 exec_lo, exec_lo, s4
	s_mov_b32 s4, exec_lo
	v_cmpx_lt_i32_e64 v7, v4
	s_cbranch_execz .LBB145_338
.LBB145_347:
	v_add_nc_u32_e32 v2, s7, v7
	v_mov_b32_e32 v3, 0
	v_add_nc_u32_e32 v7, 0x100, v7
	v_lshlrev_b64 v[2:3], 1, v[2:3]
	v_add_co_u32 v2, vcc_lo, v0, v2
	v_add_co_ci_u32_e64 v3, null, v1, v3, vcc_lo
	flat_store_short v[2:3], v12
	s_or_b32 exec_lo, exec_lo, s4
	s_mov_b32 s4, exec_lo
	v_cmpx_lt_i32_e64 v7, v4
	s_cbranch_execnz .LBB145_339
.LBB145_348:
	s_or_b32 exec_lo, exec_lo, s4
	s_mov_b32 s4, exec_lo
	v_cmpx_lt_i32_e64 v7, v4
	s_cbranch_execz .LBB145_340
.LBB145_349:
	v_add_nc_u32_e32 v2, s7, v7
	v_mov_b32_e32 v3, 0
	v_add_nc_u32_e32 v7, 0x100, v7
	v_lshlrev_b64 v[2:3], 1, v[2:3]
	v_add_co_u32 v2, vcc_lo, v0, v2
	v_add_co_ci_u32_e64 v3, null, v1, v3, vcc_lo
	flat_store_short v[2:3], v13
	s_or_b32 exec_lo, exec_lo, s4
	s_mov_b32 s4, exec_lo
	v_cmpx_lt_i32_e64 v7, v4
	s_cbranch_execnz .LBB145_341
.LBB145_350:
	s_or_b32 exec_lo, exec_lo, s4
	s_mov_b32 s4, exec_lo
	v_cmpx_lt_i32_e64 v7, v4
	s_cbranch_execz .LBB145_342
.LBB145_351:
	v_add_nc_u32_e32 v2, s7, v7
	v_mov_b32_e32 v3, 0
	v_add_nc_u32_e32 v7, 0x100, v7
	v_lshlrev_b64 v[2:3], 1, v[2:3]
	v_add_co_u32 v2, vcc_lo, v0, v2
	v_add_co_ci_u32_e64 v3, null, v1, v3, vcc_lo
	flat_store_short v[2:3], v10
	s_or_b32 exec_lo, exec_lo, s4
	s_mov_b32 s4, exec_lo
	v_cmpx_lt_i32_e64 v7, v4
	s_cbranch_execnz .LBB145_343
.LBB145_352:
	s_or_b32 exec_lo, exec_lo, s4
	s_waitcnt lgkmcnt(0)
	s_setpc_b64 s[30:31]
.Lfunc_end145:
	.size	_ZN2at6native25elementwise_kernel_helperILb0EZZZNS0_18lgamma_kernel_cudaERNS_18TensorIteratorBaseEENKUlvE_clEvENKUlvE1_clEvEUlN3c104HalfEE_NS0_6memory8policies11unroll_baseILi256ESt5arrayIPcLm2EE23TrivialOffsetCalculatorILi1EjESG_NS9_15LoadWithoutCastENS9_16StoreWithoutCastELi8ELi1EEEEEvT0_T1_, .Lfunc_end145-_ZN2at6native25elementwise_kernel_helperILb0EZZZNS0_18lgamma_kernel_cudaERNS_18TensorIteratorBaseEENKUlvE_clEvENKUlvE1_clEvEUlN3c104HalfEE_NS0_6memory8policies11unroll_baseILi256ESt5arrayIPcLm2EE23TrivialOffsetCalculatorILi1EjESG_NS9_15LoadWithoutCastENS9_16StoreWithoutCastELi8ELi1EEEEEvT0_T1_
                                        ; -- End function
	.set .L_ZN2at6native25elementwise_kernel_helperILb0EZZZNS0_18lgamma_kernel_cudaERNS_18TensorIteratorBaseEENKUlvE_clEvENKUlvE1_clEvEUlN3c104HalfEE_NS0_6memory8policies11unroll_baseILi256ESt5arrayIPcLm2EE23TrivialOffsetCalculatorILi1EjESG_NS9_15LoadWithoutCastENS9_16StoreWithoutCastELi8ELi1EEEEEvT0_T1_.num_vgpr, 32
	.set .L_ZN2at6native25elementwise_kernel_helperILb0EZZZNS0_18lgamma_kernel_cudaERNS_18TensorIteratorBaseEENKUlvE_clEvENKUlvE1_clEvEUlN3c104HalfEE_NS0_6memory8policies11unroll_baseILi256ESt5arrayIPcLm2EE23TrivialOffsetCalculatorILi1EjESG_NS9_15LoadWithoutCastENS9_16StoreWithoutCastELi8ELi1EEEEEvT0_T1_.num_agpr, 0
	.set .L_ZN2at6native25elementwise_kernel_helperILb0EZZZNS0_18lgamma_kernel_cudaERNS_18TensorIteratorBaseEENKUlvE_clEvENKUlvE1_clEvEUlN3c104HalfEE_NS0_6memory8policies11unroll_baseILi256ESt5arrayIPcLm2EE23TrivialOffsetCalculatorILi1EjESG_NS9_15LoadWithoutCastENS9_16StoreWithoutCastELi8ELi1EEEEEvT0_T1_.numbered_sgpr, 32
	.set .L_ZN2at6native25elementwise_kernel_helperILb0EZZZNS0_18lgamma_kernel_cudaERNS_18TensorIteratorBaseEENKUlvE_clEvENKUlvE1_clEvEUlN3c104HalfEE_NS0_6memory8policies11unroll_baseILi256ESt5arrayIPcLm2EE23TrivialOffsetCalculatorILi1EjESG_NS9_15LoadWithoutCastENS9_16StoreWithoutCastELi8ELi1EEEEEvT0_T1_.num_named_barrier, 0
	.set .L_ZN2at6native25elementwise_kernel_helperILb0EZZZNS0_18lgamma_kernel_cudaERNS_18TensorIteratorBaseEENKUlvE_clEvENKUlvE1_clEvEUlN3c104HalfEE_NS0_6memory8policies11unroll_baseILi256ESt5arrayIPcLm2EE23TrivialOffsetCalculatorILi1EjESG_NS9_15LoadWithoutCastENS9_16StoreWithoutCastELi8ELi1EEEEEvT0_T1_.private_seg_size, 0
	.set .L_ZN2at6native25elementwise_kernel_helperILb0EZZZNS0_18lgamma_kernel_cudaERNS_18TensorIteratorBaseEENKUlvE_clEvENKUlvE1_clEvEUlN3c104HalfEE_NS0_6memory8policies11unroll_baseILi256ESt5arrayIPcLm2EE23TrivialOffsetCalculatorILi1EjESG_NS9_15LoadWithoutCastENS9_16StoreWithoutCastELi8ELi1EEEEEvT0_T1_.uses_vcc, 1
	.set .L_ZN2at6native25elementwise_kernel_helperILb0EZZZNS0_18lgamma_kernel_cudaERNS_18TensorIteratorBaseEENKUlvE_clEvENKUlvE1_clEvEUlN3c104HalfEE_NS0_6memory8policies11unroll_baseILi256ESt5arrayIPcLm2EE23TrivialOffsetCalculatorILi1EjESG_NS9_15LoadWithoutCastENS9_16StoreWithoutCastELi8ELi1EEEEEvT0_T1_.uses_flat_scratch, 0
	.set .L_ZN2at6native25elementwise_kernel_helperILb0EZZZNS0_18lgamma_kernel_cudaERNS_18TensorIteratorBaseEENKUlvE_clEvENKUlvE1_clEvEUlN3c104HalfEE_NS0_6memory8policies11unroll_baseILi256ESt5arrayIPcLm2EE23TrivialOffsetCalculatorILi1EjESG_NS9_15LoadWithoutCastENS9_16StoreWithoutCastELi8ELi1EEEEEvT0_T1_.has_dyn_sized_stack, 0
	.set .L_ZN2at6native25elementwise_kernel_helperILb0EZZZNS0_18lgamma_kernel_cudaERNS_18TensorIteratorBaseEENKUlvE_clEvENKUlvE1_clEvEUlN3c104HalfEE_NS0_6memory8policies11unroll_baseILi256ESt5arrayIPcLm2EE23TrivialOffsetCalculatorILi1EjESG_NS9_15LoadWithoutCastENS9_16StoreWithoutCastELi8ELi1EEEEEvT0_T1_.has_recursion, 0
	.set .L_ZN2at6native25elementwise_kernel_helperILb0EZZZNS0_18lgamma_kernel_cudaERNS_18TensorIteratorBaseEENKUlvE_clEvENKUlvE1_clEvEUlN3c104HalfEE_NS0_6memory8policies11unroll_baseILi256ESt5arrayIPcLm2EE23TrivialOffsetCalculatorILi1EjESG_NS9_15LoadWithoutCastENS9_16StoreWithoutCastELi8ELi1EEEEEvT0_T1_.has_indirect_call, 0
	.section	.AMDGPU.csdata,"",@progbits
; Function info:
; codeLenInByte = 20312
; TotalNumSgprs: 34
; NumVgprs: 32
; ScratchSize: 0
; MemoryBound: 0
	.text
	.p2align	2                               ; -- Begin function _ZN2at6native25elementwise_kernel_helperILb0EZZZNS0_18lgamma_kernel_cudaERNS_18TensorIteratorBaseEENKUlvE_clEvENKUlvE1_clEvEUlN3c104HalfEE_NS0_6memory8policies10vectorizedILi8ESt5arrayIPcLm2EELi8EEEEEvT0_T1_
	.type	_ZN2at6native25elementwise_kernel_helperILb0EZZZNS0_18lgamma_kernel_cudaERNS_18TensorIteratorBaseEENKUlvE_clEvENKUlvE1_clEvEUlN3c104HalfEE_NS0_6memory8policies10vectorizedILi8ESt5arrayIPcLm2EELi8EEEEEvT0_T1_,@function
_ZN2at6native25elementwise_kernel_helperILb0EZZZNS0_18lgamma_kernel_cudaERNS_18TensorIteratorBaseEENKUlvE_clEvENKUlvE1_clEvEUlN3c104HalfEE_NS0_6memory8policies10vectorizedILi8ESt5arrayIPcLm2EELi8EEEEEvT0_T1_: ; @_ZN2at6native25elementwise_kernel_helperILb0EZZZNS0_18lgamma_kernel_cudaERNS_18TensorIteratorBaseEENKUlvE_clEvENKUlvE1_clEvEUlN3c104HalfEE_NS0_6memory8policies10vectorizedILi8ESt5arrayIPcLm2EELi8EEEEEvT0_T1_
; %bb.0:
	s_waitcnt vmcnt(0) expcnt(0) lgkmcnt(0)
	s_lshl_b32 s4, s12, 11
	v_and_b32_e32 v4, 0x3ff, v31
	s_ashr_i32 s5, s4, 31
                                        ; implicit-def: $vgpr8
	s_lshl_b64 s[14:15], s[4:5], 1
	s_mov_b32 s5, exec_lo
	v_lshlrev_b32_e32 v6, 4, v4
	v_add_co_u32 v2, vcc_lo, v2, s14
	v_add_co_ci_u32_e64 v3, null, s15, v3, vcc_lo
	v_add_co_u32 v2, vcc_lo, v2, v6
	v_add_co_ci_u32_e64 v3, null, 0, v3, vcc_lo
	flat_load_dwordx4 v[2:5], v[2:3]
	s_waitcnt vmcnt(0) lgkmcnt(0)
	v_cvt_f32_f16_e32 v7, v2
	v_and_b32_e32 v9, 0x7fffffff, v7
	v_cmpx_ngt_f32_e64 0x3c800000, |v7|
	s_xor_b32 s5, exec_lo, s5
	s_cbranch_execz .LBB146_30
; %bb.1:
	s_mov_b32 s6, exec_lo
                                        ; implicit-def: $vgpr8
	v_cmpx_nlt_f32_e64 |v7|, 2.0
	s_xor_b32 s6, exec_lo, s6
	s_cbranch_execz .LBB146_11
; %bb.2:
	v_cmp_ngt_f32_e64 s4, 0x41000000, |v7|
                                        ; implicit-def: $vgpr8
	s_and_saveexec_b32 s7, s4
	s_xor_b32 s4, exec_lo, s7
	s_cbranch_execz .LBB146_8
; %bb.3:
	v_cmp_ngt_f32_e64 s7, 0x5c800000, |v7|
                                        ; implicit-def: $vgpr8
	s_and_saveexec_b32 s8, s7
	s_xor_b32 s7, exec_lo, s8
	s_cbranch_execz .LBB146_5
; %bb.4:
	v_cmp_gt_f32_e64 s8, 0x800000, |v7|
	v_cndmask_b32_e64 v8, 0, 32, s8
	v_ldexp_f32 v8, |v7|, v8
	v_log_f32_e32 v8, v8
	v_mul_f32_e32 v10, 0x3f317217, v8
	v_cmp_gt_f32_e64 vcc_lo, 0x7f800000, |v8|
	v_fma_f32 v11, 0x3f317217, v8, -v10
	v_fmamk_f32 v11, v8, 0x3377d1cf, v11
	v_add_f32_e32 v10, v10, v11
	v_cndmask_b32_e32 v8, v8, v10, vcc_lo
	v_cndmask_b32_e64 v10, 0, 0x41b17218, s8
	v_sub_f32_e32 v8, v8, v10
	v_fma_f32 v8, |v7|, v8, -|v7|
.LBB146_5:
	s_andn2_saveexec_b32 s7, s7
	s_cbranch_execz .LBB146_7
; %bb.6:
	v_cmp_gt_f32_e64 s8, 0x800000, |v7|
	v_rcp_f32_e64 v10, |v7|
	s_mov_b32 s9, 0xbad5c4e8
	v_cndmask_b32_e64 v8, 0, 32, s8
	v_ldexp_f32 v8, |v7|, v8
	v_mul_f32_e32 v11, v10, v10
	v_log_f32_e32 v8, v8
	v_fmaak_f32 v13, s9, v11, 0x3a5b3dd2
	v_fmaak_f32 v13, v11, v13, 0xba1c065c
	v_mul_f32_e32 v12, 0x3f317217, v8
	v_fmaak_f32 v13, v11, v13, 0x3a500cfd
	v_cmp_gt_f32_e64 vcc_lo, 0x7f800000, |v8|
	v_fma_f32 v14, 0x3f317217, v8, -v12
	v_fmaak_f32 v13, v11, v13, 0xbb360b61
	v_fmamk_f32 v14, v8, 0x3377d1cf, v14
	v_fmaak_f32 v11, v11, v13, 0x3daaaaab
	v_add_f32_e32 v12, v12, v14
	v_cndmask_b32_e32 v8, v8, v12, vcc_lo
	v_cndmask_b32_e64 v12, 0, 0x41b17218, s8
	v_sub_f32_e32 v12, v8, v12
	v_fmaak_f32 v8, v10, v11, 0x3ed67f1d
	v_add_f32_e64 v10, |v7|, -0.5
	v_add_f32_e32 v11, -1.0, v12
	v_fmac_f32_e32 v8, v10, v11
.LBB146_7:
	s_or_b32 exec_lo, exec_lo, s7
.LBB146_8:
	s_andn2_saveexec_b32 s7, s4
	s_cbranch_execz .LBB146_10
; %bb.9:
	v_cvt_i32_f32_e32 v8, v9
	s_mov_b32 s4, 0x36f5d7bd
	s_mov_b32 s8, 0x3805ff67
	v_cvt_f32_i32_e32 v10, v8
	v_cmp_lt_i32_e32 vcc_lo, 2, v8
	v_sub_f32_e64 v10, |v7|, v10
	v_add_f32_e32 v11, 2.0, v10
	v_add_f32_e32 v12, 0x40400000, v10
	v_add_f32_e32 v13, 4.0, v10
	v_add_f32_e32 v14, 0x40a00000, v10
	v_cndmask_b32_e32 v11, 1.0, v11, vcc_lo
	v_cmp_lt_i32_e32 vcc_lo, 3, v8
	v_cndmask_b32_e32 v12, 1.0, v12, vcc_lo
	v_cmp_lt_i32_e32 vcc_lo, 4, v8
	v_mul_f32_e32 v11, v11, v12
	v_cndmask_b32_e32 v13, 1.0, v13, vcc_lo
	v_cmp_lt_i32_e32 vcc_lo, 5, v8
	v_add_f32_e32 v12, 0x40c00000, v10
	v_mul_f32_e32 v11, v13, v11
	v_cndmask_b32_e32 v14, 1.0, v14, vcc_lo
	v_cmp_lt_i32_e32 vcc_lo, 6, v8
	v_fmaak_f32 v13, s8, v10, 0x3af135b4
	v_mul_f32_e32 v11, v14, v11
	v_cndmask_b32_e32 v8, 1.0, v12, vcc_lo
	v_mul_f32_e32 v8, v8, v11
	v_fmaak_f32 v11, s4, v10, 0x3a4beed6
	v_cmp_gt_f32_e32 vcc_lo, 0x800000, v8
	v_fmaak_f32 v11, v10, v11, 0x3c98bf54
	v_cndmask_b32_e64 v12, 0, 32, vcc_lo
	v_fmaak_f32 v11, v10, v11, 0x3e300f6e
	v_ldexp_f32 v8, v8, v12
	v_fmaak_f32 v12, v10, v13, 0x3cda40e4
	v_fmaak_f32 v11, v10, v11, 0x3f38d0c5
	v_log_f32_e32 v8, v8
	v_fmaak_f32 v12, v10, v12, 0x3e15dce6
	v_fmaak_f32 v11, v10, v11, 0x3fb22d3b
	;; [unrolled: 1-line block ×3, first 2 shown]
	v_fma_f32 v11, v10, v11, 1.0
	v_mul_f32_e32 v13, 0x3f317217, v8
	v_fmaak_f32 v12, v10, v12, 0x3e5c245a
	v_rcp_f32_e32 v11, v11
	v_cmp_gt_f32_e64 s4, 0x7f800000, |v8|
	v_fma_f32 v14, 0x3f317217, v8, -v13
	v_fmaak_f32 v12, v10, v12, 0xbd9e233f
	v_fmamk_f32 v14, v8, 0x3377d1cf, v14
	v_mul_f32_e32 v12, v10, v12
	v_add_f32_e32 v13, v13, v14
	v_mul_f32_e32 v11, v12, v11
	v_cndmask_b32_e64 v12, 0, 0x41b17218, vcc_lo
	v_cndmask_b32_e64 v8, v8, v13, s4
	v_fmac_f32_e32 v11, 0.5, v10
	v_sub_f32_e32 v8, v8, v12
	v_add_f32_e32 v8, v8, v11
.LBB146_10:
	s_or_b32 exec_lo, exec_lo, s7
.LBB146_11:
	s_andn2_saveexec_b32 s6, s6
	s_cbranch_execz .LBB146_29
; %bb.12:
	s_mov_b32 s7, exec_lo
                                        ; implicit-def: $vgpr8
                                        ; implicit-def: $vgpr11
                                        ; implicit-def: $vgpr10
	v_cmpx_ge_f32_e64 0x3f666666, |v7|
	s_xor_b32 s7, exec_lo, s7
	s_cbranch_execz .LBB146_14
; %bb.13:
	v_cmp_gt_f32_e64 s4, 0x800000, |v7|
	v_sub_f32_e64 v12, 1.0, |v7|
	v_cmp_gt_f32_e64 vcc_lo, 0x3f3b4a23, |v7|
	v_cndmask_b32_e64 v8, 0, 32, s4
	v_cndmask_b32_e64 v13, 0, 0x41b17218, s4
	v_ldexp_f32 v8, |v7|, v8
	v_log_f32_e32 v8, v8
	v_mul_f32_e32 v10, 0x3f317217, v8
	v_cmp_gt_f32_e64 s4, 0x7f800000, |v8|
	v_fma_f32 v11, 0x3f317217, v8, -v10
	v_fmamk_f32 v11, v8, 0x3377d1cf, v11
	v_add_f32_e32 v10, v10, v11
	v_add_f32_e64 v11, 0xbeec5b0c, |v7|
	v_cndmask_b32_e64 v8, v8, v10, s4
	v_cndmask_b32_e32 v10, v12, v11, vcc_lo
	v_cndmask_b32_e64 v11, 0, 1, vcc_lo
	v_cmp_gt_f32_e64 s4, 0x3e6d3309, |v7|
	v_sub_f32_e32 v8, v8, v13
	v_cndmask_b32_e64 v10, v10, |v7|, s4
	v_cndmask_b32_e64 v11, v11, 2, s4
	v_xor_b32_e32 v8, 0x80000000, v8
.LBB146_14:
	s_andn2_saveexec_b32 s4, s7
	s_cbranch_execz .LBB146_16
; %bb.15:
	v_sub_f32_e64 v8, 2.0, |v7|
	v_add_f32_e64 v10, 0xbfbb16c3, |v7|
	v_cmp_gt_f32_e64 vcc_lo, 0x3fdda512, |v7|
	v_add_f32_e64 v11, |v7|, -1.0
	v_cndmask_b32_e32 v10, v8, v10, vcc_lo
	v_cndmask_b32_e64 v8, v8, 1.0, vcc_lo
	v_cmp_gt_f32_e64 vcc_lo, 0x3f9d70a4, |v7|
	v_cvt_i32_f32_e32 v8, v8
	v_cndmask_b32_e32 v10, v10, v11, vcc_lo
	v_cndmask_b32_e64 v11, v8, 2, vcc_lo
	v_mov_b32_e32 v8, 0
.LBB146_16:
	s_or_b32 exec_lo, exec_lo, s4
	s_mov_b32 s4, exec_lo
	v_cmpx_lt_i32_e32 0, v11
	s_xor_b32 s4, exec_lo, s4
	s_cbranch_execz .LBB146_24
; %bb.17:
	s_mov_b32 s7, exec_lo
	v_cmpx_lt_i32_e32 1, v11
	s_xor_b32 s7, exec_lo, s7
	s_cbranch_execz .LBB146_21
; %bb.18:
	s_mov_b32 s8, exec_lo
	v_cmpx_eq_u32_e32 2, v11
	s_cbranch_execz .LBB146_20
; %bb.19:
	s_mov_b32 s9, 0x3b52d5db
	v_fmaak_f32 v11, s9, v10, 0x3dd572af
	s_mov_b32 s9, 0x3c5b3c5e
	v_fmaak_f32 v12, s9, v10, 0x3e6a7578
	v_fmaak_f32 v11, v10, v11, 0x3f44efdf
	;; [unrolled: 1-line block ×7, first 2 shown]
	v_fma_f32 v11, v10, v11, 1.0
	v_fmaak_f32 v12, v10, v12, 0xbd9e233f
	v_rcp_f32_e32 v11, v11
	v_mul_f32_e32 v12, v10, v12
	v_mul_f32_e32 v11, v12, v11
	v_fmac_f32_e32 v11, -0.5, v10
	v_add_f32_e32 v8, v8, v11
.LBB146_20:
	s_or_b32 exec_lo, exec_lo, s8
                                        ; implicit-def: $vgpr10
.LBB146_21:
	s_andn2_saveexec_b32 s7, s7
	s_cbranch_execz .LBB146_23
; %bb.22:
	v_mul_f32_e32 v11, v10, v10
	s_mov_b32 s8, 0xb9a3f927
	s_mov_b32 s9, 0x39afe9f7
	v_mul_f32_e32 v12, v10, v11
	v_fmaak_f32 v13, s8, v12, 0x3a66f867
	v_fmaak_f32 v14, s9, v12, 0xba0d3085
	s_mov_b32 s8, 0x39a57b6b
	v_fmaak_f32 v15, s8, v12, 0xbab7f476
	v_fmaak_f32 v13, v12, v13, 0xbb7177fe
	;; [unrolled: 1-line block ×9, first 2 shown]
	v_fmac_f32_e32 v13, v10, v14
	v_fmaak_f32 v10, v12, v15, 0x3ef7b95e
	v_fma_f32 v12, v12, -v13, 0xa2863e55
	v_fma_f32 v10, v11, v10, -v12
	v_add_f32_e32 v10, 0xbdf8cdce, v10
	v_add_f32_e32 v8, v8, v10
.LBB146_23:
	s_or_b32 exec_lo, exec_lo, s7
                                        ; implicit-def: $vgpr11
                                        ; implicit-def: $vgpr10
.LBB146_24:
	s_andn2_saveexec_b32 s4, s4
	s_cbranch_execz .LBB146_28
; %bb.25:
	s_mov_b32 s7, exec_lo
	v_cmpx_eq_u32_e32 0, v11
	s_cbranch_execz .LBB146_27
; %bb.26:
	v_mul_f32_e32 v11, v10, v10
	s_mov_b32 s8, 0x383c2c75
	v_fmaak_f32 v12, s8, v11, 0x38e28445
	s_mov_b32 s8, 0x37d383a2
	v_fmaak_f32 v13, s8, v11, 0x39679767
	v_fmaak_f32 v12, v11, v12, 0x3a05b634
	;; [unrolled: 1-line block ×9, first 2 shown]
	v_mul_f32_e32 v11, v11, v12
	v_fmac_f32_e32 v11, v10, v13
	v_fmac_f32_e32 v11, -0.5, v10
	v_add_f32_e32 v8, v8, v11
.LBB146_27:
	s_or_b32 exec_lo, exec_lo, s7
.LBB146_28:
	s_or_b32 exec_lo, exec_lo, s4
.LBB146_29:
	s_or_b32 exec_lo, exec_lo, s6
.LBB146_30:
	s_andn2_saveexec_b32 s4, s5
	s_cbranch_execz .LBB146_32
; %bb.31:
	v_cmp_gt_f32_e64 s5, 0x800000, |v7|
	s_mov_b32 s6, 0x3e8a8991
	v_fma_f32 v12, |v7|, s6, 0xbecd26ab
	v_cndmask_b32_e64 v8, 0, 32, s5
	v_ldexp_f32 v8, |v7|, v8
	v_log_f32_e32 v8, v8
	v_mul_f32_e32 v10, 0x3f317217, v8
	v_cmp_gt_f32_e64 vcc_lo, 0x7f800000, |v8|
	v_fma_f32 v11, 0x3f317217, v8, -v10
	v_fmamk_f32 v11, v8, 0x3377d1cf, v11
	v_add_f32_e32 v10, v10, v11
	v_fma_f32 v11, |v7|, v12, 0x3f528d33
	v_cndmask_b32_e32 v8, v8, v10, vcc_lo
	v_cndmask_b32_e64 v10, 0, 0x41b17218, s5
	v_fma_f32 v11, |v7|, v11, 0xbf13c468
	v_sub_f32_e32 v8, v8, v10
	v_fma_f32 v8, |v7|, v11, -v8
.LBB146_32:
	s_or_b32 exec_lo, exec_lo, s4
	v_cmp_le_f16_e32 vcc_lo, 0, v2
	s_mov_b32 s5, exec_lo
	v_cmpx_nle_f16_e32 0, v2
	s_xor_b32 s6, exec_lo, s5
	s_cbranch_execz .LBB146_36
; %bb.33:
	v_cmp_gt_f32_e64 s4, 0x4b000000, |v7|
	v_cmp_lt_f32_e64 s5, 0x35000000, |v7|
	s_and_b32 s4, s4, s5
	s_and_saveexec_b32 s7, s4
	s_cbranch_execz .LBB146_35
; %bb.34:
	v_mul_f32_e64 v10, |v7|, 0.5
	s_mov_b32 s5, 0x3d4be544
	v_xor_b32_e32 v9, v9, v7
	v_floor_f32_e32 v11, v10
	v_cmp_neq_f32_e64 s4, 0x7f800000, v10
	v_sub_f32_e32 v11, v10, v11
	v_min_f32_e32 v11, 0x3f7fffff, v11
	v_add_f32_e32 v11, v11, v11
	v_cndmask_b32_e64 v10, 0, v11, s4
	v_cmp_gt_f32_e64 s4, |v7|, 1.0
	v_cndmask_b32_e64 v10, |v7|, v10, s4
	s_mov_b32 s4, 0x3e75aa41
	v_add_f32_e32 v11, v10, v10
	v_rndne_f32_e32 v11, v11
	v_fmac_f32_e32 v10, -0.5, v11
	v_cvt_i32_f32_e32 v11, v11
	v_mul_f32_e32 v12, v10, v10
	v_fmaak_f32 v13, s4, v12, 0xbf1f24be
	v_fmaak_f32 v14, s5, v12, 0x3e642e9d
	v_mul_f32_e32 v15, v10, v12
	v_fmaak_f32 v13, v12, v13, 0x40234736
	v_fmaak_f32 v14, v12, v14, 0xbfaad1da
	;; [unrolled: 1-line block ×4, first 2 shown]
	v_mul_f32_e32 v13, v15, v13
	v_fmaak_f32 v14, v12, v14, 0xc09de9e6
	v_and_b32_e32 v15, 1, v11
	v_lshlrev_b32_e32 v11, 30, v11
	v_fmamk_f32 v10, v10, 0x40490fdb, v13
	v_fma_f32 v12, v12, v14, 1.0
	v_cmp_eq_u32_e64 s4, 0, v15
	v_and_b32_e32 v11, 0x80000000, v11
	v_cndmask_b32_e64 v10, v12, v10, s4
	v_xor3_b32 v9, v9, v11, v10
	v_mul_f32_e32 v9, v7, v9
	v_frexp_mant_f32_e64 v10, |v9|
	v_frexp_exp_i32_f32_e32 v9, v9
	v_rcp_f32_e32 v10, v10
	v_sub_nc_u32_e32 v9, 2, v9
	v_mul_f32_e32 v10, 0x3f490fdb, v10
	v_ldexp_f32 v9, v10, v9
	v_cmp_gt_f32_e64 s4, 0x800000, v9
	v_cndmask_b32_e64 v10, 0, 32, s4
	v_ldexp_f32 v9, v9, v10
	v_log_f32_e32 v9, v9
	v_mul_f32_e32 v10, 0x3f317217, v9
	v_cmp_gt_f32_e64 s5, 0x7f800000, |v9|
	v_fma_f32 v11, 0x3f317217, v9, -v10
	v_fmamk_f32 v11, v9, 0x3377d1cf, v11
	v_add_f32_e32 v10, v10, v11
	v_floor_f32_e32 v11, v7
	v_cndmask_b32_e64 v9, v9, v10, s5
	v_cndmask_b32_e64 v10, 0, 0x41b17218, s4
	v_sub_f32_e32 v11, v7, v11
	v_sub_f32_e32 v9, v9, v10
	v_min_f32_e32 v10, 0x3f7fffff, v11
	v_sub_f32_e32 v8, v9, v8
	v_cmp_neq_f32_e64 s4, 0, v10
	v_cndmask_b32_e64 v8, 0x7f800000, v8, s4
.LBB146_35:
	s_or_b32 exec_lo, exec_lo, s7
.LBB146_36:
	s_andn2_saveexec_b32 s6, s6
; %bb.37:
	v_cmp_eq_f16_e64 s4, 1.0, v2
	v_cmp_eq_f16_e64 s5, 2.0, v2
	s_or_b32 s4, s4, s5
	v_cndmask_b32_e64 v8, v8, 0, s4
; %bb.38:
	s_or_b32 exec_lo, exec_lo, s6
	v_lshrrev_b32_e32 v9, 16, v2
                                        ; implicit-def: $vgpr11
	s_mov_b32 s5, exec_lo
	v_cvt_f32_f16_e32 v10, v9
	v_and_b32_e32 v12, 0x7fffffff, v10
	v_cmpx_ngt_f32_e64 0x3c800000, |v10|
	s_xor_b32 s6, exec_lo, s5
	s_cbranch_execz .LBB146_68
; %bb.39:
                                        ; implicit-def: $vgpr11
	s_mov_b32 s5, exec_lo
	v_cmpx_nlt_f32_e64 |v10|, 2.0
	s_xor_b32 s7, exec_lo, s5
	s_cbranch_execz .LBB146_49
; %bb.40:
	s_mov_b32 s5, exec_lo
                                        ; implicit-def: $vgpr11
	v_cmpx_ngt_f32_e64 0x41000000, |v10|
	s_xor_b32 s5, exec_lo, s5
	s_cbranch_execz .LBB146_46
; %bb.41:
	s_mov_b32 s8, exec_lo
                                        ; implicit-def: $vgpr11
	v_cmpx_ngt_f32_e64 0x5c800000, |v10|
	s_xor_b32 s8, exec_lo, s8
	s_cbranch_execz .LBB146_43
; %bb.42:
	v_cmp_gt_f32_e64 s9, 0x800000, |v10|
	v_cndmask_b32_e64 v11, 0, 32, s9
	v_ldexp_f32 v11, |v10|, v11
	v_log_f32_e32 v11, v11
	v_mul_f32_e32 v13, 0x3f317217, v11
	v_cmp_gt_f32_e64 s4, 0x7f800000, |v11|
	v_fma_f32 v14, 0x3f317217, v11, -v13
	v_fmamk_f32 v14, v11, 0x3377d1cf, v14
	v_add_f32_e32 v13, v13, v14
	v_cndmask_b32_e64 v11, v11, v13, s4
	v_cndmask_b32_e64 v13, 0, 0x41b17218, s9
	v_sub_f32_e32 v11, v11, v13
	v_fma_f32 v11, |v10|, v11, -|v10|
.LBB146_43:
	s_andn2_saveexec_b32 s8, s8
	s_cbranch_execz .LBB146_45
; %bb.44:
	v_cmp_gt_f32_e64 s9, 0x800000, |v10|
	v_rcp_f32_e64 v13, |v10|
	s_mov_b32 s4, 0xbad5c4e8
	v_cndmask_b32_e64 v11, 0, 32, s9
	v_ldexp_f32 v11, |v10|, v11
	v_mul_f32_e32 v14, v13, v13
	v_log_f32_e32 v11, v11
	v_fmaak_f32 v16, s4, v14, 0x3a5b3dd2
	v_fmaak_f32 v16, v14, v16, 0xba1c065c
	v_mul_f32_e32 v15, 0x3f317217, v11
	v_fmaak_f32 v16, v14, v16, 0x3a500cfd
	v_cmp_gt_f32_e64 s4, 0x7f800000, |v11|
	v_fma_f32 v17, 0x3f317217, v11, -v15
	v_fmaak_f32 v16, v14, v16, 0xbb360b61
	v_fmamk_f32 v17, v11, 0x3377d1cf, v17
	v_fmaak_f32 v14, v14, v16, 0x3daaaaab
	v_add_f32_e32 v15, v15, v17
	v_cndmask_b32_e64 v11, v11, v15, s4
	v_cndmask_b32_e64 v15, 0, 0x41b17218, s9
	v_sub_f32_e32 v15, v11, v15
	v_fmaak_f32 v11, v13, v14, 0x3ed67f1d
	v_add_f32_e64 v13, |v10|, -0.5
	v_add_f32_e32 v14, -1.0, v15
	v_fmac_f32_e32 v11, v13, v14
.LBB146_45:
	s_or_b32 exec_lo, exec_lo, s8
.LBB146_46:
	s_andn2_saveexec_b32 s8, s5
	s_cbranch_execz .LBB146_48
; %bb.47:
	v_cvt_i32_f32_e32 v11, v12
	s_mov_b32 s5, 0x3805ff67
	v_cvt_f32_i32_e32 v13, v11
	v_cmp_lt_i32_e64 s4, 2, v11
	v_sub_f32_e64 v13, |v10|, v13
	v_add_f32_e32 v14, 2.0, v13
	v_add_f32_e32 v15, 0x40400000, v13
	v_add_f32_e32 v16, 4.0, v13
	v_add_f32_e32 v17, 0x40a00000, v13
	v_cndmask_b32_e64 v14, 1.0, v14, s4
	v_cmp_lt_i32_e64 s4, 3, v11
	v_cndmask_b32_e64 v15, 1.0, v15, s4
	v_cmp_lt_i32_e64 s4, 4, v11
	v_mul_f32_e32 v14, v14, v15
	v_cndmask_b32_e64 v16, 1.0, v16, s4
	v_cmp_lt_i32_e64 s4, 5, v11
	v_add_f32_e32 v15, 0x40c00000, v13
	v_mul_f32_e32 v14, v16, v14
	v_cndmask_b32_e64 v17, 1.0, v17, s4
	v_cmp_lt_i32_e64 s4, 6, v11
	v_fmaak_f32 v16, s5, v13, 0x3af135b4
	v_mul_f32_e32 v14, v17, v14
	v_cndmask_b32_e64 v11, 1.0, v15, s4
	s_mov_b32 s4, 0x36f5d7bd
	v_mul_f32_e32 v11, v11, v14
	v_fmaak_f32 v14, s4, v13, 0x3a4beed6
	v_cmp_gt_f32_e64 s4, 0x800000, v11
	v_fmaak_f32 v14, v13, v14, 0x3c98bf54
	v_cndmask_b32_e64 v15, 0, 32, s4
	v_fmaak_f32 v14, v13, v14, 0x3e300f6e
	v_ldexp_f32 v11, v11, v15
	v_fmaak_f32 v15, v13, v16, 0x3cda40e4
	v_fmaak_f32 v14, v13, v14, 0x3f38d0c5
	v_log_f32_e32 v11, v11
	v_fmaak_f32 v15, v13, v15, 0x3e15dce6
	v_fmaak_f32 v14, v13, v14, 0x3fb22d3b
	v_fmaak_f32 v15, v13, v15, 0x3ea6cc7a
	v_fma_f32 v14, v13, v14, 1.0
	v_mul_f32_e32 v16, 0x3f317217, v11
	v_fmaak_f32 v15, v13, v15, 0x3e5c245a
	v_rcp_f32_e32 v14, v14
	v_cmp_gt_f32_e64 s5, 0x7f800000, |v11|
	v_fma_f32 v17, 0x3f317217, v11, -v16
	v_fmaak_f32 v15, v13, v15, 0xbd9e233f
	v_fmamk_f32 v17, v11, 0x3377d1cf, v17
	v_mul_f32_e32 v15, v13, v15
	v_add_f32_e32 v16, v16, v17
	v_mul_f32_e32 v14, v15, v14
	v_cndmask_b32_e64 v15, 0, 0x41b17218, s4
	v_cndmask_b32_e64 v11, v11, v16, s5
	v_fmac_f32_e32 v14, 0.5, v13
	v_sub_f32_e32 v11, v11, v15
	v_add_f32_e32 v11, v11, v14
.LBB146_48:
	s_or_b32 exec_lo, exec_lo, s8
.LBB146_49:
	s_andn2_saveexec_b32 s7, s7
	s_cbranch_execz .LBB146_67
; %bb.50:
                                        ; implicit-def: $vgpr11
                                        ; implicit-def: $vgpr14
                                        ; implicit-def: $vgpr13
	s_mov_b32 s5, exec_lo
	v_cmpx_ge_f32_e64 0x3f666666, |v10|
	s_xor_b32 s8, exec_lo, s5
	s_cbranch_execz .LBB146_52
; %bb.51:
	v_cmp_gt_f32_e64 s5, 0x800000, |v10|
	v_sub_f32_e64 v15, 1.0, |v10|
	v_cmp_gt_f32_e64 s4, 0x3f3b4a23, |v10|
	v_cndmask_b32_e64 v11, 0, 32, s5
	v_cndmask_b32_e64 v16, 0, 0x41b17218, s5
	v_ldexp_f32 v11, |v10|, v11
	v_log_f32_e32 v11, v11
	v_mul_f32_e32 v13, 0x3f317217, v11
	v_cmp_gt_f32_e64 s5, 0x7f800000, |v11|
	v_fma_f32 v14, 0x3f317217, v11, -v13
	v_fmamk_f32 v14, v11, 0x3377d1cf, v14
	v_add_f32_e32 v13, v13, v14
	v_add_f32_e64 v14, 0xbeec5b0c, |v10|
	v_cndmask_b32_e64 v11, v11, v13, s5
	v_cndmask_b32_e64 v13, v15, v14, s4
	;; [unrolled: 1-line block ×3, first 2 shown]
	v_cmp_gt_f32_e64 s4, 0x3e6d3309, |v10|
	v_sub_f32_e32 v11, v11, v16
	v_cndmask_b32_e64 v13, v13, |v10|, s4
	v_cndmask_b32_e64 v14, v14, 2, s4
	v_xor_b32_e32 v11, 0x80000000, v11
.LBB146_52:
	s_andn2_saveexec_b32 s5, s8
	s_cbranch_execz .LBB146_54
; %bb.53:
	v_sub_f32_e64 v11, 2.0, |v10|
	v_add_f32_e64 v13, 0xbfbb16c3, |v10|
	v_cmp_gt_f32_e64 s4, 0x3fdda512, |v10|
	v_add_f32_e64 v14, |v10|, -1.0
	v_cndmask_b32_e64 v13, v11, v13, s4
	v_cndmask_b32_e64 v11, v11, 1.0, s4
	v_cmp_gt_f32_e64 s4, 0x3f9d70a4, |v10|
	v_cvt_i32_f32_e32 v11, v11
	v_cndmask_b32_e64 v13, v13, v14, s4
	v_cndmask_b32_e64 v14, v11, 2, s4
	v_mov_b32_e32 v11, 0
.LBB146_54:
	s_or_b32 exec_lo, exec_lo, s5
	s_mov_b32 s5, exec_lo
	v_cmpx_lt_i32_e32 0, v14
	s_xor_b32 s5, exec_lo, s5
	s_cbranch_execz .LBB146_62
; %bb.55:
	s_mov_b32 s8, exec_lo
	v_cmpx_lt_i32_e32 1, v14
	s_xor_b32 s8, exec_lo, s8
	s_cbranch_execz .LBB146_59
; %bb.56:
	s_mov_b32 s9, exec_lo
	v_cmpx_eq_u32_e32 2, v14
	s_cbranch_execz .LBB146_58
; %bb.57:
	s_mov_b32 s4, 0x3b52d5db
	v_fmaak_f32 v14, s4, v13, 0x3dd572af
	s_mov_b32 s4, 0x3c5b3c5e
	v_fmaak_f32 v15, s4, v13, 0x3e6a7578
	v_fmaak_f32 v14, v13, v14, 0x3f44efdf
	v_fmaak_f32 v15, v13, v15, 0x3f7a4bb2
	v_fmaak_f32 v14, v13, v14, 0x4008392d
	v_fmaak_f32 v15, v13, v15, 0x3fba3ae7
	v_fmaak_f32 v14, v13, v14, 0x401d2ebe
	v_fmaak_f32 v15, v13, v15, 0x3f2200f4
	v_fma_f32 v14, v13, v14, 1.0
	v_fmaak_f32 v15, v13, v15, 0xbd9e233f
	v_rcp_f32_e32 v14, v14
	v_mul_f32_e32 v15, v13, v15
	v_mul_f32_e32 v14, v15, v14
	v_fmac_f32_e32 v14, -0.5, v13
	v_add_f32_e32 v11, v11, v14
.LBB146_58:
	s_or_b32 exec_lo, exec_lo, s9
                                        ; implicit-def: $vgpr13
.LBB146_59:
	s_andn2_saveexec_b32 s4, s8
	s_cbranch_execz .LBB146_61
; %bb.60:
	v_mul_f32_e32 v14, v13, v13
	s_mov_b32 s8, 0xb9a3f927
	s_mov_b32 s9, 0x39afe9f7
	v_mul_f32_e32 v15, v13, v14
	v_fmaak_f32 v16, s8, v15, 0x3a66f867
	v_fmaak_f32 v17, s9, v15, 0xba0d3085
	s_mov_b32 s8, 0x39a57b6b
	v_fmaak_f32 v18, s8, v15, 0xbab7f476
	v_fmaak_f32 v16, v15, v16, 0xbb7177fe
	;; [unrolled: 1-line block ×9, first 2 shown]
	v_fmac_f32_e32 v16, v13, v17
	v_fmaak_f32 v13, v15, v18, 0x3ef7b95e
	v_fma_f32 v15, v15, -v16, 0xa2863e55
	v_fma_f32 v13, v14, v13, -v15
	v_add_f32_e32 v13, 0xbdf8cdce, v13
	v_add_f32_e32 v11, v11, v13
.LBB146_61:
	s_or_b32 exec_lo, exec_lo, s4
                                        ; implicit-def: $vgpr14
                                        ; implicit-def: $vgpr13
.LBB146_62:
	s_andn2_saveexec_b32 s5, s5
	s_cbranch_execz .LBB146_66
; %bb.63:
	s_mov_b32 s8, exec_lo
	v_cmpx_eq_u32_e32 0, v14
	s_cbranch_execz .LBB146_65
; %bb.64:
	v_mul_f32_e32 v14, v13, v13
	s_mov_b32 s4, 0x383c2c75
	v_fmaak_f32 v15, s4, v14, 0x38e28445
	s_mov_b32 s4, 0x37d383a2
	v_fmaak_f32 v16, s4, v14, 0x39679767
	v_fmaak_f32 v15, v14, v15, 0x3a05b634
	;; [unrolled: 1-line block ×9, first 2 shown]
	v_mul_f32_e32 v14, v14, v15
	v_fmac_f32_e32 v14, v13, v16
	v_fmac_f32_e32 v14, -0.5, v13
	v_add_f32_e32 v11, v11, v14
.LBB146_65:
	s_or_b32 exec_lo, exec_lo, s8
.LBB146_66:
	s_or_b32 exec_lo, exec_lo, s5
.LBB146_67:
	s_or_b32 exec_lo, exec_lo, s7
.LBB146_68:
	s_andn2_saveexec_b32 s5, s6
	s_cbranch_execz .LBB146_70
; %bb.69:
	v_cmp_gt_f32_e64 s6, 0x800000, |v10|
	s_mov_b32 s4, 0x3e8a8991
	v_fma_f32 v15, |v10|, s4, 0xbecd26ab
	v_cndmask_b32_e64 v11, 0, 32, s6
	v_ldexp_f32 v11, |v10|, v11
	v_log_f32_e32 v11, v11
	v_mul_f32_e32 v13, 0x3f317217, v11
	v_cmp_gt_f32_e64 s4, 0x7f800000, |v11|
	v_fma_f32 v14, 0x3f317217, v11, -v13
	v_fmamk_f32 v14, v11, 0x3377d1cf, v14
	v_add_f32_e32 v13, v13, v14
	v_fma_f32 v14, |v10|, v15, 0x3f528d33
	v_cndmask_b32_e64 v11, v11, v13, s4
	v_cndmask_b32_e64 v13, 0, 0x41b17218, s6
	v_fma_f32 v14, |v10|, v14, 0xbf13c468
	v_sub_f32_e32 v11, v11, v13
	v_fma_f32 v11, |v10|, v14, -v11
.LBB146_70:
	s_or_b32 exec_lo, exec_lo, s5
	v_cmp_le_f16_e64 s4, 0, v9
	s_mov_b32 s6, exec_lo
	v_cmpx_nle_f16_e32 0, v9
	s_xor_b32 s7, exec_lo, s6
	s_cbranch_execz .LBB146_74
; %bb.71:
	v_cmp_gt_f32_e64 s5, 0x4b000000, |v10|
	v_cmp_lt_f32_e64 s6, 0x35000000, |v10|
	s_and_b32 s5, s5, s6
	s_and_saveexec_b32 s8, s5
	s_cbranch_execz .LBB146_73
; %bb.72:
	v_mul_f32_e64 v13, |v10|, 0.5
	s_mov_b32 s6, 0x3d4be544
	v_xor_b32_e32 v12, v12, v10
	v_floor_f32_e32 v14, v13
	v_cmp_neq_f32_e64 s5, 0x7f800000, v13
	v_sub_f32_e32 v14, v13, v14
	v_min_f32_e32 v14, 0x3f7fffff, v14
	v_add_f32_e32 v14, v14, v14
	v_cndmask_b32_e64 v13, 0, v14, s5
	v_cmp_gt_f32_e64 s5, |v10|, 1.0
	v_cndmask_b32_e64 v13, |v10|, v13, s5
	s_mov_b32 s5, 0x3e75aa41
	v_add_f32_e32 v14, v13, v13
	v_rndne_f32_e32 v14, v14
	v_fmac_f32_e32 v13, -0.5, v14
	v_cvt_i32_f32_e32 v14, v14
	v_mul_f32_e32 v15, v13, v13
	v_fmaak_f32 v16, s5, v15, 0xbf1f24be
	v_fmaak_f32 v17, s6, v15, 0x3e642e9d
	v_mul_f32_e32 v18, v13, v15
	v_fmaak_f32 v16, v15, v16, 0x40234736
	v_fmaak_f32 v17, v15, v17, 0xbfaad1da
	;; [unrolled: 1-line block ×4, first 2 shown]
	v_mul_f32_e32 v16, v18, v16
	v_fmaak_f32 v17, v15, v17, 0xc09de9e6
	v_and_b32_e32 v18, 1, v14
	v_lshlrev_b32_e32 v14, 30, v14
	v_fmamk_f32 v13, v13, 0x40490fdb, v16
	v_fma_f32 v15, v15, v17, 1.0
	v_cmp_eq_u32_e64 s5, 0, v18
	v_and_b32_e32 v14, 0x80000000, v14
	v_cndmask_b32_e64 v13, v15, v13, s5
	v_xor3_b32 v12, v12, v14, v13
	v_mul_f32_e32 v12, v10, v12
	v_frexp_mant_f32_e64 v13, |v12|
	v_frexp_exp_i32_f32_e32 v12, v12
	v_rcp_f32_e32 v13, v13
	v_sub_nc_u32_e32 v12, 2, v12
	v_mul_f32_e32 v13, 0x3f490fdb, v13
	v_ldexp_f32 v12, v13, v12
	v_cmp_gt_f32_e64 s5, 0x800000, v12
	v_cndmask_b32_e64 v13, 0, 32, s5
	v_ldexp_f32 v12, v12, v13
	v_log_f32_e32 v12, v12
	v_mul_f32_e32 v13, 0x3f317217, v12
	v_cmp_gt_f32_e64 s6, 0x7f800000, |v12|
	v_fma_f32 v14, 0x3f317217, v12, -v13
	v_fmamk_f32 v14, v12, 0x3377d1cf, v14
	v_add_f32_e32 v13, v13, v14
	v_floor_f32_e32 v14, v10
	v_cndmask_b32_e64 v12, v12, v13, s6
	v_cndmask_b32_e64 v13, 0, 0x41b17218, s5
	v_sub_f32_e32 v14, v10, v14
	v_sub_f32_e32 v12, v12, v13
	v_min_f32_e32 v13, 0x3f7fffff, v14
	v_sub_f32_e32 v11, v12, v11
	v_cmp_neq_f32_e64 s5, 0, v13
	v_cndmask_b32_e64 v11, 0x7f800000, v11, s5
.LBB146_73:
	s_or_b32 exec_lo, exec_lo, s8
.LBB146_74:
	s_andn2_saveexec_b32 s7, s7
; %bb.75:
	v_cmp_eq_f16_e64 s5, 1.0, v9
	v_cmp_eq_f16_e64 s6, 2.0, v9
	s_or_b32 s5, s5, s6
	v_cndmask_b32_e64 v11, v11, 0, s5
; %bb.76:
	s_or_b32 exec_lo, exec_lo, s7
	v_cvt_f32_f16_e32 v12, v3
                                        ; implicit-def: $vgpr13
	s_mov_b32 s6, exec_lo
	v_and_b32_e32 v14, 0x7fffffff, v12
	v_cmpx_ngt_f32_e64 0x3c800000, |v12|
	s_xor_b32 s7, exec_lo, s6
	s_cbranch_execz .LBB146_106
; %bb.77:
                                        ; implicit-def: $vgpr13
	s_mov_b32 s6, exec_lo
	v_cmpx_nlt_f32_e64 |v12|, 2.0
	s_xor_b32 s8, exec_lo, s6
	s_cbranch_execz .LBB146_87
; %bb.78:
	s_mov_b32 s6, exec_lo
                                        ; implicit-def: $vgpr13
	v_cmpx_ngt_f32_e64 0x41000000, |v12|
	s_xor_b32 s6, exec_lo, s6
	s_cbranch_execz .LBB146_84
; %bb.79:
	s_mov_b32 s9, exec_lo
                                        ; implicit-def: $vgpr13
	v_cmpx_ngt_f32_e64 0x5c800000, |v12|
	s_xor_b32 s9, exec_lo, s9
	s_cbranch_execz .LBB146_81
; %bb.80:
	v_cmp_gt_f32_e64 s10, 0x800000, |v12|
	v_cndmask_b32_e64 v13, 0, 32, s10
	v_ldexp_f32 v13, |v12|, v13
	v_log_f32_e32 v13, v13
	v_mul_f32_e32 v15, 0x3f317217, v13
	v_cmp_gt_f32_e64 s5, 0x7f800000, |v13|
	v_fma_f32 v16, 0x3f317217, v13, -v15
	v_fmamk_f32 v16, v13, 0x3377d1cf, v16
	v_add_f32_e32 v15, v15, v16
	v_cndmask_b32_e64 v13, v13, v15, s5
	v_cndmask_b32_e64 v15, 0, 0x41b17218, s10
	v_sub_f32_e32 v13, v13, v15
	v_fma_f32 v13, |v12|, v13, -|v12|
.LBB146_81:
	s_andn2_saveexec_b32 s9, s9
	s_cbranch_execz .LBB146_83
; %bb.82:
	v_cmp_gt_f32_e64 s10, 0x800000, |v12|
	v_rcp_f32_e64 v15, |v12|
	s_mov_b32 s5, 0xbad5c4e8
	v_cndmask_b32_e64 v13, 0, 32, s10
	v_ldexp_f32 v13, |v12|, v13
	v_mul_f32_e32 v16, v15, v15
	v_log_f32_e32 v13, v13
	v_fmaak_f32 v18, s5, v16, 0x3a5b3dd2
	v_fmaak_f32 v18, v16, v18, 0xba1c065c
	v_mul_f32_e32 v17, 0x3f317217, v13
	v_fmaak_f32 v18, v16, v18, 0x3a500cfd
	v_cmp_gt_f32_e64 s5, 0x7f800000, |v13|
	v_fma_f32 v19, 0x3f317217, v13, -v17
	v_fmaak_f32 v18, v16, v18, 0xbb360b61
	v_fmamk_f32 v19, v13, 0x3377d1cf, v19
	v_fmaak_f32 v16, v16, v18, 0x3daaaaab
	v_add_f32_e32 v17, v17, v19
	v_cndmask_b32_e64 v13, v13, v17, s5
	v_cndmask_b32_e64 v17, 0, 0x41b17218, s10
	v_sub_f32_e32 v17, v13, v17
	v_fmaak_f32 v13, v15, v16, 0x3ed67f1d
	v_add_f32_e64 v15, |v12|, -0.5
	v_add_f32_e32 v16, -1.0, v17
	v_fmac_f32_e32 v13, v15, v16
.LBB146_83:
	s_or_b32 exec_lo, exec_lo, s9
.LBB146_84:
	s_andn2_saveexec_b32 s9, s6
	s_cbranch_execz .LBB146_86
; %bb.85:
	v_cvt_i32_f32_e32 v13, v14
	s_mov_b32 s6, 0x3805ff67
	v_cvt_f32_i32_e32 v15, v13
	v_cmp_lt_i32_e64 s5, 2, v13
	v_sub_f32_e64 v15, |v12|, v15
	v_add_f32_e32 v16, 2.0, v15
	v_add_f32_e32 v17, 0x40400000, v15
	v_add_f32_e32 v18, 4.0, v15
	v_add_f32_e32 v19, 0x40a00000, v15
	v_cndmask_b32_e64 v16, 1.0, v16, s5
	v_cmp_lt_i32_e64 s5, 3, v13
	v_cndmask_b32_e64 v17, 1.0, v17, s5
	v_cmp_lt_i32_e64 s5, 4, v13
	v_mul_f32_e32 v16, v16, v17
	v_cndmask_b32_e64 v18, 1.0, v18, s5
	v_cmp_lt_i32_e64 s5, 5, v13
	v_add_f32_e32 v17, 0x40c00000, v15
	v_mul_f32_e32 v16, v18, v16
	v_cndmask_b32_e64 v19, 1.0, v19, s5
	v_cmp_lt_i32_e64 s5, 6, v13
	v_fmaak_f32 v18, s6, v15, 0x3af135b4
	v_mul_f32_e32 v16, v19, v16
	v_cndmask_b32_e64 v13, 1.0, v17, s5
	s_mov_b32 s5, 0x36f5d7bd
	v_mul_f32_e32 v13, v13, v16
	v_fmaak_f32 v16, s5, v15, 0x3a4beed6
	v_cmp_gt_f32_e64 s5, 0x800000, v13
	v_fmaak_f32 v16, v15, v16, 0x3c98bf54
	v_cndmask_b32_e64 v17, 0, 32, s5
	v_fmaak_f32 v16, v15, v16, 0x3e300f6e
	v_ldexp_f32 v13, v13, v17
	v_fmaak_f32 v17, v15, v18, 0x3cda40e4
	v_fmaak_f32 v16, v15, v16, 0x3f38d0c5
	v_log_f32_e32 v13, v13
	v_fmaak_f32 v17, v15, v17, 0x3e15dce6
	v_fmaak_f32 v16, v15, v16, 0x3fb22d3b
	;; [unrolled: 1-line block ×3, first 2 shown]
	v_fma_f32 v16, v15, v16, 1.0
	v_mul_f32_e32 v18, 0x3f317217, v13
	v_fmaak_f32 v17, v15, v17, 0x3e5c245a
	v_rcp_f32_e32 v16, v16
	v_cmp_gt_f32_e64 s6, 0x7f800000, |v13|
	v_fma_f32 v19, 0x3f317217, v13, -v18
	v_fmaak_f32 v17, v15, v17, 0xbd9e233f
	v_fmamk_f32 v19, v13, 0x3377d1cf, v19
	v_mul_f32_e32 v17, v15, v17
	v_add_f32_e32 v18, v18, v19
	v_mul_f32_e32 v16, v17, v16
	v_cndmask_b32_e64 v17, 0, 0x41b17218, s5
	v_cndmask_b32_e64 v13, v13, v18, s6
	v_fmac_f32_e32 v16, 0.5, v15
	v_sub_f32_e32 v13, v13, v17
	v_add_f32_e32 v13, v13, v16
.LBB146_86:
	s_or_b32 exec_lo, exec_lo, s9
.LBB146_87:
	s_andn2_saveexec_b32 s8, s8
	s_cbranch_execz .LBB146_105
; %bb.88:
                                        ; implicit-def: $vgpr13
                                        ; implicit-def: $vgpr16
                                        ; implicit-def: $vgpr15
	s_mov_b32 s6, exec_lo
	v_cmpx_ge_f32_e64 0x3f666666, |v12|
	s_xor_b32 s9, exec_lo, s6
	s_cbranch_execz .LBB146_90
; %bb.89:
	v_cmp_gt_f32_e64 s6, 0x800000, |v12|
	v_sub_f32_e64 v17, 1.0, |v12|
	v_cmp_gt_f32_e64 s5, 0x3f3b4a23, |v12|
	v_cndmask_b32_e64 v13, 0, 32, s6
	v_cndmask_b32_e64 v18, 0, 0x41b17218, s6
	v_ldexp_f32 v13, |v12|, v13
	v_log_f32_e32 v13, v13
	v_mul_f32_e32 v15, 0x3f317217, v13
	v_cmp_gt_f32_e64 s6, 0x7f800000, |v13|
	v_fma_f32 v16, 0x3f317217, v13, -v15
	v_fmamk_f32 v16, v13, 0x3377d1cf, v16
	v_add_f32_e32 v15, v15, v16
	v_add_f32_e64 v16, 0xbeec5b0c, |v12|
	v_cndmask_b32_e64 v13, v13, v15, s6
	v_cndmask_b32_e64 v15, v17, v16, s5
	;; [unrolled: 1-line block ×3, first 2 shown]
	v_cmp_gt_f32_e64 s5, 0x3e6d3309, |v12|
	v_sub_f32_e32 v13, v13, v18
	v_cndmask_b32_e64 v15, v15, |v12|, s5
	v_cndmask_b32_e64 v16, v16, 2, s5
	v_xor_b32_e32 v13, 0x80000000, v13
.LBB146_90:
	s_andn2_saveexec_b32 s6, s9
	s_cbranch_execz .LBB146_92
; %bb.91:
	v_sub_f32_e64 v13, 2.0, |v12|
	v_add_f32_e64 v15, 0xbfbb16c3, |v12|
	v_cmp_gt_f32_e64 s5, 0x3fdda512, |v12|
	v_add_f32_e64 v16, |v12|, -1.0
	v_cndmask_b32_e64 v15, v13, v15, s5
	v_cndmask_b32_e64 v13, v13, 1.0, s5
	v_cmp_gt_f32_e64 s5, 0x3f9d70a4, |v12|
	v_cvt_i32_f32_e32 v13, v13
	v_cndmask_b32_e64 v15, v15, v16, s5
	v_cndmask_b32_e64 v16, v13, 2, s5
	v_mov_b32_e32 v13, 0
.LBB146_92:
	s_or_b32 exec_lo, exec_lo, s6
	s_mov_b32 s6, exec_lo
	v_cmpx_lt_i32_e32 0, v16
	s_xor_b32 s6, exec_lo, s6
	s_cbranch_execz .LBB146_100
; %bb.93:
	s_mov_b32 s9, exec_lo
	v_cmpx_lt_i32_e32 1, v16
	s_xor_b32 s9, exec_lo, s9
	s_cbranch_execz .LBB146_97
; %bb.94:
	s_mov_b32 s10, exec_lo
	v_cmpx_eq_u32_e32 2, v16
	s_cbranch_execz .LBB146_96
; %bb.95:
	s_mov_b32 s5, 0x3b52d5db
	v_fmaak_f32 v16, s5, v15, 0x3dd572af
	s_mov_b32 s5, 0x3c5b3c5e
	v_fmaak_f32 v17, s5, v15, 0x3e6a7578
	v_fmaak_f32 v16, v15, v16, 0x3f44efdf
	;; [unrolled: 1-line block ×7, first 2 shown]
	v_fma_f32 v16, v15, v16, 1.0
	v_fmaak_f32 v17, v15, v17, 0xbd9e233f
	v_rcp_f32_e32 v16, v16
	v_mul_f32_e32 v17, v15, v17
	v_mul_f32_e32 v16, v17, v16
	v_fmac_f32_e32 v16, -0.5, v15
	v_add_f32_e32 v13, v13, v16
.LBB146_96:
	s_or_b32 exec_lo, exec_lo, s10
                                        ; implicit-def: $vgpr15
.LBB146_97:
	s_andn2_saveexec_b32 s5, s9
	s_cbranch_execz .LBB146_99
; %bb.98:
	v_mul_f32_e32 v16, v15, v15
	s_mov_b32 s9, 0xb9a3f927
	s_mov_b32 s10, 0x39afe9f7
	v_mul_f32_e32 v17, v15, v16
	v_fmaak_f32 v18, s9, v17, 0x3a66f867
	v_fmaak_f32 v19, s10, v17, 0xba0d3085
	s_mov_b32 s9, 0x39a57b6b
	v_fmaak_f32 v20, s9, v17, 0xbab7f476
	v_fmaak_f32 v18, v17, v18, 0xbb7177fe
	;; [unrolled: 1-line block ×9, first 2 shown]
	v_fmac_f32_e32 v18, v15, v19
	v_fmaak_f32 v15, v17, v20, 0x3ef7b95e
	v_fma_f32 v17, v17, -v18, 0xa2863e55
	v_fma_f32 v15, v16, v15, -v17
	v_add_f32_e32 v15, 0xbdf8cdce, v15
	v_add_f32_e32 v13, v13, v15
.LBB146_99:
	s_or_b32 exec_lo, exec_lo, s5
                                        ; implicit-def: $vgpr16
                                        ; implicit-def: $vgpr15
.LBB146_100:
	s_andn2_saveexec_b32 s6, s6
	s_cbranch_execz .LBB146_104
; %bb.101:
	s_mov_b32 s9, exec_lo
	v_cmpx_eq_u32_e32 0, v16
	s_cbranch_execz .LBB146_103
; %bb.102:
	v_mul_f32_e32 v16, v15, v15
	s_mov_b32 s5, 0x383c2c75
	v_fmaak_f32 v17, s5, v16, 0x38e28445
	s_mov_b32 s5, 0x37d383a2
	v_fmaak_f32 v18, s5, v16, 0x39679767
	v_fmaak_f32 v17, v16, v17, 0x3a05b634
	;; [unrolled: 1-line block ×9, first 2 shown]
	v_mul_f32_e32 v16, v16, v17
	v_fmac_f32_e32 v16, v15, v18
	v_fmac_f32_e32 v16, -0.5, v15
	v_add_f32_e32 v13, v13, v16
.LBB146_103:
	s_or_b32 exec_lo, exec_lo, s9
.LBB146_104:
	s_or_b32 exec_lo, exec_lo, s6
.LBB146_105:
	s_or_b32 exec_lo, exec_lo, s8
.LBB146_106:
	s_andn2_saveexec_b32 s6, s7
	s_cbranch_execz .LBB146_108
; %bb.107:
	v_cmp_gt_f32_e64 s7, 0x800000, |v12|
	s_mov_b32 s5, 0x3e8a8991
	v_fma_f32 v17, |v12|, s5, 0xbecd26ab
	v_cndmask_b32_e64 v13, 0, 32, s7
	v_ldexp_f32 v13, |v12|, v13
	v_log_f32_e32 v13, v13
	v_mul_f32_e32 v15, 0x3f317217, v13
	v_cmp_gt_f32_e64 s5, 0x7f800000, |v13|
	v_fma_f32 v16, 0x3f317217, v13, -v15
	v_fmamk_f32 v16, v13, 0x3377d1cf, v16
	v_add_f32_e32 v15, v15, v16
	v_fma_f32 v16, |v12|, v17, 0x3f528d33
	v_cndmask_b32_e64 v13, v13, v15, s5
	v_cndmask_b32_e64 v15, 0, 0x41b17218, s7
	v_fma_f32 v16, |v12|, v16, 0xbf13c468
	v_sub_f32_e32 v13, v13, v15
	v_fma_f32 v13, |v12|, v16, -v13
.LBB146_108:
	s_or_b32 exec_lo, exec_lo, s6
	v_cmp_le_f16_e64 s5, 0, v3
	s_mov_b32 s7, exec_lo
	v_cmpx_nle_f16_e32 0, v3
	s_xor_b32 s8, exec_lo, s7
	s_cbranch_execz .LBB146_112
; %bb.109:
	v_cmp_gt_f32_e64 s6, 0x4b000000, |v12|
	v_cmp_lt_f32_e64 s7, 0x35000000, |v12|
	s_and_b32 s6, s6, s7
	s_and_saveexec_b32 s9, s6
	s_cbranch_execz .LBB146_111
; %bb.110:
	v_mul_f32_e64 v15, |v12|, 0.5
	s_mov_b32 s7, 0x3d4be544
	v_xor_b32_e32 v14, v14, v12
	v_floor_f32_e32 v16, v15
	v_cmp_neq_f32_e64 s6, 0x7f800000, v15
	v_sub_f32_e32 v16, v15, v16
	v_min_f32_e32 v16, 0x3f7fffff, v16
	v_add_f32_e32 v16, v16, v16
	v_cndmask_b32_e64 v15, 0, v16, s6
	v_cmp_gt_f32_e64 s6, |v12|, 1.0
	v_cndmask_b32_e64 v15, |v12|, v15, s6
	s_mov_b32 s6, 0x3e75aa41
	v_add_f32_e32 v16, v15, v15
	v_rndne_f32_e32 v16, v16
	v_fmac_f32_e32 v15, -0.5, v16
	v_cvt_i32_f32_e32 v16, v16
	v_mul_f32_e32 v17, v15, v15
	v_fmaak_f32 v18, s6, v17, 0xbf1f24be
	v_fmaak_f32 v19, s7, v17, 0x3e642e9d
	v_mul_f32_e32 v20, v15, v17
	v_fmaak_f32 v18, v17, v18, 0x40234736
	v_fmaak_f32 v19, v17, v19, 0xbfaad1da
	;; [unrolled: 1-line block ×4, first 2 shown]
	v_mul_f32_e32 v18, v20, v18
	v_fmaak_f32 v19, v17, v19, 0xc09de9e6
	v_and_b32_e32 v20, 1, v16
	v_lshlrev_b32_e32 v16, 30, v16
	v_fmamk_f32 v15, v15, 0x40490fdb, v18
	v_fma_f32 v17, v17, v19, 1.0
	v_cmp_eq_u32_e64 s6, 0, v20
	v_and_b32_e32 v16, 0x80000000, v16
	v_cndmask_b32_e64 v15, v17, v15, s6
	v_xor3_b32 v14, v14, v16, v15
	v_mul_f32_e32 v14, v12, v14
	v_frexp_mant_f32_e64 v15, |v14|
	v_frexp_exp_i32_f32_e32 v14, v14
	v_rcp_f32_e32 v15, v15
	v_sub_nc_u32_e32 v14, 2, v14
	v_mul_f32_e32 v15, 0x3f490fdb, v15
	v_ldexp_f32 v14, v15, v14
	v_cmp_gt_f32_e64 s6, 0x800000, v14
	v_cndmask_b32_e64 v15, 0, 32, s6
	v_ldexp_f32 v14, v14, v15
	v_log_f32_e32 v14, v14
	v_mul_f32_e32 v15, 0x3f317217, v14
	v_cmp_gt_f32_e64 s7, 0x7f800000, |v14|
	v_fma_f32 v16, 0x3f317217, v14, -v15
	v_fmamk_f32 v16, v14, 0x3377d1cf, v16
	v_add_f32_e32 v15, v15, v16
	v_floor_f32_e32 v16, v12
	v_cndmask_b32_e64 v14, v14, v15, s7
	v_cndmask_b32_e64 v15, 0, 0x41b17218, s6
	v_sub_f32_e32 v16, v12, v16
	v_sub_f32_e32 v14, v14, v15
	v_min_f32_e32 v15, 0x3f7fffff, v16
	v_sub_f32_e32 v13, v14, v13
	v_cmp_neq_f32_e64 s6, 0, v15
	v_cndmask_b32_e64 v13, 0x7f800000, v13, s6
.LBB146_111:
	s_or_b32 exec_lo, exec_lo, s9
.LBB146_112:
	s_andn2_saveexec_b32 s8, s8
; %bb.113:
	v_cmp_eq_f16_e64 s6, 1.0, v3
	v_cmp_eq_f16_e64 s7, 2.0, v3
	s_or_b32 s6, s6, s7
	v_cndmask_b32_e64 v13, v13, 0, s6
; %bb.114:
	s_or_b32 exec_lo, exec_lo, s8
	v_lshrrev_b32_e32 v14, 16, v3
                                        ; implicit-def: $vgpr16
	s_mov_b32 s7, exec_lo
	v_cvt_f32_f16_e32 v15, v14
	v_and_b32_e32 v17, 0x7fffffff, v15
	v_cmpx_ngt_f32_e64 0x3c800000, |v15|
	s_xor_b32 s8, exec_lo, s7
	s_cbranch_execz .LBB146_144
; %bb.115:
                                        ; implicit-def: $vgpr16
	s_mov_b32 s7, exec_lo
	v_cmpx_nlt_f32_e64 |v15|, 2.0
	s_xor_b32 s9, exec_lo, s7
	s_cbranch_execz .LBB146_125
; %bb.116:
	s_mov_b32 s7, exec_lo
                                        ; implicit-def: $vgpr16
	v_cmpx_ngt_f32_e64 0x41000000, |v15|
	s_xor_b32 s7, exec_lo, s7
	s_cbranch_execz .LBB146_122
; %bb.117:
	s_mov_b32 s10, exec_lo
                                        ; implicit-def: $vgpr16
	v_cmpx_ngt_f32_e64 0x5c800000, |v15|
	s_xor_b32 s10, exec_lo, s10
	s_cbranch_execz .LBB146_119
; %bb.118:
	v_cmp_gt_f32_e64 s11, 0x800000, |v15|
	v_cndmask_b32_e64 v16, 0, 32, s11
	v_ldexp_f32 v16, |v15|, v16
	v_log_f32_e32 v16, v16
	v_mul_f32_e32 v18, 0x3f317217, v16
	v_cmp_gt_f32_e64 s6, 0x7f800000, |v16|
	v_fma_f32 v19, 0x3f317217, v16, -v18
	v_fmamk_f32 v19, v16, 0x3377d1cf, v19
	v_add_f32_e32 v18, v18, v19
	v_cndmask_b32_e64 v16, v16, v18, s6
	v_cndmask_b32_e64 v18, 0, 0x41b17218, s11
	v_sub_f32_e32 v16, v16, v18
	v_fma_f32 v16, |v15|, v16, -|v15|
.LBB146_119:
	s_andn2_saveexec_b32 s10, s10
	s_cbranch_execz .LBB146_121
; %bb.120:
	v_cmp_gt_f32_e64 s11, 0x800000, |v15|
	v_rcp_f32_e64 v18, |v15|
	s_mov_b32 s6, 0xbad5c4e8
	v_cndmask_b32_e64 v16, 0, 32, s11
	v_ldexp_f32 v16, |v15|, v16
	v_mul_f32_e32 v19, v18, v18
	v_log_f32_e32 v16, v16
	v_fmaak_f32 v21, s6, v19, 0x3a5b3dd2
	v_fmaak_f32 v21, v19, v21, 0xba1c065c
	v_mul_f32_e32 v20, 0x3f317217, v16
	v_fmaak_f32 v21, v19, v21, 0x3a500cfd
	v_cmp_gt_f32_e64 s6, 0x7f800000, |v16|
	v_fma_f32 v22, 0x3f317217, v16, -v20
	v_fmaak_f32 v21, v19, v21, 0xbb360b61
	v_fmamk_f32 v22, v16, 0x3377d1cf, v22
	v_fmaak_f32 v19, v19, v21, 0x3daaaaab
	v_add_f32_e32 v20, v20, v22
	v_cndmask_b32_e64 v16, v16, v20, s6
	v_cndmask_b32_e64 v20, 0, 0x41b17218, s11
	v_sub_f32_e32 v20, v16, v20
	v_fmaak_f32 v16, v18, v19, 0x3ed67f1d
	v_add_f32_e64 v18, |v15|, -0.5
	v_add_f32_e32 v19, -1.0, v20
	v_fmac_f32_e32 v16, v18, v19
.LBB146_121:
	s_or_b32 exec_lo, exec_lo, s10
.LBB146_122:
	s_andn2_saveexec_b32 s10, s7
	s_cbranch_execz .LBB146_124
; %bb.123:
	v_cvt_i32_f32_e32 v16, v17
	s_mov_b32 s7, 0x3805ff67
	v_cvt_f32_i32_e32 v18, v16
	v_cmp_lt_i32_e64 s6, 2, v16
	v_sub_f32_e64 v18, |v15|, v18
	v_add_f32_e32 v19, 2.0, v18
	v_add_f32_e32 v20, 0x40400000, v18
	v_add_f32_e32 v21, 4.0, v18
	v_add_f32_e32 v22, 0x40a00000, v18
	v_cndmask_b32_e64 v19, 1.0, v19, s6
	v_cmp_lt_i32_e64 s6, 3, v16
	v_cndmask_b32_e64 v20, 1.0, v20, s6
	v_cmp_lt_i32_e64 s6, 4, v16
	v_mul_f32_e32 v19, v19, v20
	v_cndmask_b32_e64 v21, 1.0, v21, s6
	v_cmp_lt_i32_e64 s6, 5, v16
	v_add_f32_e32 v20, 0x40c00000, v18
	v_mul_f32_e32 v19, v21, v19
	v_cndmask_b32_e64 v22, 1.0, v22, s6
	v_cmp_lt_i32_e64 s6, 6, v16
	v_fmaak_f32 v21, s7, v18, 0x3af135b4
	v_mul_f32_e32 v19, v22, v19
	v_cndmask_b32_e64 v16, 1.0, v20, s6
	s_mov_b32 s6, 0x36f5d7bd
	v_mul_f32_e32 v16, v16, v19
	v_fmaak_f32 v19, s6, v18, 0x3a4beed6
	v_cmp_gt_f32_e64 s6, 0x800000, v16
	v_fmaak_f32 v19, v18, v19, 0x3c98bf54
	v_cndmask_b32_e64 v20, 0, 32, s6
	v_fmaak_f32 v19, v18, v19, 0x3e300f6e
	v_ldexp_f32 v16, v16, v20
	v_fmaak_f32 v20, v18, v21, 0x3cda40e4
	v_fmaak_f32 v19, v18, v19, 0x3f38d0c5
	v_log_f32_e32 v16, v16
	v_fmaak_f32 v20, v18, v20, 0x3e15dce6
	v_fmaak_f32 v19, v18, v19, 0x3fb22d3b
	;; [unrolled: 1-line block ×3, first 2 shown]
	v_fma_f32 v19, v18, v19, 1.0
	v_mul_f32_e32 v21, 0x3f317217, v16
	v_fmaak_f32 v20, v18, v20, 0x3e5c245a
	v_rcp_f32_e32 v19, v19
	v_cmp_gt_f32_e64 s7, 0x7f800000, |v16|
	v_fma_f32 v22, 0x3f317217, v16, -v21
	v_fmaak_f32 v20, v18, v20, 0xbd9e233f
	v_fmamk_f32 v22, v16, 0x3377d1cf, v22
	v_mul_f32_e32 v20, v18, v20
	v_add_f32_e32 v21, v21, v22
	v_mul_f32_e32 v19, v20, v19
	v_cndmask_b32_e64 v20, 0, 0x41b17218, s6
	v_cndmask_b32_e64 v16, v16, v21, s7
	v_fmac_f32_e32 v19, 0.5, v18
	v_sub_f32_e32 v16, v16, v20
	v_add_f32_e32 v16, v16, v19
.LBB146_124:
	s_or_b32 exec_lo, exec_lo, s10
.LBB146_125:
	s_andn2_saveexec_b32 s9, s9
	s_cbranch_execz .LBB146_143
; %bb.126:
                                        ; implicit-def: $vgpr16
                                        ; implicit-def: $vgpr19
                                        ; implicit-def: $vgpr18
	s_mov_b32 s7, exec_lo
	v_cmpx_ge_f32_e64 0x3f666666, |v15|
	s_xor_b32 s10, exec_lo, s7
	s_cbranch_execz .LBB146_128
; %bb.127:
	v_cmp_gt_f32_e64 s7, 0x800000, |v15|
	v_sub_f32_e64 v20, 1.0, |v15|
	v_cmp_gt_f32_e64 s6, 0x3f3b4a23, |v15|
	v_cndmask_b32_e64 v16, 0, 32, s7
	v_cndmask_b32_e64 v21, 0, 0x41b17218, s7
	v_ldexp_f32 v16, |v15|, v16
	v_log_f32_e32 v16, v16
	v_mul_f32_e32 v18, 0x3f317217, v16
	v_cmp_gt_f32_e64 s7, 0x7f800000, |v16|
	v_fma_f32 v19, 0x3f317217, v16, -v18
	v_fmamk_f32 v19, v16, 0x3377d1cf, v19
	v_add_f32_e32 v18, v18, v19
	v_add_f32_e64 v19, 0xbeec5b0c, |v15|
	v_cndmask_b32_e64 v16, v16, v18, s7
	v_cndmask_b32_e64 v18, v20, v19, s6
	;; [unrolled: 1-line block ×3, first 2 shown]
	v_cmp_gt_f32_e64 s6, 0x3e6d3309, |v15|
	v_sub_f32_e32 v16, v16, v21
	v_cndmask_b32_e64 v18, v18, |v15|, s6
	v_cndmask_b32_e64 v19, v19, 2, s6
	v_xor_b32_e32 v16, 0x80000000, v16
.LBB146_128:
	s_andn2_saveexec_b32 s7, s10
	s_cbranch_execz .LBB146_130
; %bb.129:
	v_sub_f32_e64 v16, 2.0, |v15|
	v_add_f32_e64 v18, 0xbfbb16c3, |v15|
	v_cmp_gt_f32_e64 s6, 0x3fdda512, |v15|
	v_add_f32_e64 v19, |v15|, -1.0
	v_cndmask_b32_e64 v18, v16, v18, s6
	v_cndmask_b32_e64 v16, v16, 1.0, s6
	v_cmp_gt_f32_e64 s6, 0x3f9d70a4, |v15|
	v_cvt_i32_f32_e32 v16, v16
	v_cndmask_b32_e64 v18, v18, v19, s6
	v_cndmask_b32_e64 v19, v16, 2, s6
	v_mov_b32_e32 v16, 0
.LBB146_130:
	s_or_b32 exec_lo, exec_lo, s7
	s_mov_b32 s7, exec_lo
	v_cmpx_lt_i32_e32 0, v19
	s_xor_b32 s7, exec_lo, s7
	s_cbranch_execz .LBB146_138
; %bb.131:
	s_mov_b32 s10, exec_lo
	v_cmpx_lt_i32_e32 1, v19
	s_xor_b32 s10, exec_lo, s10
	s_cbranch_execz .LBB146_135
; %bb.132:
	s_mov_b32 s11, exec_lo
	v_cmpx_eq_u32_e32 2, v19
	s_cbranch_execz .LBB146_134
; %bb.133:
	s_mov_b32 s6, 0x3b52d5db
	v_fmaak_f32 v19, s6, v18, 0x3dd572af
	s_mov_b32 s6, 0x3c5b3c5e
	v_fmaak_f32 v20, s6, v18, 0x3e6a7578
	v_fmaak_f32 v19, v18, v19, 0x3f44efdf
	;; [unrolled: 1-line block ×7, first 2 shown]
	v_fma_f32 v19, v18, v19, 1.0
	v_fmaak_f32 v20, v18, v20, 0xbd9e233f
	v_rcp_f32_e32 v19, v19
	v_mul_f32_e32 v20, v18, v20
	v_mul_f32_e32 v19, v20, v19
	v_fmac_f32_e32 v19, -0.5, v18
	v_add_f32_e32 v16, v16, v19
.LBB146_134:
	s_or_b32 exec_lo, exec_lo, s11
                                        ; implicit-def: $vgpr18
.LBB146_135:
	s_andn2_saveexec_b32 s6, s10
	s_cbranch_execz .LBB146_137
; %bb.136:
	v_mul_f32_e32 v19, v18, v18
	s_mov_b32 s10, 0xb9a3f927
	s_mov_b32 s11, 0x39afe9f7
	v_mul_f32_e32 v20, v18, v19
	v_fmaak_f32 v21, s10, v20, 0x3a66f867
	v_fmaak_f32 v22, s11, v20, 0xba0d3085
	s_mov_b32 s10, 0x39a57b6b
	v_fmaak_f32 v23, s10, v20, 0xbab7f476
	v_fmaak_f32 v21, v20, v21, 0xbb7177fe
	;; [unrolled: 1-line block ×9, first 2 shown]
	v_fmac_f32_e32 v21, v18, v22
	v_fmaak_f32 v18, v20, v23, 0x3ef7b95e
	v_fma_f32 v20, v20, -v21, 0xa2863e55
	v_fma_f32 v18, v19, v18, -v20
	v_add_f32_e32 v18, 0xbdf8cdce, v18
	v_add_f32_e32 v16, v16, v18
.LBB146_137:
	s_or_b32 exec_lo, exec_lo, s6
                                        ; implicit-def: $vgpr19
                                        ; implicit-def: $vgpr18
.LBB146_138:
	s_andn2_saveexec_b32 s7, s7
	s_cbranch_execz .LBB146_142
; %bb.139:
	s_mov_b32 s10, exec_lo
	v_cmpx_eq_u32_e32 0, v19
	s_cbranch_execz .LBB146_141
; %bb.140:
	v_mul_f32_e32 v19, v18, v18
	s_mov_b32 s6, 0x383c2c75
	v_fmaak_f32 v20, s6, v19, 0x38e28445
	s_mov_b32 s6, 0x37d383a2
	v_fmaak_f32 v21, s6, v19, 0x39679767
	v_fmaak_f32 v20, v19, v20, 0x3a05b634
	;; [unrolled: 1-line block ×9, first 2 shown]
	v_mul_f32_e32 v19, v19, v20
	v_fmac_f32_e32 v19, v18, v21
	v_fmac_f32_e32 v19, -0.5, v18
	v_add_f32_e32 v16, v16, v19
.LBB146_141:
	s_or_b32 exec_lo, exec_lo, s10
.LBB146_142:
	s_or_b32 exec_lo, exec_lo, s7
.LBB146_143:
	s_or_b32 exec_lo, exec_lo, s9
.LBB146_144:
	s_andn2_saveexec_b32 s7, s8
	s_cbranch_execz .LBB146_146
; %bb.145:
	v_cmp_gt_f32_e64 s8, 0x800000, |v15|
	s_mov_b32 s6, 0x3e8a8991
	v_fma_f32 v20, |v15|, s6, 0xbecd26ab
	v_cndmask_b32_e64 v16, 0, 32, s8
	v_ldexp_f32 v16, |v15|, v16
	v_log_f32_e32 v16, v16
	v_mul_f32_e32 v18, 0x3f317217, v16
	v_cmp_gt_f32_e64 s6, 0x7f800000, |v16|
	v_fma_f32 v19, 0x3f317217, v16, -v18
	v_fmamk_f32 v19, v16, 0x3377d1cf, v19
	v_add_f32_e32 v18, v18, v19
	v_fma_f32 v19, |v15|, v20, 0x3f528d33
	v_cndmask_b32_e64 v16, v16, v18, s6
	v_cndmask_b32_e64 v18, 0, 0x41b17218, s8
	v_fma_f32 v19, |v15|, v19, 0xbf13c468
	v_sub_f32_e32 v16, v16, v18
	v_fma_f32 v16, |v15|, v19, -v16
.LBB146_146:
	s_or_b32 exec_lo, exec_lo, s7
	v_cmp_le_f16_e64 s6, 0, v14
	s_mov_b32 s8, exec_lo
	v_cmpx_nle_f16_e32 0, v14
	s_xor_b32 s9, exec_lo, s8
	s_cbranch_execz .LBB146_150
; %bb.147:
	v_cmp_gt_f32_e64 s7, 0x4b000000, |v15|
	v_cmp_lt_f32_e64 s8, 0x35000000, |v15|
	s_and_b32 s7, s7, s8
	s_and_saveexec_b32 s10, s7
	s_cbranch_execz .LBB146_149
; %bb.148:
	v_mul_f32_e64 v18, |v15|, 0.5
	s_mov_b32 s8, 0x3d4be544
	v_xor_b32_e32 v17, v17, v15
	v_floor_f32_e32 v19, v18
	v_cmp_neq_f32_e64 s7, 0x7f800000, v18
	v_sub_f32_e32 v19, v18, v19
	v_min_f32_e32 v19, 0x3f7fffff, v19
	v_add_f32_e32 v19, v19, v19
	v_cndmask_b32_e64 v18, 0, v19, s7
	v_cmp_gt_f32_e64 s7, |v15|, 1.0
	v_cndmask_b32_e64 v18, |v15|, v18, s7
	s_mov_b32 s7, 0x3e75aa41
	v_add_f32_e32 v19, v18, v18
	v_rndne_f32_e32 v19, v19
	v_fmac_f32_e32 v18, -0.5, v19
	v_cvt_i32_f32_e32 v19, v19
	v_mul_f32_e32 v20, v18, v18
	v_fmaak_f32 v21, s7, v20, 0xbf1f24be
	v_fmaak_f32 v22, s8, v20, 0x3e642e9d
	v_mul_f32_e32 v23, v18, v20
	v_fmaak_f32 v21, v20, v21, 0x40234736
	v_fmaak_f32 v22, v20, v22, 0xbfaad1da
	;; [unrolled: 1-line block ×4, first 2 shown]
	v_mul_f32_e32 v21, v23, v21
	v_fmaak_f32 v22, v20, v22, 0xc09de9e6
	v_and_b32_e32 v23, 1, v19
	v_lshlrev_b32_e32 v19, 30, v19
	v_fmamk_f32 v18, v18, 0x40490fdb, v21
	v_fma_f32 v20, v20, v22, 1.0
	v_cmp_eq_u32_e64 s7, 0, v23
	v_and_b32_e32 v19, 0x80000000, v19
	v_cndmask_b32_e64 v18, v20, v18, s7
	v_xor3_b32 v17, v17, v19, v18
	v_mul_f32_e32 v17, v15, v17
	v_frexp_mant_f32_e64 v18, |v17|
	v_frexp_exp_i32_f32_e32 v17, v17
	v_rcp_f32_e32 v18, v18
	v_sub_nc_u32_e32 v17, 2, v17
	v_mul_f32_e32 v18, 0x3f490fdb, v18
	v_ldexp_f32 v17, v18, v17
	v_cmp_gt_f32_e64 s7, 0x800000, v17
	v_cndmask_b32_e64 v18, 0, 32, s7
	v_ldexp_f32 v17, v17, v18
	v_log_f32_e32 v17, v17
	v_mul_f32_e32 v18, 0x3f317217, v17
	v_cmp_gt_f32_e64 s8, 0x7f800000, |v17|
	v_fma_f32 v19, 0x3f317217, v17, -v18
	v_fmamk_f32 v19, v17, 0x3377d1cf, v19
	v_add_f32_e32 v18, v18, v19
	v_floor_f32_e32 v19, v15
	v_cndmask_b32_e64 v17, v17, v18, s8
	v_cndmask_b32_e64 v18, 0, 0x41b17218, s7
	v_sub_f32_e32 v19, v15, v19
	v_sub_f32_e32 v17, v17, v18
	v_min_f32_e32 v18, 0x3f7fffff, v19
	v_sub_f32_e32 v16, v17, v16
	v_cmp_neq_f32_e64 s7, 0, v18
	v_cndmask_b32_e64 v16, 0x7f800000, v16, s7
.LBB146_149:
	s_or_b32 exec_lo, exec_lo, s10
.LBB146_150:
	s_andn2_saveexec_b32 s9, s9
; %bb.151:
	v_cmp_eq_f16_e64 s7, 1.0, v14
	v_cmp_eq_f16_e64 s8, 2.0, v14
	s_or_b32 s7, s7, s8
	v_cndmask_b32_e64 v16, v16, 0, s7
; %bb.152:
	s_or_b32 exec_lo, exec_lo, s9
	v_cvt_f32_f16_e32 v17, v4
                                        ; implicit-def: $vgpr18
	s_mov_b32 s8, exec_lo
	v_and_b32_e32 v19, 0x7fffffff, v17
	v_cmpx_ngt_f32_e64 0x3c800000, |v17|
	s_xor_b32 s9, exec_lo, s8
	s_cbranch_execz .LBB146_182
; %bb.153:
                                        ; implicit-def: $vgpr18
	s_mov_b32 s8, exec_lo
	v_cmpx_nlt_f32_e64 |v17|, 2.0
	s_xor_b32 s10, exec_lo, s8
	s_cbranch_execz .LBB146_163
; %bb.154:
	s_mov_b32 s8, exec_lo
                                        ; implicit-def: $vgpr18
	v_cmpx_ngt_f32_e64 0x41000000, |v17|
	s_xor_b32 s8, exec_lo, s8
	s_cbranch_execz .LBB146_160
; %bb.155:
	s_mov_b32 s11, exec_lo
                                        ; implicit-def: $vgpr18
	v_cmpx_ngt_f32_e64 0x5c800000, |v17|
	s_xor_b32 s11, exec_lo, s11
	s_cbranch_execz .LBB146_157
; %bb.156:
	v_cmp_gt_f32_e64 s12, 0x800000, |v17|
	v_cndmask_b32_e64 v18, 0, 32, s12
	v_ldexp_f32 v18, |v17|, v18
	v_log_f32_e32 v18, v18
	v_mul_f32_e32 v20, 0x3f317217, v18
	v_cmp_gt_f32_e64 s7, 0x7f800000, |v18|
	v_fma_f32 v21, 0x3f317217, v18, -v20
	v_fmamk_f32 v21, v18, 0x3377d1cf, v21
	v_add_f32_e32 v20, v20, v21
	v_cndmask_b32_e64 v18, v18, v20, s7
	v_cndmask_b32_e64 v20, 0, 0x41b17218, s12
	v_sub_f32_e32 v18, v18, v20
	v_fma_f32 v18, |v17|, v18, -|v17|
.LBB146_157:
	s_andn2_saveexec_b32 s11, s11
	s_cbranch_execz .LBB146_159
; %bb.158:
	v_cmp_gt_f32_e64 s12, 0x800000, |v17|
	v_rcp_f32_e64 v20, |v17|
	s_mov_b32 s7, 0xbad5c4e8
	v_cndmask_b32_e64 v18, 0, 32, s12
	v_ldexp_f32 v18, |v17|, v18
	v_mul_f32_e32 v21, v20, v20
	v_log_f32_e32 v18, v18
	v_fmaak_f32 v23, s7, v21, 0x3a5b3dd2
	v_fmaak_f32 v23, v21, v23, 0xba1c065c
	v_mul_f32_e32 v22, 0x3f317217, v18
	v_fmaak_f32 v23, v21, v23, 0x3a500cfd
	v_cmp_gt_f32_e64 s7, 0x7f800000, |v18|
	v_fma_f32 v24, 0x3f317217, v18, -v22
	v_fmaak_f32 v23, v21, v23, 0xbb360b61
	v_fmamk_f32 v24, v18, 0x3377d1cf, v24
	v_fmaak_f32 v21, v21, v23, 0x3daaaaab
	v_add_f32_e32 v22, v22, v24
	v_cndmask_b32_e64 v18, v18, v22, s7
	v_cndmask_b32_e64 v22, 0, 0x41b17218, s12
	v_sub_f32_e32 v22, v18, v22
	v_fmaak_f32 v18, v20, v21, 0x3ed67f1d
	v_add_f32_e64 v20, |v17|, -0.5
	v_add_f32_e32 v21, -1.0, v22
	v_fmac_f32_e32 v18, v20, v21
.LBB146_159:
	s_or_b32 exec_lo, exec_lo, s11
.LBB146_160:
	s_andn2_saveexec_b32 s11, s8
	s_cbranch_execz .LBB146_162
; %bb.161:
	v_cvt_i32_f32_e32 v18, v19
	s_mov_b32 s8, 0x3805ff67
	v_cvt_f32_i32_e32 v20, v18
	v_cmp_lt_i32_e64 s7, 2, v18
	v_sub_f32_e64 v20, |v17|, v20
	v_add_f32_e32 v21, 2.0, v20
	v_add_f32_e32 v22, 0x40400000, v20
	v_add_f32_e32 v23, 4.0, v20
	v_add_f32_e32 v24, 0x40a00000, v20
	v_cndmask_b32_e64 v21, 1.0, v21, s7
	v_cmp_lt_i32_e64 s7, 3, v18
	v_cndmask_b32_e64 v22, 1.0, v22, s7
	v_cmp_lt_i32_e64 s7, 4, v18
	v_mul_f32_e32 v21, v21, v22
	v_cndmask_b32_e64 v23, 1.0, v23, s7
	v_cmp_lt_i32_e64 s7, 5, v18
	v_add_f32_e32 v22, 0x40c00000, v20
	v_mul_f32_e32 v21, v23, v21
	v_cndmask_b32_e64 v24, 1.0, v24, s7
	v_cmp_lt_i32_e64 s7, 6, v18
	v_fmaak_f32 v23, s8, v20, 0x3af135b4
	v_mul_f32_e32 v21, v24, v21
	v_cndmask_b32_e64 v18, 1.0, v22, s7
	s_mov_b32 s7, 0x36f5d7bd
	v_mul_f32_e32 v18, v18, v21
	v_fmaak_f32 v21, s7, v20, 0x3a4beed6
	v_cmp_gt_f32_e64 s7, 0x800000, v18
	v_fmaak_f32 v21, v20, v21, 0x3c98bf54
	v_cndmask_b32_e64 v22, 0, 32, s7
	v_fmaak_f32 v21, v20, v21, 0x3e300f6e
	v_ldexp_f32 v18, v18, v22
	v_fmaak_f32 v22, v20, v23, 0x3cda40e4
	v_fmaak_f32 v21, v20, v21, 0x3f38d0c5
	v_log_f32_e32 v18, v18
	v_fmaak_f32 v22, v20, v22, 0x3e15dce6
	v_fmaak_f32 v21, v20, v21, 0x3fb22d3b
	v_fmaak_f32 v22, v20, v22, 0x3ea6cc7a
	v_fma_f32 v21, v20, v21, 1.0
	v_mul_f32_e32 v23, 0x3f317217, v18
	v_fmaak_f32 v22, v20, v22, 0x3e5c245a
	v_rcp_f32_e32 v21, v21
	v_cmp_gt_f32_e64 s8, 0x7f800000, |v18|
	v_fma_f32 v24, 0x3f317217, v18, -v23
	v_fmaak_f32 v22, v20, v22, 0xbd9e233f
	v_fmamk_f32 v24, v18, 0x3377d1cf, v24
	v_mul_f32_e32 v22, v20, v22
	v_add_f32_e32 v23, v23, v24
	v_mul_f32_e32 v21, v22, v21
	v_cndmask_b32_e64 v22, 0, 0x41b17218, s7
	v_cndmask_b32_e64 v18, v18, v23, s8
	v_fmac_f32_e32 v21, 0.5, v20
	v_sub_f32_e32 v18, v18, v22
	v_add_f32_e32 v18, v18, v21
.LBB146_162:
	s_or_b32 exec_lo, exec_lo, s11
.LBB146_163:
	s_andn2_saveexec_b32 s10, s10
	s_cbranch_execz .LBB146_181
; %bb.164:
                                        ; implicit-def: $vgpr18
                                        ; implicit-def: $vgpr21
                                        ; implicit-def: $vgpr20
	s_mov_b32 s8, exec_lo
	v_cmpx_ge_f32_e64 0x3f666666, |v17|
	s_xor_b32 s11, exec_lo, s8
	s_cbranch_execz .LBB146_166
; %bb.165:
	v_cmp_gt_f32_e64 s8, 0x800000, |v17|
	v_sub_f32_e64 v22, 1.0, |v17|
	v_cmp_gt_f32_e64 s7, 0x3f3b4a23, |v17|
	v_cndmask_b32_e64 v18, 0, 32, s8
	v_cndmask_b32_e64 v23, 0, 0x41b17218, s8
	v_ldexp_f32 v18, |v17|, v18
	v_log_f32_e32 v18, v18
	v_mul_f32_e32 v20, 0x3f317217, v18
	v_cmp_gt_f32_e64 s8, 0x7f800000, |v18|
	v_fma_f32 v21, 0x3f317217, v18, -v20
	v_fmamk_f32 v21, v18, 0x3377d1cf, v21
	v_add_f32_e32 v20, v20, v21
	v_add_f32_e64 v21, 0xbeec5b0c, |v17|
	v_cndmask_b32_e64 v18, v18, v20, s8
	v_cndmask_b32_e64 v20, v22, v21, s7
	;; [unrolled: 1-line block ×3, first 2 shown]
	v_cmp_gt_f32_e64 s7, 0x3e6d3309, |v17|
	v_sub_f32_e32 v18, v18, v23
	v_cndmask_b32_e64 v20, v20, |v17|, s7
	v_cndmask_b32_e64 v21, v21, 2, s7
	v_xor_b32_e32 v18, 0x80000000, v18
.LBB146_166:
	s_andn2_saveexec_b32 s8, s11
	s_cbranch_execz .LBB146_168
; %bb.167:
	v_sub_f32_e64 v18, 2.0, |v17|
	v_add_f32_e64 v20, 0xbfbb16c3, |v17|
	v_cmp_gt_f32_e64 s7, 0x3fdda512, |v17|
	v_add_f32_e64 v21, |v17|, -1.0
	v_cndmask_b32_e64 v20, v18, v20, s7
	v_cndmask_b32_e64 v18, v18, 1.0, s7
	v_cmp_gt_f32_e64 s7, 0x3f9d70a4, |v17|
	v_cvt_i32_f32_e32 v18, v18
	v_cndmask_b32_e64 v20, v20, v21, s7
	v_cndmask_b32_e64 v21, v18, 2, s7
	v_mov_b32_e32 v18, 0
.LBB146_168:
	s_or_b32 exec_lo, exec_lo, s8
	s_mov_b32 s8, exec_lo
	v_cmpx_lt_i32_e32 0, v21
	s_xor_b32 s8, exec_lo, s8
	s_cbranch_execz .LBB146_176
; %bb.169:
	s_mov_b32 s11, exec_lo
	v_cmpx_lt_i32_e32 1, v21
	s_xor_b32 s11, exec_lo, s11
	s_cbranch_execz .LBB146_173
; %bb.170:
	s_mov_b32 s12, exec_lo
	v_cmpx_eq_u32_e32 2, v21
	s_cbranch_execz .LBB146_172
; %bb.171:
	s_mov_b32 s7, 0x3b52d5db
	v_fmaak_f32 v21, s7, v20, 0x3dd572af
	s_mov_b32 s7, 0x3c5b3c5e
	v_fmaak_f32 v22, s7, v20, 0x3e6a7578
	v_fmaak_f32 v21, v20, v21, 0x3f44efdf
	;; [unrolled: 1-line block ×7, first 2 shown]
	v_fma_f32 v21, v20, v21, 1.0
	v_fmaak_f32 v22, v20, v22, 0xbd9e233f
	v_rcp_f32_e32 v21, v21
	v_mul_f32_e32 v22, v20, v22
	v_mul_f32_e32 v21, v22, v21
	v_fmac_f32_e32 v21, -0.5, v20
	v_add_f32_e32 v18, v18, v21
.LBB146_172:
	s_or_b32 exec_lo, exec_lo, s12
                                        ; implicit-def: $vgpr20
.LBB146_173:
	s_andn2_saveexec_b32 s7, s11
	s_cbranch_execz .LBB146_175
; %bb.174:
	v_mul_f32_e32 v21, v20, v20
	s_mov_b32 s11, 0xb9a3f927
	s_mov_b32 s12, 0x39afe9f7
	v_mul_f32_e32 v22, v20, v21
	v_fmaak_f32 v23, s11, v22, 0x3a66f867
	v_fmaak_f32 v24, s12, v22, 0xba0d3085
	s_mov_b32 s11, 0x39a57b6b
	v_fmaak_f32 v25, s11, v22, 0xbab7f476
	v_fmaak_f32 v23, v22, v23, 0xbb7177fe
	;; [unrolled: 1-line block ×9, first 2 shown]
	v_fmac_f32_e32 v23, v20, v24
	v_fmaak_f32 v20, v22, v25, 0x3ef7b95e
	v_fma_f32 v22, v22, -v23, 0xa2863e55
	v_fma_f32 v20, v21, v20, -v22
	v_add_f32_e32 v20, 0xbdf8cdce, v20
	v_add_f32_e32 v18, v18, v20
.LBB146_175:
	s_or_b32 exec_lo, exec_lo, s7
                                        ; implicit-def: $vgpr21
                                        ; implicit-def: $vgpr20
.LBB146_176:
	s_andn2_saveexec_b32 s8, s8
	s_cbranch_execz .LBB146_180
; %bb.177:
	s_mov_b32 s11, exec_lo
	v_cmpx_eq_u32_e32 0, v21
	s_cbranch_execz .LBB146_179
; %bb.178:
	v_mul_f32_e32 v21, v20, v20
	s_mov_b32 s7, 0x383c2c75
	v_fmaak_f32 v22, s7, v21, 0x38e28445
	s_mov_b32 s7, 0x37d383a2
	v_fmaak_f32 v23, s7, v21, 0x39679767
	v_fmaak_f32 v22, v21, v22, 0x3a05b634
	;; [unrolled: 1-line block ×9, first 2 shown]
	v_mul_f32_e32 v21, v21, v22
	v_fmac_f32_e32 v21, v20, v23
	v_fmac_f32_e32 v21, -0.5, v20
	v_add_f32_e32 v18, v18, v21
.LBB146_179:
	s_or_b32 exec_lo, exec_lo, s11
.LBB146_180:
	s_or_b32 exec_lo, exec_lo, s8
.LBB146_181:
	s_or_b32 exec_lo, exec_lo, s10
.LBB146_182:
	s_andn2_saveexec_b32 s8, s9
	s_cbranch_execz .LBB146_184
; %bb.183:
	v_cmp_gt_f32_e64 s9, 0x800000, |v17|
	s_mov_b32 s7, 0x3e8a8991
	v_fma_f32 v22, |v17|, s7, 0xbecd26ab
	v_cndmask_b32_e64 v18, 0, 32, s9
	v_ldexp_f32 v18, |v17|, v18
	v_log_f32_e32 v18, v18
	v_mul_f32_e32 v20, 0x3f317217, v18
	v_cmp_gt_f32_e64 s7, 0x7f800000, |v18|
	v_fma_f32 v21, 0x3f317217, v18, -v20
	v_fmamk_f32 v21, v18, 0x3377d1cf, v21
	v_add_f32_e32 v20, v20, v21
	v_fma_f32 v21, |v17|, v22, 0x3f528d33
	v_cndmask_b32_e64 v18, v18, v20, s7
	v_cndmask_b32_e64 v20, 0, 0x41b17218, s9
	v_fma_f32 v21, |v17|, v21, 0xbf13c468
	v_sub_f32_e32 v18, v18, v20
	v_fma_f32 v18, |v17|, v21, -v18
.LBB146_184:
	s_or_b32 exec_lo, exec_lo, s8
	v_cmp_le_f16_e64 s7, 0, v4
	s_mov_b32 s9, exec_lo
	v_cmpx_nle_f16_e32 0, v4
	s_xor_b32 s10, exec_lo, s9
	s_cbranch_execz .LBB146_188
; %bb.185:
	v_cmp_gt_f32_e64 s8, 0x4b000000, |v17|
	v_cmp_lt_f32_e64 s9, 0x35000000, |v17|
	s_and_b32 s8, s8, s9
	s_and_saveexec_b32 s11, s8
	s_cbranch_execz .LBB146_187
; %bb.186:
	v_mul_f32_e64 v20, |v17|, 0.5
	s_mov_b32 s9, 0x3d4be544
	v_xor_b32_e32 v19, v19, v17
	v_floor_f32_e32 v21, v20
	v_cmp_neq_f32_e64 s8, 0x7f800000, v20
	v_sub_f32_e32 v21, v20, v21
	v_min_f32_e32 v21, 0x3f7fffff, v21
	v_add_f32_e32 v21, v21, v21
	v_cndmask_b32_e64 v20, 0, v21, s8
	v_cmp_gt_f32_e64 s8, |v17|, 1.0
	v_cndmask_b32_e64 v20, |v17|, v20, s8
	s_mov_b32 s8, 0x3e75aa41
	v_add_f32_e32 v21, v20, v20
	v_rndne_f32_e32 v21, v21
	v_fmac_f32_e32 v20, -0.5, v21
	v_cvt_i32_f32_e32 v21, v21
	v_mul_f32_e32 v22, v20, v20
	v_fmaak_f32 v23, s8, v22, 0xbf1f24be
	v_fmaak_f32 v24, s9, v22, 0x3e642e9d
	v_mul_f32_e32 v25, v20, v22
	v_fmaak_f32 v23, v22, v23, 0x40234736
	v_fmaak_f32 v24, v22, v24, 0xbfaad1da
	;; [unrolled: 1-line block ×4, first 2 shown]
	v_mul_f32_e32 v23, v25, v23
	v_fmaak_f32 v24, v22, v24, 0xc09de9e6
	v_and_b32_e32 v25, 1, v21
	v_lshlrev_b32_e32 v21, 30, v21
	v_fmamk_f32 v20, v20, 0x40490fdb, v23
	v_fma_f32 v22, v22, v24, 1.0
	v_cmp_eq_u32_e64 s8, 0, v25
	v_and_b32_e32 v21, 0x80000000, v21
	v_cndmask_b32_e64 v20, v22, v20, s8
	v_xor3_b32 v19, v19, v21, v20
	v_mul_f32_e32 v19, v17, v19
	v_frexp_mant_f32_e64 v20, |v19|
	v_frexp_exp_i32_f32_e32 v19, v19
	v_rcp_f32_e32 v20, v20
	v_sub_nc_u32_e32 v19, 2, v19
	v_mul_f32_e32 v20, 0x3f490fdb, v20
	v_ldexp_f32 v19, v20, v19
	v_cmp_gt_f32_e64 s8, 0x800000, v19
	v_cndmask_b32_e64 v20, 0, 32, s8
	v_ldexp_f32 v19, v19, v20
	v_log_f32_e32 v19, v19
	v_mul_f32_e32 v20, 0x3f317217, v19
	v_cmp_gt_f32_e64 s9, 0x7f800000, |v19|
	v_fma_f32 v21, 0x3f317217, v19, -v20
	v_fmamk_f32 v21, v19, 0x3377d1cf, v21
	v_add_f32_e32 v20, v20, v21
	v_floor_f32_e32 v21, v17
	v_cndmask_b32_e64 v19, v19, v20, s9
	v_cndmask_b32_e64 v20, 0, 0x41b17218, s8
	v_sub_f32_e32 v21, v17, v21
	v_sub_f32_e32 v19, v19, v20
	v_min_f32_e32 v20, 0x3f7fffff, v21
	v_sub_f32_e32 v18, v19, v18
	v_cmp_neq_f32_e64 s8, 0, v20
	v_cndmask_b32_e64 v18, 0x7f800000, v18, s8
.LBB146_187:
	s_or_b32 exec_lo, exec_lo, s11
.LBB146_188:
	s_andn2_saveexec_b32 s10, s10
; %bb.189:
	v_cmp_eq_f16_e64 s8, 1.0, v4
	v_cmp_eq_f16_e64 s9, 2.0, v4
	s_or_b32 s8, s8, s9
	v_cndmask_b32_e64 v18, v18, 0, s8
; %bb.190:
	s_or_b32 exec_lo, exec_lo, s10
	v_lshrrev_b32_e32 v19, 16, v4
                                        ; implicit-def: $vgpr21
	s_mov_b32 s9, exec_lo
	v_cvt_f32_f16_e32 v20, v19
	v_and_b32_e32 v22, 0x7fffffff, v20
	v_cmpx_ngt_f32_e64 0x3c800000, |v20|
	s_xor_b32 s10, exec_lo, s9
	s_cbranch_execz .LBB146_220
; %bb.191:
                                        ; implicit-def: $vgpr21
	s_mov_b32 s9, exec_lo
	v_cmpx_nlt_f32_e64 |v20|, 2.0
	s_xor_b32 s11, exec_lo, s9
	s_cbranch_execz .LBB146_201
; %bb.192:
	s_mov_b32 s9, exec_lo
                                        ; implicit-def: $vgpr21
	v_cmpx_ngt_f32_e64 0x41000000, |v20|
	s_xor_b32 s9, exec_lo, s9
	s_cbranch_execz .LBB146_198
; %bb.193:
	s_mov_b32 s12, exec_lo
                                        ; implicit-def: $vgpr21
	v_cmpx_ngt_f32_e64 0x5c800000, |v20|
	s_xor_b32 s12, exec_lo, s12
	s_cbranch_execz .LBB146_195
; %bb.194:
	v_cmp_gt_f32_e64 s13, 0x800000, |v20|
	v_cndmask_b32_e64 v21, 0, 32, s13
	v_ldexp_f32 v21, |v20|, v21
	v_log_f32_e32 v21, v21
	v_mul_f32_e32 v23, 0x3f317217, v21
	v_cmp_gt_f32_e64 s8, 0x7f800000, |v21|
	v_fma_f32 v24, 0x3f317217, v21, -v23
	v_fmamk_f32 v24, v21, 0x3377d1cf, v24
	v_add_f32_e32 v23, v23, v24
	v_cndmask_b32_e64 v21, v21, v23, s8
	v_cndmask_b32_e64 v23, 0, 0x41b17218, s13
	v_sub_f32_e32 v21, v21, v23
	v_fma_f32 v21, |v20|, v21, -|v20|
.LBB146_195:
	s_andn2_saveexec_b32 s12, s12
	s_cbranch_execz .LBB146_197
; %bb.196:
	v_cmp_gt_f32_e64 s13, 0x800000, |v20|
	v_rcp_f32_e64 v23, |v20|
	s_mov_b32 s8, 0xbad5c4e8
	v_cndmask_b32_e64 v21, 0, 32, s13
	v_ldexp_f32 v21, |v20|, v21
	v_mul_f32_e32 v24, v23, v23
	v_log_f32_e32 v21, v21
	v_fmaak_f32 v26, s8, v24, 0x3a5b3dd2
	v_fmaak_f32 v26, v24, v26, 0xba1c065c
	v_mul_f32_e32 v25, 0x3f317217, v21
	v_fmaak_f32 v26, v24, v26, 0x3a500cfd
	v_cmp_gt_f32_e64 s8, 0x7f800000, |v21|
	v_fma_f32 v27, 0x3f317217, v21, -v25
	v_fmaak_f32 v26, v24, v26, 0xbb360b61
	v_fmamk_f32 v27, v21, 0x3377d1cf, v27
	v_fmaak_f32 v24, v24, v26, 0x3daaaaab
	v_add_f32_e32 v25, v25, v27
	v_cndmask_b32_e64 v21, v21, v25, s8
	v_cndmask_b32_e64 v25, 0, 0x41b17218, s13
	v_sub_f32_e32 v25, v21, v25
	v_fmaak_f32 v21, v23, v24, 0x3ed67f1d
	v_add_f32_e64 v23, |v20|, -0.5
	v_add_f32_e32 v24, -1.0, v25
	v_fmac_f32_e32 v21, v23, v24
.LBB146_197:
	s_or_b32 exec_lo, exec_lo, s12
.LBB146_198:
	s_andn2_saveexec_b32 s12, s9
	s_cbranch_execz .LBB146_200
; %bb.199:
	v_cvt_i32_f32_e32 v21, v22
	s_mov_b32 s9, 0x3805ff67
	v_cvt_f32_i32_e32 v23, v21
	v_cmp_lt_i32_e64 s8, 2, v21
	v_sub_f32_e64 v23, |v20|, v23
	v_add_f32_e32 v24, 2.0, v23
	v_add_f32_e32 v25, 0x40400000, v23
	v_add_f32_e32 v26, 4.0, v23
	v_add_f32_e32 v27, 0x40a00000, v23
	v_cndmask_b32_e64 v24, 1.0, v24, s8
	v_cmp_lt_i32_e64 s8, 3, v21
	v_cndmask_b32_e64 v25, 1.0, v25, s8
	v_cmp_lt_i32_e64 s8, 4, v21
	v_mul_f32_e32 v24, v24, v25
	v_cndmask_b32_e64 v26, 1.0, v26, s8
	v_cmp_lt_i32_e64 s8, 5, v21
	v_add_f32_e32 v25, 0x40c00000, v23
	v_mul_f32_e32 v24, v26, v24
	v_cndmask_b32_e64 v27, 1.0, v27, s8
	v_cmp_lt_i32_e64 s8, 6, v21
	v_fmaak_f32 v26, s9, v23, 0x3af135b4
	v_mul_f32_e32 v24, v27, v24
	v_cndmask_b32_e64 v21, 1.0, v25, s8
	s_mov_b32 s8, 0x36f5d7bd
	v_mul_f32_e32 v21, v21, v24
	v_fmaak_f32 v24, s8, v23, 0x3a4beed6
	v_cmp_gt_f32_e64 s8, 0x800000, v21
	v_fmaak_f32 v24, v23, v24, 0x3c98bf54
	v_cndmask_b32_e64 v25, 0, 32, s8
	v_fmaak_f32 v24, v23, v24, 0x3e300f6e
	v_ldexp_f32 v21, v21, v25
	v_fmaak_f32 v25, v23, v26, 0x3cda40e4
	v_fmaak_f32 v24, v23, v24, 0x3f38d0c5
	v_log_f32_e32 v21, v21
	v_fmaak_f32 v25, v23, v25, 0x3e15dce6
	v_fmaak_f32 v24, v23, v24, 0x3fb22d3b
	;; [unrolled: 1-line block ×3, first 2 shown]
	v_fma_f32 v24, v23, v24, 1.0
	v_mul_f32_e32 v26, 0x3f317217, v21
	v_fmaak_f32 v25, v23, v25, 0x3e5c245a
	v_rcp_f32_e32 v24, v24
	v_cmp_gt_f32_e64 s9, 0x7f800000, |v21|
	v_fma_f32 v27, 0x3f317217, v21, -v26
	v_fmaak_f32 v25, v23, v25, 0xbd9e233f
	v_fmamk_f32 v27, v21, 0x3377d1cf, v27
	v_mul_f32_e32 v25, v23, v25
	v_add_f32_e32 v26, v26, v27
	v_mul_f32_e32 v24, v25, v24
	v_cndmask_b32_e64 v25, 0, 0x41b17218, s8
	v_cndmask_b32_e64 v21, v21, v26, s9
	v_fmac_f32_e32 v24, 0.5, v23
	v_sub_f32_e32 v21, v21, v25
	v_add_f32_e32 v21, v21, v24
.LBB146_200:
	s_or_b32 exec_lo, exec_lo, s12
.LBB146_201:
	s_andn2_saveexec_b32 s11, s11
	s_cbranch_execz .LBB146_219
; %bb.202:
                                        ; implicit-def: $vgpr21
                                        ; implicit-def: $vgpr24
                                        ; implicit-def: $vgpr23
	s_mov_b32 s9, exec_lo
	v_cmpx_ge_f32_e64 0x3f666666, |v20|
	s_xor_b32 s12, exec_lo, s9
	s_cbranch_execz .LBB146_204
; %bb.203:
	v_cmp_gt_f32_e64 s9, 0x800000, |v20|
	v_sub_f32_e64 v25, 1.0, |v20|
	v_cmp_gt_f32_e64 s8, 0x3f3b4a23, |v20|
	v_cndmask_b32_e64 v21, 0, 32, s9
	v_cndmask_b32_e64 v26, 0, 0x41b17218, s9
	v_ldexp_f32 v21, |v20|, v21
	v_log_f32_e32 v21, v21
	v_mul_f32_e32 v23, 0x3f317217, v21
	v_cmp_gt_f32_e64 s9, 0x7f800000, |v21|
	v_fma_f32 v24, 0x3f317217, v21, -v23
	v_fmamk_f32 v24, v21, 0x3377d1cf, v24
	v_add_f32_e32 v23, v23, v24
	v_add_f32_e64 v24, 0xbeec5b0c, |v20|
	v_cndmask_b32_e64 v21, v21, v23, s9
	v_cndmask_b32_e64 v23, v25, v24, s8
	;; [unrolled: 1-line block ×3, first 2 shown]
	v_cmp_gt_f32_e64 s8, 0x3e6d3309, |v20|
	v_sub_f32_e32 v21, v21, v26
	v_cndmask_b32_e64 v23, v23, |v20|, s8
	v_cndmask_b32_e64 v24, v24, 2, s8
	v_xor_b32_e32 v21, 0x80000000, v21
.LBB146_204:
	s_andn2_saveexec_b32 s9, s12
	s_cbranch_execz .LBB146_206
; %bb.205:
	v_sub_f32_e64 v21, 2.0, |v20|
	v_add_f32_e64 v23, 0xbfbb16c3, |v20|
	v_cmp_gt_f32_e64 s8, 0x3fdda512, |v20|
	v_add_f32_e64 v24, |v20|, -1.0
	v_cndmask_b32_e64 v23, v21, v23, s8
	v_cndmask_b32_e64 v21, v21, 1.0, s8
	v_cmp_gt_f32_e64 s8, 0x3f9d70a4, |v20|
	v_cvt_i32_f32_e32 v21, v21
	v_cndmask_b32_e64 v23, v23, v24, s8
	v_cndmask_b32_e64 v24, v21, 2, s8
	v_mov_b32_e32 v21, 0
.LBB146_206:
	s_or_b32 exec_lo, exec_lo, s9
	s_mov_b32 s9, exec_lo
	v_cmpx_lt_i32_e32 0, v24
	s_xor_b32 s9, exec_lo, s9
	s_cbranch_execz .LBB146_214
; %bb.207:
	s_mov_b32 s12, exec_lo
	v_cmpx_lt_i32_e32 1, v24
	s_xor_b32 s12, exec_lo, s12
	s_cbranch_execz .LBB146_211
; %bb.208:
	s_mov_b32 s13, exec_lo
	v_cmpx_eq_u32_e32 2, v24
	s_cbranch_execz .LBB146_210
; %bb.209:
	s_mov_b32 s8, 0x3b52d5db
	v_fmaak_f32 v24, s8, v23, 0x3dd572af
	s_mov_b32 s8, 0x3c5b3c5e
	v_fmaak_f32 v25, s8, v23, 0x3e6a7578
	v_fmaak_f32 v24, v23, v24, 0x3f44efdf
	;; [unrolled: 1-line block ×7, first 2 shown]
	v_fma_f32 v24, v23, v24, 1.0
	v_fmaak_f32 v25, v23, v25, 0xbd9e233f
	v_rcp_f32_e32 v24, v24
	v_mul_f32_e32 v25, v23, v25
	v_mul_f32_e32 v24, v25, v24
	v_fmac_f32_e32 v24, -0.5, v23
	v_add_f32_e32 v21, v21, v24
.LBB146_210:
	s_or_b32 exec_lo, exec_lo, s13
                                        ; implicit-def: $vgpr23
.LBB146_211:
	s_andn2_saveexec_b32 s8, s12
	s_cbranch_execz .LBB146_213
; %bb.212:
	v_mul_f32_e32 v24, v23, v23
	s_mov_b32 s12, 0xb9a3f927
	s_mov_b32 s13, 0x39afe9f7
	v_mul_f32_e32 v25, v23, v24
	v_fmaak_f32 v26, s12, v25, 0x3a66f867
	v_fmaak_f32 v27, s13, v25, 0xba0d3085
	s_mov_b32 s12, 0x39a57b6b
	v_fmaak_f32 v28, s12, v25, 0xbab7f476
	v_fmaak_f32 v26, v25, v26, 0xbb7177fe
	;; [unrolled: 1-line block ×9, first 2 shown]
	v_fmac_f32_e32 v26, v23, v27
	v_fmaak_f32 v23, v25, v28, 0x3ef7b95e
	v_fma_f32 v25, v25, -v26, 0xa2863e55
	v_fma_f32 v23, v24, v23, -v25
	v_add_f32_e32 v23, 0xbdf8cdce, v23
	v_add_f32_e32 v21, v21, v23
.LBB146_213:
	s_or_b32 exec_lo, exec_lo, s8
                                        ; implicit-def: $vgpr24
                                        ; implicit-def: $vgpr23
.LBB146_214:
	s_andn2_saveexec_b32 s9, s9
	s_cbranch_execz .LBB146_218
; %bb.215:
	s_mov_b32 s12, exec_lo
	v_cmpx_eq_u32_e32 0, v24
	s_cbranch_execz .LBB146_217
; %bb.216:
	v_mul_f32_e32 v24, v23, v23
	s_mov_b32 s8, 0x383c2c75
	v_fmaak_f32 v25, s8, v24, 0x38e28445
	s_mov_b32 s8, 0x37d383a2
	v_fmaak_f32 v26, s8, v24, 0x39679767
	v_fmaak_f32 v25, v24, v25, 0x3a05b634
	;; [unrolled: 1-line block ×9, first 2 shown]
	v_mul_f32_e32 v24, v24, v25
	v_fmac_f32_e32 v24, v23, v26
	v_fmac_f32_e32 v24, -0.5, v23
	v_add_f32_e32 v21, v21, v24
.LBB146_217:
	s_or_b32 exec_lo, exec_lo, s12
.LBB146_218:
	s_or_b32 exec_lo, exec_lo, s9
.LBB146_219:
	s_or_b32 exec_lo, exec_lo, s11
.LBB146_220:
	s_andn2_saveexec_b32 s9, s10
	s_cbranch_execz .LBB146_222
; %bb.221:
	v_cmp_gt_f32_e64 s10, 0x800000, |v20|
	s_mov_b32 s8, 0x3e8a8991
	v_fma_f32 v25, |v20|, s8, 0xbecd26ab
	v_cndmask_b32_e64 v21, 0, 32, s10
	v_ldexp_f32 v21, |v20|, v21
	v_log_f32_e32 v21, v21
	v_mul_f32_e32 v23, 0x3f317217, v21
	v_cmp_gt_f32_e64 s8, 0x7f800000, |v21|
	v_fma_f32 v24, 0x3f317217, v21, -v23
	v_fmamk_f32 v24, v21, 0x3377d1cf, v24
	v_add_f32_e32 v23, v23, v24
	v_fma_f32 v24, |v20|, v25, 0x3f528d33
	v_cndmask_b32_e64 v21, v21, v23, s8
	v_cndmask_b32_e64 v23, 0, 0x41b17218, s10
	v_fma_f32 v24, |v20|, v24, 0xbf13c468
	v_sub_f32_e32 v21, v21, v23
	v_fma_f32 v21, |v20|, v24, -v21
.LBB146_222:
	s_or_b32 exec_lo, exec_lo, s9
	v_cmp_le_f16_e64 s8, 0, v19
	s_mov_b32 s10, exec_lo
	v_cmpx_nle_f16_e32 0, v19
	s_xor_b32 s11, exec_lo, s10
	s_cbranch_execz .LBB146_226
; %bb.223:
	v_cmp_gt_f32_e64 s9, 0x4b000000, |v20|
	v_cmp_lt_f32_e64 s10, 0x35000000, |v20|
	s_and_b32 s9, s9, s10
	s_and_saveexec_b32 s12, s9
	s_cbranch_execz .LBB146_225
; %bb.224:
	v_mul_f32_e64 v23, |v20|, 0.5
	s_mov_b32 s10, 0x3d4be544
	v_xor_b32_e32 v22, v22, v20
	v_floor_f32_e32 v24, v23
	v_cmp_neq_f32_e64 s9, 0x7f800000, v23
	v_sub_f32_e32 v24, v23, v24
	v_min_f32_e32 v24, 0x3f7fffff, v24
	v_add_f32_e32 v24, v24, v24
	v_cndmask_b32_e64 v23, 0, v24, s9
	v_cmp_gt_f32_e64 s9, |v20|, 1.0
	v_cndmask_b32_e64 v23, |v20|, v23, s9
	s_mov_b32 s9, 0x3e75aa41
	v_add_f32_e32 v24, v23, v23
	v_rndne_f32_e32 v24, v24
	v_fmac_f32_e32 v23, -0.5, v24
	v_cvt_i32_f32_e32 v24, v24
	v_mul_f32_e32 v25, v23, v23
	v_fmaak_f32 v26, s9, v25, 0xbf1f24be
	v_fmaak_f32 v27, s10, v25, 0x3e642e9d
	v_mul_f32_e32 v28, v23, v25
	v_fmaak_f32 v26, v25, v26, 0x40234736
	v_fmaak_f32 v27, v25, v27, 0xbfaad1da
	;; [unrolled: 1-line block ×4, first 2 shown]
	v_mul_f32_e32 v26, v28, v26
	v_fmaak_f32 v27, v25, v27, 0xc09de9e6
	v_and_b32_e32 v28, 1, v24
	v_lshlrev_b32_e32 v24, 30, v24
	v_fmamk_f32 v23, v23, 0x40490fdb, v26
	v_fma_f32 v25, v25, v27, 1.0
	v_cmp_eq_u32_e64 s9, 0, v28
	v_and_b32_e32 v24, 0x80000000, v24
	v_cndmask_b32_e64 v23, v25, v23, s9
	v_xor3_b32 v22, v22, v24, v23
	v_mul_f32_e32 v22, v20, v22
	v_frexp_mant_f32_e64 v23, |v22|
	v_frexp_exp_i32_f32_e32 v22, v22
	v_rcp_f32_e32 v23, v23
	v_sub_nc_u32_e32 v22, 2, v22
	v_mul_f32_e32 v23, 0x3f490fdb, v23
	v_ldexp_f32 v22, v23, v22
	v_cmp_gt_f32_e64 s9, 0x800000, v22
	v_cndmask_b32_e64 v23, 0, 32, s9
	v_ldexp_f32 v22, v22, v23
	v_log_f32_e32 v22, v22
	v_mul_f32_e32 v23, 0x3f317217, v22
	v_cmp_gt_f32_e64 s10, 0x7f800000, |v22|
	v_fma_f32 v24, 0x3f317217, v22, -v23
	v_fmamk_f32 v24, v22, 0x3377d1cf, v24
	v_add_f32_e32 v23, v23, v24
	v_floor_f32_e32 v24, v20
	v_cndmask_b32_e64 v22, v22, v23, s10
	v_cndmask_b32_e64 v23, 0, 0x41b17218, s9
	v_sub_f32_e32 v24, v20, v24
	v_sub_f32_e32 v22, v22, v23
	v_min_f32_e32 v23, 0x3f7fffff, v24
	v_sub_f32_e32 v21, v22, v21
	v_cmp_neq_f32_e64 s9, 0, v23
	v_cndmask_b32_e64 v21, 0x7f800000, v21, s9
.LBB146_225:
	s_or_b32 exec_lo, exec_lo, s12
.LBB146_226:
	s_andn2_saveexec_b32 s11, s11
; %bb.227:
	v_cmp_eq_f16_e64 s9, 1.0, v19
	v_cmp_eq_f16_e64 s10, 2.0, v19
	s_or_b32 s9, s9, s10
	v_cndmask_b32_e64 v21, v21, 0, s9
; %bb.228:
	s_or_b32 exec_lo, exec_lo, s11
	v_cvt_f32_f16_e32 v22, v5
                                        ; implicit-def: $vgpr23
	s_mov_b32 s10, exec_lo
	v_and_b32_e32 v24, 0x7fffffff, v22
	v_cmpx_ngt_f32_e64 0x3c800000, |v22|
	s_xor_b32 s11, exec_lo, s10
	s_cbranch_execz .LBB146_258
; %bb.229:
                                        ; implicit-def: $vgpr23
	s_mov_b32 s10, exec_lo
	v_cmpx_nlt_f32_e64 |v22|, 2.0
	s_xor_b32 s12, exec_lo, s10
	s_cbranch_execz .LBB146_239
; %bb.230:
	s_mov_b32 s10, exec_lo
                                        ; implicit-def: $vgpr23
	v_cmpx_ngt_f32_e64 0x41000000, |v22|
	s_xor_b32 s10, exec_lo, s10
	s_cbranch_execz .LBB146_236
; %bb.231:
	s_mov_b32 s13, exec_lo
                                        ; implicit-def: $vgpr23
	v_cmpx_ngt_f32_e64 0x5c800000, |v22|
	s_xor_b32 s13, exec_lo, s13
	s_cbranch_execz .LBB146_233
; %bb.232:
	v_cmp_gt_f32_e64 s16, 0x800000, |v22|
	v_cndmask_b32_e64 v23, 0, 32, s16
	v_ldexp_f32 v23, |v22|, v23
	v_log_f32_e32 v23, v23
	v_mul_f32_e32 v25, 0x3f317217, v23
	v_cmp_gt_f32_e64 s9, 0x7f800000, |v23|
	v_fma_f32 v26, 0x3f317217, v23, -v25
	v_fmamk_f32 v26, v23, 0x3377d1cf, v26
	v_add_f32_e32 v25, v25, v26
	v_cndmask_b32_e64 v23, v23, v25, s9
	v_cndmask_b32_e64 v25, 0, 0x41b17218, s16
	v_sub_f32_e32 v23, v23, v25
	v_fma_f32 v23, |v22|, v23, -|v22|
.LBB146_233:
	s_andn2_saveexec_b32 s13, s13
	s_cbranch_execz .LBB146_235
; %bb.234:
	v_cmp_gt_f32_e64 s16, 0x800000, |v22|
	v_rcp_f32_e64 v25, |v22|
	s_mov_b32 s9, 0xbad5c4e8
	v_cndmask_b32_e64 v23, 0, 32, s16
	v_ldexp_f32 v23, |v22|, v23
	v_mul_f32_e32 v26, v25, v25
	v_log_f32_e32 v23, v23
	v_fmaak_f32 v28, s9, v26, 0x3a5b3dd2
	v_fmaak_f32 v28, v26, v28, 0xba1c065c
	v_mul_f32_e32 v27, 0x3f317217, v23
	v_fmaak_f32 v28, v26, v28, 0x3a500cfd
	v_cmp_gt_f32_e64 s9, 0x7f800000, |v23|
	v_fma_f32 v29, 0x3f317217, v23, -v27
	v_fmaak_f32 v28, v26, v28, 0xbb360b61
	v_fmamk_f32 v29, v23, 0x3377d1cf, v29
	v_fmaak_f32 v26, v26, v28, 0x3daaaaab
	v_add_f32_e32 v27, v27, v29
	v_cndmask_b32_e64 v23, v23, v27, s9
	v_cndmask_b32_e64 v27, 0, 0x41b17218, s16
	v_sub_f32_e32 v27, v23, v27
	v_fmaak_f32 v23, v25, v26, 0x3ed67f1d
	v_add_f32_e64 v25, |v22|, -0.5
	v_add_f32_e32 v26, -1.0, v27
	v_fmac_f32_e32 v23, v25, v26
.LBB146_235:
	s_or_b32 exec_lo, exec_lo, s13
.LBB146_236:
	s_andn2_saveexec_b32 s13, s10
	s_cbranch_execz .LBB146_238
; %bb.237:
	v_cvt_i32_f32_e32 v23, v24
	s_mov_b32 s10, 0x3805ff67
	v_cvt_f32_i32_e32 v25, v23
	v_cmp_lt_i32_e64 s9, 2, v23
	v_sub_f32_e64 v25, |v22|, v25
	v_add_f32_e32 v26, 2.0, v25
	v_add_f32_e32 v27, 0x40400000, v25
	v_add_f32_e32 v28, 4.0, v25
	v_add_f32_e32 v29, 0x40a00000, v25
	v_cndmask_b32_e64 v26, 1.0, v26, s9
	v_cmp_lt_i32_e64 s9, 3, v23
	v_cndmask_b32_e64 v27, 1.0, v27, s9
	v_cmp_lt_i32_e64 s9, 4, v23
	v_mul_f32_e32 v26, v26, v27
	v_cndmask_b32_e64 v28, 1.0, v28, s9
	v_cmp_lt_i32_e64 s9, 5, v23
	v_add_f32_e32 v27, 0x40c00000, v25
	v_mul_f32_e32 v26, v28, v26
	v_cndmask_b32_e64 v29, 1.0, v29, s9
	v_cmp_lt_i32_e64 s9, 6, v23
	v_fmaak_f32 v28, s10, v25, 0x3af135b4
	v_mul_f32_e32 v26, v29, v26
	v_cndmask_b32_e64 v23, 1.0, v27, s9
	s_mov_b32 s9, 0x36f5d7bd
	v_mul_f32_e32 v23, v23, v26
	v_fmaak_f32 v26, s9, v25, 0x3a4beed6
	v_cmp_gt_f32_e64 s9, 0x800000, v23
	v_fmaak_f32 v26, v25, v26, 0x3c98bf54
	v_cndmask_b32_e64 v27, 0, 32, s9
	v_fmaak_f32 v26, v25, v26, 0x3e300f6e
	v_ldexp_f32 v23, v23, v27
	v_fmaak_f32 v27, v25, v28, 0x3cda40e4
	v_fmaak_f32 v26, v25, v26, 0x3f38d0c5
	v_log_f32_e32 v23, v23
	v_fmaak_f32 v27, v25, v27, 0x3e15dce6
	v_fmaak_f32 v26, v25, v26, 0x3fb22d3b
	v_fmaak_f32 v27, v25, v27, 0x3ea6cc7a
	v_fma_f32 v26, v25, v26, 1.0
	v_mul_f32_e32 v28, 0x3f317217, v23
	v_fmaak_f32 v27, v25, v27, 0x3e5c245a
	v_rcp_f32_e32 v26, v26
	v_cmp_gt_f32_e64 s10, 0x7f800000, |v23|
	v_fma_f32 v29, 0x3f317217, v23, -v28
	v_fmaak_f32 v27, v25, v27, 0xbd9e233f
	v_fmamk_f32 v29, v23, 0x3377d1cf, v29
	v_mul_f32_e32 v27, v25, v27
	v_add_f32_e32 v28, v28, v29
	v_mul_f32_e32 v26, v27, v26
	v_cndmask_b32_e64 v27, 0, 0x41b17218, s9
	v_cndmask_b32_e64 v23, v23, v28, s10
	v_fmac_f32_e32 v26, 0.5, v25
	v_sub_f32_e32 v23, v23, v27
	v_add_f32_e32 v23, v23, v26
.LBB146_238:
	s_or_b32 exec_lo, exec_lo, s13
.LBB146_239:
	s_andn2_saveexec_b32 s12, s12
	s_cbranch_execz .LBB146_257
; %bb.240:
                                        ; implicit-def: $vgpr23
                                        ; implicit-def: $vgpr26
                                        ; implicit-def: $vgpr25
	s_mov_b32 s10, exec_lo
	v_cmpx_ge_f32_e64 0x3f666666, |v22|
	s_xor_b32 s13, exec_lo, s10
	s_cbranch_execz .LBB146_242
; %bb.241:
	v_cmp_gt_f32_e64 s10, 0x800000, |v22|
	v_sub_f32_e64 v27, 1.0, |v22|
	v_cmp_gt_f32_e64 s9, 0x3f3b4a23, |v22|
	v_cndmask_b32_e64 v23, 0, 32, s10
	v_cndmask_b32_e64 v28, 0, 0x41b17218, s10
	v_ldexp_f32 v23, |v22|, v23
	v_log_f32_e32 v23, v23
	v_mul_f32_e32 v25, 0x3f317217, v23
	v_cmp_gt_f32_e64 s10, 0x7f800000, |v23|
	v_fma_f32 v26, 0x3f317217, v23, -v25
	v_fmamk_f32 v26, v23, 0x3377d1cf, v26
	v_add_f32_e32 v25, v25, v26
	v_add_f32_e64 v26, 0xbeec5b0c, |v22|
	v_cndmask_b32_e64 v23, v23, v25, s10
	v_cndmask_b32_e64 v25, v27, v26, s9
	;; [unrolled: 1-line block ×3, first 2 shown]
	v_cmp_gt_f32_e64 s9, 0x3e6d3309, |v22|
	v_sub_f32_e32 v23, v23, v28
	v_cndmask_b32_e64 v25, v25, |v22|, s9
	v_cndmask_b32_e64 v26, v26, 2, s9
	v_xor_b32_e32 v23, 0x80000000, v23
.LBB146_242:
	s_andn2_saveexec_b32 s10, s13
	s_cbranch_execz .LBB146_244
; %bb.243:
	v_sub_f32_e64 v23, 2.0, |v22|
	v_add_f32_e64 v25, 0xbfbb16c3, |v22|
	v_cmp_gt_f32_e64 s9, 0x3fdda512, |v22|
	v_add_f32_e64 v26, |v22|, -1.0
	v_cndmask_b32_e64 v25, v23, v25, s9
	v_cndmask_b32_e64 v23, v23, 1.0, s9
	v_cmp_gt_f32_e64 s9, 0x3f9d70a4, |v22|
	v_cvt_i32_f32_e32 v23, v23
	v_cndmask_b32_e64 v25, v25, v26, s9
	v_cndmask_b32_e64 v26, v23, 2, s9
	v_mov_b32_e32 v23, 0
.LBB146_244:
	s_or_b32 exec_lo, exec_lo, s10
	s_mov_b32 s10, exec_lo
	v_cmpx_lt_i32_e32 0, v26
	s_xor_b32 s10, exec_lo, s10
	s_cbranch_execz .LBB146_252
; %bb.245:
	s_mov_b32 s13, exec_lo
	v_cmpx_lt_i32_e32 1, v26
	s_xor_b32 s13, exec_lo, s13
	s_cbranch_execz .LBB146_249
; %bb.246:
	s_mov_b32 s16, exec_lo
	v_cmpx_eq_u32_e32 2, v26
	s_cbranch_execz .LBB146_248
; %bb.247:
	s_mov_b32 s9, 0x3b52d5db
	v_fmaak_f32 v26, s9, v25, 0x3dd572af
	s_mov_b32 s9, 0x3c5b3c5e
	v_fmaak_f32 v27, s9, v25, 0x3e6a7578
	v_fmaak_f32 v26, v25, v26, 0x3f44efdf
	;; [unrolled: 1-line block ×7, first 2 shown]
	v_fma_f32 v26, v25, v26, 1.0
	v_fmaak_f32 v27, v25, v27, 0xbd9e233f
	v_rcp_f32_e32 v26, v26
	v_mul_f32_e32 v27, v25, v27
	v_mul_f32_e32 v26, v27, v26
	v_fmac_f32_e32 v26, -0.5, v25
	v_add_f32_e32 v23, v23, v26
.LBB146_248:
	s_or_b32 exec_lo, exec_lo, s16
                                        ; implicit-def: $vgpr25
.LBB146_249:
	s_andn2_saveexec_b32 s9, s13
	s_cbranch_execz .LBB146_251
; %bb.250:
	v_mul_f32_e32 v26, v25, v25
	s_mov_b32 s13, 0xb9a3f927
	s_mov_b32 s16, 0x39afe9f7
	v_mul_f32_e32 v27, v25, v26
	v_fmaak_f32 v28, s13, v27, 0x3a66f867
	v_fmaak_f32 v29, s16, v27, 0xba0d3085
	s_mov_b32 s13, 0x39a57b6b
	v_fmaak_f32 v30, s13, v27, 0xbab7f476
	v_fmaak_f32 v28, v27, v28, 0xbb7177fe
	;; [unrolled: 1-line block ×9, first 2 shown]
	v_fmac_f32_e32 v28, v25, v29
	v_fmaak_f32 v25, v27, v30, 0x3ef7b95e
	v_fma_f32 v27, v27, -v28, 0xa2863e55
	v_fma_f32 v25, v26, v25, -v27
	v_add_f32_e32 v25, 0xbdf8cdce, v25
	v_add_f32_e32 v23, v23, v25
.LBB146_251:
	s_or_b32 exec_lo, exec_lo, s9
                                        ; implicit-def: $vgpr26
                                        ; implicit-def: $vgpr25
.LBB146_252:
	s_andn2_saveexec_b32 s10, s10
	s_cbranch_execz .LBB146_256
; %bb.253:
	s_mov_b32 s13, exec_lo
	v_cmpx_eq_u32_e32 0, v26
	s_cbranch_execz .LBB146_255
; %bb.254:
	v_mul_f32_e32 v26, v25, v25
	s_mov_b32 s9, 0x383c2c75
	v_fmaak_f32 v27, s9, v26, 0x38e28445
	s_mov_b32 s9, 0x37d383a2
	v_fmaak_f32 v28, s9, v26, 0x39679767
	v_fmaak_f32 v27, v26, v27, 0x3a05b634
	;; [unrolled: 1-line block ×9, first 2 shown]
	v_mul_f32_e32 v26, v26, v27
	v_fmac_f32_e32 v26, v25, v28
	v_fmac_f32_e32 v26, -0.5, v25
	v_add_f32_e32 v23, v23, v26
.LBB146_255:
	s_or_b32 exec_lo, exec_lo, s13
.LBB146_256:
	s_or_b32 exec_lo, exec_lo, s10
.LBB146_257:
	s_or_b32 exec_lo, exec_lo, s12
.LBB146_258:
	s_andn2_saveexec_b32 s10, s11
	s_cbranch_execz .LBB146_260
; %bb.259:
	v_cmp_gt_f32_e64 s11, 0x800000, |v22|
	s_mov_b32 s9, 0x3e8a8991
	v_fma_f32 v27, |v22|, s9, 0xbecd26ab
	v_cndmask_b32_e64 v23, 0, 32, s11
	v_ldexp_f32 v23, |v22|, v23
	v_log_f32_e32 v23, v23
	v_mul_f32_e32 v25, 0x3f317217, v23
	v_cmp_gt_f32_e64 s9, 0x7f800000, |v23|
	v_fma_f32 v26, 0x3f317217, v23, -v25
	v_fmamk_f32 v26, v23, 0x3377d1cf, v26
	v_add_f32_e32 v25, v25, v26
	v_fma_f32 v26, |v22|, v27, 0x3f528d33
	v_cndmask_b32_e64 v23, v23, v25, s9
	v_cndmask_b32_e64 v25, 0, 0x41b17218, s11
	v_fma_f32 v26, |v22|, v26, 0xbf13c468
	v_sub_f32_e32 v23, v23, v25
	v_fma_f32 v23, |v22|, v26, -v23
.LBB146_260:
	s_or_b32 exec_lo, exec_lo, s10
	v_cmp_le_f16_e64 s9, 0, v5
	s_mov_b32 s11, exec_lo
	v_cmpx_nle_f16_e32 0, v5
	s_xor_b32 s12, exec_lo, s11
	s_cbranch_execz .LBB146_264
; %bb.261:
	v_cmp_gt_f32_e64 s10, 0x4b000000, |v22|
	v_cmp_lt_f32_e64 s11, 0x35000000, |v22|
	s_and_b32 s10, s10, s11
	s_and_saveexec_b32 s13, s10
	s_cbranch_execz .LBB146_263
; %bb.262:
	v_mul_f32_e64 v25, |v22|, 0.5
	s_mov_b32 s11, 0x3d4be544
	v_xor_b32_e32 v24, v24, v22
	v_floor_f32_e32 v26, v25
	v_cmp_neq_f32_e64 s10, 0x7f800000, v25
	v_sub_f32_e32 v26, v25, v26
	v_min_f32_e32 v26, 0x3f7fffff, v26
	v_add_f32_e32 v26, v26, v26
	v_cndmask_b32_e64 v25, 0, v26, s10
	v_cmp_gt_f32_e64 s10, |v22|, 1.0
	v_cndmask_b32_e64 v25, |v22|, v25, s10
	s_mov_b32 s10, 0x3e75aa41
	v_add_f32_e32 v26, v25, v25
	v_rndne_f32_e32 v26, v26
	v_fmac_f32_e32 v25, -0.5, v26
	v_cvt_i32_f32_e32 v26, v26
	v_mul_f32_e32 v27, v25, v25
	v_fmaak_f32 v28, s10, v27, 0xbf1f24be
	v_fmaak_f32 v29, s11, v27, 0x3e642e9d
	v_mul_f32_e32 v30, v25, v27
	v_fmaak_f32 v28, v27, v28, 0x40234736
	v_fmaak_f32 v29, v27, v29, 0xbfaad1da
	;; [unrolled: 1-line block ×4, first 2 shown]
	v_mul_f32_e32 v28, v30, v28
	v_fmaak_f32 v29, v27, v29, 0xc09de9e6
	v_and_b32_e32 v30, 1, v26
	v_lshlrev_b32_e32 v26, 30, v26
	v_fmamk_f32 v25, v25, 0x40490fdb, v28
	v_fma_f32 v27, v27, v29, 1.0
	v_cmp_eq_u32_e64 s10, 0, v30
	v_and_b32_e32 v26, 0x80000000, v26
	v_cndmask_b32_e64 v25, v27, v25, s10
	v_xor3_b32 v24, v24, v26, v25
	v_mul_f32_e32 v24, v22, v24
	v_frexp_mant_f32_e64 v25, |v24|
	v_frexp_exp_i32_f32_e32 v24, v24
	v_rcp_f32_e32 v25, v25
	v_sub_nc_u32_e32 v24, 2, v24
	v_mul_f32_e32 v25, 0x3f490fdb, v25
	v_ldexp_f32 v24, v25, v24
	v_cmp_gt_f32_e64 s10, 0x800000, v24
	v_cndmask_b32_e64 v25, 0, 32, s10
	v_ldexp_f32 v24, v24, v25
	v_log_f32_e32 v24, v24
	v_mul_f32_e32 v25, 0x3f317217, v24
	v_cmp_gt_f32_e64 s11, 0x7f800000, |v24|
	v_fma_f32 v26, 0x3f317217, v24, -v25
	v_fmamk_f32 v26, v24, 0x3377d1cf, v26
	v_add_f32_e32 v25, v25, v26
	v_floor_f32_e32 v26, v22
	v_cndmask_b32_e64 v24, v24, v25, s11
	v_cndmask_b32_e64 v25, 0, 0x41b17218, s10
	v_sub_f32_e32 v26, v22, v26
	v_sub_f32_e32 v24, v24, v25
	v_min_f32_e32 v25, 0x3f7fffff, v26
	v_sub_f32_e32 v23, v24, v23
	v_cmp_neq_f32_e64 s10, 0, v25
	v_cndmask_b32_e64 v23, 0x7f800000, v23, s10
.LBB146_263:
	s_or_b32 exec_lo, exec_lo, s13
.LBB146_264:
	s_andn2_saveexec_b32 s12, s12
; %bb.265:
	v_cmp_eq_f16_e64 s10, 1.0, v5
	v_cmp_eq_f16_e64 s11, 2.0, v5
	s_or_b32 s10, s10, s11
	v_cndmask_b32_e64 v23, v23, 0, s10
; %bb.266:
	s_or_b32 exec_lo, exec_lo, s12
	v_lshrrev_b32_e32 v24, 16, v5
                                        ; implicit-def: $vgpr27
	s_mov_b32 s11, exec_lo
	v_cvt_f32_f16_e32 v25, v24
	v_and_b32_e32 v26, 0x7fffffff, v25
	v_cmpx_ngt_f32_e64 0x3c800000, |v25|
	s_xor_b32 s12, exec_lo, s11
	s_cbranch_execz .LBB146_296
; %bb.267:
                                        ; implicit-def: $vgpr27
	s_mov_b32 s11, exec_lo
	v_cmpx_nlt_f32_e64 |v25|, 2.0
	s_xor_b32 s13, exec_lo, s11
	s_cbranch_execz .LBB146_277
; %bb.268:
	s_mov_b32 s11, exec_lo
                                        ; implicit-def: $vgpr27
	v_cmpx_ngt_f32_e64 0x41000000, |v25|
	s_xor_b32 s11, exec_lo, s11
	s_cbranch_execz .LBB146_274
; %bb.269:
	s_mov_b32 s16, exec_lo
                                        ; implicit-def: $vgpr27
	v_cmpx_ngt_f32_e64 0x5c800000, |v25|
	s_xor_b32 s16, exec_lo, s16
	s_cbranch_execz .LBB146_271
; %bb.270:
	v_cmp_gt_f32_e64 s17, 0x800000, |v25|
	v_cndmask_b32_e64 v27, 0, 32, s17
	v_ldexp_f32 v27, |v25|, v27
	v_log_f32_e32 v27, v27
	v_mul_f32_e32 v28, 0x3f317217, v27
	v_cmp_gt_f32_e64 s10, 0x7f800000, |v27|
	v_fma_f32 v29, 0x3f317217, v27, -v28
	v_fmamk_f32 v29, v27, 0x3377d1cf, v29
	v_add_f32_e32 v28, v28, v29
	v_cndmask_b32_e64 v27, v27, v28, s10
	v_cndmask_b32_e64 v28, 0, 0x41b17218, s17
	v_sub_f32_e32 v27, v27, v28
	v_fma_f32 v27, |v25|, v27, -|v25|
.LBB146_271:
	s_andn2_saveexec_b32 s16, s16
	s_cbranch_execz .LBB146_273
; %bb.272:
	v_cmp_gt_f32_e64 s17, 0x800000, |v25|
	v_rcp_f32_e64 v28, |v25|
	s_mov_b32 s10, 0xbad5c4e8
	v_cndmask_b32_e64 v27, 0, 32, s17
	v_ldexp_f32 v27, |v25|, v27
	v_mul_f32_e32 v29, v28, v28
	v_log_f32_e32 v27, v27
	v_fmaak_f32 v31, s10, v29, 0x3a5b3dd2
	v_fmaak_f32 v31, v29, v31, 0xba1c065c
	v_mul_f32_e32 v30, 0x3f317217, v27
	v_fmaak_f32 v31, v29, v31, 0x3a500cfd
	v_cmp_gt_f32_e64 s10, 0x7f800000, |v27|
	v_fma_f32 v32, 0x3f317217, v27, -v30
	v_fmaak_f32 v31, v29, v31, 0xbb360b61
	v_fmamk_f32 v32, v27, 0x3377d1cf, v32
	v_fmaak_f32 v29, v29, v31, 0x3daaaaab
	v_add_f32_e32 v30, v30, v32
	v_cndmask_b32_e64 v27, v27, v30, s10
	v_cndmask_b32_e64 v30, 0, 0x41b17218, s17
	v_sub_f32_e32 v30, v27, v30
	v_fmaak_f32 v27, v28, v29, 0x3ed67f1d
	v_add_f32_e64 v28, |v25|, -0.5
	v_add_f32_e32 v29, -1.0, v30
	v_fmac_f32_e32 v27, v28, v29
.LBB146_273:
	s_or_b32 exec_lo, exec_lo, s16
.LBB146_274:
	s_andn2_saveexec_b32 s16, s11
	s_cbranch_execz .LBB146_276
; %bb.275:
	v_cvt_i32_f32_e32 v27, v26
	s_mov_b32 s11, 0x3805ff67
	v_cvt_f32_i32_e32 v28, v27
	v_cmp_lt_i32_e64 s10, 2, v27
	v_sub_f32_e64 v28, |v25|, v28
	v_add_f32_e32 v29, 2.0, v28
	v_add_f32_e32 v30, 0x40400000, v28
	v_add_f32_e32 v31, 4.0, v28
	v_add_f32_e32 v32, 0x40a00000, v28
	v_cndmask_b32_e64 v29, 1.0, v29, s10
	v_cmp_lt_i32_e64 s10, 3, v27
	v_cndmask_b32_e64 v30, 1.0, v30, s10
	v_cmp_lt_i32_e64 s10, 4, v27
	v_mul_f32_e32 v29, v29, v30
	v_cndmask_b32_e64 v31, 1.0, v31, s10
	v_cmp_lt_i32_e64 s10, 5, v27
	v_add_f32_e32 v30, 0x40c00000, v28
	v_mul_f32_e32 v29, v31, v29
	v_cndmask_b32_e64 v32, 1.0, v32, s10
	v_cmp_lt_i32_e64 s10, 6, v27
	v_fmaak_f32 v31, s11, v28, 0x3af135b4
	v_mul_f32_e32 v29, v32, v29
	v_cndmask_b32_e64 v27, 1.0, v30, s10
	s_mov_b32 s10, 0x36f5d7bd
	v_mul_f32_e32 v27, v27, v29
	v_fmaak_f32 v29, s10, v28, 0x3a4beed6
	v_cmp_gt_f32_e64 s10, 0x800000, v27
	v_fmaak_f32 v29, v28, v29, 0x3c98bf54
	v_cndmask_b32_e64 v30, 0, 32, s10
	v_fmaak_f32 v29, v28, v29, 0x3e300f6e
	v_ldexp_f32 v27, v27, v30
	v_fmaak_f32 v30, v28, v31, 0x3cda40e4
	v_fmaak_f32 v29, v28, v29, 0x3f38d0c5
	v_log_f32_e32 v27, v27
	v_fmaak_f32 v30, v28, v30, 0x3e15dce6
	v_fmaak_f32 v29, v28, v29, 0x3fb22d3b
	;; [unrolled: 1-line block ×3, first 2 shown]
	v_fma_f32 v29, v28, v29, 1.0
	v_mul_f32_e32 v31, 0x3f317217, v27
	v_fmaak_f32 v30, v28, v30, 0x3e5c245a
	v_rcp_f32_e32 v29, v29
	v_cmp_gt_f32_e64 s11, 0x7f800000, |v27|
	v_fma_f32 v32, 0x3f317217, v27, -v31
	v_fmaak_f32 v30, v28, v30, 0xbd9e233f
	v_fmamk_f32 v32, v27, 0x3377d1cf, v32
	v_mul_f32_e32 v30, v28, v30
	v_add_f32_e32 v31, v31, v32
	v_mul_f32_e32 v29, v30, v29
	v_cndmask_b32_e64 v30, 0, 0x41b17218, s10
	v_cndmask_b32_e64 v27, v27, v31, s11
	v_fmac_f32_e32 v29, 0.5, v28
	v_sub_f32_e32 v27, v27, v30
	v_add_f32_e32 v27, v27, v29
.LBB146_276:
	s_or_b32 exec_lo, exec_lo, s16
.LBB146_277:
	s_andn2_saveexec_b32 s13, s13
	s_cbranch_execz .LBB146_295
; %bb.278:
                                        ; implicit-def: $vgpr27
                                        ; implicit-def: $vgpr29
                                        ; implicit-def: $vgpr28
	s_mov_b32 s11, exec_lo
	v_cmpx_ge_f32_e64 0x3f666666, |v25|
	s_xor_b32 s16, exec_lo, s11
	s_cbranch_execz .LBB146_280
; %bb.279:
	v_cmp_gt_f32_e64 s11, 0x800000, |v25|
	v_sub_f32_e64 v30, 1.0, |v25|
	v_cmp_gt_f32_e64 s10, 0x3f3b4a23, |v25|
	v_cndmask_b32_e64 v27, 0, 32, s11
	v_cndmask_b32_e64 v31, 0, 0x41b17218, s11
	v_ldexp_f32 v27, |v25|, v27
	v_log_f32_e32 v27, v27
	v_mul_f32_e32 v28, 0x3f317217, v27
	v_cmp_gt_f32_e64 s11, 0x7f800000, |v27|
	v_fma_f32 v29, 0x3f317217, v27, -v28
	v_fmamk_f32 v29, v27, 0x3377d1cf, v29
	v_add_f32_e32 v28, v28, v29
	v_add_f32_e64 v29, 0xbeec5b0c, |v25|
	v_cndmask_b32_e64 v27, v27, v28, s11
	v_cndmask_b32_e64 v28, v30, v29, s10
	;; [unrolled: 1-line block ×3, first 2 shown]
	v_cmp_gt_f32_e64 s10, 0x3e6d3309, |v25|
	v_sub_f32_e32 v27, v27, v31
	v_cndmask_b32_e64 v28, v28, |v25|, s10
	v_cndmask_b32_e64 v29, v29, 2, s10
	v_xor_b32_e32 v27, 0x80000000, v27
.LBB146_280:
	s_andn2_saveexec_b32 s11, s16
	s_cbranch_execz .LBB146_282
; %bb.281:
	v_sub_f32_e64 v27, 2.0, |v25|
	v_add_f32_e64 v28, 0xbfbb16c3, |v25|
	v_cmp_gt_f32_e64 s10, 0x3fdda512, |v25|
	v_add_f32_e64 v29, |v25|, -1.0
	v_cndmask_b32_e64 v28, v27, v28, s10
	v_cndmask_b32_e64 v27, v27, 1.0, s10
	v_cmp_gt_f32_e64 s10, 0x3f9d70a4, |v25|
	v_cvt_i32_f32_e32 v27, v27
	v_cndmask_b32_e64 v28, v28, v29, s10
	v_cndmask_b32_e64 v29, v27, 2, s10
	v_mov_b32_e32 v27, 0
.LBB146_282:
	s_or_b32 exec_lo, exec_lo, s11
	s_mov_b32 s11, exec_lo
	v_cmpx_lt_i32_e32 0, v29
	s_xor_b32 s11, exec_lo, s11
	s_cbranch_execz .LBB146_290
; %bb.283:
	s_mov_b32 s16, exec_lo
	v_cmpx_lt_i32_e32 1, v29
	s_xor_b32 s16, exec_lo, s16
	s_cbranch_execz .LBB146_287
; %bb.284:
	s_mov_b32 s17, exec_lo
	v_cmpx_eq_u32_e32 2, v29
	s_cbranch_execz .LBB146_286
; %bb.285:
	s_mov_b32 s10, 0x3b52d5db
	v_fmaak_f32 v29, s10, v28, 0x3dd572af
	s_mov_b32 s10, 0x3c5b3c5e
	v_fmaak_f32 v30, s10, v28, 0x3e6a7578
	v_fmaak_f32 v29, v28, v29, 0x3f44efdf
	;; [unrolled: 1-line block ×7, first 2 shown]
	v_fma_f32 v29, v28, v29, 1.0
	v_fmaak_f32 v30, v28, v30, 0xbd9e233f
	v_rcp_f32_e32 v29, v29
	v_mul_f32_e32 v30, v28, v30
	v_mul_f32_e32 v29, v30, v29
	v_fmac_f32_e32 v29, -0.5, v28
	v_add_f32_e32 v27, v27, v29
.LBB146_286:
	s_or_b32 exec_lo, exec_lo, s17
                                        ; implicit-def: $vgpr28
.LBB146_287:
	s_andn2_saveexec_b32 s10, s16
	s_cbranch_execz .LBB146_289
; %bb.288:
	v_mul_f32_e32 v29, v28, v28
	s_mov_b32 s16, 0xb9a3f927
	s_mov_b32 s17, 0x39afe9f7
	v_mul_f32_e32 v30, v28, v29
	v_fmaak_f32 v31, s16, v30, 0x3a66f867
	v_fmaak_f32 v32, s17, v30, 0xba0d3085
	s_mov_b32 s16, 0x39a57b6b
	v_fmaak_f32 v33, s16, v30, 0xbab7f476
	v_fmaak_f32 v31, v30, v31, 0xbb7177fe
	;; [unrolled: 1-line block ×9, first 2 shown]
	v_fmac_f32_e32 v31, v28, v32
	v_fmaak_f32 v28, v30, v33, 0x3ef7b95e
	v_fma_f32 v30, v30, -v31, 0xa2863e55
	v_fma_f32 v28, v29, v28, -v30
	v_add_f32_e32 v28, 0xbdf8cdce, v28
	v_add_f32_e32 v27, v27, v28
.LBB146_289:
	s_or_b32 exec_lo, exec_lo, s10
                                        ; implicit-def: $vgpr29
                                        ; implicit-def: $vgpr28
.LBB146_290:
	s_andn2_saveexec_b32 s11, s11
	s_cbranch_execz .LBB146_294
; %bb.291:
	s_mov_b32 s16, exec_lo
	v_cmpx_eq_u32_e32 0, v29
	s_cbranch_execz .LBB146_293
; %bb.292:
	v_mul_f32_e32 v29, v28, v28
	s_mov_b32 s10, 0x383c2c75
	v_fmaak_f32 v30, s10, v29, 0x38e28445
	s_mov_b32 s10, 0x37d383a2
	v_fmaak_f32 v31, s10, v29, 0x39679767
	v_fmaak_f32 v30, v29, v30, 0x3a05b634
	;; [unrolled: 1-line block ×9, first 2 shown]
	v_mul_f32_e32 v29, v29, v30
	v_fmac_f32_e32 v29, v28, v31
	v_fmac_f32_e32 v29, -0.5, v28
	v_add_f32_e32 v27, v27, v29
.LBB146_293:
	s_or_b32 exec_lo, exec_lo, s16
.LBB146_294:
	s_or_b32 exec_lo, exec_lo, s11
.LBB146_295:
	s_or_b32 exec_lo, exec_lo, s13
.LBB146_296:
	s_andn2_saveexec_b32 s11, s12
	s_cbranch_execz .LBB146_298
; %bb.297:
	v_cmp_gt_f32_e64 s12, 0x800000, |v25|
	s_mov_b32 s10, 0x3e8a8991
	v_fma_f32 v30, |v25|, s10, 0xbecd26ab
	v_cndmask_b32_e64 v27, 0, 32, s12
	v_ldexp_f32 v27, |v25|, v27
	v_log_f32_e32 v27, v27
	v_mul_f32_e32 v28, 0x3f317217, v27
	v_cmp_gt_f32_e64 s10, 0x7f800000, |v27|
	v_fma_f32 v29, 0x3f317217, v27, -v28
	v_fmamk_f32 v29, v27, 0x3377d1cf, v29
	v_add_f32_e32 v28, v28, v29
	v_fma_f32 v29, |v25|, v30, 0x3f528d33
	v_cndmask_b32_e64 v27, v27, v28, s10
	v_cndmask_b32_e64 v28, 0, 0x41b17218, s12
	v_fma_f32 v29, |v25|, v29, 0xbf13c468
	v_sub_f32_e32 v27, v27, v28
	v_fma_f32 v27, |v25|, v29, -v27
.LBB146_298:
	s_or_b32 exec_lo, exec_lo, s11
	v_cmp_le_f16_e64 s10, 0, v24
	s_mov_b32 s12, exec_lo
	v_cmpx_nle_f16_e32 0, v24
	s_xor_b32 s13, exec_lo, s12
	s_cbranch_execz .LBB146_302
; %bb.299:
	v_cmp_gt_f32_e64 s11, 0x4b000000, |v25|
	v_cmp_lt_f32_e64 s12, 0x35000000, |v25|
	s_and_b32 s11, s11, s12
	s_and_saveexec_b32 s16, s11
	s_cbranch_execz .LBB146_301
; %bb.300:
	v_mul_f32_e64 v28, |v25|, 0.5
	s_mov_b32 s12, 0x3d4be544
	v_xor_b32_e32 v26, v26, v25
	v_floor_f32_e32 v29, v28
	v_cmp_neq_f32_e64 s11, 0x7f800000, v28
	v_sub_f32_e32 v29, v28, v29
	v_min_f32_e32 v29, 0x3f7fffff, v29
	v_add_f32_e32 v29, v29, v29
	v_cndmask_b32_e64 v28, 0, v29, s11
	v_cmp_gt_f32_e64 s11, |v25|, 1.0
	v_cndmask_b32_e64 v28, |v25|, v28, s11
	s_mov_b32 s11, 0x3e75aa41
	v_add_f32_e32 v29, v28, v28
	v_rndne_f32_e32 v29, v29
	v_fmac_f32_e32 v28, -0.5, v29
	v_cvt_i32_f32_e32 v29, v29
	v_mul_f32_e32 v30, v28, v28
	v_fmaak_f32 v31, s11, v30, 0xbf1f24be
	v_fmaak_f32 v32, s12, v30, 0x3e642e9d
	v_mul_f32_e32 v33, v28, v30
	v_fmaak_f32 v31, v30, v31, 0x40234736
	v_fmaak_f32 v32, v30, v32, 0xbfaad1da
	;; [unrolled: 1-line block ×4, first 2 shown]
	v_mul_f32_e32 v31, v33, v31
	v_fmaak_f32 v32, v30, v32, 0xc09de9e6
	v_and_b32_e32 v33, 1, v29
	v_lshlrev_b32_e32 v29, 30, v29
	v_fmamk_f32 v28, v28, 0x40490fdb, v31
	v_fma_f32 v30, v30, v32, 1.0
	v_cmp_eq_u32_e64 s11, 0, v33
	v_and_b32_e32 v29, 0x80000000, v29
	v_cndmask_b32_e64 v28, v30, v28, s11
	v_xor3_b32 v26, v26, v29, v28
	v_mul_f32_e32 v26, v25, v26
	v_frexp_mant_f32_e64 v28, |v26|
	v_frexp_exp_i32_f32_e32 v26, v26
	v_rcp_f32_e32 v28, v28
	v_sub_nc_u32_e32 v26, 2, v26
	v_mul_f32_e32 v28, 0x3f490fdb, v28
	v_ldexp_f32 v26, v28, v26
	v_cmp_gt_f32_e64 s11, 0x800000, v26
	v_cndmask_b32_e64 v28, 0, 32, s11
	v_ldexp_f32 v26, v26, v28
	v_log_f32_e32 v26, v26
	v_mul_f32_e32 v28, 0x3f317217, v26
	v_cmp_gt_f32_e64 s12, 0x7f800000, |v26|
	v_fma_f32 v29, 0x3f317217, v26, -v28
	v_fmamk_f32 v29, v26, 0x3377d1cf, v29
	v_add_f32_e32 v28, v28, v29
	v_floor_f32_e32 v29, v25
	v_cndmask_b32_e64 v26, v26, v28, s12
	v_cndmask_b32_e64 v28, 0, 0x41b17218, s11
	v_sub_f32_e32 v29, v25, v29
	v_sub_f32_e32 v26, v26, v28
	v_min_f32_e32 v28, 0x3f7fffff, v29
	v_sub_f32_e32 v26, v26, v27
	v_cmp_neq_f32_e64 s11, 0, v28
	v_cndmask_b32_e64 v27, 0x7f800000, v26, s11
.LBB146_301:
	s_or_b32 exec_lo, exec_lo, s16
.LBB146_302:
	s_andn2_saveexec_b32 s13, s13
; %bb.303:
	v_cmp_eq_f16_e64 s11, 1.0, v24
	v_cmp_eq_f16_e64 s12, 2.0, v24
	s_or_b32 s11, s11, s12
	v_cndmask_b32_e64 v27, v27, 0, s11
; %bb.304:
	s_or_b32 exec_lo, exec_lo, s13
	v_cmp_gt_f32_e64 s11, 0x4b000000, |v22|
	v_cmp_gt_f32_e64 s12, 0x4b000000, |v20|
	v_cvt_f16_f32_e32 v23, v23
	v_cvt_f16_f32_e32 v21, v21
	;; [unrolled: 1-line block ×3, first 2 shown]
	s_or_b32 s9, s9, s11
	s_or_b32 s8, s8, s12
	v_cndmask_b32_e64 v23, 0x7c00, v23, s9
	v_cndmask_b32_e64 v21, 0x7c00, v21, s8
	v_cmp_class_f32_e64 s8, v22, 0x264
	v_cmp_gt_f32_e64 s11, 0x4b000000, |v15|
	v_cmp_gt_f32_e64 s9, 0x4b000000, |v17|
	v_cvt_f16_f32_e32 v13, v13
	v_cvt_f16_f32_e32 v8, v8
	v_cndmask_b32_e64 v22, v23, 0x7c00, s8
	v_cmp_class_f32_e64 s8, v20, 0x264
	s_or_b32 s6, s6, s11
	s_or_b32 s7, s7, s9
	v_cndmask_b32_e64 v18, 0x7c00, v18, s7
	v_cndmask_b32_e64 v20, v21, 0x7c00, s8
	v_cmp_u_f16_e64 s8, v5, v5
	v_cmp_class_f32_e64 s7, v17, 0x264
	v_cndmask_b32_e64 v21, v22, v5, s8
	v_cvt_f16_f32_e32 v5, v16
	v_cndmask_b32_e64 v17, v18, 0x7c00, s7
	v_cmp_class_f32_e64 s7, v15, 0x264
	v_cmp_u_f16_e64 s8, v19, v19
	v_cndmask_b32_e64 v5, 0x7c00, v5, s6
	v_cmp_gt_f32_e64 s6, 0x4b000000, |v12|
	v_cndmask_b32_e64 v16, v20, v19, s8
	v_cndmask_b32_e64 v5, v5, 0x7c00, s7
	s_or_b32 s5, s5, s6
	v_cmp_gt_f32_e64 s6, 0x4b000000, |v10|
	v_cndmask_b32_e64 v13, 0x7c00, v13, s5
	v_cmp_u_f16_e64 s5, v4, v4
	v_cmp_gt_f32_e64 s7, 0x4b000000, |v7|
	s_or_b32 s4, s4, s6
	v_cndmask_b32_e64 v15, v17, v4, s5
	v_cmp_u_f16_e64 s5, v14, v14
	s_or_b32 vcc_lo, vcc_lo, s7
	v_cndmask_b32_e64 v14, v5, v14, s5
	v_cmp_class_f32_e64 s5, v12, 0x264
	v_cvt_f16_f32_e32 v5, v11
	v_cndmask_b32_e64 v4, v13, 0x7c00, s5
	v_cmp_u_f16_e64 s5, v3, v3
	v_cndmask_b32_e64 v11, v4, v3, s5
	v_cndmask_b32_e64 v3, 0x7c00, v5, s4
	v_cmp_gt_f32_e64 s4, 0x4b000000, |v25|
	v_cvt_f16_f32_e32 v5, v27
	v_cmp_class_f32_e64 s5, v10, 0x264
	v_cndmask_b32_e32 v4, 0x7c00, v8, vcc_lo
	s_or_b32 vcc_lo, s10, s4
	v_cmp_class_f32_e64 s4, v25, 0x264
	v_cndmask_b32_e64 v3, v3, 0x7c00, s5
	v_cmp_class_f32_e64 s5, v7, 0x264
	v_cndmask_b32_e32 v5, 0x7c00, v5, vcc_lo
	v_cmp_u_f16_e32 vcc_lo, v9, v9
	v_cndmask_b32_e64 v4, v4, 0x7c00, s5
	v_cndmask_b32_e32 v7, v3, v9, vcc_lo
	v_cmp_u_f16_e32 vcc_lo, v2, v2
	v_cndmask_b32_e32 v8, v4, v2, vcc_lo
	v_add_co_u32 v0, vcc_lo, v0, s14
	v_cndmask_b32_e64 v2, v5, 0x7c00, s4
	v_add_co_ci_u32_e64 v1, null, s15, v1, vcc_lo
	v_cmp_u_f16_e32 vcc_lo, v24, v24
	v_cndmask_b32_e32 v2, v2, v24, vcc_lo
	v_add_co_u32 v4, vcc_lo, v0, v6
	v_add_co_ci_u32_e64 v5, null, 0, v1, vcc_lo
	v_perm_b32 v3, v2, v21, 0x5040100
	v_perm_b32 v2, v16, v15, 0x5040100
	;; [unrolled: 1-line block ×4, first 2 shown]
	flat_store_dwordx4 v[4:5], v[0:3]
	s_waitcnt lgkmcnt(0)
	s_setpc_b64 s[30:31]
.Lfunc_end146:
	.size	_ZN2at6native25elementwise_kernel_helperILb0EZZZNS0_18lgamma_kernel_cudaERNS_18TensorIteratorBaseEENKUlvE_clEvENKUlvE1_clEvEUlN3c104HalfEE_NS0_6memory8policies10vectorizedILi8ESt5arrayIPcLm2EELi8EEEEEvT0_T1_, .Lfunc_end146-_ZN2at6native25elementwise_kernel_helperILb0EZZZNS0_18lgamma_kernel_cudaERNS_18TensorIteratorBaseEENKUlvE_clEvENKUlvE1_clEvEUlN3c104HalfEE_NS0_6memory8policies10vectorizedILi8ESt5arrayIPcLm2EELi8EEEEEvT0_T1_
                                        ; -- End function
	.set .L_ZN2at6native25elementwise_kernel_helperILb0EZZZNS0_18lgamma_kernel_cudaERNS_18TensorIteratorBaseEENKUlvE_clEvENKUlvE1_clEvEUlN3c104HalfEE_NS0_6memory8policies10vectorizedILi8ESt5arrayIPcLm2EELi8EEEEEvT0_T1_.num_vgpr, 34
	.set .L_ZN2at6native25elementwise_kernel_helperILb0EZZZNS0_18lgamma_kernel_cudaERNS_18TensorIteratorBaseEENKUlvE_clEvENKUlvE1_clEvEUlN3c104HalfEE_NS0_6memory8policies10vectorizedILi8ESt5arrayIPcLm2EELi8EEEEEvT0_T1_.num_agpr, 0
	.set .L_ZN2at6native25elementwise_kernel_helperILb0EZZZNS0_18lgamma_kernel_cudaERNS_18TensorIteratorBaseEENKUlvE_clEvENKUlvE1_clEvEUlN3c104HalfEE_NS0_6memory8policies10vectorizedILi8ESt5arrayIPcLm2EELi8EEEEEvT0_T1_.numbered_sgpr, 32
	.set .L_ZN2at6native25elementwise_kernel_helperILb0EZZZNS0_18lgamma_kernel_cudaERNS_18TensorIteratorBaseEENKUlvE_clEvENKUlvE1_clEvEUlN3c104HalfEE_NS0_6memory8policies10vectorizedILi8ESt5arrayIPcLm2EELi8EEEEEvT0_T1_.num_named_barrier, 0
	.set .L_ZN2at6native25elementwise_kernel_helperILb0EZZZNS0_18lgamma_kernel_cudaERNS_18TensorIteratorBaseEENKUlvE_clEvENKUlvE1_clEvEUlN3c104HalfEE_NS0_6memory8policies10vectorizedILi8ESt5arrayIPcLm2EELi8EEEEEvT0_T1_.private_seg_size, 0
	.set .L_ZN2at6native25elementwise_kernel_helperILb0EZZZNS0_18lgamma_kernel_cudaERNS_18TensorIteratorBaseEENKUlvE_clEvENKUlvE1_clEvEUlN3c104HalfEE_NS0_6memory8policies10vectorizedILi8ESt5arrayIPcLm2EELi8EEEEEvT0_T1_.uses_vcc, 1
	.set .L_ZN2at6native25elementwise_kernel_helperILb0EZZZNS0_18lgamma_kernel_cudaERNS_18TensorIteratorBaseEENKUlvE_clEvENKUlvE1_clEvEUlN3c104HalfEE_NS0_6memory8policies10vectorizedILi8ESt5arrayIPcLm2EELi8EEEEEvT0_T1_.uses_flat_scratch, 0
	.set .L_ZN2at6native25elementwise_kernel_helperILb0EZZZNS0_18lgamma_kernel_cudaERNS_18TensorIteratorBaseEENKUlvE_clEvENKUlvE1_clEvEUlN3c104HalfEE_NS0_6memory8policies10vectorizedILi8ESt5arrayIPcLm2EELi8EEEEEvT0_T1_.has_dyn_sized_stack, 0
	.set .L_ZN2at6native25elementwise_kernel_helperILb0EZZZNS0_18lgamma_kernel_cudaERNS_18TensorIteratorBaseEENKUlvE_clEvENKUlvE1_clEvEUlN3c104HalfEE_NS0_6memory8policies10vectorizedILi8ESt5arrayIPcLm2EELi8EEEEEvT0_T1_.has_recursion, 0
	.set .L_ZN2at6native25elementwise_kernel_helperILb0EZZZNS0_18lgamma_kernel_cudaERNS_18TensorIteratorBaseEENKUlvE_clEvENKUlvE1_clEvEUlN3c104HalfEE_NS0_6memory8policies10vectorizedILi8ESt5arrayIPcLm2EELi8EEEEEvT0_T1_.has_indirect_call, 0
	.section	.AMDGPU.csdata,"",@progbits
; Function info:
; codeLenInByte = 18832
; TotalNumSgprs: 34
; NumVgprs: 34
; ScratchSize: 0
; MemoryBound: 0
	.section	.text._ZN2at6native29vectorized_elementwise_kernelILi16EZZZNS0_18lgamma_kernel_cudaERNS_18TensorIteratorBaseEENKUlvE_clEvENKUlvE1_clEvEUlN3c104HalfEE_St5arrayIPcLm2EEEEviT0_T1_,"axG",@progbits,_ZN2at6native29vectorized_elementwise_kernelILi16EZZZNS0_18lgamma_kernel_cudaERNS_18TensorIteratorBaseEENKUlvE_clEvENKUlvE1_clEvEUlN3c104HalfEE_St5arrayIPcLm2EEEEviT0_T1_,comdat
	.globl	_ZN2at6native29vectorized_elementwise_kernelILi16EZZZNS0_18lgamma_kernel_cudaERNS_18TensorIteratorBaseEENKUlvE_clEvENKUlvE1_clEvEUlN3c104HalfEE_St5arrayIPcLm2EEEEviT0_T1_ ; -- Begin function _ZN2at6native29vectorized_elementwise_kernelILi16EZZZNS0_18lgamma_kernel_cudaERNS_18TensorIteratorBaseEENKUlvE_clEvENKUlvE1_clEvEUlN3c104HalfEE_St5arrayIPcLm2EEEEviT0_T1_
	.p2align	8
	.type	_ZN2at6native29vectorized_elementwise_kernelILi16EZZZNS0_18lgamma_kernel_cudaERNS_18TensorIteratorBaseEENKUlvE_clEvENKUlvE1_clEvEUlN3c104HalfEE_St5arrayIPcLm2EEEEviT0_T1_,@function
_ZN2at6native29vectorized_elementwise_kernelILi16EZZZNS0_18lgamma_kernel_cudaERNS_18TensorIteratorBaseEENKUlvE_clEvENKUlvE1_clEvEUlN3c104HalfEE_St5arrayIPcLm2EEEEviT0_T1_: ; @_ZN2at6native29vectorized_elementwise_kernelILi16EZZZNS0_18lgamma_kernel_cudaERNS_18TensorIteratorBaseEENKUlvE_clEvENKUlvE1_clEvEUlN3c104HalfEE_St5arrayIPcLm2EEEEviT0_T1_
; %bb.0:
	s_mov_b32 s18, s6
	s_clause 0x1
	s_load_dword s6, s[4:5], 0x0
	s_load_dwordx4 s[20:23], s[4:5], 0x8
	s_add_u32 s0, s0, s7
	s_addc_u32 s1, s1, 0
	s_lshl_b32 s4, s18, 11
	v_mov_b32_e32 v34, v0
	s_mov_b32 s32, 0
	s_waitcnt lgkmcnt(0)
	s_sub_i32 s19, s6, s4
	s_mov_b32 s4, -1
	s_cmpk_gt_i32 s19, 0x7ff
	s_cbranch_scc1 .LBB147_3
; %bb.1:
	s_andn2_b32 vcc_lo, exec_lo, s4
	s_cbranch_vccz .LBB147_4
.LBB147_2:
	s_endpgm
.LBB147_3:
	v_mov_b32_e32 v31, v34
	v_mov_b32_e32 v0, s20
	v_mov_b32_e32 v1, s21
	v_mov_b32_e32 v2, s22
	v_mov_b32_e32 v3, s23
	s_getpc_b64 s[4:5]
	s_add_u32 s4, s4, _ZN2at6native25elementwise_kernel_helperILb0EZZZNS0_18lgamma_kernel_cudaERNS_18TensorIteratorBaseEENKUlvE_clEvENKUlvE1_clEvEUlN3c104HalfEE_NS0_6memory8policies10vectorizedILi8ESt5arrayIPcLm2EELi8EEEEEvT0_T1_@rel32@lo+4
	s_addc_u32 s5, s5, _ZN2at6native25elementwise_kernel_helperILb0EZZZNS0_18lgamma_kernel_cudaERNS_18TensorIteratorBaseEENKUlvE_clEvENKUlvE1_clEvEUlN3c104HalfEE_NS0_6memory8policies10vectorizedILi8ESt5arrayIPcLm2EELi8EEEEEvT0_T1_@rel32@hi+12
	s_mov_b32 s12, s18
	s_swappc_b64 s[30:31], s[4:5]
	s_cbranch_execnz .LBB147_2
.LBB147_4:
	v_mov_b32_e32 v31, v34
	v_mov_b32_e32 v0, s20
	v_mov_b32_e32 v1, s21
	v_mov_b32_e32 v2, s22
	v_mov_b32_e32 v3, s23
	v_mov_b32_e32 v4, s19
	s_getpc_b64 s[4:5]
	s_add_u32 s4, s4, _ZN2at6native25elementwise_kernel_helperILb0EZZZNS0_18lgamma_kernel_cudaERNS_18TensorIteratorBaseEENKUlvE_clEvENKUlvE1_clEvEUlN3c104HalfEE_NS0_6memory8policies11unroll_baseILi256ESt5arrayIPcLm2EE23TrivialOffsetCalculatorILi1EjESG_NS9_15LoadWithoutCastENS9_16StoreWithoutCastELi8ELi1EEEEEvT0_T1_@rel32@lo+4
	s_addc_u32 s5, s5, _ZN2at6native25elementwise_kernel_helperILb0EZZZNS0_18lgamma_kernel_cudaERNS_18TensorIteratorBaseEENKUlvE_clEvENKUlvE1_clEvEUlN3c104HalfEE_NS0_6memory8policies11unroll_baseILi256ESt5arrayIPcLm2EE23TrivialOffsetCalculatorILi1EjESG_NS9_15LoadWithoutCastENS9_16StoreWithoutCastELi8ELi1EEEEEvT0_T1_@rel32@hi+12
	s_mov_b32 s12, s18
	s_swappc_b64 s[30:31], s[4:5]
	s_endpgm
	.section	.rodata,"a",@progbits
	.p2align	6, 0x0
	.amdhsa_kernel _ZN2at6native29vectorized_elementwise_kernelILi16EZZZNS0_18lgamma_kernel_cudaERNS_18TensorIteratorBaseEENKUlvE_clEvENKUlvE1_clEvEUlN3c104HalfEE_St5arrayIPcLm2EEEEviT0_T1_
		.amdhsa_group_segment_fixed_size 0
		.amdhsa_private_segment_fixed_size 0
		.amdhsa_kernarg_size 24
		.amdhsa_user_sgpr_count 6
		.amdhsa_user_sgpr_private_segment_buffer 1
		.amdhsa_user_sgpr_dispatch_ptr 0
		.amdhsa_user_sgpr_queue_ptr 0
		.amdhsa_user_sgpr_kernarg_segment_ptr 1
		.amdhsa_user_sgpr_dispatch_id 0
		.amdhsa_user_sgpr_flat_scratch_init 0
		.amdhsa_user_sgpr_private_segment_size 0
		.amdhsa_wavefront_size32 1
		.amdhsa_uses_dynamic_stack 0
		.amdhsa_system_sgpr_private_segment_wavefront_offset 0
		.amdhsa_system_sgpr_workgroup_id_x 1
		.amdhsa_system_sgpr_workgroup_id_y 0
		.amdhsa_system_sgpr_workgroup_id_z 0
		.amdhsa_system_sgpr_workgroup_info 0
		.amdhsa_system_vgpr_workitem_id 0
		.amdhsa_next_free_vgpr 35
		.amdhsa_next_free_sgpr 33
		.amdhsa_reserve_vcc 1
		.amdhsa_reserve_flat_scratch 0
		.amdhsa_float_round_mode_32 0
		.amdhsa_float_round_mode_16_64 0
		.amdhsa_float_denorm_mode_32 3
		.amdhsa_float_denorm_mode_16_64 3
		.amdhsa_dx10_clamp 1
		.amdhsa_ieee_mode 1
		.amdhsa_fp16_overflow 0
		.amdhsa_workgroup_processor_mode 1
		.amdhsa_memory_ordered 1
		.amdhsa_forward_progress 1
		.amdhsa_shared_vgpr_count 0
		.amdhsa_exception_fp_ieee_invalid_op 0
		.amdhsa_exception_fp_denorm_src 0
		.amdhsa_exception_fp_ieee_div_zero 0
		.amdhsa_exception_fp_ieee_overflow 0
		.amdhsa_exception_fp_ieee_underflow 0
		.amdhsa_exception_fp_ieee_inexact 0
		.amdhsa_exception_int_div_zero 0
	.end_amdhsa_kernel
	.section	.text._ZN2at6native29vectorized_elementwise_kernelILi16EZZZNS0_18lgamma_kernel_cudaERNS_18TensorIteratorBaseEENKUlvE_clEvENKUlvE1_clEvEUlN3c104HalfEE_St5arrayIPcLm2EEEEviT0_T1_,"axG",@progbits,_ZN2at6native29vectorized_elementwise_kernelILi16EZZZNS0_18lgamma_kernel_cudaERNS_18TensorIteratorBaseEENKUlvE_clEvENKUlvE1_clEvEUlN3c104HalfEE_St5arrayIPcLm2EEEEviT0_T1_,comdat
.Lfunc_end147:
	.size	_ZN2at6native29vectorized_elementwise_kernelILi16EZZZNS0_18lgamma_kernel_cudaERNS_18TensorIteratorBaseEENKUlvE_clEvENKUlvE1_clEvEUlN3c104HalfEE_St5arrayIPcLm2EEEEviT0_T1_, .Lfunc_end147-_ZN2at6native29vectorized_elementwise_kernelILi16EZZZNS0_18lgamma_kernel_cudaERNS_18TensorIteratorBaseEENKUlvE_clEvENKUlvE1_clEvEUlN3c104HalfEE_St5arrayIPcLm2EEEEviT0_T1_
                                        ; -- End function
	.set _ZN2at6native29vectorized_elementwise_kernelILi16EZZZNS0_18lgamma_kernel_cudaERNS_18TensorIteratorBaseEENKUlvE_clEvENKUlvE1_clEvEUlN3c104HalfEE_St5arrayIPcLm2EEEEviT0_T1_.num_vgpr, max(35, .L_ZN2at6native25elementwise_kernel_helperILb0EZZZNS0_18lgamma_kernel_cudaERNS_18TensorIteratorBaseEENKUlvE_clEvENKUlvE1_clEvEUlN3c104HalfEE_NS0_6memory8policies10vectorizedILi8ESt5arrayIPcLm2EELi8EEEEEvT0_T1_.num_vgpr, .L_ZN2at6native25elementwise_kernel_helperILb0EZZZNS0_18lgamma_kernel_cudaERNS_18TensorIteratorBaseEENKUlvE_clEvENKUlvE1_clEvEUlN3c104HalfEE_NS0_6memory8policies11unroll_baseILi256ESt5arrayIPcLm2EE23TrivialOffsetCalculatorILi1EjESG_NS9_15LoadWithoutCastENS9_16StoreWithoutCastELi8ELi1EEEEEvT0_T1_.num_vgpr)
	.set _ZN2at6native29vectorized_elementwise_kernelILi16EZZZNS0_18lgamma_kernel_cudaERNS_18TensorIteratorBaseEENKUlvE_clEvENKUlvE1_clEvEUlN3c104HalfEE_St5arrayIPcLm2EEEEviT0_T1_.num_agpr, max(0, .L_ZN2at6native25elementwise_kernel_helperILb0EZZZNS0_18lgamma_kernel_cudaERNS_18TensorIteratorBaseEENKUlvE_clEvENKUlvE1_clEvEUlN3c104HalfEE_NS0_6memory8policies10vectorizedILi8ESt5arrayIPcLm2EELi8EEEEEvT0_T1_.num_agpr, .L_ZN2at6native25elementwise_kernel_helperILb0EZZZNS0_18lgamma_kernel_cudaERNS_18TensorIteratorBaseEENKUlvE_clEvENKUlvE1_clEvEUlN3c104HalfEE_NS0_6memory8policies11unroll_baseILi256ESt5arrayIPcLm2EE23TrivialOffsetCalculatorILi1EjESG_NS9_15LoadWithoutCastENS9_16StoreWithoutCastELi8ELi1EEEEEvT0_T1_.num_agpr)
	.set _ZN2at6native29vectorized_elementwise_kernelILi16EZZZNS0_18lgamma_kernel_cudaERNS_18TensorIteratorBaseEENKUlvE_clEvENKUlvE1_clEvEUlN3c104HalfEE_St5arrayIPcLm2EEEEviT0_T1_.numbered_sgpr, max(33, .L_ZN2at6native25elementwise_kernel_helperILb0EZZZNS0_18lgamma_kernel_cudaERNS_18TensorIteratorBaseEENKUlvE_clEvENKUlvE1_clEvEUlN3c104HalfEE_NS0_6memory8policies10vectorizedILi8ESt5arrayIPcLm2EELi8EEEEEvT0_T1_.numbered_sgpr, .L_ZN2at6native25elementwise_kernel_helperILb0EZZZNS0_18lgamma_kernel_cudaERNS_18TensorIteratorBaseEENKUlvE_clEvENKUlvE1_clEvEUlN3c104HalfEE_NS0_6memory8policies11unroll_baseILi256ESt5arrayIPcLm2EE23TrivialOffsetCalculatorILi1EjESG_NS9_15LoadWithoutCastENS9_16StoreWithoutCastELi8ELi1EEEEEvT0_T1_.numbered_sgpr)
	.set _ZN2at6native29vectorized_elementwise_kernelILi16EZZZNS0_18lgamma_kernel_cudaERNS_18TensorIteratorBaseEENKUlvE_clEvENKUlvE1_clEvEUlN3c104HalfEE_St5arrayIPcLm2EEEEviT0_T1_.num_named_barrier, max(0, .L_ZN2at6native25elementwise_kernel_helperILb0EZZZNS0_18lgamma_kernel_cudaERNS_18TensorIteratorBaseEENKUlvE_clEvENKUlvE1_clEvEUlN3c104HalfEE_NS0_6memory8policies10vectorizedILi8ESt5arrayIPcLm2EELi8EEEEEvT0_T1_.num_named_barrier, .L_ZN2at6native25elementwise_kernel_helperILb0EZZZNS0_18lgamma_kernel_cudaERNS_18TensorIteratorBaseEENKUlvE_clEvENKUlvE1_clEvEUlN3c104HalfEE_NS0_6memory8policies11unroll_baseILi256ESt5arrayIPcLm2EE23TrivialOffsetCalculatorILi1EjESG_NS9_15LoadWithoutCastENS9_16StoreWithoutCastELi8ELi1EEEEEvT0_T1_.num_named_barrier)
	.set _ZN2at6native29vectorized_elementwise_kernelILi16EZZZNS0_18lgamma_kernel_cudaERNS_18TensorIteratorBaseEENKUlvE_clEvENKUlvE1_clEvEUlN3c104HalfEE_St5arrayIPcLm2EEEEviT0_T1_.private_seg_size, 0+max(.L_ZN2at6native25elementwise_kernel_helperILb0EZZZNS0_18lgamma_kernel_cudaERNS_18TensorIteratorBaseEENKUlvE_clEvENKUlvE1_clEvEUlN3c104HalfEE_NS0_6memory8policies10vectorizedILi8ESt5arrayIPcLm2EELi8EEEEEvT0_T1_.private_seg_size, .L_ZN2at6native25elementwise_kernel_helperILb0EZZZNS0_18lgamma_kernel_cudaERNS_18TensorIteratorBaseEENKUlvE_clEvENKUlvE1_clEvEUlN3c104HalfEE_NS0_6memory8policies11unroll_baseILi256ESt5arrayIPcLm2EE23TrivialOffsetCalculatorILi1EjESG_NS9_15LoadWithoutCastENS9_16StoreWithoutCastELi8ELi1EEEEEvT0_T1_.private_seg_size)
	.set _ZN2at6native29vectorized_elementwise_kernelILi16EZZZNS0_18lgamma_kernel_cudaERNS_18TensorIteratorBaseEENKUlvE_clEvENKUlvE1_clEvEUlN3c104HalfEE_St5arrayIPcLm2EEEEviT0_T1_.uses_vcc, or(1, .L_ZN2at6native25elementwise_kernel_helperILb0EZZZNS0_18lgamma_kernel_cudaERNS_18TensorIteratorBaseEENKUlvE_clEvENKUlvE1_clEvEUlN3c104HalfEE_NS0_6memory8policies10vectorizedILi8ESt5arrayIPcLm2EELi8EEEEEvT0_T1_.uses_vcc, .L_ZN2at6native25elementwise_kernel_helperILb0EZZZNS0_18lgamma_kernel_cudaERNS_18TensorIteratorBaseEENKUlvE_clEvENKUlvE1_clEvEUlN3c104HalfEE_NS0_6memory8policies11unroll_baseILi256ESt5arrayIPcLm2EE23TrivialOffsetCalculatorILi1EjESG_NS9_15LoadWithoutCastENS9_16StoreWithoutCastELi8ELi1EEEEEvT0_T1_.uses_vcc)
	.set _ZN2at6native29vectorized_elementwise_kernelILi16EZZZNS0_18lgamma_kernel_cudaERNS_18TensorIteratorBaseEENKUlvE_clEvENKUlvE1_clEvEUlN3c104HalfEE_St5arrayIPcLm2EEEEviT0_T1_.uses_flat_scratch, or(0, .L_ZN2at6native25elementwise_kernel_helperILb0EZZZNS0_18lgamma_kernel_cudaERNS_18TensorIteratorBaseEENKUlvE_clEvENKUlvE1_clEvEUlN3c104HalfEE_NS0_6memory8policies10vectorizedILi8ESt5arrayIPcLm2EELi8EEEEEvT0_T1_.uses_flat_scratch, .L_ZN2at6native25elementwise_kernel_helperILb0EZZZNS0_18lgamma_kernel_cudaERNS_18TensorIteratorBaseEENKUlvE_clEvENKUlvE1_clEvEUlN3c104HalfEE_NS0_6memory8policies11unroll_baseILi256ESt5arrayIPcLm2EE23TrivialOffsetCalculatorILi1EjESG_NS9_15LoadWithoutCastENS9_16StoreWithoutCastELi8ELi1EEEEEvT0_T1_.uses_flat_scratch)
	.set _ZN2at6native29vectorized_elementwise_kernelILi16EZZZNS0_18lgamma_kernel_cudaERNS_18TensorIteratorBaseEENKUlvE_clEvENKUlvE1_clEvEUlN3c104HalfEE_St5arrayIPcLm2EEEEviT0_T1_.has_dyn_sized_stack, or(0, .L_ZN2at6native25elementwise_kernel_helperILb0EZZZNS0_18lgamma_kernel_cudaERNS_18TensorIteratorBaseEENKUlvE_clEvENKUlvE1_clEvEUlN3c104HalfEE_NS0_6memory8policies10vectorizedILi8ESt5arrayIPcLm2EELi8EEEEEvT0_T1_.has_dyn_sized_stack, .L_ZN2at6native25elementwise_kernel_helperILb0EZZZNS0_18lgamma_kernel_cudaERNS_18TensorIteratorBaseEENKUlvE_clEvENKUlvE1_clEvEUlN3c104HalfEE_NS0_6memory8policies11unroll_baseILi256ESt5arrayIPcLm2EE23TrivialOffsetCalculatorILi1EjESG_NS9_15LoadWithoutCastENS9_16StoreWithoutCastELi8ELi1EEEEEvT0_T1_.has_dyn_sized_stack)
	.set _ZN2at6native29vectorized_elementwise_kernelILi16EZZZNS0_18lgamma_kernel_cudaERNS_18TensorIteratorBaseEENKUlvE_clEvENKUlvE1_clEvEUlN3c104HalfEE_St5arrayIPcLm2EEEEviT0_T1_.has_recursion, or(0, .L_ZN2at6native25elementwise_kernel_helperILb0EZZZNS0_18lgamma_kernel_cudaERNS_18TensorIteratorBaseEENKUlvE_clEvENKUlvE1_clEvEUlN3c104HalfEE_NS0_6memory8policies10vectorizedILi8ESt5arrayIPcLm2EELi8EEEEEvT0_T1_.has_recursion, .L_ZN2at6native25elementwise_kernel_helperILb0EZZZNS0_18lgamma_kernel_cudaERNS_18TensorIteratorBaseEENKUlvE_clEvENKUlvE1_clEvEUlN3c104HalfEE_NS0_6memory8policies11unroll_baseILi256ESt5arrayIPcLm2EE23TrivialOffsetCalculatorILi1EjESG_NS9_15LoadWithoutCastENS9_16StoreWithoutCastELi8ELi1EEEEEvT0_T1_.has_recursion)
	.set _ZN2at6native29vectorized_elementwise_kernelILi16EZZZNS0_18lgamma_kernel_cudaERNS_18TensorIteratorBaseEENKUlvE_clEvENKUlvE1_clEvEUlN3c104HalfEE_St5arrayIPcLm2EEEEviT0_T1_.has_indirect_call, or(0, .L_ZN2at6native25elementwise_kernel_helperILb0EZZZNS0_18lgamma_kernel_cudaERNS_18TensorIteratorBaseEENKUlvE_clEvENKUlvE1_clEvEUlN3c104HalfEE_NS0_6memory8policies10vectorizedILi8ESt5arrayIPcLm2EELi8EEEEEvT0_T1_.has_indirect_call, .L_ZN2at6native25elementwise_kernel_helperILb0EZZZNS0_18lgamma_kernel_cudaERNS_18TensorIteratorBaseEENKUlvE_clEvENKUlvE1_clEvEUlN3c104HalfEE_NS0_6memory8policies11unroll_baseILi256ESt5arrayIPcLm2EE23TrivialOffsetCalculatorILi1EjESG_NS9_15LoadWithoutCastENS9_16StoreWithoutCastELi8ELi1EEEEEvT0_T1_.has_indirect_call)
	.section	.AMDGPU.csdata,"",@progbits
; Kernel info:
; codeLenInByte = 184
; TotalNumSgprs: 35
; NumVgprs: 35
; ScratchSize: 0
; MemoryBound: 0
; FloatMode: 240
; IeeeMode: 1
; LDSByteSize: 0 bytes/workgroup (compile time only)
; SGPRBlocks: 0
; VGPRBlocks: 4
; NumSGPRsForWavesPerEU: 35
; NumVGPRsForWavesPerEU: 35
; Occupancy: 16
; WaveLimiterHint : 0
; COMPUTE_PGM_RSRC2:SCRATCH_EN: 0
; COMPUTE_PGM_RSRC2:USER_SGPR: 6
; COMPUTE_PGM_RSRC2:TRAP_HANDLER: 0
; COMPUTE_PGM_RSRC2:TGID_X_EN: 1
; COMPUTE_PGM_RSRC2:TGID_Y_EN: 0
; COMPUTE_PGM_RSRC2:TGID_Z_EN: 0
; COMPUTE_PGM_RSRC2:TIDIG_COMP_CNT: 0
	.section	.text._ZN2at6native29vectorized_elementwise_kernelILi8EZZZNS0_18lgamma_kernel_cudaERNS_18TensorIteratorBaseEENKUlvE_clEvENKUlvE1_clEvEUlN3c104HalfEE_St5arrayIPcLm2EEEEviT0_T1_,"axG",@progbits,_ZN2at6native29vectorized_elementwise_kernelILi8EZZZNS0_18lgamma_kernel_cudaERNS_18TensorIteratorBaseEENKUlvE_clEvENKUlvE1_clEvEUlN3c104HalfEE_St5arrayIPcLm2EEEEviT0_T1_,comdat
	.globl	_ZN2at6native29vectorized_elementwise_kernelILi8EZZZNS0_18lgamma_kernel_cudaERNS_18TensorIteratorBaseEENKUlvE_clEvENKUlvE1_clEvEUlN3c104HalfEE_St5arrayIPcLm2EEEEviT0_T1_ ; -- Begin function _ZN2at6native29vectorized_elementwise_kernelILi8EZZZNS0_18lgamma_kernel_cudaERNS_18TensorIteratorBaseEENKUlvE_clEvENKUlvE1_clEvEUlN3c104HalfEE_St5arrayIPcLm2EEEEviT0_T1_
	.p2align	8
	.type	_ZN2at6native29vectorized_elementwise_kernelILi8EZZZNS0_18lgamma_kernel_cudaERNS_18TensorIteratorBaseEENKUlvE_clEvENKUlvE1_clEvEUlN3c104HalfEE_St5arrayIPcLm2EEEEviT0_T1_,@function
_ZN2at6native29vectorized_elementwise_kernelILi8EZZZNS0_18lgamma_kernel_cudaERNS_18TensorIteratorBaseEENKUlvE_clEvENKUlvE1_clEvEUlN3c104HalfEE_St5arrayIPcLm2EEEEviT0_T1_: ; @_ZN2at6native29vectorized_elementwise_kernelILi8EZZZNS0_18lgamma_kernel_cudaERNS_18TensorIteratorBaseEENKUlvE_clEvENKUlvE1_clEvEUlN3c104HalfEE_St5arrayIPcLm2EEEEviT0_T1_
; %bb.0:
	s_mov_b32 s18, s6
	s_clause 0x1
	s_load_dword s6, s[4:5], 0x0
	s_load_dwordx4 s[20:23], s[4:5], 0x8
	s_add_u32 s0, s0, s7
	s_addc_u32 s1, s1, 0
	s_lshl_b32 s4, s18, 11
	v_mov_b32_e32 v34, v0
	s_mov_b32 s32, 0
	s_waitcnt lgkmcnt(0)
	s_sub_i32 s19, s6, s4
	s_mov_b32 s4, -1
	s_cmpk_gt_i32 s19, 0x7ff
	s_cbranch_scc1 .LBB148_3
; %bb.1:
	s_andn2_b32 vcc_lo, exec_lo, s4
	s_cbranch_vccz .LBB148_4
.LBB148_2:
	s_endpgm
.LBB148_3:
	v_mov_b32_e32 v31, v34
	v_mov_b32_e32 v0, s20
	;; [unrolled: 1-line block ×5, first 2 shown]
	s_getpc_b64 s[4:5]
	s_add_u32 s4, s4, _ZN2at6native25elementwise_kernel_helperILb0EZZZNS0_18lgamma_kernel_cudaERNS_18TensorIteratorBaseEENKUlvE_clEvENKUlvE1_clEvEUlN3c104HalfEE_NS0_6memory8policies10vectorizedILi8ESt5arrayIPcLm2EELi8EEEEEvT0_T1_@rel32@lo+4
	s_addc_u32 s5, s5, _ZN2at6native25elementwise_kernel_helperILb0EZZZNS0_18lgamma_kernel_cudaERNS_18TensorIteratorBaseEENKUlvE_clEvENKUlvE1_clEvEUlN3c104HalfEE_NS0_6memory8policies10vectorizedILi8ESt5arrayIPcLm2EELi8EEEEEvT0_T1_@rel32@hi+12
	s_mov_b32 s12, s18
	s_swappc_b64 s[30:31], s[4:5]
	s_cbranch_execnz .LBB148_2
.LBB148_4:
	v_mov_b32_e32 v31, v34
	v_mov_b32_e32 v0, s20
	v_mov_b32_e32 v1, s21
	v_mov_b32_e32 v2, s22
	v_mov_b32_e32 v3, s23
	v_mov_b32_e32 v4, s19
	s_getpc_b64 s[4:5]
	s_add_u32 s4, s4, _ZN2at6native25elementwise_kernel_helperILb0EZZZNS0_18lgamma_kernel_cudaERNS_18TensorIteratorBaseEENKUlvE_clEvENKUlvE1_clEvEUlN3c104HalfEE_NS0_6memory8policies11unroll_baseILi256ESt5arrayIPcLm2EE23TrivialOffsetCalculatorILi1EjESG_NS9_15LoadWithoutCastENS9_16StoreWithoutCastELi8ELi1EEEEEvT0_T1_@rel32@lo+4
	s_addc_u32 s5, s5, _ZN2at6native25elementwise_kernel_helperILb0EZZZNS0_18lgamma_kernel_cudaERNS_18TensorIteratorBaseEENKUlvE_clEvENKUlvE1_clEvEUlN3c104HalfEE_NS0_6memory8policies11unroll_baseILi256ESt5arrayIPcLm2EE23TrivialOffsetCalculatorILi1EjESG_NS9_15LoadWithoutCastENS9_16StoreWithoutCastELi8ELi1EEEEEvT0_T1_@rel32@hi+12
	s_mov_b32 s12, s18
	s_swappc_b64 s[30:31], s[4:5]
	s_endpgm
	.section	.rodata,"a",@progbits
	.p2align	6, 0x0
	.amdhsa_kernel _ZN2at6native29vectorized_elementwise_kernelILi8EZZZNS0_18lgamma_kernel_cudaERNS_18TensorIteratorBaseEENKUlvE_clEvENKUlvE1_clEvEUlN3c104HalfEE_St5arrayIPcLm2EEEEviT0_T1_
		.amdhsa_group_segment_fixed_size 0
		.amdhsa_private_segment_fixed_size 0
		.amdhsa_kernarg_size 24
		.amdhsa_user_sgpr_count 6
		.amdhsa_user_sgpr_private_segment_buffer 1
		.amdhsa_user_sgpr_dispatch_ptr 0
		.amdhsa_user_sgpr_queue_ptr 0
		.amdhsa_user_sgpr_kernarg_segment_ptr 1
		.amdhsa_user_sgpr_dispatch_id 0
		.amdhsa_user_sgpr_flat_scratch_init 0
		.amdhsa_user_sgpr_private_segment_size 0
		.amdhsa_wavefront_size32 1
		.amdhsa_uses_dynamic_stack 0
		.amdhsa_system_sgpr_private_segment_wavefront_offset 0
		.amdhsa_system_sgpr_workgroup_id_x 1
		.amdhsa_system_sgpr_workgroup_id_y 0
		.amdhsa_system_sgpr_workgroup_id_z 0
		.amdhsa_system_sgpr_workgroup_info 0
		.amdhsa_system_vgpr_workitem_id 0
		.amdhsa_next_free_vgpr 35
		.amdhsa_next_free_sgpr 33
		.amdhsa_reserve_vcc 1
		.amdhsa_reserve_flat_scratch 0
		.amdhsa_float_round_mode_32 0
		.amdhsa_float_round_mode_16_64 0
		.amdhsa_float_denorm_mode_32 3
		.amdhsa_float_denorm_mode_16_64 3
		.amdhsa_dx10_clamp 1
		.amdhsa_ieee_mode 1
		.amdhsa_fp16_overflow 0
		.amdhsa_workgroup_processor_mode 1
		.amdhsa_memory_ordered 1
		.amdhsa_forward_progress 1
		.amdhsa_shared_vgpr_count 0
		.amdhsa_exception_fp_ieee_invalid_op 0
		.amdhsa_exception_fp_denorm_src 0
		.amdhsa_exception_fp_ieee_div_zero 0
		.amdhsa_exception_fp_ieee_overflow 0
		.amdhsa_exception_fp_ieee_underflow 0
		.amdhsa_exception_fp_ieee_inexact 0
		.amdhsa_exception_int_div_zero 0
	.end_amdhsa_kernel
	.section	.text._ZN2at6native29vectorized_elementwise_kernelILi8EZZZNS0_18lgamma_kernel_cudaERNS_18TensorIteratorBaseEENKUlvE_clEvENKUlvE1_clEvEUlN3c104HalfEE_St5arrayIPcLm2EEEEviT0_T1_,"axG",@progbits,_ZN2at6native29vectorized_elementwise_kernelILi8EZZZNS0_18lgamma_kernel_cudaERNS_18TensorIteratorBaseEENKUlvE_clEvENKUlvE1_clEvEUlN3c104HalfEE_St5arrayIPcLm2EEEEviT0_T1_,comdat
.Lfunc_end148:
	.size	_ZN2at6native29vectorized_elementwise_kernelILi8EZZZNS0_18lgamma_kernel_cudaERNS_18TensorIteratorBaseEENKUlvE_clEvENKUlvE1_clEvEUlN3c104HalfEE_St5arrayIPcLm2EEEEviT0_T1_, .Lfunc_end148-_ZN2at6native29vectorized_elementwise_kernelILi8EZZZNS0_18lgamma_kernel_cudaERNS_18TensorIteratorBaseEENKUlvE_clEvENKUlvE1_clEvEUlN3c104HalfEE_St5arrayIPcLm2EEEEviT0_T1_
                                        ; -- End function
	.set _ZN2at6native29vectorized_elementwise_kernelILi8EZZZNS0_18lgamma_kernel_cudaERNS_18TensorIteratorBaseEENKUlvE_clEvENKUlvE1_clEvEUlN3c104HalfEE_St5arrayIPcLm2EEEEviT0_T1_.num_vgpr, max(35, .L_ZN2at6native25elementwise_kernel_helperILb0EZZZNS0_18lgamma_kernel_cudaERNS_18TensorIteratorBaseEENKUlvE_clEvENKUlvE1_clEvEUlN3c104HalfEE_NS0_6memory8policies10vectorizedILi8ESt5arrayIPcLm2EELi8EEEEEvT0_T1_.num_vgpr, .L_ZN2at6native25elementwise_kernel_helperILb0EZZZNS0_18lgamma_kernel_cudaERNS_18TensorIteratorBaseEENKUlvE_clEvENKUlvE1_clEvEUlN3c104HalfEE_NS0_6memory8policies11unroll_baseILi256ESt5arrayIPcLm2EE23TrivialOffsetCalculatorILi1EjESG_NS9_15LoadWithoutCastENS9_16StoreWithoutCastELi8ELi1EEEEEvT0_T1_.num_vgpr)
	.set _ZN2at6native29vectorized_elementwise_kernelILi8EZZZNS0_18lgamma_kernel_cudaERNS_18TensorIteratorBaseEENKUlvE_clEvENKUlvE1_clEvEUlN3c104HalfEE_St5arrayIPcLm2EEEEviT0_T1_.num_agpr, max(0, .L_ZN2at6native25elementwise_kernel_helperILb0EZZZNS0_18lgamma_kernel_cudaERNS_18TensorIteratorBaseEENKUlvE_clEvENKUlvE1_clEvEUlN3c104HalfEE_NS0_6memory8policies10vectorizedILi8ESt5arrayIPcLm2EELi8EEEEEvT0_T1_.num_agpr, .L_ZN2at6native25elementwise_kernel_helperILb0EZZZNS0_18lgamma_kernel_cudaERNS_18TensorIteratorBaseEENKUlvE_clEvENKUlvE1_clEvEUlN3c104HalfEE_NS0_6memory8policies11unroll_baseILi256ESt5arrayIPcLm2EE23TrivialOffsetCalculatorILi1EjESG_NS9_15LoadWithoutCastENS9_16StoreWithoutCastELi8ELi1EEEEEvT0_T1_.num_agpr)
	.set _ZN2at6native29vectorized_elementwise_kernelILi8EZZZNS0_18lgamma_kernel_cudaERNS_18TensorIteratorBaseEENKUlvE_clEvENKUlvE1_clEvEUlN3c104HalfEE_St5arrayIPcLm2EEEEviT0_T1_.numbered_sgpr, max(33, .L_ZN2at6native25elementwise_kernel_helperILb0EZZZNS0_18lgamma_kernel_cudaERNS_18TensorIteratorBaseEENKUlvE_clEvENKUlvE1_clEvEUlN3c104HalfEE_NS0_6memory8policies10vectorizedILi8ESt5arrayIPcLm2EELi8EEEEEvT0_T1_.numbered_sgpr, .L_ZN2at6native25elementwise_kernel_helperILb0EZZZNS0_18lgamma_kernel_cudaERNS_18TensorIteratorBaseEENKUlvE_clEvENKUlvE1_clEvEUlN3c104HalfEE_NS0_6memory8policies11unroll_baseILi256ESt5arrayIPcLm2EE23TrivialOffsetCalculatorILi1EjESG_NS9_15LoadWithoutCastENS9_16StoreWithoutCastELi8ELi1EEEEEvT0_T1_.numbered_sgpr)
	.set _ZN2at6native29vectorized_elementwise_kernelILi8EZZZNS0_18lgamma_kernel_cudaERNS_18TensorIteratorBaseEENKUlvE_clEvENKUlvE1_clEvEUlN3c104HalfEE_St5arrayIPcLm2EEEEviT0_T1_.num_named_barrier, max(0, .L_ZN2at6native25elementwise_kernel_helperILb0EZZZNS0_18lgamma_kernel_cudaERNS_18TensorIteratorBaseEENKUlvE_clEvENKUlvE1_clEvEUlN3c104HalfEE_NS0_6memory8policies10vectorizedILi8ESt5arrayIPcLm2EELi8EEEEEvT0_T1_.num_named_barrier, .L_ZN2at6native25elementwise_kernel_helperILb0EZZZNS0_18lgamma_kernel_cudaERNS_18TensorIteratorBaseEENKUlvE_clEvENKUlvE1_clEvEUlN3c104HalfEE_NS0_6memory8policies11unroll_baseILi256ESt5arrayIPcLm2EE23TrivialOffsetCalculatorILi1EjESG_NS9_15LoadWithoutCastENS9_16StoreWithoutCastELi8ELi1EEEEEvT0_T1_.num_named_barrier)
	.set _ZN2at6native29vectorized_elementwise_kernelILi8EZZZNS0_18lgamma_kernel_cudaERNS_18TensorIteratorBaseEENKUlvE_clEvENKUlvE1_clEvEUlN3c104HalfEE_St5arrayIPcLm2EEEEviT0_T1_.private_seg_size, 0+max(.L_ZN2at6native25elementwise_kernel_helperILb0EZZZNS0_18lgamma_kernel_cudaERNS_18TensorIteratorBaseEENKUlvE_clEvENKUlvE1_clEvEUlN3c104HalfEE_NS0_6memory8policies10vectorizedILi8ESt5arrayIPcLm2EELi8EEEEEvT0_T1_.private_seg_size, .L_ZN2at6native25elementwise_kernel_helperILb0EZZZNS0_18lgamma_kernel_cudaERNS_18TensorIteratorBaseEENKUlvE_clEvENKUlvE1_clEvEUlN3c104HalfEE_NS0_6memory8policies11unroll_baseILi256ESt5arrayIPcLm2EE23TrivialOffsetCalculatorILi1EjESG_NS9_15LoadWithoutCastENS9_16StoreWithoutCastELi8ELi1EEEEEvT0_T1_.private_seg_size)
	.set _ZN2at6native29vectorized_elementwise_kernelILi8EZZZNS0_18lgamma_kernel_cudaERNS_18TensorIteratorBaseEENKUlvE_clEvENKUlvE1_clEvEUlN3c104HalfEE_St5arrayIPcLm2EEEEviT0_T1_.uses_vcc, or(1, .L_ZN2at6native25elementwise_kernel_helperILb0EZZZNS0_18lgamma_kernel_cudaERNS_18TensorIteratorBaseEENKUlvE_clEvENKUlvE1_clEvEUlN3c104HalfEE_NS0_6memory8policies10vectorizedILi8ESt5arrayIPcLm2EELi8EEEEEvT0_T1_.uses_vcc, .L_ZN2at6native25elementwise_kernel_helperILb0EZZZNS0_18lgamma_kernel_cudaERNS_18TensorIteratorBaseEENKUlvE_clEvENKUlvE1_clEvEUlN3c104HalfEE_NS0_6memory8policies11unroll_baseILi256ESt5arrayIPcLm2EE23TrivialOffsetCalculatorILi1EjESG_NS9_15LoadWithoutCastENS9_16StoreWithoutCastELi8ELi1EEEEEvT0_T1_.uses_vcc)
	.set _ZN2at6native29vectorized_elementwise_kernelILi8EZZZNS0_18lgamma_kernel_cudaERNS_18TensorIteratorBaseEENKUlvE_clEvENKUlvE1_clEvEUlN3c104HalfEE_St5arrayIPcLm2EEEEviT0_T1_.uses_flat_scratch, or(0, .L_ZN2at6native25elementwise_kernel_helperILb0EZZZNS0_18lgamma_kernel_cudaERNS_18TensorIteratorBaseEENKUlvE_clEvENKUlvE1_clEvEUlN3c104HalfEE_NS0_6memory8policies10vectorizedILi8ESt5arrayIPcLm2EELi8EEEEEvT0_T1_.uses_flat_scratch, .L_ZN2at6native25elementwise_kernel_helperILb0EZZZNS0_18lgamma_kernel_cudaERNS_18TensorIteratorBaseEENKUlvE_clEvENKUlvE1_clEvEUlN3c104HalfEE_NS0_6memory8policies11unroll_baseILi256ESt5arrayIPcLm2EE23TrivialOffsetCalculatorILi1EjESG_NS9_15LoadWithoutCastENS9_16StoreWithoutCastELi8ELi1EEEEEvT0_T1_.uses_flat_scratch)
	.set _ZN2at6native29vectorized_elementwise_kernelILi8EZZZNS0_18lgamma_kernel_cudaERNS_18TensorIteratorBaseEENKUlvE_clEvENKUlvE1_clEvEUlN3c104HalfEE_St5arrayIPcLm2EEEEviT0_T1_.has_dyn_sized_stack, or(0, .L_ZN2at6native25elementwise_kernel_helperILb0EZZZNS0_18lgamma_kernel_cudaERNS_18TensorIteratorBaseEENKUlvE_clEvENKUlvE1_clEvEUlN3c104HalfEE_NS0_6memory8policies10vectorizedILi8ESt5arrayIPcLm2EELi8EEEEEvT0_T1_.has_dyn_sized_stack, .L_ZN2at6native25elementwise_kernel_helperILb0EZZZNS0_18lgamma_kernel_cudaERNS_18TensorIteratorBaseEENKUlvE_clEvENKUlvE1_clEvEUlN3c104HalfEE_NS0_6memory8policies11unroll_baseILi256ESt5arrayIPcLm2EE23TrivialOffsetCalculatorILi1EjESG_NS9_15LoadWithoutCastENS9_16StoreWithoutCastELi8ELi1EEEEEvT0_T1_.has_dyn_sized_stack)
	.set _ZN2at6native29vectorized_elementwise_kernelILi8EZZZNS0_18lgamma_kernel_cudaERNS_18TensorIteratorBaseEENKUlvE_clEvENKUlvE1_clEvEUlN3c104HalfEE_St5arrayIPcLm2EEEEviT0_T1_.has_recursion, or(0, .L_ZN2at6native25elementwise_kernel_helperILb0EZZZNS0_18lgamma_kernel_cudaERNS_18TensorIteratorBaseEENKUlvE_clEvENKUlvE1_clEvEUlN3c104HalfEE_NS0_6memory8policies10vectorizedILi8ESt5arrayIPcLm2EELi8EEEEEvT0_T1_.has_recursion, .L_ZN2at6native25elementwise_kernel_helperILb0EZZZNS0_18lgamma_kernel_cudaERNS_18TensorIteratorBaseEENKUlvE_clEvENKUlvE1_clEvEUlN3c104HalfEE_NS0_6memory8policies11unroll_baseILi256ESt5arrayIPcLm2EE23TrivialOffsetCalculatorILi1EjESG_NS9_15LoadWithoutCastENS9_16StoreWithoutCastELi8ELi1EEEEEvT0_T1_.has_recursion)
	.set _ZN2at6native29vectorized_elementwise_kernelILi8EZZZNS0_18lgamma_kernel_cudaERNS_18TensorIteratorBaseEENKUlvE_clEvENKUlvE1_clEvEUlN3c104HalfEE_St5arrayIPcLm2EEEEviT0_T1_.has_indirect_call, or(0, .L_ZN2at6native25elementwise_kernel_helperILb0EZZZNS0_18lgamma_kernel_cudaERNS_18TensorIteratorBaseEENKUlvE_clEvENKUlvE1_clEvEUlN3c104HalfEE_NS0_6memory8policies10vectorizedILi8ESt5arrayIPcLm2EELi8EEEEEvT0_T1_.has_indirect_call, .L_ZN2at6native25elementwise_kernel_helperILb0EZZZNS0_18lgamma_kernel_cudaERNS_18TensorIteratorBaseEENKUlvE_clEvENKUlvE1_clEvEUlN3c104HalfEE_NS0_6memory8policies11unroll_baseILi256ESt5arrayIPcLm2EE23TrivialOffsetCalculatorILi1EjESG_NS9_15LoadWithoutCastENS9_16StoreWithoutCastELi8ELi1EEEEEvT0_T1_.has_indirect_call)
	.section	.AMDGPU.csdata,"",@progbits
; Kernel info:
; codeLenInByte = 184
; TotalNumSgprs: 35
; NumVgprs: 35
; ScratchSize: 0
; MemoryBound: 0
; FloatMode: 240
; IeeeMode: 1
; LDSByteSize: 0 bytes/workgroup (compile time only)
; SGPRBlocks: 0
; VGPRBlocks: 4
; NumSGPRsForWavesPerEU: 35
; NumVGPRsForWavesPerEU: 35
; Occupancy: 16
; WaveLimiterHint : 0
; COMPUTE_PGM_RSRC2:SCRATCH_EN: 0
; COMPUTE_PGM_RSRC2:USER_SGPR: 6
; COMPUTE_PGM_RSRC2:TRAP_HANDLER: 0
; COMPUTE_PGM_RSRC2:TGID_X_EN: 1
; COMPUTE_PGM_RSRC2:TGID_Y_EN: 0
; COMPUTE_PGM_RSRC2:TGID_Z_EN: 0
; COMPUTE_PGM_RSRC2:TIDIG_COMP_CNT: 0
	.section	.text._ZN2at6native29vectorized_elementwise_kernelILi4EZZZNS0_18lgamma_kernel_cudaERNS_18TensorIteratorBaseEENKUlvE_clEvENKUlvE1_clEvEUlN3c104HalfEE_St5arrayIPcLm2EEEEviT0_T1_,"axG",@progbits,_ZN2at6native29vectorized_elementwise_kernelILi4EZZZNS0_18lgamma_kernel_cudaERNS_18TensorIteratorBaseEENKUlvE_clEvENKUlvE1_clEvEUlN3c104HalfEE_St5arrayIPcLm2EEEEviT0_T1_,comdat
	.globl	_ZN2at6native29vectorized_elementwise_kernelILi4EZZZNS0_18lgamma_kernel_cudaERNS_18TensorIteratorBaseEENKUlvE_clEvENKUlvE1_clEvEUlN3c104HalfEE_St5arrayIPcLm2EEEEviT0_T1_ ; -- Begin function _ZN2at6native29vectorized_elementwise_kernelILi4EZZZNS0_18lgamma_kernel_cudaERNS_18TensorIteratorBaseEENKUlvE_clEvENKUlvE1_clEvEUlN3c104HalfEE_St5arrayIPcLm2EEEEviT0_T1_
	.p2align	8
	.type	_ZN2at6native29vectorized_elementwise_kernelILi4EZZZNS0_18lgamma_kernel_cudaERNS_18TensorIteratorBaseEENKUlvE_clEvENKUlvE1_clEvEUlN3c104HalfEE_St5arrayIPcLm2EEEEviT0_T1_,@function
_ZN2at6native29vectorized_elementwise_kernelILi4EZZZNS0_18lgamma_kernel_cudaERNS_18TensorIteratorBaseEENKUlvE_clEvENKUlvE1_clEvEUlN3c104HalfEE_St5arrayIPcLm2EEEEviT0_T1_: ; @_ZN2at6native29vectorized_elementwise_kernelILi4EZZZNS0_18lgamma_kernel_cudaERNS_18TensorIteratorBaseEENKUlvE_clEvENKUlvE1_clEvEUlN3c104HalfEE_St5arrayIPcLm2EEEEviT0_T1_
; %bb.0:
	s_add_u32 s0, s0, s7
	s_clause 0x1
	s_load_dword s7, s[4:5], 0x0
	s_load_dwordx4 s[16:19], s[4:5], 0x8
	s_addc_u32 s1, s1, 0
	s_lshl_b32 s4, s6, 11
	s_mov_b32 s5, -1
	s_mov_b32 s32, 0
	s_waitcnt lgkmcnt(0)
	s_sub_i32 s20, s7, s4
	s_cmpk_gt_i32 s20, 0x7ff
	s_cbranch_scc1 .LBB149_3
; %bb.1:
	s_and_b32 vcc_lo, exec_lo, s5
	s_cbranch_vccnz .LBB149_308
.LBB149_2:
	s_endpgm
.LBB149_3:
	s_ashr_i32 s5, s4, 31
	v_lshlrev_b32_e32 v5, 3, v0
	s_lshl_b64 s[14:15], s[4:5], 1
                                        ; implicit-def: $vgpr7
	s_add_u32 s4, s18, s14
	s_addc_u32 s5, s19, s15
	global_load_dwordx2 v[1:2], v5, s[4:5]
	v_add_co_u32 v3, s4, s4, v5
	v_add_co_ci_u32_e64 v4, null, s5, 0, s4
	s_mov_b32 s5, exec_lo
	v_add_co_u32 v3, vcc_lo, 0x800, v3
	v_add_co_ci_u32_e64 v4, null, 0, v4, vcc_lo
	global_load_dwordx2 v[3:4], v[3:4], off
	s_waitcnt vmcnt(1)
	v_cvt_f32_f16_e32 v6, v1
	v_and_b32_e32 v8, 0x7fffffff, v6
	v_cmpx_ngt_f32_e64 0x3c800000, |v6|
	s_xor_b32 s5, exec_lo, s5
	s_cbranch_execz .LBB149_33
; %bb.4:
	s_mov_b32 s7, exec_lo
                                        ; implicit-def: $vgpr7
	v_cmpx_nlt_f32_e64 |v6|, 2.0
	s_xor_b32 s7, exec_lo, s7
	s_cbranch_execz .LBB149_14
; %bb.5:
	v_cmp_ngt_f32_e64 s4, 0x41000000, |v6|
                                        ; implicit-def: $vgpr7
	s_and_saveexec_b32 s8, s4
	s_xor_b32 s4, exec_lo, s8
	s_cbranch_execz .LBB149_11
; %bb.6:
	v_cmp_ngt_f32_e64 s8, 0x5c800000, |v6|
                                        ; implicit-def: $vgpr7
	s_and_saveexec_b32 s9, s8
	s_xor_b32 s8, exec_lo, s9
	s_cbranch_execz .LBB149_8
; %bb.7:
	v_cmp_gt_f32_e64 s9, 0x800000, |v6|
	v_cndmask_b32_e64 v7, 0, 32, s9
	v_ldexp_f32 v7, |v6|, v7
	v_log_f32_e32 v7, v7
	v_mul_f32_e32 v9, 0x3f317217, v7
	v_cmp_gt_f32_e64 vcc_lo, 0x7f800000, |v7|
	v_fma_f32 v10, 0x3f317217, v7, -v9
	v_fmamk_f32 v10, v7, 0x3377d1cf, v10
	v_add_f32_e32 v9, v9, v10
	v_cndmask_b32_e32 v7, v7, v9, vcc_lo
	v_cndmask_b32_e64 v9, 0, 0x41b17218, s9
	v_sub_f32_e32 v7, v7, v9
	v_fma_f32 v7, |v6|, v7, -|v6|
.LBB149_8:
	s_andn2_saveexec_b32 s8, s8
	s_cbranch_execz .LBB149_10
; %bb.9:
	v_cmp_gt_f32_e64 s9, 0x800000, |v6|
	v_rcp_f32_e64 v9, |v6|
	s_mov_b32 s10, 0xbad5c4e8
	v_cndmask_b32_e64 v7, 0, 32, s9
	v_ldexp_f32 v7, |v6|, v7
	v_mul_f32_e32 v10, v9, v9
	v_log_f32_e32 v7, v7
	v_fmaak_f32 v12, s10, v10, 0x3a5b3dd2
	v_fmaak_f32 v12, v10, v12, 0xba1c065c
	v_mul_f32_e32 v11, 0x3f317217, v7
	v_fmaak_f32 v12, v10, v12, 0x3a500cfd
	v_cmp_gt_f32_e64 vcc_lo, 0x7f800000, |v7|
	v_fma_f32 v13, 0x3f317217, v7, -v11
	v_fmaak_f32 v12, v10, v12, 0xbb360b61
	v_fmamk_f32 v13, v7, 0x3377d1cf, v13
	v_fmaak_f32 v10, v10, v12, 0x3daaaaab
	v_add_f32_e32 v11, v11, v13
	v_cndmask_b32_e32 v7, v7, v11, vcc_lo
	v_cndmask_b32_e64 v11, 0, 0x41b17218, s9
	v_sub_f32_e32 v11, v7, v11
	v_fmaak_f32 v7, v9, v10, 0x3ed67f1d
	v_add_f32_e64 v9, |v6|, -0.5
	v_add_f32_e32 v10, -1.0, v11
	v_fmac_f32_e32 v7, v9, v10
.LBB149_10:
	s_or_b32 exec_lo, exec_lo, s8
.LBB149_11:
	s_andn2_saveexec_b32 s8, s4
	s_cbranch_execz .LBB149_13
; %bb.12:
	v_cvt_i32_f32_e32 v7, v8
	s_mov_b32 s4, 0x36f5d7bd
	s_mov_b32 s9, 0x3805ff67
	v_cvt_f32_i32_e32 v9, v7
	v_cmp_lt_i32_e32 vcc_lo, 2, v7
	v_sub_f32_e64 v9, |v6|, v9
	v_add_f32_e32 v10, 2.0, v9
	v_add_f32_e32 v11, 0x40400000, v9
	v_add_f32_e32 v12, 4.0, v9
	v_add_f32_e32 v13, 0x40a00000, v9
	v_cndmask_b32_e32 v10, 1.0, v10, vcc_lo
	v_cmp_lt_i32_e32 vcc_lo, 3, v7
	v_cndmask_b32_e32 v11, 1.0, v11, vcc_lo
	v_cmp_lt_i32_e32 vcc_lo, 4, v7
	v_mul_f32_e32 v10, v10, v11
	v_cndmask_b32_e32 v12, 1.0, v12, vcc_lo
	v_cmp_lt_i32_e32 vcc_lo, 5, v7
	v_add_f32_e32 v11, 0x40c00000, v9
	v_mul_f32_e32 v10, v12, v10
	v_cndmask_b32_e32 v13, 1.0, v13, vcc_lo
	v_cmp_lt_i32_e32 vcc_lo, 6, v7
	v_fmaak_f32 v12, s9, v9, 0x3af135b4
	v_mul_f32_e32 v10, v13, v10
	v_cndmask_b32_e32 v7, 1.0, v11, vcc_lo
	v_mul_f32_e32 v7, v7, v10
	v_fmaak_f32 v10, s4, v9, 0x3a4beed6
	v_cmp_gt_f32_e32 vcc_lo, 0x800000, v7
	v_fmaak_f32 v10, v9, v10, 0x3c98bf54
	v_cndmask_b32_e64 v11, 0, 32, vcc_lo
	v_fmaak_f32 v10, v9, v10, 0x3e300f6e
	v_ldexp_f32 v7, v7, v11
	v_fmaak_f32 v11, v9, v12, 0x3cda40e4
	v_fmaak_f32 v10, v9, v10, 0x3f38d0c5
	v_log_f32_e32 v7, v7
	v_fmaak_f32 v11, v9, v11, 0x3e15dce6
	v_fmaak_f32 v10, v9, v10, 0x3fb22d3b
	;; [unrolled: 1-line block ×3, first 2 shown]
	v_fma_f32 v10, v9, v10, 1.0
	v_mul_f32_e32 v12, 0x3f317217, v7
	v_fmaak_f32 v11, v9, v11, 0x3e5c245a
	v_rcp_f32_e32 v10, v10
	v_cmp_gt_f32_e64 s4, 0x7f800000, |v7|
	v_fma_f32 v13, 0x3f317217, v7, -v12
	v_fmaak_f32 v11, v9, v11, 0xbd9e233f
	v_fmamk_f32 v13, v7, 0x3377d1cf, v13
	v_mul_f32_e32 v11, v9, v11
	v_add_f32_e32 v12, v12, v13
	v_mul_f32_e32 v10, v11, v10
	v_cndmask_b32_e64 v11, 0, 0x41b17218, vcc_lo
	v_cndmask_b32_e64 v7, v7, v12, s4
	v_fmac_f32_e32 v10, 0.5, v9
	v_sub_f32_e32 v7, v7, v11
	v_add_f32_e32 v7, v7, v10
.LBB149_13:
	s_or_b32 exec_lo, exec_lo, s8
.LBB149_14:
	s_andn2_saveexec_b32 s7, s7
	s_cbranch_execz .LBB149_32
; %bb.15:
	s_mov_b32 s8, exec_lo
                                        ; implicit-def: $vgpr7
                                        ; implicit-def: $vgpr10
                                        ; implicit-def: $vgpr9
	v_cmpx_ge_f32_e64 0x3f666666, |v6|
	s_xor_b32 s8, exec_lo, s8
	s_cbranch_execz .LBB149_17
; %bb.16:
	v_cmp_gt_f32_e64 s4, 0x800000, |v6|
	v_sub_f32_e64 v11, 1.0, |v6|
	v_cmp_gt_f32_e64 vcc_lo, 0x3f3b4a23, |v6|
	v_cndmask_b32_e64 v7, 0, 32, s4
	v_cndmask_b32_e64 v12, 0, 0x41b17218, s4
	v_ldexp_f32 v7, |v6|, v7
	v_log_f32_e32 v7, v7
	v_mul_f32_e32 v9, 0x3f317217, v7
	v_cmp_gt_f32_e64 s4, 0x7f800000, |v7|
	v_fma_f32 v10, 0x3f317217, v7, -v9
	v_fmamk_f32 v10, v7, 0x3377d1cf, v10
	v_add_f32_e32 v9, v9, v10
	v_add_f32_e64 v10, 0xbeec5b0c, |v6|
	v_cndmask_b32_e64 v7, v7, v9, s4
	v_cndmask_b32_e32 v9, v11, v10, vcc_lo
	v_cndmask_b32_e64 v10, 0, 1, vcc_lo
	v_cmp_gt_f32_e64 s4, 0x3e6d3309, |v6|
	v_sub_f32_e32 v7, v7, v12
	v_cndmask_b32_e64 v9, v9, |v6|, s4
	v_cndmask_b32_e64 v10, v10, 2, s4
	v_xor_b32_e32 v7, 0x80000000, v7
.LBB149_17:
	s_andn2_saveexec_b32 s4, s8
	s_cbranch_execz .LBB149_19
; %bb.18:
	v_sub_f32_e64 v7, 2.0, |v6|
	v_add_f32_e64 v9, 0xbfbb16c3, |v6|
	v_cmp_gt_f32_e64 vcc_lo, 0x3fdda512, |v6|
	v_add_f32_e64 v10, |v6|, -1.0
	v_cndmask_b32_e32 v9, v7, v9, vcc_lo
	v_cndmask_b32_e64 v7, v7, 1.0, vcc_lo
	v_cmp_gt_f32_e64 vcc_lo, 0x3f9d70a4, |v6|
	v_cvt_i32_f32_e32 v7, v7
	v_cndmask_b32_e32 v9, v9, v10, vcc_lo
	v_cndmask_b32_e64 v10, v7, 2, vcc_lo
	v_mov_b32_e32 v7, 0
.LBB149_19:
	s_or_b32 exec_lo, exec_lo, s4
	s_mov_b32 s4, exec_lo
	v_cmpx_lt_i32_e32 0, v10
	s_xor_b32 s4, exec_lo, s4
	s_cbranch_execz .LBB149_27
; %bb.20:
	s_mov_b32 s8, exec_lo
	v_cmpx_lt_i32_e32 1, v10
	s_xor_b32 s8, exec_lo, s8
	s_cbranch_execz .LBB149_24
; %bb.21:
	s_mov_b32 s9, exec_lo
	v_cmpx_eq_u32_e32 2, v10
	s_cbranch_execz .LBB149_23
; %bb.22:
	s_mov_b32 s10, 0x3b52d5db
	v_fmaak_f32 v10, s10, v9, 0x3dd572af
	s_mov_b32 s10, 0x3c5b3c5e
	v_fmaak_f32 v11, s10, v9, 0x3e6a7578
	v_fmaak_f32 v10, v9, v10, 0x3f44efdf
	;; [unrolled: 1-line block ×7, first 2 shown]
	v_fma_f32 v10, v9, v10, 1.0
	v_fmaak_f32 v11, v9, v11, 0xbd9e233f
	v_rcp_f32_e32 v10, v10
	v_mul_f32_e32 v11, v9, v11
	v_mul_f32_e32 v10, v11, v10
	v_fmac_f32_e32 v10, -0.5, v9
	v_add_f32_e32 v7, v7, v10
.LBB149_23:
	s_or_b32 exec_lo, exec_lo, s9
                                        ; implicit-def: $vgpr9
.LBB149_24:
	s_andn2_saveexec_b32 s8, s8
	s_cbranch_execz .LBB149_26
; %bb.25:
	v_mul_f32_e32 v10, v9, v9
	s_mov_b32 s9, 0xb9a3f927
	s_mov_b32 s10, 0x39afe9f7
	v_mul_f32_e32 v11, v9, v10
	v_fmaak_f32 v12, s9, v11, 0x3a66f867
	v_fmaak_f32 v13, s10, v11, 0xba0d3085
	s_mov_b32 s9, 0x39a57b6b
	v_fmaak_f32 v14, s9, v11, 0xbab7f476
	v_fmaak_f32 v12, v11, v12, 0xbb7177fe
	;; [unrolled: 1-line block ×9, first 2 shown]
	v_fmac_f32_e32 v12, v9, v13
	v_fmaak_f32 v9, v11, v14, 0x3ef7b95e
	v_fma_f32 v11, v11, -v12, 0xa2863e55
	v_fma_f32 v9, v10, v9, -v11
	v_add_f32_e32 v9, 0xbdf8cdce, v9
	v_add_f32_e32 v7, v7, v9
.LBB149_26:
	s_or_b32 exec_lo, exec_lo, s8
                                        ; implicit-def: $vgpr10
                                        ; implicit-def: $vgpr9
.LBB149_27:
	s_andn2_saveexec_b32 s4, s4
	s_cbranch_execz .LBB149_31
; %bb.28:
	s_mov_b32 s8, exec_lo
	v_cmpx_eq_u32_e32 0, v10
	s_cbranch_execz .LBB149_30
; %bb.29:
	v_mul_f32_e32 v10, v9, v9
	s_mov_b32 s9, 0x383c2c75
	v_fmaak_f32 v11, s9, v10, 0x38e28445
	s_mov_b32 s9, 0x37d383a2
	v_fmaak_f32 v12, s9, v10, 0x39679767
	v_fmaak_f32 v11, v10, v11, 0x3a05b634
	v_fmaak_f32 v12, v10, v12, 0x3a9c54a1
	v_fmaak_f32 v11, v10, v11, 0x3b3d6ec6
	v_fmaak_f32 v12, v10, v12, 0x3bf2027e
	v_fmaak_f32 v11, v10, v11, 0x3ca89915
	v_fmaak_f32 v12, v10, v12, 0x3d89f001
	v_fmaak_f32 v11, v10, v11, 0x3ea51a66
	v_fmaak_f32 v12, v10, v12, 0x3d9e233f
	v_mul_f32_e32 v10, v10, v11
	v_fmac_f32_e32 v10, v9, v12
	v_fmac_f32_e32 v10, -0.5, v9
	v_add_f32_e32 v7, v7, v10
.LBB149_30:
	s_or_b32 exec_lo, exec_lo, s8
.LBB149_31:
	s_or_b32 exec_lo, exec_lo, s4
.LBB149_32:
	s_or_b32 exec_lo, exec_lo, s7
.LBB149_33:
	s_andn2_saveexec_b32 s4, s5
	s_cbranch_execz .LBB149_35
; %bb.34:
	v_cmp_gt_f32_e64 s5, 0x800000, |v6|
	s_mov_b32 s7, 0x3e8a8991
	v_fma_f32 v11, |v6|, s7, 0xbecd26ab
	v_cndmask_b32_e64 v7, 0, 32, s5
	v_ldexp_f32 v7, |v6|, v7
	v_log_f32_e32 v7, v7
	v_mul_f32_e32 v9, 0x3f317217, v7
	v_cmp_gt_f32_e64 vcc_lo, 0x7f800000, |v7|
	v_fma_f32 v10, 0x3f317217, v7, -v9
	v_fmamk_f32 v10, v7, 0x3377d1cf, v10
	v_add_f32_e32 v9, v9, v10
	v_fma_f32 v10, |v6|, v11, 0x3f528d33
	v_cndmask_b32_e32 v7, v7, v9, vcc_lo
	v_cndmask_b32_e64 v9, 0, 0x41b17218, s5
	v_fma_f32 v10, |v6|, v10, 0xbf13c468
	v_sub_f32_e32 v7, v7, v9
	v_fma_f32 v7, |v6|, v10, -v7
.LBB149_35:
	s_or_b32 exec_lo, exec_lo, s4
	v_cmp_le_f16_e32 vcc_lo, 0, v1
	s_mov_b32 s5, exec_lo
	v_cmpx_nle_f16_e32 0, v1
	s_xor_b32 s7, exec_lo, s5
	s_cbranch_execz .LBB149_39
; %bb.36:
	v_cmp_gt_f32_e64 s4, 0x4b000000, |v6|
	v_cmp_lt_f32_e64 s5, 0x35000000, |v6|
	s_and_b32 s4, s4, s5
	s_and_saveexec_b32 s8, s4
	s_cbranch_execz .LBB149_38
; %bb.37:
	v_mul_f32_e64 v9, |v6|, 0.5
	s_mov_b32 s5, 0x3d4be544
	v_xor_b32_e32 v8, v8, v6
	v_floor_f32_e32 v10, v9
	v_cmp_neq_f32_e64 s4, 0x7f800000, v9
	v_sub_f32_e32 v10, v9, v10
	v_min_f32_e32 v10, 0x3f7fffff, v10
	v_add_f32_e32 v10, v10, v10
	v_cndmask_b32_e64 v9, 0, v10, s4
	v_cmp_gt_f32_e64 s4, |v6|, 1.0
	v_cndmask_b32_e64 v9, |v6|, v9, s4
	s_mov_b32 s4, 0x3e75aa41
	v_add_f32_e32 v10, v9, v9
	v_rndne_f32_e32 v10, v10
	v_fmac_f32_e32 v9, -0.5, v10
	v_cvt_i32_f32_e32 v10, v10
	v_mul_f32_e32 v11, v9, v9
	v_fmaak_f32 v12, s4, v11, 0xbf1f24be
	v_fmaak_f32 v13, s5, v11, 0x3e642e9d
	v_mul_f32_e32 v14, v9, v11
	v_fmaak_f32 v12, v11, v12, 0x40234736
	v_fmaak_f32 v13, v11, v13, 0xbfaad1da
	;; [unrolled: 1-line block ×4, first 2 shown]
	v_mul_f32_e32 v12, v14, v12
	v_fmaak_f32 v13, v11, v13, 0xc09de9e6
	v_and_b32_e32 v14, 1, v10
	v_lshlrev_b32_e32 v10, 30, v10
	v_fmamk_f32 v9, v9, 0x40490fdb, v12
	v_fma_f32 v11, v11, v13, 1.0
	v_cmp_eq_u32_e64 s4, 0, v14
	v_and_b32_e32 v10, 0x80000000, v10
	v_cndmask_b32_e64 v9, v11, v9, s4
	v_xor3_b32 v8, v8, v10, v9
	v_mul_f32_e32 v8, v6, v8
	v_frexp_mant_f32_e64 v9, |v8|
	v_frexp_exp_i32_f32_e32 v8, v8
	v_rcp_f32_e32 v9, v9
	v_sub_nc_u32_e32 v8, 2, v8
	v_mul_f32_e32 v9, 0x3f490fdb, v9
	v_ldexp_f32 v8, v9, v8
	v_cmp_gt_f32_e64 s4, 0x800000, v8
	v_cndmask_b32_e64 v9, 0, 32, s4
	v_ldexp_f32 v8, v8, v9
	v_log_f32_e32 v8, v8
	v_mul_f32_e32 v9, 0x3f317217, v8
	v_cmp_gt_f32_e64 s5, 0x7f800000, |v8|
	v_fma_f32 v10, 0x3f317217, v8, -v9
	v_fmamk_f32 v10, v8, 0x3377d1cf, v10
	v_add_f32_e32 v9, v9, v10
	v_floor_f32_e32 v10, v6
	v_cndmask_b32_e64 v8, v8, v9, s5
	v_cndmask_b32_e64 v9, 0, 0x41b17218, s4
	v_sub_f32_e32 v10, v6, v10
	v_sub_f32_e32 v8, v8, v9
	v_min_f32_e32 v9, 0x3f7fffff, v10
	v_sub_f32_e32 v7, v8, v7
	v_cmp_neq_f32_e64 s4, 0, v9
	v_cndmask_b32_e64 v7, 0x7f800000, v7, s4
.LBB149_38:
	s_or_b32 exec_lo, exec_lo, s8
.LBB149_39:
	s_andn2_saveexec_b32 s7, s7
; %bb.40:
	v_cmp_eq_f16_e64 s4, 1.0, v1
	v_cmp_eq_f16_e64 s5, 2.0, v1
	s_or_b32 s4, s4, s5
	v_cndmask_b32_e64 v7, v7, 0, s4
; %bb.41:
	s_or_b32 exec_lo, exec_lo, s7
	v_lshrrev_b32_e32 v8, 16, v1
                                        ; implicit-def: $vgpr10
	s_mov_b32 s5, exec_lo
	v_cvt_f32_f16_e32 v9, v8
	v_and_b32_e32 v11, 0x7fffffff, v9
	v_cmpx_ngt_f32_e64 0x3c800000, |v9|
	s_xor_b32 s7, exec_lo, s5
	s_cbranch_execz .LBB149_71
; %bb.42:
                                        ; implicit-def: $vgpr10
	s_mov_b32 s5, exec_lo
	v_cmpx_nlt_f32_e64 |v9|, 2.0
	s_xor_b32 s8, exec_lo, s5
	s_cbranch_execz .LBB149_52
; %bb.43:
	s_mov_b32 s5, exec_lo
                                        ; implicit-def: $vgpr10
	v_cmpx_ngt_f32_e64 0x41000000, |v9|
	s_xor_b32 s5, exec_lo, s5
	s_cbranch_execz .LBB149_49
; %bb.44:
	s_mov_b32 s9, exec_lo
                                        ; implicit-def: $vgpr10
	v_cmpx_ngt_f32_e64 0x5c800000, |v9|
	s_xor_b32 s9, exec_lo, s9
	s_cbranch_execz .LBB149_46
; %bb.45:
	v_cmp_gt_f32_e64 s10, 0x800000, |v9|
	v_cndmask_b32_e64 v10, 0, 32, s10
	v_ldexp_f32 v10, |v9|, v10
	v_log_f32_e32 v10, v10
	v_mul_f32_e32 v12, 0x3f317217, v10
	v_cmp_gt_f32_e64 s4, 0x7f800000, |v10|
	v_fma_f32 v13, 0x3f317217, v10, -v12
	v_fmamk_f32 v13, v10, 0x3377d1cf, v13
	v_add_f32_e32 v12, v12, v13
	v_cndmask_b32_e64 v10, v10, v12, s4
	v_cndmask_b32_e64 v12, 0, 0x41b17218, s10
	v_sub_f32_e32 v10, v10, v12
	v_fma_f32 v10, |v9|, v10, -|v9|
.LBB149_46:
	s_andn2_saveexec_b32 s9, s9
	s_cbranch_execz .LBB149_48
; %bb.47:
	v_cmp_gt_f32_e64 s10, 0x800000, |v9|
	v_rcp_f32_e64 v12, |v9|
	s_mov_b32 s4, 0xbad5c4e8
	v_cndmask_b32_e64 v10, 0, 32, s10
	v_ldexp_f32 v10, |v9|, v10
	v_mul_f32_e32 v13, v12, v12
	v_log_f32_e32 v10, v10
	v_fmaak_f32 v15, s4, v13, 0x3a5b3dd2
	v_fmaak_f32 v15, v13, v15, 0xba1c065c
	v_mul_f32_e32 v14, 0x3f317217, v10
	v_fmaak_f32 v15, v13, v15, 0x3a500cfd
	v_cmp_gt_f32_e64 s4, 0x7f800000, |v10|
	v_fma_f32 v16, 0x3f317217, v10, -v14
	v_fmaak_f32 v15, v13, v15, 0xbb360b61
	v_fmamk_f32 v16, v10, 0x3377d1cf, v16
	v_fmaak_f32 v13, v13, v15, 0x3daaaaab
	v_add_f32_e32 v14, v14, v16
	v_cndmask_b32_e64 v10, v10, v14, s4
	v_cndmask_b32_e64 v14, 0, 0x41b17218, s10
	v_sub_f32_e32 v14, v10, v14
	v_fmaak_f32 v10, v12, v13, 0x3ed67f1d
	v_add_f32_e64 v12, |v9|, -0.5
	v_add_f32_e32 v13, -1.0, v14
	v_fmac_f32_e32 v10, v12, v13
.LBB149_48:
	s_or_b32 exec_lo, exec_lo, s9
.LBB149_49:
	s_andn2_saveexec_b32 s9, s5
	s_cbranch_execz .LBB149_51
; %bb.50:
	v_cvt_i32_f32_e32 v10, v11
	s_mov_b32 s5, 0x3805ff67
	v_cvt_f32_i32_e32 v12, v10
	v_cmp_lt_i32_e64 s4, 2, v10
	v_sub_f32_e64 v12, |v9|, v12
	v_add_f32_e32 v13, 2.0, v12
	v_add_f32_e32 v14, 0x40400000, v12
	v_add_f32_e32 v15, 4.0, v12
	v_add_f32_e32 v16, 0x40a00000, v12
	v_cndmask_b32_e64 v13, 1.0, v13, s4
	v_cmp_lt_i32_e64 s4, 3, v10
	v_cndmask_b32_e64 v14, 1.0, v14, s4
	v_cmp_lt_i32_e64 s4, 4, v10
	v_mul_f32_e32 v13, v13, v14
	v_cndmask_b32_e64 v15, 1.0, v15, s4
	v_cmp_lt_i32_e64 s4, 5, v10
	v_add_f32_e32 v14, 0x40c00000, v12
	v_mul_f32_e32 v13, v15, v13
	v_cndmask_b32_e64 v16, 1.0, v16, s4
	v_cmp_lt_i32_e64 s4, 6, v10
	v_fmaak_f32 v15, s5, v12, 0x3af135b4
	v_mul_f32_e32 v13, v16, v13
	v_cndmask_b32_e64 v10, 1.0, v14, s4
	s_mov_b32 s4, 0x36f5d7bd
	v_mul_f32_e32 v10, v10, v13
	v_fmaak_f32 v13, s4, v12, 0x3a4beed6
	v_cmp_gt_f32_e64 s4, 0x800000, v10
	v_fmaak_f32 v13, v12, v13, 0x3c98bf54
	v_cndmask_b32_e64 v14, 0, 32, s4
	v_fmaak_f32 v13, v12, v13, 0x3e300f6e
	v_ldexp_f32 v10, v10, v14
	v_fmaak_f32 v14, v12, v15, 0x3cda40e4
	v_fmaak_f32 v13, v12, v13, 0x3f38d0c5
	v_log_f32_e32 v10, v10
	v_fmaak_f32 v14, v12, v14, 0x3e15dce6
	v_fmaak_f32 v13, v12, v13, 0x3fb22d3b
	;; [unrolled: 1-line block ×3, first 2 shown]
	v_fma_f32 v13, v12, v13, 1.0
	v_mul_f32_e32 v15, 0x3f317217, v10
	v_fmaak_f32 v14, v12, v14, 0x3e5c245a
	v_rcp_f32_e32 v13, v13
	v_cmp_gt_f32_e64 s5, 0x7f800000, |v10|
	v_fma_f32 v16, 0x3f317217, v10, -v15
	v_fmaak_f32 v14, v12, v14, 0xbd9e233f
	v_fmamk_f32 v16, v10, 0x3377d1cf, v16
	v_mul_f32_e32 v14, v12, v14
	v_add_f32_e32 v15, v15, v16
	v_mul_f32_e32 v13, v14, v13
	v_cndmask_b32_e64 v14, 0, 0x41b17218, s4
	v_cndmask_b32_e64 v10, v10, v15, s5
	v_fmac_f32_e32 v13, 0.5, v12
	v_sub_f32_e32 v10, v10, v14
	v_add_f32_e32 v10, v10, v13
.LBB149_51:
	s_or_b32 exec_lo, exec_lo, s9
.LBB149_52:
	s_andn2_saveexec_b32 s8, s8
	s_cbranch_execz .LBB149_70
; %bb.53:
                                        ; implicit-def: $vgpr10
                                        ; implicit-def: $vgpr13
                                        ; implicit-def: $vgpr12
	s_mov_b32 s5, exec_lo
	v_cmpx_ge_f32_e64 0x3f666666, |v9|
	s_xor_b32 s9, exec_lo, s5
	s_cbranch_execz .LBB149_55
; %bb.54:
	v_cmp_gt_f32_e64 s5, 0x800000, |v9|
	v_sub_f32_e64 v14, 1.0, |v9|
	v_cmp_gt_f32_e64 s4, 0x3f3b4a23, |v9|
	v_cndmask_b32_e64 v10, 0, 32, s5
	v_cndmask_b32_e64 v15, 0, 0x41b17218, s5
	v_ldexp_f32 v10, |v9|, v10
	v_log_f32_e32 v10, v10
	v_mul_f32_e32 v12, 0x3f317217, v10
	v_cmp_gt_f32_e64 s5, 0x7f800000, |v10|
	v_fma_f32 v13, 0x3f317217, v10, -v12
	v_fmamk_f32 v13, v10, 0x3377d1cf, v13
	v_add_f32_e32 v12, v12, v13
	v_add_f32_e64 v13, 0xbeec5b0c, |v9|
	v_cndmask_b32_e64 v10, v10, v12, s5
	v_cndmask_b32_e64 v12, v14, v13, s4
	;; [unrolled: 1-line block ×3, first 2 shown]
	v_cmp_gt_f32_e64 s4, 0x3e6d3309, |v9|
	v_sub_f32_e32 v10, v10, v15
	v_cndmask_b32_e64 v12, v12, |v9|, s4
	v_cndmask_b32_e64 v13, v13, 2, s4
	v_xor_b32_e32 v10, 0x80000000, v10
.LBB149_55:
	s_andn2_saveexec_b32 s5, s9
	s_cbranch_execz .LBB149_57
; %bb.56:
	v_sub_f32_e64 v10, 2.0, |v9|
	v_add_f32_e64 v12, 0xbfbb16c3, |v9|
	v_cmp_gt_f32_e64 s4, 0x3fdda512, |v9|
	v_add_f32_e64 v13, |v9|, -1.0
	v_cndmask_b32_e64 v12, v10, v12, s4
	v_cndmask_b32_e64 v10, v10, 1.0, s4
	v_cmp_gt_f32_e64 s4, 0x3f9d70a4, |v9|
	v_cvt_i32_f32_e32 v10, v10
	v_cndmask_b32_e64 v12, v12, v13, s4
	v_cndmask_b32_e64 v13, v10, 2, s4
	v_mov_b32_e32 v10, 0
.LBB149_57:
	s_or_b32 exec_lo, exec_lo, s5
	s_mov_b32 s5, exec_lo
	v_cmpx_lt_i32_e32 0, v13
	s_xor_b32 s5, exec_lo, s5
	s_cbranch_execz .LBB149_65
; %bb.58:
	s_mov_b32 s9, exec_lo
	v_cmpx_lt_i32_e32 1, v13
	s_xor_b32 s9, exec_lo, s9
	s_cbranch_execz .LBB149_62
; %bb.59:
	s_mov_b32 s10, exec_lo
	v_cmpx_eq_u32_e32 2, v13
	s_cbranch_execz .LBB149_61
; %bb.60:
	s_mov_b32 s4, 0x3b52d5db
	v_fmaak_f32 v13, s4, v12, 0x3dd572af
	s_mov_b32 s4, 0x3c5b3c5e
	v_fmaak_f32 v14, s4, v12, 0x3e6a7578
	v_fmaak_f32 v13, v12, v13, 0x3f44efdf
	;; [unrolled: 1-line block ×7, first 2 shown]
	v_fma_f32 v13, v12, v13, 1.0
	v_fmaak_f32 v14, v12, v14, 0xbd9e233f
	v_rcp_f32_e32 v13, v13
	v_mul_f32_e32 v14, v12, v14
	v_mul_f32_e32 v13, v14, v13
	v_fmac_f32_e32 v13, -0.5, v12
	v_add_f32_e32 v10, v10, v13
.LBB149_61:
	s_or_b32 exec_lo, exec_lo, s10
                                        ; implicit-def: $vgpr12
.LBB149_62:
	s_andn2_saveexec_b32 s4, s9
	s_cbranch_execz .LBB149_64
; %bb.63:
	v_mul_f32_e32 v13, v12, v12
	s_mov_b32 s9, 0xb9a3f927
	s_mov_b32 s10, 0x39afe9f7
	v_mul_f32_e32 v14, v12, v13
	v_fmaak_f32 v15, s9, v14, 0x3a66f867
	v_fmaak_f32 v16, s10, v14, 0xba0d3085
	s_mov_b32 s9, 0x39a57b6b
	v_fmaak_f32 v17, s9, v14, 0xbab7f476
	v_fmaak_f32 v15, v14, v15, 0xbb7177fe
	;; [unrolled: 1-line block ×9, first 2 shown]
	v_fmac_f32_e32 v15, v12, v16
	v_fmaak_f32 v12, v14, v17, 0x3ef7b95e
	v_fma_f32 v14, v14, -v15, 0xa2863e55
	v_fma_f32 v12, v13, v12, -v14
	v_add_f32_e32 v12, 0xbdf8cdce, v12
	v_add_f32_e32 v10, v10, v12
.LBB149_64:
	s_or_b32 exec_lo, exec_lo, s4
                                        ; implicit-def: $vgpr13
                                        ; implicit-def: $vgpr12
.LBB149_65:
	s_andn2_saveexec_b32 s5, s5
	s_cbranch_execz .LBB149_69
; %bb.66:
	s_mov_b32 s9, exec_lo
	v_cmpx_eq_u32_e32 0, v13
	s_cbranch_execz .LBB149_68
; %bb.67:
	v_mul_f32_e32 v13, v12, v12
	s_mov_b32 s4, 0x383c2c75
	v_fmaak_f32 v14, s4, v13, 0x38e28445
	s_mov_b32 s4, 0x37d383a2
	v_fmaak_f32 v15, s4, v13, 0x39679767
	v_fmaak_f32 v14, v13, v14, 0x3a05b634
	;; [unrolled: 1-line block ×9, first 2 shown]
	v_mul_f32_e32 v13, v13, v14
	v_fmac_f32_e32 v13, v12, v15
	v_fmac_f32_e32 v13, -0.5, v12
	v_add_f32_e32 v10, v10, v13
.LBB149_68:
	s_or_b32 exec_lo, exec_lo, s9
.LBB149_69:
	s_or_b32 exec_lo, exec_lo, s5
.LBB149_70:
	s_or_b32 exec_lo, exec_lo, s8
.LBB149_71:
	s_andn2_saveexec_b32 s5, s7
	s_cbranch_execz .LBB149_73
; %bb.72:
	v_cmp_gt_f32_e64 s7, 0x800000, |v9|
	s_mov_b32 s4, 0x3e8a8991
	v_fma_f32 v14, |v9|, s4, 0xbecd26ab
	v_cndmask_b32_e64 v10, 0, 32, s7
	v_ldexp_f32 v10, |v9|, v10
	v_log_f32_e32 v10, v10
	v_mul_f32_e32 v12, 0x3f317217, v10
	v_cmp_gt_f32_e64 s4, 0x7f800000, |v10|
	v_fma_f32 v13, 0x3f317217, v10, -v12
	v_fmamk_f32 v13, v10, 0x3377d1cf, v13
	v_add_f32_e32 v12, v12, v13
	v_fma_f32 v13, |v9|, v14, 0x3f528d33
	v_cndmask_b32_e64 v10, v10, v12, s4
	v_cndmask_b32_e64 v12, 0, 0x41b17218, s7
	v_fma_f32 v13, |v9|, v13, 0xbf13c468
	v_sub_f32_e32 v10, v10, v12
	v_fma_f32 v10, |v9|, v13, -v10
.LBB149_73:
	s_or_b32 exec_lo, exec_lo, s5
	v_cmp_le_f16_e64 s4, 0, v8
	s_mov_b32 s7, exec_lo
	v_cmpx_nle_f16_e32 0, v8
	s_xor_b32 s8, exec_lo, s7
	s_cbranch_execz .LBB149_77
; %bb.74:
	v_cmp_gt_f32_e64 s5, 0x4b000000, |v9|
	v_cmp_lt_f32_e64 s7, 0x35000000, |v9|
	s_and_b32 s5, s5, s7
	s_and_saveexec_b32 s9, s5
	s_cbranch_execz .LBB149_76
; %bb.75:
	v_mul_f32_e64 v12, |v9|, 0.5
	s_mov_b32 s7, 0x3d4be544
	v_xor_b32_e32 v11, v11, v9
	v_floor_f32_e32 v13, v12
	v_cmp_neq_f32_e64 s5, 0x7f800000, v12
	v_sub_f32_e32 v13, v12, v13
	v_min_f32_e32 v13, 0x3f7fffff, v13
	v_add_f32_e32 v13, v13, v13
	v_cndmask_b32_e64 v12, 0, v13, s5
	v_cmp_gt_f32_e64 s5, |v9|, 1.0
	v_cndmask_b32_e64 v12, |v9|, v12, s5
	s_mov_b32 s5, 0x3e75aa41
	v_add_f32_e32 v13, v12, v12
	v_rndne_f32_e32 v13, v13
	v_fmac_f32_e32 v12, -0.5, v13
	v_cvt_i32_f32_e32 v13, v13
	v_mul_f32_e32 v14, v12, v12
	v_fmaak_f32 v15, s5, v14, 0xbf1f24be
	v_fmaak_f32 v16, s7, v14, 0x3e642e9d
	v_mul_f32_e32 v17, v12, v14
	v_fmaak_f32 v15, v14, v15, 0x40234736
	v_fmaak_f32 v16, v14, v16, 0xbfaad1da
	v_fmaak_f32 v15, v14, v15, 0xc0a55e0e
	v_fmaak_f32 v16, v14, v16, 0x4081e0d3
	v_mul_f32_e32 v15, v17, v15
	v_fmaak_f32 v16, v14, v16, 0xc09de9e6
	v_and_b32_e32 v17, 1, v13
	v_lshlrev_b32_e32 v13, 30, v13
	v_fmamk_f32 v12, v12, 0x40490fdb, v15
	v_fma_f32 v14, v14, v16, 1.0
	v_cmp_eq_u32_e64 s5, 0, v17
	v_and_b32_e32 v13, 0x80000000, v13
	v_cndmask_b32_e64 v12, v14, v12, s5
	v_xor3_b32 v11, v11, v13, v12
	v_mul_f32_e32 v11, v9, v11
	v_frexp_mant_f32_e64 v12, |v11|
	v_frexp_exp_i32_f32_e32 v11, v11
	v_rcp_f32_e32 v12, v12
	v_sub_nc_u32_e32 v11, 2, v11
	v_mul_f32_e32 v12, 0x3f490fdb, v12
	v_ldexp_f32 v11, v12, v11
	v_cmp_gt_f32_e64 s5, 0x800000, v11
	v_cndmask_b32_e64 v12, 0, 32, s5
	v_ldexp_f32 v11, v11, v12
	v_log_f32_e32 v11, v11
	v_mul_f32_e32 v12, 0x3f317217, v11
	v_cmp_gt_f32_e64 s7, 0x7f800000, |v11|
	v_fma_f32 v13, 0x3f317217, v11, -v12
	v_fmamk_f32 v13, v11, 0x3377d1cf, v13
	v_add_f32_e32 v12, v12, v13
	v_floor_f32_e32 v13, v9
	v_cndmask_b32_e64 v11, v11, v12, s7
	v_cndmask_b32_e64 v12, 0, 0x41b17218, s5
	v_sub_f32_e32 v13, v9, v13
	v_sub_f32_e32 v11, v11, v12
	v_min_f32_e32 v12, 0x3f7fffff, v13
	v_sub_f32_e32 v10, v11, v10
	v_cmp_neq_f32_e64 s5, 0, v12
	v_cndmask_b32_e64 v10, 0x7f800000, v10, s5
.LBB149_76:
	s_or_b32 exec_lo, exec_lo, s9
.LBB149_77:
	s_andn2_saveexec_b32 s8, s8
; %bb.78:
	v_cmp_eq_f16_e64 s5, 1.0, v8
	v_cmp_eq_f16_e64 s7, 2.0, v8
	s_or_b32 s5, s5, s7
	v_cndmask_b32_e64 v10, v10, 0, s5
; %bb.79:
	s_or_b32 exec_lo, exec_lo, s8
	v_cvt_f32_f16_e32 v11, v2
                                        ; implicit-def: $vgpr12
	s_mov_b32 s7, exec_lo
	v_and_b32_e32 v13, 0x7fffffff, v11
	v_cmpx_ngt_f32_e64 0x3c800000, |v11|
	s_xor_b32 s8, exec_lo, s7
	s_cbranch_execz .LBB149_109
; %bb.80:
                                        ; implicit-def: $vgpr12
	s_mov_b32 s7, exec_lo
	v_cmpx_nlt_f32_e64 |v11|, 2.0
	s_xor_b32 s9, exec_lo, s7
	s_cbranch_execz .LBB149_90
; %bb.81:
	s_mov_b32 s7, exec_lo
                                        ; implicit-def: $vgpr12
	v_cmpx_ngt_f32_e64 0x41000000, |v11|
	s_xor_b32 s7, exec_lo, s7
	s_cbranch_execz .LBB149_87
; %bb.82:
	s_mov_b32 s10, exec_lo
                                        ; implicit-def: $vgpr12
	v_cmpx_ngt_f32_e64 0x5c800000, |v11|
	s_xor_b32 s10, exec_lo, s10
	s_cbranch_execz .LBB149_84
; %bb.83:
	v_cmp_gt_f32_e64 s11, 0x800000, |v11|
	v_cndmask_b32_e64 v12, 0, 32, s11
	v_ldexp_f32 v12, |v11|, v12
	v_log_f32_e32 v12, v12
	v_mul_f32_e32 v14, 0x3f317217, v12
	v_cmp_gt_f32_e64 s5, 0x7f800000, |v12|
	v_fma_f32 v15, 0x3f317217, v12, -v14
	v_fmamk_f32 v15, v12, 0x3377d1cf, v15
	v_add_f32_e32 v14, v14, v15
	v_cndmask_b32_e64 v12, v12, v14, s5
	v_cndmask_b32_e64 v14, 0, 0x41b17218, s11
	v_sub_f32_e32 v12, v12, v14
	v_fma_f32 v12, |v11|, v12, -|v11|
.LBB149_84:
	s_andn2_saveexec_b32 s10, s10
	s_cbranch_execz .LBB149_86
; %bb.85:
	v_cmp_gt_f32_e64 s11, 0x800000, |v11|
	v_rcp_f32_e64 v14, |v11|
	s_mov_b32 s5, 0xbad5c4e8
	v_cndmask_b32_e64 v12, 0, 32, s11
	v_ldexp_f32 v12, |v11|, v12
	v_mul_f32_e32 v15, v14, v14
	v_log_f32_e32 v12, v12
	v_fmaak_f32 v17, s5, v15, 0x3a5b3dd2
	v_fmaak_f32 v17, v15, v17, 0xba1c065c
	v_mul_f32_e32 v16, 0x3f317217, v12
	v_fmaak_f32 v17, v15, v17, 0x3a500cfd
	v_cmp_gt_f32_e64 s5, 0x7f800000, |v12|
	v_fma_f32 v18, 0x3f317217, v12, -v16
	v_fmaak_f32 v17, v15, v17, 0xbb360b61
	v_fmamk_f32 v18, v12, 0x3377d1cf, v18
	v_fmaak_f32 v15, v15, v17, 0x3daaaaab
	v_add_f32_e32 v16, v16, v18
	v_cndmask_b32_e64 v12, v12, v16, s5
	v_cndmask_b32_e64 v16, 0, 0x41b17218, s11
	v_sub_f32_e32 v16, v12, v16
	v_fmaak_f32 v12, v14, v15, 0x3ed67f1d
	v_add_f32_e64 v14, |v11|, -0.5
	v_add_f32_e32 v15, -1.0, v16
	v_fmac_f32_e32 v12, v14, v15
.LBB149_86:
	s_or_b32 exec_lo, exec_lo, s10
.LBB149_87:
	s_andn2_saveexec_b32 s10, s7
	s_cbranch_execz .LBB149_89
; %bb.88:
	v_cvt_i32_f32_e32 v12, v13
	s_mov_b32 s7, 0x3805ff67
	v_cvt_f32_i32_e32 v14, v12
	v_cmp_lt_i32_e64 s5, 2, v12
	v_sub_f32_e64 v14, |v11|, v14
	v_add_f32_e32 v15, 2.0, v14
	v_add_f32_e32 v16, 0x40400000, v14
	v_add_f32_e32 v17, 4.0, v14
	v_add_f32_e32 v18, 0x40a00000, v14
	v_cndmask_b32_e64 v15, 1.0, v15, s5
	v_cmp_lt_i32_e64 s5, 3, v12
	v_cndmask_b32_e64 v16, 1.0, v16, s5
	v_cmp_lt_i32_e64 s5, 4, v12
	v_mul_f32_e32 v15, v15, v16
	v_cndmask_b32_e64 v17, 1.0, v17, s5
	v_cmp_lt_i32_e64 s5, 5, v12
	v_add_f32_e32 v16, 0x40c00000, v14
	v_mul_f32_e32 v15, v17, v15
	v_cndmask_b32_e64 v18, 1.0, v18, s5
	v_cmp_lt_i32_e64 s5, 6, v12
	v_fmaak_f32 v17, s7, v14, 0x3af135b4
	v_mul_f32_e32 v15, v18, v15
	v_cndmask_b32_e64 v12, 1.0, v16, s5
	s_mov_b32 s5, 0x36f5d7bd
	v_mul_f32_e32 v12, v12, v15
	v_fmaak_f32 v15, s5, v14, 0x3a4beed6
	v_cmp_gt_f32_e64 s5, 0x800000, v12
	v_fmaak_f32 v15, v14, v15, 0x3c98bf54
	v_cndmask_b32_e64 v16, 0, 32, s5
	v_fmaak_f32 v15, v14, v15, 0x3e300f6e
	v_ldexp_f32 v12, v12, v16
	v_fmaak_f32 v16, v14, v17, 0x3cda40e4
	v_fmaak_f32 v15, v14, v15, 0x3f38d0c5
	v_log_f32_e32 v12, v12
	v_fmaak_f32 v16, v14, v16, 0x3e15dce6
	v_fmaak_f32 v15, v14, v15, 0x3fb22d3b
	;; [unrolled: 1-line block ×3, first 2 shown]
	v_fma_f32 v15, v14, v15, 1.0
	v_mul_f32_e32 v17, 0x3f317217, v12
	v_fmaak_f32 v16, v14, v16, 0x3e5c245a
	v_rcp_f32_e32 v15, v15
	v_cmp_gt_f32_e64 s7, 0x7f800000, |v12|
	v_fma_f32 v18, 0x3f317217, v12, -v17
	v_fmaak_f32 v16, v14, v16, 0xbd9e233f
	v_fmamk_f32 v18, v12, 0x3377d1cf, v18
	v_mul_f32_e32 v16, v14, v16
	v_add_f32_e32 v17, v17, v18
	v_mul_f32_e32 v15, v16, v15
	v_cndmask_b32_e64 v16, 0, 0x41b17218, s5
	v_cndmask_b32_e64 v12, v12, v17, s7
	v_fmac_f32_e32 v15, 0.5, v14
	v_sub_f32_e32 v12, v12, v16
	v_add_f32_e32 v12, v12, v15
.LBB149_89:
	s_or_b32 exec_lo, exec_lo, s10
.LBB149_90:
	s_andn2_saveexec_b32 s9, s9
	s_cbranch_execz .LBB149_108
; %bb.91:
                                        ; implicit-def: $vgpr12
                                        ; implicit-def: $vgpr15
                                        ; implicit-def: $vgpr14
	s_mov_b32 s7, exec_lo
	v_cmpx_ge_f32_e64 0x3f666666, |v11|
	s_xor_b32 s10, exec_lo, s7
	s_cbranch_execz .LBB149_93
; %bb.92:
	v_cmp_gt_f32_e64 s7, 0x800000, |v11|
	v_sub_f32_e64 v16, 1.0, |v11|
	v_cmp_gt_f32_e64 s5, 0x3f3b4a23, |v11|
	v_cndmask_b32_e64 v12, 0, 32, s7
	v_cndmask_b32_e64 v17, 0, 0x41b17218, s7
	v_ldexp_f32 v12, |v11|, v12
	v_log_f32_e32 v12, v12
	v_mul_f32_e32 v14, 0x3f317217, v12
	v_cmp_gt_f32_e64 s7, 0x7f800000, |v12|
	v_fma_f32 v15, 0x3f317217, v12, -v14
	v_fmamk_f32 v15, v12, 0x3377d1cf, v15
	v_add_f32_e32 v14, v14, v15
	v_add_f32_e64 v15, 0xbeec5b0c, |v11|
	v_cndmask_b32_e64 v12, v12, v14, s7
	v_cndmask_b32_e64 v14, v16, v15, s5
	;; [unrolled: 1-line block ×3, first 2 shown]
	v_cmp_gt_f32_e64 s5, 0x3e6d3309, |v11|
	v_sub_f32_e32 v12, v12, v17
	v_cndmask_b32_e64 v14, v14, |v11|, s5
	v_cndmask_b32_e64 v15, v15, 2, s5
	v_xor_b32_e32 v12, 0x80000000, v12
.LBB149_93:
	s_andn2_saveexec_b32 s7, s10
	s_cbranch_execz .LBB149_95
; %bb.94:
	v_sub_f32_e64 v12, 2.0, |v11|
	v_add_f32_e64 v14, 0xbfbb16c3, |v11|
	v_cmp_gt_f32_e64 s5, 0x3fdda512, |v11|
	v_add_f32_e64 v15, |v11|, -1.0
	v_cndmask_b32_e64 v14, v12, v14, s5
	v_cndmask_b32_e64 v12, v12, 1.0, s5
	v_cmp_gt_f32_e64 s5, 0x3f9d70a4, |v11|
	v_cvt_i32_f32_e32 v12, v12
	v_cndmask_b32_e64 v14, v14, v15, s5
	v_cndmask_b32_e64 v15, v12, 2, s5
	v_mov_b32_e32 v12, 0
.LBB149_95:
	s_or_b32 exec_lo, exec_lo, s7
	s_mov_b32 s7, exec_lo
	v_cmpx_lt_i32_e32 0, v15
	s_xor_b32 s7, exec_lo, s7
	s_cbranch_execz .LBB149_103
; %bb.96:
	s_mov_b32 s10, exec_lo
	v_cmpx_lt_i32_e32 1, v15
	s_xor_b32 s10, exec_lo, s10
	s_cbranch_execz .LBB149_100
; %bb.97:
	s_mov_b32 s11, exec_lo
	v_cmpx_eq_u32_e32 2, v15
	s_cbranch_execz .LBB149_99
; %bb.98:
	s_mov_b32 s5, 0x3b52d5db
	v_fmaak_f32 v15, s5, v14, 0x3dd572af
	s_mov_b32 s5, 0x3c5b3c5e
	v_fmaak_f32 v16, s5, v14, 0x3e6a7578
	v_fmaak_f32 v15, v14, v15, 0x3f44efdf
	;; [unrolled: 1-line block ×7, first 2 shown]
	v_fma_f32 v15, v14, v15, 1.0
	v_fmaak_f32 v16, v14, v16, 0xbd9e233f
	v_rcp_f32_e32 v15, v15
	v_mul_f32_e32 v16, v14, v16
	v_mul_f32_e32 v15, v16, v15
	v_fmac_f32_e32 v15, -0.5, v14
	v_add_f32_e32 v12, v12, v15
.LBB149_99:
	s_or_b32 exec_lo, exec_lo, s11
                                        ; implicit-def: $vgpr14
.LBB149_100:
	s_andn2_saveexec_b32 s5, s10
	s_cbranch_execz .LBB149_102
; %bb.101:
	v_mul_f32_e32 v15, v14, v14
	s_mov_b32 s10, 0xb9a3f927
	s_mov_b32 s11, 0x39afe9f7
	v_mul_f32_e32 v16, v14, v15
	v_fmaak_f32 v17, s10, v16, 0x3a66f867
	v_fmaak_f32 v18, s11, v16, 0xba0d3085
	s_mov_b32 s10, 0x39a57b6b
	v_fmaak_f32 v19, s10, v16, 0xbab7f476
	v_fmaak_f32 v17, v16, v17, 0xbb7177fe
	;; [unrolled: 1-line block ×9, first 2 shown]
	v_fmac_f32_e32 v17, v14, v18
	v_fmaak_f32 v14, v16, v19, 0x3ef7b95e
	v_fma_f32 v16, v16, -v17, 0xa2863e55
	v_fma_f32 v14, v15, v14, -v16
	v_add_f32_e32 v14, 0xbdf8cdce, v14
	v_add_f32_e32 v12, v12, v14
.LBB149_102:
	s_or_b32 exec_lo, exec_lo, s5
                                        ; implicit-def: $vgpr15
                                        ; implicit-def: $vgpr14
.LBB149_103:
	s_andn2_saveexec_b32 s7, s7
	s_cbranch_execz .LBB149_107
; %bb.104:
	s_mov_b32 s10, exec_lo
	v_cmpx_eq_u32_e32 0, v15
	s_cbranch_execz .LBB149_106
; %bb.105:
	v_mul_f32_e32 v15, v14, v14
	s_mov_b32 s5, 0x383c2c75
	v_fmaak_f32 v16, s5, v15, 0x38e28445
	s_mov_b32 s5, 0x37d383a2
	v_fmaak_f32 v17, s5, v15, 0x39679767
	v_fmaak_f32 v16, v15, v16, 0x3a05b634
	;; [unrolled: 1-line block ×9, first 2 shown]
	v_mul_f32_e32 v15, v15, v16
	v_fmac_f32_e32 v15, v14, v17
	v_fmac_f32_e32 v15, -0.5, v14
	v_add_f32_e32 v12, v12, v15
.LBB149_106:
	s_or_b32 exec_lo, exec_lo, s10
.LBB149_107:
	s_or_b32 exec_lo, exec_lo, s7
.LBB149_108:
	s_or_b32 exec_lo, exec_lo, s9
.LBB149_109:
	s_andn2_saveexec_b32 s7, s8
	s_cbranch_execz .LBB149_111
; %bb.110:
	v_cmp_gt_f32_e64 s8, 0x800000, |v11|
	s_mov_b32 s5, 0x3e8a8991
	v_fma_f32 v16, |v11|, s5, 0xbecd26ab
	v_cndmask_b32_e64 v12, 0, 32, s8
	v_ldexp_f32 v12, |v11|, v12
	v_log_f32_e32 v12, v12
	v_mul_f32_e32 v14, 0x3f317217, v12
	v_cmp_gt_f32_e64 s5, 0x7f800000, |v12|
	v_fma_f32 v15, 0x3f317217, v12, -v14
	v_fmamk_f32 v15, v12, 0x3377d1cf, v15
	v_add_f32_e32 v14, v14, v15
	v_fma_f32 v15, |v11|, v16, 0x3f528d33
	v_cndmask_b32_e64 v12, v12, v14, s5
	v_cndmask_b32_e64 v14, 0, 0x41b17218, s8
	v_fma_f32 v15, |v11|, v15, 0xbf13c468
	v_sub_f32_e32 v12, v12, v14
	v_fma_f32 v12, |v11|, v15, -v12
.LBB149_111:
	s_or_b32 exec_lo, exec_lo, s7
	v_cmp_le_f16_e64 s5, 0, v2
	s_mov_b32 s8, exec_lo
	v_cmpx_nle_f16_e32 0, v2
	s_xor_b32 s9, exec_lo, s8
	s_cbranch_execz .LBB149_115
; %bb.112:
	v_cmp_gt_f32_e64 s7, 0x4b000000, |v11|
	v_cmp_lt_f32_e64 s8, 0x35000000, |v11|
	s_and_b32 s7, s7, s8
	s_and_saveexec_b32 s10, s7
	s_cbranch_execz .LBB149_114
; %bb.113:
	v_mul_f32_e64 v14, |v11|, 0.5
	s_mov_b32 s8, 0x3d4be544
	v_xor_b32_e32 v13, v13, v11
	v_floor_f32_e32 v15, v14
	v_cmp_neq_f32_e64 s7, 0x7f800000, v14
	v_sub_f32_e32 v15, v14, v15
	v_min_f32_e32 v15, 0x3f7fffff, v15
	v_add_f32_e32 v15, v15, v15
	v_cndmask_b32_e64 v14, 0, v15, s7
	v_cmp_gt_f32_e64 s7, |v11|, 1.0
	v_cndmask_b32_e64 v14, |v11|, v14, s7
	s_mov_b32 s7, 0x3e75aa41
	v_add_f32_e32 v15, v14, v14
	v_rndne_f32_e32 v15, v15
	v_fmac_f32_e32 v14, -0.5, v15
	v_cvt_i32_f32_e32 v15, v15
	v_mul_f32_e32 v16, v14, v14
	v_fmaak_f32 v17, s7, v16, 0xbf1f24be
	v_fmaak_f32 v18, s8, v16, 0x3e642e9d
	v_mul_f32_e32 v19, v14, v16
	v_fmaak_f32 v17, v16, v17, 0x40234736
	v_fmaak_f32 v18, v16, v18, 0xbfaad1da
	v_fmaak_f32 v17, v16, v17, 0xc0a55e0e
	v_fmaak_f32 v18, v16, v18, 0x4081e0d3
	v_mul_f32_e32 v17, v19, v17
	v_fmaak_f32 v18, v16, v18, 0xc09de9e6
	v_and_b32_e32 v19, 1, v15
	v_lshlrev_b32_e32 v15, 30, v15
	v_fmamk_f32 v14, v14, 0x40490fdb, v17
	v_fma_f32 v16, v16, v18, 1.0
	v_cmp_eq_u32_e64 s7, 0, v19
	v_and_b32_e32 v15, 0x80000000, v15
	v_cndmask_b32_e64 v14, v16, v14, s7
	v_xor3_b32 v13, v13, v15, v14
	v_mul_f32_e32 v13, v11, v13
	v_frexp_mant_f32_e64 v14, |v13|
	v_frexp_exp_i32_f32_e32 v13, v13
	v_rcp_f32_e32 v14, v14
	v_sub_nc_u32_e32 v13, 2, v13
	v_mul_f32_e32 v14, 0x3f490fdb, v14
	v_ldexp_f32 v13, v14, v13
	v_cmp_gt_f32_e64 s7, 0x800000, v13
	v_cndmask_b32_e64 v14, 0, 32, s7
	v_ldexp_f32 v13, v13, v14
	v_log_f32_e32 v13, v13
	v_mul_f32_e32 v14, 0x3f317217, v13
	v_cmp_gt_f32_e64 s8, 0x7f800000, |v13|
	v_fma_f32 v15, 0x3f317217, v13, -v14
	v_fmamk_f32 v15, v13, 0x3377d1cf, v15
	v_add_f32_e32 v14, v14, v15
	v_floor_f32_e32 v15, v11
	v_cndmask_b32_e64 v13, v13, v14, s8
	v_cndmask_b32_e64 v14, 0, 0x41b17218, s7
	v_sub_f32_e32 v15, v11, v15
	v_sub_f32_e32 v13, v13, v14
	v_min_f32_e32 v14, 0x3f7fffff, v15
	v_sub_f32_e32 v12, v13, v12
	v_cmp_neq_f32_e64 s7, 0, v14
	v_cndmask_b32_e64 v12, 0x7f800000, v12, s7
.LBB149_114:
	s_or_b32 exec_lo, exec_lo, s10
.LBB149_115:
	s_andn2_saveexec_b32 s9, s9
; %bb.116:
	v_cmp_eq_f16_e64 s7, 1.0, v2
	v_cmp_eq_f16_e64 s8, 2.0, v2
	s_or_b32 s7, s7, s8
	v_cndmask_b32_e64 v12, v12, 0, s7
; %bb.117:
	s_or_b32 exec_lo, exec_lo, s9
	v_lshrrev_b32_e32 v13, 16, v2
                                        ; implicit-def: $vgpr15
	s_mov_b32 s8, exec_lo
	v_cvt_f32_f16_e32 v14, v13
	v_and_b32_e32 v16, 0x7fffffff, v14
	v_cmpx_ngt_f32_e64 0x3c800000, |v14|
	s_xor_b32 s9, exec_lo, s8
	s_cbranch_execz .LBB149_147
; %bb.118:
                                        ; implicit-def: $vgpr15
	s_mov_b32 s8, exec_lo
	v_cmpx_nlt_f32_e64 |v14|, 2.0
	s_xor_b32 s10, exec_lo, s8
	s_cbranch_execz .LBB149_128
; %bb.119:
	s_mov_b32 s8, exec_lo
                                        ; implicit-def: $vgpr15
	v_cmpx_ngt_f32_e64 0x41000000, |v14|
	s_xor_b32 s8, exec_lo, s8
	s_cbranch_execz .LBB149_125
; %bb.120:
	s_mov_b32 s11, exec_lo
                                        ; implicit-def: $vgpr15
	v_cmpx_ngt_f32_e64 0x5c800000, |v14|
	s_xor_b32 s11, exec_lo, s11
	s_cbranch_execz .LBB149_122
; %bb.121:
	v_cmp_gt_f32_e64 s12, 0x800000, |v14|
	v_cndmask_b32_e64 v15, 0, 32, s12
	v_ldexp_f32 v15, |v14|, v15
	v_log_f32_e32 v15, v15
	v_mul_f32_e32 v17, 0x3f317217, v15
	v_cmp_gt_f32_e64 s7, 0x7f800000, |v15|
	v_fma_f32 v18, 0x3f317217, v15, -v17
	v_fmamk_f32 v18, v15, 0x3377d1cf, v18
	v_add_f32_e32 v17, v17, v18
	v_cndmask_b32_e64 v15, v15, v17, s7
	v_cndmask_b32_e64 v17, 0, 0x41b17218, s12
	v_sub_f32_e32 v15, v15, v17
	v_fma_f32 v15, |v14|, v15, -|v14|
.LBB149_122:
	s_andn2_saveexec_b32 s11, s11
	s_cbranch_execz .LBB149_124
; %bb.123:
	v_cmp_gt_f32_e64 s12, 0x800000, |v14|
	v_rcp_f32_e64 v17, |v14|
	s_mov_b32 s7, 0xbad5c4e8
	v_cndmask_b32_e64 v15, 0, 32, s12
	v_ldexp_f32 v15, |v14|, v15
	v_mul_f32_e32 v18, v17, v17
	v_log_f32_e32 v15, v15
	v_fmaak_f32 v20, s7, v18, 0x3a5b3dd2
	v_fmaak_f32 v20, v18, v20, 0xba1c065c
	v_mul_f32_e32 v19, 0x3f317217, v15
	v_fmaak_f32 v20, v18, v20, 0x3a500cfd
	v_cmp_gt_f32_e64 s7, 0x7f800000, |v15|
	v_fma_f32 v21, 0x3f317217, v15, -v19
	v_fmaak_f32 v20, v18, v20, 0xbb360b61
	v_fmamk_f32 v21, v15, 0x3377d1cf, v21
	v_fmaak_f32 v18, v18, v20, 0x3daaaaab
	v_add_f32_e32 v19, v19, v21
	v_cndmask_b32_e64 v15, v15, v19, s7
	v_cndmask_b32_e64 v19, 0, 0x41b17218, s12
	v_sub_f32_e32 v19, v15, v19
	v_fmaak_f32 v15, v17, v18, 0x3ed67f1d
	v_add_f32_e64 v17, |v14|, -0.5
	v_add_f32_e32 v18, -1.0, v19
	v_fmac_f32_e32 v15, v17, v18
.LBB149_124:
	s_or_b32 exec_lo, exec_lo, s11
.LBB149_125:
	s_andn2_saveexec_b32 s11, s8
	s_cbranch_execz .LBB149_127
; %bb.126:
	v_cvt_i32_f32_e32 v15, v16
	s_mov_b32 s8, 0x3805ff67
	v_cvt_f32_i32_e32 v17, v15
	v_cmp_lt_i32_e64 s7, 2, v15
	v_sub_f32_e64 v17, |v14|, v17
	v_add_f32_e32 v18, 2.0, v17
	v_add_f32_e32 v19, 0x40400000, v17
	v_add_f32_e32 v20, 4.0, v17
	v_add_f32_e32 v21, 0x40a00000, v17
	v_cndmask_b32_e64 v18, 1.0, v18, s7
	v_cmp_lt_i32_e64 s7, 3, v15
	v_cndmask_b32_e64 v19, 1.0, v19, s7
	v_cmp_lt_i32_e64 s7, 4, v15
	v_mul_f32_e32 v18, v18, v19
	v_cndmask_b32_e64 v20, 1.0, v20, s7
	v_cmp_lt_i32_e64 s7, 5, v15
	v_add_f32_e32 v19, 0x40c00000, v17
	v_mul_f32_e32 v18, v20, v18
	v_cndmask_b32_e64 v21, 1.0, v21, s7
	v_cmp_lt_i32_e64 s7, 6, v15
	v_fmaak_f32 v20, s8, v17, 0x3af135b4
	v_mul_f32_e32 v18, v21, v18
	v_cndmask_b32_e64 v15, 1.0, v19, s7
	s_mov_b32 s7, 0x36f5d7bd
	v_mul_f32_e32 v15, v15, v18
	v_fmaak_f32 v18, s7, v17, 0x3a4beed6
	v_cmp_gt_f32_e64 s7, 0x800000, v15
	v_fmaak_f32 v18, v17, v18, 0x3c98bf54
	v_cndmask_b32_e64 v19, 0, 32, s7
	v_fmaak_f32 v18, v17, v18, 0x3e300f6e
	v_ldexp_f32 v15, v15, v19
	v_fmaak_f32 v19, v17, v20, 0x3cda40e4
	v_fmaak_f32 v18, v17, v18, 0x3f38d0c5
	v_log_f32_e32 v15, v15
	v_fmaak_f32 v19, v17, v19, 0x3e15dce6
	v_fmaak_f32 v18, v17, v18, 0x3fb22d3b
	;; [unrolled: 1-line block ×3, first 2 shown]
	v_fma_f32 v18, v17, v18, 1.0
	v_mul_f32_e32 v20, 0x3f317217, v15
	v_fmaak_f32 v19, v17, v19, 0x3e5c245a
	v_rcp_f32_e32 v18, v18
	v_cmp_gt_f32_e64 s8, 0x7f800000, |v15|
	v_fma_f32 v21, 0x3f317217, v15, -v20
	v_fmaak_f32 v19, v17, v19, 0xbd9e233f
	v_fmamk_f32 v21, v15, 0x3377d1cf, v21
	v_mul_f32_e32 v19, v17, v19
	v_add_f32_e32 v20, v20, v21
	v_mul_f32_e32 v18, v19, v18
	v_cndmask_b32_e64 v19, 0, 0x41b17218, s7
	v_cndmask_b32_e64 v15, v15, v20, s8
	v_fmac_f32_e32 v18, 0.5, v17
	v_sub_f32_e32 v15, v15, v19
	v_add_f32_e32 v15, v15, v18
.LBB149_127:
	s_or_b32 exec_lo, exec_lo, s11
.LBB149_128:
	s_andn2_saveexec_b32 s10, s10
	s_cbranch_execz .LBB149_146
; %bb.129:
                                        ; implicit-def: $vgpr15
                                        ; implicit-def: $vgpr18
                                        ; implicit-def: $vgpr17
	s_mov_b32 s8, exec_lo
	v_cmpx_ge_f32_e64 0x3f666666, |v14|
	s_xor_b32 s11, exec_lo, s8
	s_cbranch_execz .LBB149_131
; %bb.130:
	v_cmp_gt_f32_e64 s8, 0x800000, |v14|
	v_sub_f32_e64 v19, 1.0, |v14|
	v_cmp_gt_f32_e64 s7, 0x3f3b4a23, |v14|
	v_cndmask_b32_e64 v15, 0, 32, s8
	v_cndmask_b32_e64 v20, 0, 0x41b17218, s8
	v_ldexp_f32 v15, |v14|, v15
	v_log_f32_e32 v15, v15
	v_mul_f32_e32 v17, 0x3f317217, v15
	v_cmp_gt_f32_e64 s8, 0x7f800000, |v15|
	v_fma_f32 v18, 0x3f317217, v15, -v17
	v_fmamk_f32 v18, v15, 0x3377d1cf, v18
	v_add_f32_e32 v17, v17, v18
	v_add_f32_e64 v18, 0xbeec5b0c, |v14|
	v_cndmask_b32_e64 v15, v15, v17, s8
	v_cndmask_b32_e64 v17, v19, v18, s7
	;; [unrolled: 1-line block ×3, first 2 shown]
	v_cmp_gt_f32_e64 s7, 0x3e6d3309, |v14|
	v_sub_f32_e32 v15, v15, v20
	v_cndmask_b32_e64 v17, v17, |v14|, s7
	v_cndmask_b32_e64 v18, v18, 2, s7
	v_xor_b32_e32 v15, 0x80000000, v15
.LBB149_131:
	s_andn2_saveexec_b32 s8, s11
	s_cbranch_execz .LBB149_133
; %bb.132:
	v_sub_f32_e64 v15, 2.0, |v14|
	v_add_f32_e64 v17, 0xbfbb16c3, |v14|
	v_cmp_gt_f32_e64 s7, 0x3fdda512, |v14|
	v_add_f32_e64 v18, |v14|, -1.0
	v_cndmask_b32_e64 v17, v15, v17, s7
	v_cndmask_b32_e64 v15, v15, 1.0, s7
	v_cmp_gt_f32_e64 s7, 0x3f9d70a4, |v14|
	v_cvt_i32_f32_e32 v15, v15
	v_cndmask_b32_e64 v17, v17, v18, s7
	v_cndmask_b32_e64 v18, v15, 2, s7
	v_mov_b32_e32 v15, 0
.LBB149_133:
	s_or_b32 exec_lo, exec_lo, s8
	s_mov_b32 s8, exec_lo
	v_cmpx_lt_i32_e32 0, v18
	s_xor_b32 s8, exec_lo, s8
	s_cbranch_execz .LBB149_141
; %bb.134:
	s_mov_b32 s11, exec_lo
	v_cmpx_lt_i32_e32 1, v18
	s_xor_b32 s11, exec_lo, s11
	s_cbranch_execz .LBB149_138
; %bb.135:
	s_mov_b32 s12, exec_lo
	v_cmpx_eq_u32_e32 2, v18
	s_cbranch_execz .LBB149_137
; %bb.136:
	s_mov_b32 s7, 0x3b52d5db
	v_fmaak_f32 v18, s7, v17, 0x3dd572af
	s_mov_b32 s7, 0x3c5b3c5e
	v_fmaak_f32 v19, s7, v17, 0x3e6a7578
	v_fmaak_f32 v18, v17, v18, 0x3f44efdf
	;; [unrolled: 1-line block ×7, first 2 shown]
	v_fma_f32 v18, v17, v18, 1.0
	v_fmaak_f32 v19, v17, v19, 0xbd9e233f
	v_rcp_f32_e32 v18, v18
	v_mul_f32_e32 v19, v17, v19
	v_mul_f32_e32 v18, v19, v18
	v_fmac_f32_e32 v18, -0.5, v17
	v_add_f32_e32 v15, v15, v18
.LBB149_137:
	s_or_b32 exec_lo, exec_lo, s12
                                        ; implicit-def: $vgpr17
.LBB149_138:
	s_andn2_saveexec_b32 s7, s11
	s_cbranch_execz .LBB149_140
; %bb.139:
	v_mul_f32_e32 v18, v17, v17
	s_mov_b32 s11, 0xb9a3f927
	s_mov_b32 s12, 0x39afe9f7
	v_mul_f32_e32 v19, v17, v18
	v_fmaak_f32 v20, s11, v19, 0x3a66f867
	v_fmaak_f32 v21, s12, v19, 0xba0d3085
	s_mov_b32 s11, 0x39a57b6b
	v_fmaak_f32 v22, s11, v19, 0xbab7f476
	v_fmaak_f32 v20, v19, v20, 0xbb7177fe
	;; [unrolled: 1-line block ×9, first 2 shown]
	v_fmac_f32_e32 v20, v17, v21
	v_fmaak_f32 v17, v19, v22, 0x3ef7b95e
	v_fma_f32 v19, v19, -v20, 0xa2863e55
	v_fma_f32 v17, v18, v17, -v19
	v_add_f32_e32 v17, 0xbdf8cdce, v17
	v_add_f32_e32 v15, v15, v17
.LBB149_140:
	s_or_b32 exec_lo, exec_lo, s7
                                        ; implicit-def: $vgpr18
                                        ; implicit-def: $vgpr17
.LBB149_141:
	s_andn2_saveexec_b32 s8, s8
	s_cbranch_execz .LBB149_145
; %bb.142:
	s_mov_b32 s11, exec_lo
	v_cmpx_eq_u32_e32 0, v18
	s_cbranch_execz .LBB149_144
; %bb.143:
	v_mul_f32_e32 v18, v17, v17
	s_mov_b32 s7, 0x383c2c75
	v_fmaak_f32 v19, s7, v18, 0x38e28445
	s_mov_b32 s7, 0x37d383a2
	v_fmaak_f32 v20, s7, v18, 0x39679767
	v_fmaak_f32 v19, v18, v19, 0x3a05b634
	;; [unrolled: 1-line block ×9, first 2 shown]
	v_mul_f32_e32 v18, v18, v19
	v_fmac_f32_e32 v18, v17, v20
	v_fmac_f32_e32 v18, -0.5, v17
	v_add_f32_e32 v15, v15, v18
.LBB149_144:
	s_or_b32 exec_lo, exec_lo, s11
.LBB149_145:
	s_or_b32 exec_lo, exec_lo, s8
.LBB149_146:
	s_or_b32 exec_lo, exec_lo, s10
.LBB149_147:
	s_andn2_saveexec_b32 s8, s9
	s_cbranch_execz .LBB149_149
; %bb.148:
	v_cmp_gt_f32_e64 s9, 0x800000, |v14|
	s_mov_b32 s7, 0x3e8a8991
	v_fma_f32 v19, |v14|, s7, 0xbecd26ab
	v_cndmask_b32_e64 v15, 0, 32, s9
	v_ldexp_f32 v15, |v14|, v15
	v_log_f32_e32 v15, v15
	v_mul_f32_e32 v17, 0x3f317217, v15
	v_cmp_gt_f32_e64 s7, 0x7f800000, |v15|
	v_fma_f32 v18, 0x3f317217, v15, -v17
	v_fmamk_f32 v18, v15, 0x3377d1cf, v18
	v_add_f32_e32 v17, v17, v18
	v_fma_f32 v18, |v14|, v19, 0x3f528d33
	v_cndmask_b32_e64 v15, v15, v17, s7
	v_cndmask_b32_e64 v17, 0, 0x41b17218, s9
	v_fma_f32 v18, |v14|, v18, 0xbf13c468
	v_sub_f32_e32 v15, v15, v17
	v_fma_f32 v15, |v14|, v18, -v15
.LBB149_149:
	s_or_b32 exec_lo, exec_lo, s8
	v_cmp_le_f16_e64 s7, 0, v13
	s_mov_b32 s9, exec_lo
	v_cmpx_nle_f16_e32 0, v13
	s_xor_b32 s10, exec_lo, s9
	s_cbranch_execz .LBB149_153
; %bb.150:
	v_cmp_gt_f32_e64 s8, 0x4b000000, |v14|
	v_cmp_lt_f32_e64 s9, 0x35000000, |v14|
	s_and_b32 s8, s8, s9
	s_and_saveexec_b32 s11, s8
	s_cbranch_execz .LBB149_152
; %bb.151:
	v_mul_f32_e64 v17, |v14|, 0.5
	s_mov_b32 s9, 0x3d4be544
	v_xor_b32_e32 v16, v16, v14
	v_floor_f32_e32 v18, v17
	v_cmp_neq_f32_e64 s8, 0x7f800000, v17
	v_sub_f32_e32 v18, v17, v18
	v_min_f32_e32 v18, 0x3f7fffff, v18
	v_add_f32_e32 v18, v18, v18
	v_cndmask_b32_e64 v17, 0, v18, s8
	v_cmp_gt_f32_e64 s8, |v14|, 1.0
	v_cndmask_b32_e64 v17, |v14|, v17, s8
	s_mov_b32 s8, 0x3e75aa41
	v_add_f32_e32 v18, v17, v17
	v_rndne_f32_e32 v18, v18
	v_fmac_f32_e32 v17, -0.5, v18
	v_cvt_i32_f32_e32 v18, v18
	v_mul_f32_e32 v19, v17, v17
	v_fmaak_f32 v20, s8, v19, 0xbf1f24be
	v_fmaak_f32 v21, s9, v19, 0x3e642e9d
	v_mul_f32_e32 v22, v17, v19
	v_fmaak_f32 v20, v19, v20, 0x40234736
	v_fmaak_f32 v21, v19, v21, 0xbfaad1da
	;; [unrolled: 1-line block ×4, first 2 shown]
	v_mul_f32_e32 v20, v22, v20
	v_fmaak_f32 v21, v19, v21, 0xc09de9e6
	v_and_b32_e32 v22, 1, v18
	v_lshlrev_b32_e32 v18, 30, v18
	v_fmamk_f32 v17, v17, 0x40490fdb, v20
	v_fma_f32 v19, v19, v21, 1.0
	v_cmp_eq_u32_e64 s8, 0, v22
	v_and_b32_e32 v18, 0x80000000, v18
	v_cndmask_b32_e64 v17, v19, v17, s8
	v_xor3_b32 v16, v16, v18, v17
	v_mul_f32_e32 v16, v14, v16
	v_frexp_mant_f32_e64 v17, |v16|
	v_frexp_exp_i32_f32_e32 v16, v16
	v_rcp_f32_e32 v17, v17
	v_sub_nc_u32_e32 v16, 2, v16
	v_mul_f32_e32 v17, 0x3f490fdb, v17
	v_ldexp_f32 v16, v17, v16
	v_cmp_gt_f32_e64 s8, 0x800000, v16
	v_cndmask_b32_e64 v17, 0, 32, s8
	v_ldexp_f32 v16, v16, v17
	v_log_f32_e32 v16, v16
	v_mul_f32_e32 v17, 0x3f317217, v16
	v_cmp_gt_f32_e64 s9, 0x7f800000, |v16|
	v_fma_f32 v18, 0x3f317217, v16, -v17
	v_fmamk_f32 v18, v16, 0x3377d1cf, v18
	v_add_f32_e32 v17, v17, v18
	v_floor_f32_e32 v18, v14
	v_cndmask_b32_e64 v16, v16, v17, s9
	v_cndmask_b32_e64 v17, 0, 0x41b17218, s8
	v_sub_f32_e32 v18, v14, v18
	v_sub_f32_e32 v16, v16, v17
	v_min_f32_e32 v17, 0x3f7fffff, v18
	v_sub_f32_e32 v15, v16, v15
	v_cmp_neq_f32_e64 s8, 0, v17
	v_cndmask_b32_e64 v15, 0x7f800000, v15, s8
.LBB149_152:
	s_or_b32 exec_lo, exec_lo, s11
.LBB149_153:
	s_andn2_saveexec_b32 s10, s10
; %bb.154:
	v_cmp_eq_f16_e64 s8, 1.0, v13
	v_cmp_eq_f16_e64 s9, 2.0, v13
	s_or_b32 s8, s8, s9
	v_cndmask_b32_e64 v15, v15, 0, s8
; %bb.155:
	s_or_b32 exec_lo, exec_lo, s10
	s_waitcnt vmcnt(0)
	v_cvt_f32_f16_e32 v16, v3
                                        ; implicit-def: $vgpr17
	s_mov_b32 s9, exec_lo
	v_and_b32_e32 v18, 0x7fffffff, v16
	v_cmpx_ngt_f32_e64 0x3c800000, |v16|
	s_xor_b32 s10, exec_lo, s9
	s_cbranch_execz .LBB149_185
; %bb.156:
                                        ; implicit-def: $vgpr17
	s_mov_b32 s9, exec_lo
	v_cmpx_nlt_f32_e64 |v16|, 2.0
	s_xor_b32 s11, exec_lo, s9
	s_cbranch_execz .LBB149_166
; %bb.157:
	s_mov_b32 s9, exec_lo
                                        ; implicit-def: $vgpr17
	v_cmpx_ngt_f32_e64 0x41000000, |v16|
	s_xor_b32 s9, exec_lo, s9
	s_cbranch_execz .LBB149_163
; %bb.158:
	s_mov_b32 s12, exec_lo
                                        ; implicit-def: $vgpr17
	v_cmpx_ngt_f32_e64 0x5c800000, |v16|
	s_xor_b32 s12, exec_lo, s12
	s_cbranch_execz .LBB149_160
; %bb.159:
	v_cmp_gt_f32_e64 s13, 0x800000, |v16|
	v_cndmask_b32_e64 v17, 0, 32, s13
	v_ldexp_f32 v17, |v16|, v17
	v_log_f32_e32 v17, v17
	v_mul_f32_e32 v19, 0x3f317217, v17
	v_cmp_gt_f32_e64 s8, 0x7f800000, |v17|
	v_fma_f32 v20, 0x3f317217, v17, -v19
	v_fmamk_f32 v20, v17, 0x3377d1cf, v20
	v_add_f32_e32 v19, v19, v20
	v_cndmask_b32_e64 v17, v17, v19, s8
	v_cndmask_b32_e64 v19, 0, 0x41b17218, s13
	v_sub_f32_e32 v17, v17, v19
	v_fma_f32 v17, |v16|, v17, -|v16|
.LBB149_160:
	s_andn2_saveexec_b32 s12, s12
	s_cbranch_execz .LBB149_162
; %bb.161:
	v_cmp_gt_f32_e64 s13, 0x800000, |v16|
	v_rcp_f32_e64 v19, |v16|
	s_mov_b32 s8, 0xbad5c4e8
	v_cndmask_b32_e64 v17, 0, 32, s13
	v_ldexp_f32 v17, |v16|, v17
	v_mul_f32_e32 v20, v19, v19
	v_log_f32_e32 v17, v17
	v_fmaak_f32 v22, s8, v20, 0x3a5b3dd2
	v_fmaak_f32 v22, v20, v22, 0xba1c065c
	v_mul_f32_e32 v21, 0x3f317217, v17
	v_fmaak_f32 v22, v20, v22, 0x3a500cfd
	v_cmp_gt_f32_e64 s8, 0x7f800000, |v17|
	v_fma_f32 v23, 0x3f317217, v17, -v21
	v_fmaak_f32 v22, v20, v22, 0xbb360b61
	v_fmamk_f32 v23, v17, 0x3377d1cf, v23
	v_fmaak_f32 v20, v20, v22, 0x3daaaaab
	v_add_f32_e32 v21, v21, v23
	v_cndmask_b32_e64 v17, v17, v21, s8
	v_cndmask_b32_e64 v21, 0, 0x41b17218, s13
	v_sub_f32_e32 v21, v17, v21
	v_fmaak_f32 v17, v19, v20, 0x3ed67f1d
	v_add_f32_e64 v19, |v16|, -0.5
	v_add_f32_e32 v20, -1.0, v21
	v_fmac_f32_e32 v17, v19, v20
.LBB149_162:
	s_or_b32 exec_lo, exec_lo, s12
.LBB149_163:
	s_andn2_saveexec_b32 s12, s9
	s_cbranch_execz .LBB149_165
; %bb.164:
	v_cvt_i32_f32_e32 v17, v18
	s_mov_b32 s9, 0x3805ff67
	v_cvt_f32_i32_e32 v19, v17
	v_cmp_lt_i32_e64 s8, 2, v17
	v_sub_f32_e64 v19, |v16|, v19
	v_add_f32_e32 v20, 2.0, v19
	v_add_f32_e32 v21, 0x40400000, v19
	v_add_f32_e32 v22, 4.0, v19
	v_add_f32_e32 v23, 0x40a00000, v19
	v_cndmask_b32_e64 v20, 1.0, v20, s8
	v_cmp_lt_i32_e64 s8, 3, v17
	v_cndmask_b32_e64 v21, 1.0, v21, s8
	v_cmp_lt_i32_e64 s8, 4, v17
	v_mul_f32_e32 v20, v20, v21
	v_cndmask_b32_e64 v22, 1.0, v22, s8
	v_cmp_lt_i32_e64 s8, 5, v17
	v_add_f32_e32 v21, 0x40c00000, v19
	v_mul_f32_e32 v20, v22, v20
	v_cndmask_b32_e64 v23, 1.0, v23, s8
	v_cmp_lt_i32_e64 s8, 6, v17
	v_fmaak_f32 v22, s9, v19, 0x3af135b4
	v_mul_f32_e32 v20, v23, v20
	v_cndmask_b32_e64 v17, 1.0, v21, s8
	s_mov_b32 s8, 0x36f5d7bd
	v_mul_f32_e32 v17, v17, v20
	v_fmaak_f32 v20, s8, v19, 0x3a4beed6
	v_cmp_gt_f32_e64 s8, 0x800000, v17
	v_fmaak_f32 v20, v19, v20, 0x3c98bf54
	v_cndmask_b32_e64 v21, 0, 32, s8
	v_fmaak_f32 v20, v19, v20, 0x3e300f6e
	v_ldexp_f32 v17, v17, v21
	v_fmaak_f32 v21, v19, v22, 0x3cda40e4
	v_fmaak_f32 v20, v19, v20, 0x3f38d0c5
	v_log_f32_e32 v17, v17
	v_fmaak_f32 v21, v19, v21, 0x3e15dce6
	v_fmaak_f32 v20, v19, v20, 0x3fb22d3b
	;; [unrolled: 1-line block ×3, first 2 shown]
	v_fma_f32 v20, v19, v20, 1.0
	v_mul_f32_e32 v22, 0x3f317217, v17
	v_fmaak_f32 v21, v19, v21, 0x3e5c245a
	v_rcp_f32_e32 v20, v20
	v_cmp_gt_f32_e64 s9, 0x7f800000, |v17|
	v_fma_f32 v23, 0x3f317217, v17, -v22
	v_fmaak_f32 v21, v19, v21, 0xbd9e233f
	v_fmamk_f32 v23, v17, 0x3377d1cf, v23
	v_mul_f32_e32 v21, v19, v21
	v_add_f32_e32 v22, v22, v23
	v_mul_f32_e32 v20, v21, v20
	v_cndmask_b32_e64 v21, 0, 0x41b17218, s8
	v_cndmask_b32_e64 v17, v17, v22, s9
	v_fmac_f32_e32 v20, 0.5, v19
	v_sub_f32_e32 v17, v17, v21
	v_add_f32_e32 v17, v17, v20
.LBB149_165:
	s_or_b32 exec_lo, exec_lo, s12
.LBB149_166:
	s_andn2_saveexec_b32 s11, s11
	s_cbranch_execz .LBB149_184
; %bb.167:
                                        ; implicit-def: $vgpr17
                                        ; implicit-def: $vgpr20
                                        ; implicit-def: $vgpr19
	s_mov_b32 s9, exec_lo
	v_cmpx_ge_f32_e64 0x3f666666, |v16|
	s_xor_b32 s12, exec_lo, s9
	s_cbranch_execz .LBB149_169
; %bb.168:
	v_cmp_gt_f32_e64 s9, 0x800000, |v16|
	v_sub_f32_e64 v21, 1.0, |v16|
	v_cmp_gt_f32_e64 s8, 0x3f3b4a23, |v16|
	v_cndmask_b32_e64 v17, 0, 32, s9
	v_cndmask_b32_e64 v22, 0, 0x41b17218, s9
	v_ldexp_f32 v17, |v16|, v17
	v_log_f32_e32 v17, v17
	v_mul_f32_e32 v19, 0x3f317217, v17
	v_cmp_gt_f32_e64 s9, 0x7f800000, |v17|
	v_fma_f32 v20, 0x3f317217, v17, -v19
	v_fmamk_f32 v20, v17, 0x3377d1cf, v20
	v_add_f32_e32 v19, v19, v20
	v_add_f32_e64 v20, 0xbeec5b0c, |v16|
	v_cndmask_b32_e64 v17, v17, v19, s9
	v_cndmask_b32_e64 v19, v21, v20, s8
	;; [unrolled: 1-line block ×3, first 2 shown]
	v_cmp_gt_f32_e64 s8, 0x3e6d3309, |v16|
	v_sub_f32_e32 v17, v17, v22
	v_cndmask_b32_e64 v19, v19, |v16|, s8
	v_cndmask_b32_e64 v20, v20, 2, s8
	v_xor_b32_e32 v17, 0x80000000, v17
.LBB149_169:
	s_andn2_saveexec_b32 s9, s12
	s_cbranch_execz .LBB149_171
; %bb.170:
	v_sub_f32_e64 v17, 2.0, |v16|
	v_add_f32_e64 v19, 0xbfbb16c3, |v16|
	v_cmp_gt_f32_e64 s8, 0x3fdda512, |v16|
	v_add_f32_e64 v20, |v16|, -1.0
	v_cndmask_b32_e64 v19, v17, v19, s8
	v_cndmask_b32_e64 v17, v17, 1.0, s8
	v_cmp_gt_f32_e64 s8, 0x3f9d70a4, |v16|
	v_cvt_i32_f32_e32 v17, v17
	v_cndmask_b32_e64 v19, v19, v20, s8
	v_cndmask_b32_e64 v20, v17, 2, s8
	v_mov_b32_e32 v17, 0
.LBB149_171:
	s_or_b32 exec_lo, exec_lo, s9
	s_mov_b32 s9, exec_lo
	v_cmpx_lt_i32_e32 0, v20
	s_xor_b32 s9, exec_lo, s9
	s_cbranch_execz .LBB149_179
; %bb.172:
	s_mov_b32 s12, exec_lo
	v_cmpx_lt_i32_e32 1, v20
	s_xor_b32 s12, exec_lo, s12
	s_cbranch_execz .LBB149_176
; %bb.173:
	s_mov_b32 s13, exec_lo
	v_cmpx_eq_u32_e32 2, v20
	s_cbranch_execz .LBB149_175
; %bb.174:
	s_mov_b32 s8, 0x3b52d5db
	v_fmaak_f32 v20, s8, v19, 0x3dd572af
	s_mov_b32 s8, 0x3c5b3c5e
	v_fmaak_f32 v21, s8, v19, 0x3e6a7578
	v_fmaak_f32 v20, v19, v20, 0x3f44efdf
	;; [unrolled: 1-line block ×7, first 2 shown]
	v_fma_f32 v20, v19, v20, 1.0
	v_fmaak_f32 v21, v19, v21, 0xbd9e233f
	v_rcp_f32_e32 v20, v20
	v_mul_f32_e32 v21, v19, v21
	v_mul_f32_e32 v20, v21, v20
	v_fmac_f32_e32 v20, -0.5, v19
	v_add_f32_e32 v17, v17, v20
.LBB149_175:
	s_or_b32 exec_lo, exec_lo, s13
                                        ; implicit-def: $vgpr19
.LBB149_176:
	s_andn2_saveexec_b32 s8, s12
	s_cbranch_execz .LBB149_178
; %bb.177:
	v_mul_f32_e32 v20, v19, v19
	s_mov_b32 s12, 0xb9a3f927
	s_mov_b32 s13, 0x39afe9f7
	v_mul_f32_e32 v21, v19, v20
	v_fmaak_f32 v22, s12, v21, 0x3a66f867
	v_fmaak_f32 v23, s13, v21, 0xba0d3085
	s_mov_b32 s12, 0x39a57b6b
	v_fmaak_f32 v24, s12, v21, 0xbab7f476
	v_fmaak_f32 v22, v21, v22, 0xbb7177fe
	;; [unrolled: 1-line block ×9, first 2 shown]
	v_fmac_f32_e32 v22, v19, v23
	v_fmaak_f32 v19, v21, v24, 0x3ef7b95e
	v_fma_f32 v21, v21, -v22, 0xa2863e55
	v_fma_f32 v19, v20, v19, -v21
	v_add_f32_e32 v19, 0xbdf8cdce, v19
	v_add_f32_e32 v17, v17, v19
.LBB149_178:
	s_or_b32 exec_lo, exec_lo, s8
                                        ; implicit-def: $vgpr20
                                        ; implicit-def: $vgpr19
.LBB149_179:
	s_andn2_saveexec_b32 s9, s9
	s_cbranch_execz .LBB149_183
; %bb.180:
	s_mov_b32 s12, exec_lo
	v_cmpx_eq_u32_e32 0, v20
	s_cbranch_execz .LBB149_182
; %bb.181:
	v_mul_f32_e32 v20, v19, v19
	s_mov_b32 s8, 0x383c2c75
	v_fmaak_f32 v21, s8, v20, 0x38e28445
	s_mov_b32 s8, 0x37d383a2
	v_fmaak_f32 v22, s8, v20, 0x39679767
	v_fmaak_f32 v21, v20, v21, 0x3a05b634
	;; [unrolled: 1-line block ×9, first 2 shown]
	v_mul_f32_e32 v20, v20, v21
	v_fmac_f32_e32 v20, v19, v22
	v_fmac_f32_e32 v20, -0.5, v19
	v_add_f32_e32 v17, v17, v20
.LBB149_182:
	s_or_b32 exec_lo, exec_lo, s12
.LBB149_183:
	s_or_b32 exec_lo, exec_lo, s9
.LBB149_184:
	s_or_b32 exec_lo, exec_lo, s11
.LBB149_185:
	s_andn2_saveexec_b32 s9, s10
	s_cbranch_execz .LBB149_187
; %bb.186:
	v_cmp_gt_f32_e64 s10, 0x800000, |v16|
	s_mov_b32 s8, 0x3e8a8991
	v_fma_f32 v21, |v16|, s8, 0xbecd26ab
	v_cndmask_b32_e64 v17, 0, 32, s10
	v_ldexp_f32 v17, |v16|, v17
	v_log_f32_e32 v17, v17
	v_mul_f32_e32 v19, 0x3f317217, v17
	v_cmp_gt_f32_e64 s8, 0x7f800000, |v17|
	v_fma_f32 v20, 0x3f317217, v17, -v19
	v_fmamk_f32 v20, v17, 0x3377d1cf, v20
	v_add_f32_e32 v19, v19, v20
	v_fma_f32 v20, |v16|, v21, 0x3f528d33
	v_cndmask_b32_e64 v17, v17, v19, s8
	v_cndmask_b32_e64 v19, 0, 0x41b17218, s10
	v_fma_f32 v20, |v16|, v20, 0xbf13c468
	v_sub_f32_e32 v17, v17, v19
	v_fma_f32 v17, |v16|, v20, -v17
.LBB149_187:
	s_or_b32 exec_lo, exec_lo, s9
	v_cmp_le_f16_e64 s8, 0, v3
	s_mov_b32 s10, exec_lo
	v_cmpx_nle_f16_e32 0, v3
	s_xor_b32 s11, exec_lo, s10
	s_cbranch_execz .LBB149_191
; %bb.188:
	v_cmp_gt_f32_e64 s9, 0x4b000000, |v16|
	v_cmp_lt_f32_e64 s10, 0x35000000, |v16|
	s_and_b32 s9, s9, s10
	s_and_saveexec_b32 s12, s9
	s_cbranch_execz .LBB149_190
; %bb.189:
	v_mul_f32_e64 v19, |v16|, 0.5
	s_mov_b32 s10, 0x3d4be544
	v_xor_b32_e32 v18, v18, v16
	v_floor_f32_e32 v20, v19
	v_cmp_neq_f32_e64 s9, 0x7f800000, v19
	v_sub_f32_e32 v20, v19, v20
	v_min_f32_e32 v20, 0x3f7fffff, v20
	v_add_f32_e32 v20, v20, v20
	v_cndmask_b32_e64 v19, 0, v20, s9
	v_cmp_gt_f32_e64 s9, |v16|, 1.0
	v_cndmask_b32_e64 v19, |v16|, v19, s9
	s_mov_b32 s9, 0x3e75aa41
	v_add_f32_e32 v20, v19, v19
	v_rndne_f32_e32 v20, v20
	v_fmac_f32_e32 v19, -0.5, v20
	v_cvt_i32_f32_e32 v20, v20
	v_mul_f32_e32 v21, v19, v19
	v_fmaak_f32 v22, s9, v21, 0xbf1f24be
	v_fmaak_f32 v23, s10, v21, 0x3e642e9d
	v_mul_f32_e32 v24, v19, v21
	v_fmaak_f32 v22, v21, v22, 0x40234736
	v_fmaak_f32 v23, v21, v23, 0xbfaad1da
	;; [unrolled: 1-line block ×4, first 2 shown]
	v_mul_f32_e32 v22, v24, v22
	v_fmaak_f32 v23, v21, v23, 0xc09de9e6
	v_and_b32_e32 v24, 1, v20
	v_lshlrev_b32_e32 v20, 30, v20
	v_fmamk_f32 v19, v19, 0x40490fdb, v22
	v_fma_f32 v21, v21, v23, 1.0
	v_cmp_eq_u32_e64 s9, 0, v24
	v_and_b32_e32 v20, 0x80000000, v20
	v_cndmask_b32_e64 v19, v21, v19, s9
	v_xor3_b32 v18, v18, v20, v19
	v_mul_f32_e32 v18, v16, v18
	v_frexp_mant_f32_e64 v19, |v18|
	v_frexp_exp_i32_f32_e32 v18, v18
	v_rcp_f32_e32 v19, v19
	v_sub_nc_u32_e32 v18, 2, v18
	v_mul_f32_e32 v19, 0x3f490fdb, v19
	v_ldexp_f32 v18, v19, v18
	v_cmp_gt_f32_e64 s9, 0x800000, v18
	v_cndmask_b32_e64 v19, 0, 32, s9
	v_ldexp_f32 v18, v18, v19
	v_log_f32_e32 v18, v18
	v_mul_f32_e32 v19, 0x3f317217, v18
	v_cmp_gt_f32_e64 s10, 0x7f800000, |v18|
	v_fma_f32 v20, 0x3f317217, v18, -v19
	v_fmamk_f32 v20, v18, 0x3377d1cf, v20
	v_add_f32_e32 v19, v19, v20
	v_floor_f32_e32 v20, v16
	v_cndmask_b32_e64 v18, v18, v19, s10
	v_cndmask_b32_e64 v19, 0, 0x41b17218, s9
	v_sub_f32_e32 v20, v16, v20
	v_sub_f32_e32 v18, v18, v19
	v_min_f32_e32 v19, 0x3f7fffff, v20
	v_sub_f32_e32 v17, v18, v17
	v_cmp_neq_f32_e64 s9, 0, v19
	v_cndmask_b32_e64 v17, 0x7f800000, v17, s9
.LBB149_190:
	s_or_b32 exec_lo, exec_lo, s12
.LBB149_191:
	s_andn2_saveexec_b32 s11, s11
; %bb.192:
	v_cmp_eq_f16_e64 s9, 1.0, v3
	v_cmp_eq_f16_e64 s10, 2.0, v3
	s_or_b32 s9, s9, s10
	v_cndmask_b32_e64 v17, v17, 0, s9
; %bb.193:
	s_or_b32 exec_lo, exec_lo, s11
	v_lshrrev_b32_e32 v18, 16, v3
                                        ; implicit-def: $vgpr20
	s_mov_b32 s10, exec_lo
	v_cvt_f32_f16_e32 v19, v18
	v_and_b32_e32 v21, 0x7fffffff, v19
	v_cmpx_ngt_f32_e64 0x3c800000, |v19|
	s_xor_b32 s11, exec_lo, s10
	s_cbranch_execz .LBB149_223
; %bb.194:
                                        ; implicit-def: $vgpr20
	s_mov_b32 s10, exec_lo
	v_cmpx_nlt_f32_e64 |v19|, 2.0
	s_xor_b32 s12, exec_lo, s10
	s_cbranch_execz .LBB149_204
; %bb.195:
	s_mov_b32 s10, exec_lo
                                        ; implicit-def: $vgpr20
	v_cmpx_ngt_f32_e64 0x41000000, |v19|
	s_xor_b32 s10, exec_lo, s10
	s_cbranch_execz .LBB149_201
; %bb.196:
	s_mov_b32 s13, exec_lo
                                        ; implicit-def: $vgpr20
	v_cmpx_ngt_f32_e64 0x5c800000, |v19|
	s_xor_b32 s13, exec_lo, s13
	s_cbranch_execz .LBB149_198
; %bb.197:
	v_cmp_gt_f32_e64 s21, 0x800000, |v19|
	v_cndmask_b32_e64 v20, 0, 32, s21
	v_ldexp_f32 v20, |v19|, v20
	v_log_f32_e32 v20, v20
	v_mul_f32_e32 v22, 0x3f317217, v20
	v_cmp_gt_f32_e64 s9, 0x7f800000, |v20|
	v_fma_f32 v23, 0x3f317217, v20, -v22
	v_fmamk_f32 v23, v20, 0x3377d1cf, v23
	v_add_f32_e32 v22, v22, v23
	v_cndmask_b32_e64 v20, v20, v22, s9
	v_cndmask_b32_e64 v22, 0, 0x41b17218, s21
	v_sub_f32_e32 v20, v20, v22
	v_fma_f32 v20, |v19|, v20, -|v19|
.LBB149_198:
	s_andn2_saveexec_b32 s13, s13
	s_cbranch_execz .LBB149_200
; %bb.199:
	v_cmp_gt_f32_e64 s21, 0x800000, |v19|
	v_rcp_f32_e64 v22, |v19|
	s_mov_b32 s9, 0xbad5c4e8
	v_cndmask_b32_e64 v20, 0, 32, s21
	v_ldexp_f32 v20, |v19|, v20
	v_mul_f32_e32 v23, v22, v22
	v_log_f32_e32 v20, v20
	v_fmaak_f32 v25, s9, v23, 0x3a5b3dd2
	v_fmaak_f32 v25, v23, v25, 0xba1c065c
	v_mul_f32_e32 v24, 0x3f317217, v20
	v_fmaak_f32 v25, v23, v25, 0x3a500cfd
	v_cmp_gt_f32_e64 s9, 0x7f800000, |v20|
	v_fma_f32 v26, 0x3f317217, v20, -v24
	v_fmaak_f32 v25, v23, v25, 0xbb360b61
	v_fmamk_f32 v26, v20, 0x3377d1cf, v26
	v_fmaak_f32 v23, v23, v25, 0x3daaaaab
	v_add_f32_e32 v24, v24, v26
	v_cndmask_b32_e64 v20, v20, v24, s9
	v_cndmask_b32_e64 v24, 0, 0x41b17218, s21
	v_sub_f32_e32 v24, v20, v24
	v_fmaak_f32 v20, v22, v23, 0x3ed67f1d
	v_add_f32_e64 v22, |v19|, -0.5
	v_add_f32_e32 v23, -1.0, v24
	v_fmac_f32_e32 v20, v22, v23
.LBB149_200:
	s_or_b32 exec_lo, exec_lo, s13
.LBB149_201:
	s_andn2_saveexec_b32 s13, s10
	s_cbranch_execz .LBB149_203
; %bb.202:
	v_cvt_i32_f32_e32 v20, v21
	s_mov_b32 s10, 0x3805ff67
	v_cvt_f32_i32_e32 v22, v20
	v_cmp_lt_i32_e64 s9, 2, v20
	v_sub_f32_e64 v22, |v19|, v22
	v_add_f32_e32 v23, 2.0, v22
	v_add_f32_e32 v24, 0x40400000, v22
	v_add_f32_e32 v25, 4.0, v22
	v_add_f32_e32 v26, 0x40a00000, v22
	v_cndmask_b32_e64 v23, 1.0, v23, s9
	v_cmp_lt_i32_e64 s9, 3, v20
	v_cndmask_b32_e64 v24, 1.0, v24, s9
	v_cmp_lt_i32_e64 s9, 4, v20
	v_mul_f32_e32 v23, v23, v24
	v_cndmask_b32_e64 v25, 1.0, v25, s9
	v_cmp_lt_i32_e64 s9, 5, v20
	v_add_f32_e32 v24, 0x40c00000, v22
	v_mul_f32_e32 v23, v25, v23
	v_cndmask_b32_e64 v26, 1.0, v26, s9
	v_cmp_lt_i32_e64 s9, 6, v20
	v_fmaak_f32 v25, s10, v22, 0x3af135b4
	v_mul_f32_e32 v23, v26, v23
	v_cndmask_b32_e64 v20, 1.0, v24, s9
	s_mov_b32 s9, 0x36f5d7bd
	v_mul_f32_e32 v20, v20, v23
	v_fmaak_f32 v23, s9, v22, 0x3a4beed6
	v_cmp_gt_f32_e64 s9, 0x800000, v20
	v_fmaak_f32 v23, v22, v23, 0x3c98bf54
	v_cndmask_b32_e64 v24, 0, 32, s9
	v_fmaak_f32 v23, v22, v23, 0x3e300f6e
	v_ldexp_f32 v20, v20, v24
	v_fmaak_f32 v24, v22, v25, 0x3cda40e4
	v_fmaak_f32 v23, v22, v23, 0x3f38d0c5
	v_log_f32_e32 v20, v20
	v_fmaak_f32 v24, v22, v24, 0x3e15dce6
	v_fmaak_f32 v23, v22, v23, 0x3fb22d3b
	;; [unrolled: 1-line block ×3, first 2 shown]
	v_fma_f32 v23, v22, v23, 1.0
	v_mul_f32_e32 v25, 0x3f317217, v20
	v_fmaak_f32 v24, v22, v24, 0x3e5c245a
	v_rcp_f32_e32 v23, v23
	v_cmp_gt_f32_e64 s10, 0x7f800000, |v20|
	v_fma_f32 v26, 0x3f317217, v20, -v25
	v_fmaak_f32 v24, v22, v24, 0xbd9e233f
	v_fmamk_f32 v26, v20, 0x3377d1cf, v26
	v_mul_f32_e32 v24, v22, v24
	v_add_f32_e32 v25, v25, v26
	v_mul_f32_e32 v23, v24, v23
	v_cndmask_b32_e64 v24, 0, 0x41b17218, s9
	v_cndmask_b32_e64 v20, v20, v25, s10
	v_fmac_f32_e32 v23, 0.5, v22
	v_sub_f32_e32 v20, v20, v24
	v_add_f32_e32 v20, v20, v23
.LBB149_203:
	s_or_b32 exec_lo, exec_lo, s13
.LBB149_204:
	s_andn2_saveexec_b32 s12, s12
	s_cbranch_execz .LBB149_222
; %bb.205:
                                        ; implicit-def: $vgpr20
                                        ; implicit-def: $vgpr23
                                        ; implicit-def: $vgpr22
	s_mov_b32 s10, exec_lo
	v_cmpx_ge_f32_e64 0x3f666666, |v19|
	s_xor_b32 s13, exec_lo, s10
	s_cbranch_execz .LBB149_207
; %bb.206:
	v_cmp_gt_f32_e64 s10, 0x800000, |v19|
	v_sub_f32_e64 v24, 1.0, |v19|
	v_cmp_gt_f32_e64 s9, 0x3f3b4a23, |v19|
	v_cndmask_b32_e64 v20, 0, 32, s10
	v_cndmask_b32_e64 v25, 0, 0x41b17218, s10
	v_ldexp_f32 v20, |v19|, v20
	v_log_f32_e32 v20, v20
	v_mul_f32_e32 v22, 0x3f317217, v20
	v_cmp_gt_f32_e64 s10, 0x7f800000, |v20|
	v_fma_f32 v23, 0x3f317217, v20, -v22
	v_fmamk_f32 v23, v20, 0x3377d1cf, v23
	v_add_f32_e32 v22, v22, v23
	v_add_f32_e64 v23, 0xbeec5b0c, |v19|
	v_cndmask_b32_e64 v20, v20, v22, s10
	v_cndmask_b32_e64 v22, v24, v23, s9
	;; [unrolled: 1-line block ×3, first 2 shown]
	v_cmp_gt_f32_e64 s9, 0x3e6d3309, |v19|
	v_sub_f32_e32 v20, v20, v25
	v_cndmask_b32_e64 v22, v22, |v19|, s9
	v_cndmask_b32_e64 v23, v23, 2, s9
	v_xor_b32_e32 v20, 0x80000000, v20
.LBB149_207:
	s_andn2_saveexec_b32 s10, s13
	s_cbranch_execz .LBB149_209
; %bb.208:
	v_sub_f32_e64 v20, 2.0, |v19|
	v_add_f32_e64 v22, 0xbfbb16c3, |v19|
	v_cmp_gt_f32_e64 s9, 0x3fdda512, |v19|
	v_add_f32_e64 v23, |v19|, -1.0
	v_cndmask_b32_e64 v22, v20, v22, s9
	v_cndmask_b32_e64 v20, v20, 1.0, s9
	v_cmp_gt_f32_e64 s9, 0x3f9d70a4, |v19|
	v_cvt_i32_f32_e32 v20, v20
	v_cndmask_b32_e64 v22, v22, v23, s9
	v_cndmask_b32_e64 v23, v20, 2, s9
	v_mov_b32_e32 v20, 0
.LBB149_209:
	s_or_b32 exec_lo, exec_lo, s10
	s_mov_b32 s10, exec_lo
	v_cmpx_lt_i32_e32 0, v23
	s_xor_b32 s10, exec_lo, s10
	s_cbranch_execz .LBB149_217
; %bb.210:
	s_mov_b32 s13, exec_lo
	v_cmpx_lt_i32_e32 1, v23
	s_xor_b32 s13, exec_lo, s13
	s_cbranch_execz .LBB149_214
; %bb.211:
	s_mov_b32 s21, exec_lo
	v_cmpx_eq_u32_e32 2, v23
	s_cbranch_execz .LBB149_213
; %bb.212:
	s_mov_b32 s9, 0x3b52d5db
	v_fmaak_f32 v23, s9, v22, 0x3dd572af
	s_mov_b32 s9, 0x3c5b3c5e
	v_fmaak_f32 v24, s9, v22, 0x3e6a7578
	v_fmaak_f32 v23, v22, v23, 0x3f44efdf
	;; [unrolled: 1-line block ×7, first 2 shown]
	v_fma_f32 v23, v22, v23, 1.0
	v_fmaak_f32 v24, v22, v24, 0xbd9e233f
	v_rcp_f32_e32 v23, v23
	v_mul_f32_e32 v24, v22, v24
	v_mul_f32_e32 v23, v24, v23
	v_fmac_f32_e32 v23, -0.5, v22
	v_add_f32_e32 v20, v20, v23
.LBB149_213:
	s_or_b32 exec_lo, exec_lo, s21
                                        ; implicit-def: $vgpr22
.LBB149_214:
	s_andn2_saveexec_b32 s9, s13
	s_cbranch_execz .LBB149_216
; %bb.215:
	v_mul_f32_e32 v23, v22, v22
	s_mov_b32 s13, 0xb9a3f927
	s_mov_b32 s21, 0x39afe9f7
	v_mul_f32_e32 v24, v22, v23
	v_fmaak_f32 v25, s13, v24, 0x3a66f867
	v_fmaak_f32 v26, s21, v24, 0xba0d3085
	s_mov_b32 s13, 0x39a57b6b
	v_fmaak_f32 v27, s13, v24, 0xbab7f476
	v_fmaak_f32 v25, v24, v25, 0xbb7177fe
	;; [unrolled: 1-line block ×9, first 2 shown]
	v_fmac_f32_e32 v25, v22, v26
	v_fmaak_f32 v22, v24, v27, 0x3ef7b95e
	v_fma_f32 v24, v24, -v25, 0xa2863e55
	v_fma_f32 v22, v23, v22, -v24
	v_add_f32_e32 v22, 0xbdf8cdce, v22
	v_add_f32_e32 v20, v20, v22
.LBB149_216:
	s_or_b32 exec_lo, exec_lo, s9
                                        ; implicit-def: $vgpr23
                                        ; implicit-def: $vgpr22
.LBB149_217:
	s_andn2_saveexec_b32 s10, s10
	s_cbranch_execz .LBB149_221
; %bb.218:
	s_mov_b32 s13, exec_lo
	v_cmpx_eq_u32_e32 0, v23
	s_cbranch_execz .LBB149_220
; %bb.219:
	v_mul_f32_e32 v23, v22, v22
	s_mov_b32 s9, 0x383c2c75
	v_fmaak_f32 v24, s9, v23, 0x38e28445
	s_mov_b32 s9, 0x37d383a2
	v_fmaak_f32 v25, s9, v23, 0x39679767
	v_fmaak_f32 v24, v23, v24, 0x3a05b634
	;; [unrolled: 1-line block ×9, first 2 shown]
	v_mul_f32_e32 v23, v23, v24
	v_fmac_f32_e32 v23, v22, v25
	v_fmac_f32_e32 v23, -0.5, v22
	v_add_f32_e32 v20, v20, v23
.LBB149_220:
	s_or_b32 exec_lo, exec_lo, s13
.LBB149_221:
	s_or_b32 exec_lo, exec_lo, s10
.LBB149_222:
	s_or_b32 exec_lo, exec_lo, s12
.LBB149_223:
	s_andn2_saveexec_b32 s10, s11
	s_cbranch_execz .LBB149_225
; %bb.224:
	v_cmp_gt_f32_e64 s11, 0x800000, |v19|
	s_mov_b32 s9, 0x3e8a8991
	v_fma_f32 v24, |v19|, s9, 0xbecd26ab
	v_cndmask_b32_e64 v20, 0, 32, s11
	v_ldexp_f32 v20, |v19|, v20
	v_log_f32_e32 v20, v20
	v_mul_f32_e32 v22, 0x3f317217, v20
	v_cmp_gt_f32_e64 s9, 0x7f800000, |v20|
	v_fma_f32 v23, 0x3f317217, v20, -v22
	v_fmamk_f32 v23, v20, 0x3377d1cf, v23
	v_add_f32_e32 v22, v22, v23
	v_fma_f32 v23, |v19|, v24, 0x3f528d33
	v_cndmask_b32_e64 v20, v20, v22, s9
	v_cndmask_b32_e64 v22, 0, 0x41b17218, s11
	v_fma_f32 v23, |v19|, v23, 0xbf13c468
	v_sub_f32_e32 v20, v20, v22
	v_fma_f32 v20, |v19|, v23, -v20
.LBB149_225:
	s_or_b32 exec_lo, exec_lo, s10
	v_cmp_le_f16_e64 s9, 0, v18
	s_mov_b32 s11, exec_lo
	v_cmpx_nle_f16_e32 0, v18
	s_xor_b32 s12, exec_lo, s11
	s_cbranch_execz .LBB149_229
; %bb.226:
	v_cmp_gt_f32_e64 s10, 0x4b000000, |v19|
	v_cmp_lt_f32_e64 s11, 0x35000000, |v19|
	s_and_b32 s10, s10, s11
	s_and_saveexec_b32 s13, s10
	s_cbranch_execz .LBB149_228
; %bb.227:
	v_mul_f32_e64 v22, |v19|, 0.5
	s_mov_b32 s11, 0x3d4be544
	v_xor_b32_e32 v21, v21, v19
	v_floor_f32_e32 v23, v22
	v_cmp_neq_f32_e64 s10, 0x7f800000, v22
	v_sub_f32_e32 v23, v22, v23
	v_min_f32_e32 v23, 0x3f7fffff, v23
	v_add_f32_e32 v23, v23, v23
	v_cndmask_b32_e64 v22, 0, v23, s10
	v_cmp_gt_f32_e64 s10, |v19|, 1.0
	v_cndmask_b32_e64 v22, |v19|, v22, s10
	s_mov_b32 s10, 0x3e75aa41
	v_add_f32_e32 v23, v22, v22
	v_rndne_f32_e32 v23, v23
	v_fmac_f32_e32 v22, -0.5, v23
	v_cvt_i32_f32_e32 v23, v23
	v_mul_f32_e32 v24, v22, v22
	v_fmaak_f32 v25, s10, v24, 0xbf1f24be
	v_fmaak_f32 v26, s11, v24, 0x3e642e9d
	v_mul_f32_e32 v27, v22, v24
	v_fmaak_f32 v25, v24, v25, 0x40234736
	v_fmaak_f32 v26, v24, v26, 0xbfaad1da
	;; [unrolled: 1-line block ×4, first 2 shown]
	v_mul_f32_e32 v25, v27, v25
	v_fmaak_f32 v26, v24, v26, 0xc09de9e6
	v_and_b32_e32 v27, 1, v23
	v_lshlrev_b32_e32 v23, 30, v23
	v_fmamk_f32 v22, v22, 0x40490fdb, v25
	v_fma_f32 v24, v24, v26, 1.0
	v_cmp_eq_u32_e64 s10, 0, v27
	v_and_b32_e32 v23, 0x80000000, v23
	v_cndmask_b32_e64 v22, v24, v22, s10
	v_xor3_b32 v21, v21, v23, v22
	v_mul_f32_e32 v21, v19, v21
	v_frexp_mant_f32_e64 v22, |v21|
	v_frexp_exp_i32_f32_e32 v21, v21
	v_rcp_f32_e32 v22, v22
	v_sub_nc_u32_e32 v21, 2, v21
	v_mul_f32_e32 v22, 0x3f490fdb, v22
	v_ldexp_f32 v21, v22, v21
	v_cmp_gt_f32_e64 s10, 0x800000, v21
	v_cndmask_b32_e64 v22, 0, 32, s10
	v_ldexp_f32 v21, v21, v22
	v_log_f32_e32 v21, v21
	v_mul_f32_e32 v22, 0x3f317217, v21
	v_cmp_gt_f32_e64 s11, 0x7f800000, |v21|
	v_fma_f32 v23, 0x3f317217, v21, -v22
	v_fmamk_f32 v23, v21, 0x3377d1cf, v23
	v_add_f32_e32 v22, v22, v23
	v_floor_f32_e32 v23, v19
	v_cndmask_b32_e64 v21, v21, v22, s11
	v_cndmask_b32_e64 v22, 0, 0x41b17218, s10
	v_sub_f32_e32 v23, v19, v23
	v_sub_f32_e32 v21, v21, v22
	v_min_f32_e32 v22, 0x3f7fffff, v23
	v_sub_f32_e32 v20, v21, v20
	v_cmp_neq_f32_e64 s10, 0, v22
	v_cndmask_b32_e64 v20, 0x7f800000, v20, s10
.LBB149_228:
	s_or_b32 exec_lo, exec_lo, s13
.LBB149_229:
	s_andn2_saveexec_b32 s12, s12
; %bb.230:
	v_cmp_eq_f16_e64 s10, 1.0, v18
	v_cmp_eq_f16_e64 s11, 2.0, v18
	s_or_b32 s10, s10, s11
	v_cndmask_b32_e64 v20, v20, 0, s10
; %bb.231:
	s_or_b32 exec_lo, exec_lo, s12
	v_cvt_f32_f16_e32 v21, v4
                                        ; implicit-def: $vgpr22
	s_mov_b32 s11, exec_lo
	v_and_b32_e32 v23, 0x7fffffff, v21
	v_cmpx_ngt_f32_e64 0x3c800000, |v21|
	s_xor_b32 s12, exec_lo, s11
	s_cbranch_execz .LBB149_261
; %bb.232:
                                        ; implicit-def: $vgpr22
	s_mov_b32 s11, exec_lo
	v_cmpx_nlt_f32_e64 |v21|, 2.0
	s_xor_b32 s13, exec_lo, s11
	s_cbranch_execz .LBB149_242
; %bb.233:
	s_mov_b32 s11, exec_lo
                                        ; implicit-def: $vgpr22
	v_cmpx_ngt_f32_e64 0x41000000, |v21|
	s_xor_b32 s11, exec_lo, s11
	s_cbranch_execz .LBB149_239
; %bb.234:
	s_mov_b32 s21, exec_lo
                                        ; implicit-def: $vgpr22
	v_cmpx_ngt_f32_e64 0x5c800000, |v21|
	s_xor_b32 s21, exec_lo, s21
	s_cbranch_execz .LBB149_236
; %bb.235:
	v_cmp_gt_f32_e64 s22, 0x800000, |v21|
	v_cndmask_b32_e64 v22, 0, 32, s22
	v_ldexp_f32 v22, |v21|, v22
	v_log_f32_e32 v22, v22
	v_mul_f32_e32 v24, 0x3f317217, v22
	v_cmp_gt_f32_e64 s10, 0x7f800000, |v22|
	v_fma_f32 v25, 0x3f317217, v22, -v24
	v_fmamk_f32 v25, v22, 0x3377d1cf, v25
	v_add_f32_e32 v24, v24, v25
	v_cndmask_b32_e64 v22, v22, v24, s10
	v_cndmask_b32_e64 v24, 0, 0x41b17218, s22
	v_sub_f32_e32 v22, v22, v24
	v_fma_f32 v22, |v21|, v22, -|v21|
.LBB149_236:
	s_andn2_saveexec_b32 s21, s21
	s_cbranch_execz .LBB149_238
; %bb.237:
	v_cmp_gt_f32_e64 s22, 0x800000, |v21|
	v_rcp_f32_e64 v24, |v21|
	s_mov_b32 s10, 0xbad5c4e8
	v_cndmask_b32_e64 v22, 0, 32, s22
	v_ldexp_f32 v22, |v21|, v22
	v_mul_f32_e32 v25, v24, v24
	v_log_f32_e32 v22, v22
	v_fmaak_f32 v27, s10, v25, 0x3a5b3dd2
	v_fmaak_f32 v27, v25, v27, 0xba1c065c
	v_mul_f32_e32 v26, 0x3f317217, v22
	v_fmaak_f32 v27, v25, v27, 0x3a500cfd
	v_cmp_gt_f32_e64 s10, 0x7f800000, |v22|
	v_fma_f32 v28, 0x3f317217, v22, -v26
	v_fmaak_f32 v27, v25, v27, 0xbb360b61
	v_fmamk_f32 v28, v22, 0x3377d1cf, v28
	v_fmaak_f32 v25, v25, v27, 0x3daaaaab
	v_add_f32_e32 v26, v26, v28
	v_cndmask_b32_e64 v22, v22, v26, s10
	v_cndmask_b32_e64 v26, 0, 0x41b17218, s22
	v_sub_f32_e32 v26, v22, v26
	v_fmaak_f32 v22, v24, v25, 0x3ed67f1d
	v_add_f32_e64 v24, |v21|, -0.5
	v_add_f32_e32 v25, -1.0, v26
	v_fmac_f32_e32 v22, v24, v25
.LBB149_238:
	s_or_b32 exec_lo, exec_lo, s21
.LBB149_239:
	s_andn2_saveexec_b32 s21, s11
	s_cbranch_execz .LBB149_241
; %bb.240:
	v_cvt_i32_f32_e32 v22, v23
	s_mov_b32 s11, 0x3805ff67
	v_cvt_f32_i32_e32 v24, v22
	v_cmp_lt_i32_e64 s10, 2, v22
	v_sub_f32_e64 v24, |v21|, v24
	v_add_f32_e32 v25, 2.0, v24
	v_add_f32_e32 v26, 0x40400000, v24
	v_add_f32_e32 v27, 4.0, v24
	v_add_f32_e32 v28, 0x40a00000, v24
	v_cndmask_b32_e64 v25, 1.0, v25, s10
	v_cmp_lt_i32_e64 s10, 3, v22
	v_cndmask_b32_e64 v26, 1.0, v26, s10
	v_cmp_lt_i32_e64 s10, 4, v22
	v_mul_f32_e32 v25, v25, v26
	v_cndmask_b32_e64 v27, 1.0, v27, s10
	v_cmp_lt_i32_e64 s10, 5, v22
	v_add_f32_e32 v26, 0x40c00000, v24
	v_mul_f32_e32 v25, v27, v25
	v_cndmask_b32_e64 v28, 1.0, v28, s10
	v_cmp_lt_i32_e64 s10, 6, v22
	v_fmaak_f32 v27, s11, v24, 0x3af135b4
	v_mul_f32_e32 v25, v28, v25
	v_cndmask_b32_e64 v22, 1.0, v26, s10
	s_mov_b32 s10, 0x36f5d7bd
	v_mul_f32_e32 v22, v22, v25
	v_fmaak_f32 v25, s10, v24, 0x3a4beed6
	v_cmp_gt_f32_e64 s10, 0x800000, v22
	v_fmaak_f32 v25, v24, v25, 0x3c98bf54
	v_cndmask_b32_e64 v26, 0, 32, s10
	v_fmaak_f32 v25, v24, v25, 0x3e300f6e
	v_ldexp_f32 v22, v22, v26
	v_fmaak_f32 v26, v24, v27, 0x3cda40e4
	v_fmaak_f32 v25, v24, v25, 0x3f38d0c5
	v_log_f32_e32 v22, v22
	v_fmaak_f32 v26, v24, v26, 0x3e15dce6
	v_fmaak_f32 v25, v24, v25, 0x3fb22d3b
	;; [unrolled: 1-line block ×3, first 2 shown]
	v_fma_f32 v25, v24, v25, 1.0
	v_mul_f32_e32 v27, 0x3f317217, v22
	v_fmaak_f32 v26, v24, v26, 0x3e5c245a
	v_rcp_f32_e32 v25, v25
	v_cmp_gt_f32_e64 s11, 0x7f800000, |v22|
	v_fma_f32 v28, 0x3f317217, v22, -v27
	v_fmaak_f32 v26, v24, v26, 0xbd9e233f
	v_fmamk_f32 v28, v22, 0x3377d1cf, v28
	v_mul_f32_e32 v26, v24, v26
	v_add_f32_e32 v27, v27, v28
	v_mul_f32_e32 v25, v26, v25
	v_cndmask_b32_e64 v26, 0, 0x41b17218, s10
	v_cndmask_b32_e64 v22, v22, v27, s11
	v_fmac_f32_e32 v25, 0.5, v24
	v_sub_f32_e32 v22, v22, v26
	v_add_f32_e32 v22, v22, v25
.LBB149_241:
	s_or_b32 exec_lo, exec_lo, s21
.LBB149_242:
	s_andn2_saveexec_b32 s13, s13
	s_cbranch_execz .LBB149_260
; %bb.243:
                                        ; implicit-def: $vgpr22
                                        ; implicit-def: $vgpr25
                                        ; implicit-def: $vgpr24
	s_mov_b32 s11, exec_lo
	v_cmpx_ge_f32_e64 0x3f666666, |v21|
	s_xor_b32 s21, exec_lo, s11
	s_cbranch_execz .LBB149_245
; %bb.244:
	v_cmp_gt_f32_e64 s11, 0x800000, |v21|
	v_sub_f32_e64 v26, 1.0, |v21|
	v_cmp_gt_f32_e64 s10, 0x3f3b4a23, |v21|
	v_cndmask_b32_e64 v22, 0, 32, s11
	v_cndmask_b32_e64 v27, 0, 0x41b17218, s11
	v_ldexp_f32 v22, |v21|, v22
	v_log_f32_e32 v22, v22
	v_mul_f32_e32 v24, 0x3f317217, v22
	v_cmp_gt_f32_e64 s11, 0x7f800000, |v22|
	v_fma_f32 v25, 0x3f317217, v22, -v24
	v_fmamk_f32 v25, v22, 0x3377d1cf, v25
	v_add_f32_e32 v24, v24, v25
	v_add_f32_e64 v25, 0xbeec5b0c, |v21|
	v_cndmask_b32_e64 v22, v22, v24, s11
	v_cndmask_b32_e64 v24, v26, v25, s10
	;; [unrolled: 1-line block ×3, first 2 shown]
	v_cmp_gt_f32_e64 s10, 0x3e6d3309, |v21|
	v_sub_f32_e32 v22, v22, v27
	v_cndmask_b32_e64 v24, v24, |v21|, s10
	v_cndmask_b32_e64 v25, v25, 2, s10
	v_xor_b32_e32 v22, 0x80000000, v22
.LBB149_245:
	s_andn2_saveexec_b32 s11, s21
	s_cbranch_execz .LBB149_247
; %bb.246:
	v_sub_f32_e64 v22, 2.0, |v21|
	v_add_f32_e64 v24, 0xbfbb16c3, |v21|
	v_cmp_gt_f32_e64 s10, 0x3fdda512, |v21|
	v_add_f32_e64 v25, |v21|, -1.0
	v_cndmask_b32_e64 v24, v22, v24, s10
	v_cndmask_b32_e64 v22, v22, 1.0, s10
	v_cmp_gt_f32_e64 s10, 0x3f9d70a4, |v21|
	v_cvt_i32_f32_e32 v22, v22
	v_cndmask_b32_e64 v24, v24, v25, s10
	v_cndmask_b32_e64 v25, v22, 2, s10
	v_mov_b32_e32 v22, 0
.LBB149_247:
	s_or_b32 exec_lo, exec_lo, s11
	s_mov_b32 s11, exec_lo
	v_cmpx_lt_i32_e32 0, v25
	s_xor_b32 s11, exec_lo, s11
	s_cbranch_execz .LBB149_255
; %bb.248:
	s_mov_b32 s21, exec_lo
	v_cmpx_lt_i32_e32 1, v25
	s_xor_b32 s21, exec_lo, s21
	s_cbranch_execz .LBB149_252
; %bb.249:
	s_mov_b32 s22, exec_lo
	v_cmpx_eq_u32_e32 2, v25
	s_cbranch_execz .LBB149_251
; %bb.250:
	s_mov_b32 s10, 0x3b52d5db
	v_fmaak_f32 v25, s10, v24, 0x3dd572af
	s_mov_b32 s10, 0x3c5b3c5e
	v_fmaak_f32 v26, s10, v24, 0x3e6a7578
	v_fmaak_f32 v25, v24, v25, 0x3f44efdf
	v_fmaak_f32 v26, v24, v26, 0x3f7a4bb2
	v_fmaak_f32 v25, v24, v25, 0x4008392d
	v_fmaak_f32 v26, v24, v26, 0x3fba3ae7
	v_fmaak_f32 v25, v24, v25, 0x401d2ebe
	v_fmaak_f32 v26, v24, v26, 0x3f2200f4
	v_fma_f32 v25, v24, v25, 1.0
	v_fmaak_f32 v26, v24, v26, 0xbd9e233f
	v_rcp_f32_e32 v25, v25
	v_mul_f32_e32 v26, v24, v26
	v_mul_f32_e32 v25, v26, v25
	v_fmac_f32_e32 v25, -0.5, v24
	v_add_f32_e32 v22, v22, v25
.LBB149_251:
	s_or_b32 exec_lo, exec_lo, s22
                                        ; implicit-def: $vgpr24
.LBB149_252:
	s_andn2_saveexec_b32 s10, s21
	s_cbranch_execz .LBB149_254
; %bb.253:
	v_mul_f32_e32 v25, v24, v24
	s_mov_b32 s21, 0xb9a3f927
	s_mov_b32 s22, 0x39afe9f7
	v_mul_f32_e32 v26, v24, v25
	v_fmaak_f32 v27, s21, v26, 0x3a66f867
	v_fmaak_f32 v28, s22, v26, 0xba0d3085
	s_mov_b32 s21, 0x39a57b6b
	v_fmaak_f32 v29, s21, v26, 0xbab7f476
	v_fmaak_f32 v27, v26, v27, 0xbb7177fe
	;; [unrolled: 1-line block ×9, first 2 shown]
	v_fmac_f32_e32 v27, v24, v28
	v_fmaak_f32 v24, v26, v29, 0x3ef7b95e
	v_fma_f32 v26, v26, -v27, 0xa2863e55
	v_fma_f32 v24, v25, v24, -v26
	v_add_f32_e32 v24, 0xbdf8cdce, v24
	v_add_f32_e32 v22, v22, v24
.LBB149_254:
	s_or_b32 exec_lo, exec_lo, s10
                                        ; implicit-def: $vgpr25
                                        ; implicit-def: $vgpr24
.LBB149_255:
	s_andn2_saveexec_b32 s11, s11
	s_cbranch_execz .LBB149_259
; %bb.256:
	s_mov_b32 s21, exec_lo
	v_cmpx_eq_u32_e32 0, v25
	s_cbranch_execz .LBB149_258
; %bb.257:
	v_mul_f32_e32 v25, v24, v24
	s_mov_b32 s10, 0x383c2c75
	v_fmaak_f32 v26, s10, v25, 0x38e28445
	s_mov_b32 s10, 0x37d383a2
	v_fmaak_f32 v27, s10, v25, 0x39679767
	v_fmaak_f32 v26, v25, v26, 0x3a05b634
	;; [unrolled: 1-line block ×9, first 2 shown]
	v_mul_f32_e32 v25, v25, v26
	v_fmac_f32_e32 v25, v24, v27
	v_fmac_f32_e32 v25, -0.5, v24
	v_add_f32_e32 v22, v22, v25
.LBB149_258:
	s_or_b32 exec_lo, exec_lo, s21
.LBB149_259:
	s_or_b32 exec_lo, exec_lo, s11
.LBB149_260:
	s_or_b32 exec_lo, exec_lo, s13
.LBB149_261:
	s_andn2_saveexec_b32 s11, s12
	s_cbranch_execz .LBB149_263
; %bb.262:
	v_cmp_gt_f32_e64 s12, 0x800000, |v21|
	s_mov_b32 s10, 0x3e8a8991
	v_fma_f32 v26, |v21|, s10, 0xbecd26ab
	v_cndmask_b32_e64 v22, 0, 32, s12
	v_ldexp_f32 v22, |v21|, v22
	v_log_f32_e32 v22, v22
	v_mul_f32_e32 v24, 0x3f317217, v22
	v_cmp_gt_f32_e64 s10, 0x7f800000, |v22|
	v_fma_f32 v25, 0x3f317217, v22, -v24
	v_fmamk_f32 v25, v22, 0x3377d1cf, v25
	v_add_f32_e32 v24, v24, v25
	v_fma_f32 v25, |v21|, v26, 0x3f528d33
	v_cndmask_b32_e64 v22, v22, v24, s10
	v_cndmask_b32_e64 v24, 0, 0x41b17218, s12
	v_fma_f32 v25, |v21|, v25, 0xbf13c468
	v_sub_f32_e32 v22, v22, v24
	v_fma_f32 v22, |v21|, v25, -v22
.LBB149_263:
	s_or_b32 exec_lo, exec_lo, s11
	v_cmp_le_f16_e64 s10, 0, v4
	s_mov_b32 s12, exec_lo
	v_cmpx_nle_f16_e32 0, v4
	s_xor_b32 s13, exec_lo, s12
	s_cbranch_execz .LBB149_267
; %bb.264:
	v_cmp_gt_f32_e64 s11, 0x4b000000, |v21|
	v_cmp_lt_f32_e64 s12, 0x35000000, |v21|
	s_and_b32 s11, s11, s12
	s_and_saveexec_b32 s21, s11
	s_cbranch_execz .LBB149_266
; %bb.265:
	v_mul_f32_e64 v24, |v21|, 0.5
	s_mov_b32 s12, 0x3d4be544
	v_xor_b32_e32 v23, v23, v21
	v_floor_f32_e32 v25, v24
	v_cmp_neq_f32_e64 s11, 0x7f800000, v24
	v_sub_f32_e32 v25, v24, v25
	v_min_f32_e32 v25, 0x3f7fffff, v25
	v_add_f32_e32 v25, v25, v25
	v_cndmask_b32_e64 v24, 0, v25, s11
	v_cmp_gt_f32_e64 s11, |v21|, 1.0
	v_cndmask_b32_e64 v24, |v21|, v24, s11
	s_mov_b32 s11, 0x3e75aa41
	v_add_f32_e32 v25, v24, v24
	v_rndne_f32_e32 v25, v25
	v_fmac_f32_e32 v24, -0.5, v25
	v_cvt_i32_f32_e32 v25, v25
	v_mul_f32_e32 v26, v24, v24
	v_fmaak_f32 v27, s11, v26, 0xbf1f24be
	v_fmaak_f32 v28, s12, v26, 0x3e642e9d
	v_mul_f32_e32 v29, v24, v26
	v_fmaak_f32 v27, v26, v27, 0x40234736
	v_fmaak_f32 v28, v26, v28, 0xbfaad1da
	;; [unrolled: 1-line block ×4, first 2 shown]
	v_mul_f32_e32 v27, v29, v27
	v_fmaak_f32 v28, v26, v28, 0xc09de9e6
	v_and_b32_e32 v29, 1, v25
	v_lshlrev_b32_e32 v25, 30, v25
	v_fmamk_f32 v24, v24, 0x40490fdb, v27
	v_fma_f32 v26, v26, v28, 1.0
	v_cmp_eq_u32_e64 s11, 0, v29
	v_and_b32_e32 v25, 0x80000000, v25
	v_cndmask_b32_e64 v24, v26, v24, s11
	v_xor3_b32 v23, v23, v25, v24
	v_mul_f32_e32 v23, v21, v23
	v_frexp_mant_f32_e64 v24, |v23|
	v_frexp_exp_i32_f32_e32 v23, v23
	v_rcp_f32_e32 v24, v24
	v_sub_nc_u32_e32 v23, 2, v23
	v_mul_f32_e32 v24, 0x3f490fdb, v24
	v_ldexp_f32 v23, v24, v23
	v_cmp_gt_f32_e64 s11, 0x800000, v23
	v_cndmask_b32_e64 v24, 0, 32, s11
	v_ldexp_f32 v23, v23, v24
	v_log_f32_e32 v23, v23
	v_mul_f32_e32 v24, 0x3f317217, v23
	v_cmp_gt_f32_e64 s12, 0x7f800000, |v23|
	v_fma_f32 v25, 0x3f317217, v23, -v24
	v_fmamk_f32 v25, v23, 0x3377d1cf, v25
	v_add_f32_e32 v24, v24, v25
	v_floor_f32_e32 v25, v21
	v_cndmask_b32_e64 v23, v23, v24, s12
	v_cndmask_b32_e64 v24, 0, 0x41b17218, s11
	v_sub_f32_e32 v25, v21, v25
	v_sub_f32_e32 v23, v23, v24
	v_min_f32_e32 v24, 0x3f7fffff, v25
	v_sub_f32_e32 v22, v23, v22
	v_cmp_neq_f32_e64 s11, 0, v24
	v_cndmask_b32_e64 v22, 0x7f800000, v22, s11
.LBB149_266:
	s_or_b32 exec_lo, exec_lo, s21
.LBB149_267:
	s_andn2_saveexec_b32 s13, s13
; %bb.268:
	v_cmp_eq_f16_e64 s11, 1.0, v4
	v_cmp_eq_f16_e64 s12, 2.0, v4
	s_or_b32 s11, s11, s12
	v_cndmask_b32_e64 v22, v22, 0, s11
; %bb.269:
	s_or_b32 exec_lo, exec_lo, s13
	v_lshrrev_b32_e32 v23, 16, v4
                                        ; implicit-def: $vgpr26
	s_mov_b32 s12, exec_lo
	v_cvt_f32_f16_e32 v24, v23
	v_and_b32_e32 v25, 0x7fffffff, v24
	v_cmpx_ngt_f32_e64 0x3c800000, |v24|
	s_xor_b32 s13, exec_lo, s12
	s_cbranch_execz .LBB149_299
; %bb.270:
                                        ; implicit-def: $vgpr26
	s_mov_b32 s12, exec_lo
	v_cmpx_nlt_f32_e64 |v24|, 2.0
	s_xor_b32 s21, exec_lo, s12
	s_cbranch_execz .LBB149_280
; %bb.271:
	s_mov_b32 s12, exec_lo
                                        ; implicit-def: $vgpr26
	v_cmpx_ngt_f32_e64 0x41000000, |v24|
	s_xor_b32 s12, exec_lo, s12
	s_cbranch_execz .LBB149_277
; %bb.272:
	s_mov_b32 s22, exec_lo
                                        ; implicit-def: $vgpr26
	v_cmpx_ngt_f32_e64 0x5c800000, |v24|
	s_xor_b32 s22, exec_lo, s22
	s_cbranch_execz .LBB149_274
; %bb.273:
	v_cmp_gt_f32_e64 s23, 0x800000, |v24|
	v_cndmask_b32_e64 v26, 0, 32, s23
	v_ldexp_f32 v26, |v24|, v26
	v_log_f32_e32 v26, v26
	v_mul_f32_e32 v27, 0x3f317217, v26
	v_cmp_gt_f32_e64 s11, 0x7f800000, |v26|
	v_fma_f32 v28, 0x3f317217, v26, -v27
	v_fmamk_f32 v28, v26, 0x3377d1cf, v28
	v_add_f32_e32 v27, v27, v28
	v_cndmask_b32_e64 v26, v26, v27, s11
	v_cndmask_b32_e64 v27, 0, 0x41b17218, s23
	v_sub_f32_e32 v26, v26, v27
	v_fma_f32 v26, |v24|, v26, -|v24|
.LBB149_274:
	s_andn2_saveexec_b32 s22, s22
	s_cbranch_execz .LBB149_276
; %bb.275:
	v_cmp_gt_f32_e64 s23, 0x800000, |v24|
	v_rcp_f32_e64 v27, |v24|
	s_mov_b32 s11, 0xbad5c4e8
	v_cndmask_b32_e64 v26, 0, 32, s23
	v_ldexp_f32 v26, |v24|, v26
	v_mul_f32_e32 v28, v27, v27
	v_log_f32_e32 v26, v26
	v_fmaak_f32 v30, s11, v28, 0x3a5b3dd2
	v_fmaak_f32 v30, v28, v30, 0xba1c065c
	v_mul_f32_e32 v29, 0x3f317217, v26
	v_fmaak_f32 v30, v28, v30, 0x3a500cfd
	v_cmp_gt_f32_e64 s11, 0x7f800000, |v26|
	v_fma_f32 v31, 0x3f317217, v26, -v29
	v_fmaak_f32 v30, v28, v30, 0xbb360b61
	v_fmamk_f32 v31, v26, 0x3377d1cf, v31
	v_fmaak_f32 v28, v28, v30, 0x3daaaaab
	v_add_f32_e32 v29, v29, v31
	v_cndmask_b32_e64 v26, v26, v29, s11
	v_cndmask_b32_e64 v29, 0, 0x41b17218, s23
	v_sub_f32_e32 v29, v26, v29
	v_fmaak_f32 v26, v27, v28, 0x3ed67f1d
	v_add_f32_e64 v27, |v24|, -0.5
	v_add_f32_e32 v28, -1.0, v29
	v_fmac_f32_e32 v26, v27, v28
.LBB149_276:
	s_or_b32 exec_lo, exec_lo, s22
.LBB149_277:
	s_andn2_saveexec_b32 s22, s12
	s_cbranch_execz .LBB149_279
; %bb.278:
	v_cvt_i32_f32_e32 v26, v25
	s_mov_b32 s12, 0x3805ff67
	v_cvt_f32_i32_e32 v27, v26
	v_cmp_lt_i32_e64 s11, 2, v26
	v_sub_f32_e64 v27, |v24|, v27
	v_add_f32_e32 v28, 2.0, v27
	v_add_f32_e32 v29, 0x40400000, v27
	v_add_f32_e32 v30, 4.0, v27
	v_add_f32_e32 v31, 0x40a00000, v27
	v_cndmask_b32_e64 v28, 1.0, v28, s11
	v_cmp_lt_i32_e64 s11, 3, v26
	v_cndmask_b32_e64 v29, 1.0, v29, s11
	v_cmp_lt_i32_e64 s11, 4, v26
	v_mul_f32_e32 v28, v28, v29
	v_cndmask_b32_e64 v30, 1.0, v30, s11
	v_cmp_lt_i32_e64 s11, 5, v26
	v_add_f32_e32 v29, 0x40c00000, v27
	v_mul_f32_e32 v28, v30, v28
	v_cndmask_b32_e64 v31, 1.0, v31, s11
	v_cmp_lt_i32_e64 s11, 6, v26
	v_fmaak_f32 v30, s12, v27, 0x3af135b4
	v_mul_f32_e32 v28, v31, v28
	v_cndmask_b32_e64 v26, 1.0, v29, s11
	s_mov_b32 s11, 0x36f5d7bd
	v_mul_f32_e32 v26, v26, v28
	v_fmaak_f32 v28, s11, v27, 0x3a4beed6
	v_cmp_gt_f32_e64 s11, 0x800000, v26
	v_fmaak_f32 v28, v27, v28, 0x3c98bf54
	v_cndmask_b32_e64 v29, 0, 32, s11
	v_fmaak_f32 v28, v27, v28, 0x3e300f6e
	v_ldexp_f32 v26, v26, v29
	v_fmaak_f32 v29, v27, v30, 0x3cda40e4
	v_fmaak_f32 v28, v27, v28, 0x3f38d0c5
	v_log_f32_e32 v26, v26
	v_fmaak_f32 v29, v27, v29, 0x3e15dce6
	v_fmaak_f32 v28, v27, v28, 0x3fb22d3b
	;; [unrolled: 1-line block ×3, first 2 shown]
	v_fma_f32 v28, v27, v28, 1.0
	v_mul_f32_e32 v30, 0x3f317217, v26
	v_fmaak_f32 v29, v27, v29, 0x3e5c245a
	v_rcp_f32_e32 v28, v28
	v_cmp_gt_f32_e64 s12, 0x7f800000, |v26|
	v_fma_f32 v31, 0x3f317217, v26, -v30
	v_fmaak_f32 v29, v27, v29, 0xbd9e233f
	v_fmamk_f32 v31, v26, 0x3377d1cf, v31
	v_mul_f32_e32 v29, v27, v29
	v_add_f32_e32 v30, v30, v31
	v_mul_f32_e32 v28, v29, v28
	v_cndmask_b32_e64 v29, 0, 0x41b17218, s11
	v_cndmask_b32_e64 v26, v26, v30, s12
	v_fmac_f32_e32 v28, 0.5, v27
	v_sub_f32_e32 v26, v26, v29
	v_add_f32_e32 v26, v26, v28
.LBB149_279:
	s_or_b32 exec_lo, exec_lo, s22
.LBB149_280:
	s_andn2_saveexec_b32 s21, s21
	s_cbranch_execz .LBB149_298
; %bb.281:
                                        ; implicit-def: $vgpr26
                                        ; implicit-def: $vgpr28
                                        ; implicit-def: $vgpr27
	s_mov_b32 s12, exec_lo
	v_cmpx_ge_f32_e64 0x3f666666, |v24|
	s_xor_b32 s22, exec_lo, s12
	s_cbranch_execz .LBB149_283
; %bb.282:
	v_cmp_gt_f32_e64 s12, 0x800000, |v24|
	v_sub_f32_e64 v29, 1.0, |v24|
	v_cmp_gt_f32_e64 s11, 0x3f3b4a23, |v24|
	v_cndmask_b32_e64 v26, 0, 32, s12
	v_cndmask_b32_e64 v30, 0, 0x41b17218, s12
	v_ldexp_f32 v26, |v24|, v26
	v_log_f32_e32 v26, v26
	v_mul_f32_e32 v27, 0x3f317217, v26
	v_cmp_gt_f32_e64 s12, 0x7f800000, |v26|
	v_fma_f32 v28, 0x3f317217, v26, -v27
	v_fmamk_f32 v28, v26, 0x3377d1cf, v28
	v_add_f32_e32 v27, v27, v28
	v_add_f32_e64 v28, 0xbeec5b0c, |v24|
	v_cndmask_b32_e64 v26, v26, v27, s12
	v_cndmask_b32_e64 v27, v29, v28, s11
	;; [unrolled: 1-line block ×3, first 2 shown]
	v_cmp_gt_f32_e64 s11, 0x3e6d3309, |v24|
	v_sub_f32_e32 v26, v26, v30
	v_cndmask_b32_e64 v27, v27, |v24|, s11
	v_cndmask_b32_e64 v28, v28, 2, s11
	v_xor_b32_e32 v26, 0x80000000, v26
.LBB149_283:
	s_andn2_saveexec_b32 s12, s22
	s_cbranch_execz .LBB149_285
; %bb.284:
	v_sub_f32_e64 v26, 2.0, |v24|
	v_add_f32_e64 v27, 0xbfbb16c3, |v24|
	v_cmp_gt_f32_e64 s11, 0x3fdda512, |v24|
	v_add_f32_e64 v28, |v24|, -1.0
	v_cndmask_b32_e64 v27, v26, v27, s11
	v_cndmask_b32_e64 v26, v26, 1.0, s11
	v_cmp_gt_f32_e64 s11, 0x3f9d70a4, |v24|
	v_cvt_i32_f32_e32 v26, v26
	v_cndmask_b32_e64 v27, v27, v28, s11
	v_cndmask_b32_e64 v28, v26, 2, s11
	v_mov_b32_e32 v26, 0
.LBB149_285:
	s_or_b32 exec_lo, exec_lo, s12
	s_mov_b32 s12, exec_lo
	v_cmpx_lt_i32_e32 0, v28
	s_xor_b32 s12, exec_lo, s12
	s_cbranch_execz .LBB149_293
; %bb.286:
	s_mov_b32 s22, exec_lo
	v_cmpx_lt_i32_e32 1, v28
	s_xor_b32 s22, exec_lo, s22
	s_cbranch_execz .LBB149_290
; %bb.287:
	s_mov_b32 s23, exec_lo
	v_cmpx_eq_u32_e32 2, v28
	s_cbranch_execz .LBB149_289
; %bb.288:
	s_mov_b32 s11, 0x3b52d5db
	v_fmaak_f32 v28, s11, v27, 0x3dd572af
	s_mov_b32 s11, 0x3c5b3c5e
	v_fmaak_f32 v29, s11, v27, 0x3e6a7578
	v_fmaak_f32 v28, v27, v28, 0x3f44efdf
	;; [unrolled: 1-line block ×7, first 2 shown]
	v_fma_f32 v28, v27, v28, 1.0
	v_fmaak_f32 v29, v27, v29, 0xbd9e233f
	v_rcp_f32_e32 v28, v28
	v_mul_f32_e32 v29, v27, v29
	v_mul_f32_e32 v28, v29, v28
	v_fmac_f32_e32 v28, -0.5, v27
	v_add_f32_e32 v26, v26, v28
.LBB149_289:
	s_or_b32 exec_lo, exec_lo, s23
                                        ; implicit-def: $vgpr27
.LBB149_290:
	s_andn2_saveexec_b32 s11, s22
	s_cbranch_execz .LBB149_292
; %bb.291:
	v_mul_f32_e32 v28, v27, v27
	s_mov_b32 s22, 0xb9a3f927
	s_mov_b32 s23, 0x39afe9f7
	v_mul_f32_e32 v29, v27, v28
	v_fmaak_f32 v30, s22, v29, 0x3a66f867
	v_fmaak_f32 v31, s23, v29, 0xba0d3085
	s_mov_b32 s22, 0x39a57b6b
	v_fmaak_f32 v32, s22, v29, 0xbab7f476
	v_fmaak_f32 v30, v29, v30, 0xbb7177fe
	;; [unrolled: 1-line block ×9, first 2 shown]
	v_fmac_f32_e32 v30, v27, v31
	v_fmaak_f32 v27, v29, v32, 0x3ef7b95e
	v_fma_f32 v29, v29, -v30, 0xa2863e55
	v_fma_f32 v27, v28, v27, -v29
	v_add_f32_e32 v27, 0xbdf8cdce, v27
	v_add_f32_e32 v26, v26, v27
.LBB149_292:
	s_or_b32 exec_lo, exec_lo, s11
                                        ; implicit-def: $vgpr28
                                        ; implicit-def: $vgpr27
.LBB149_293:
	s_andn2_saveexec_b32 s12, s12
	s_cbranch_execz .LBB149_297
; %bb.294:
	s_mov_b32 s22, exec_lo
	v_cmpx_eq_u32_e32 0, v28
	s_cbranch_execz .LBB149_296
; %bb.295:
	v_mul_f32_e32 v28, v27, v27
	s_mov_b32 s11, 0x383c2c75
	v_fmaak_f32 v29, s11, v28, 0x38e28445
	s_mov_b32 s11, 0x37d383a2
	v_fmaak_f32 v30, s11, v28, 0x39679767
	v_fmaak_f32 v29, v28, v29, 0x3a05b634
	;; [unrolled: 1-line block ×9, first 2 shown]
	v_mul_f32_e32 v28, v28, v29
	v_fmac_f32_e32 v28, v27, v30
	v_fmac_f32_e32 v28, -0.5, v27
	v_add_f32_e32 v26, v26, v28
.LBB149_296:
	s_or_b32 exec_lo, exec_lo, s22
.LBB149_297:
	s_or_b32 exec_lo, exec_lo, s12
.LBB149_298:
	s_or_b32 exec_lo, exec_lo, s21
.LBB149_299:
	s_andn2_saveexec_b32 s12, s13
	s_cbranch_execz .LBB149_301
; %bb.300:
	v_cmp_gt_f32_e64 s13, 0x800000, |v24|
	s_mov_b32 s11, 0x3e8a8991
	v_fma_f32 v29, |v24|, s11, 0xbecd26ab
	v_cndmask_b32_e64 v26, 0, 32, s13
	v_ldexp_f32 v26, |v24|, v26
	v_log_f32_e32 v26, v26
	v_mul_f32_e32 v27, 0x3f317217, v26
	v_cmp_gt_f32_e64 s11, 0x7f800000, |v26|
	v_fma_f32 v28, 0x3f317217, v26, -v27
	v_fmamk_f32 v28, v26, 0x3377d1cf, v28
	v_add_f32_e32 v27, v27, v28
	v_fma_f32 v28, |v24|, v29, 0x3f528d33
	v_cndmask_b32_e64 v26, v26, v27, s11
	v_cndmask_b32_e64 v27, 0, 0x41b17218, s13
	v_fma_f32 v28, |v24|, v28, 0xbf13c468
	v_sub_f32_e32 v26, v26, v27
	v_fma_f32 v26, |v24|, v28, -v26
.LBB149_301:
	s_or_b32 exec_lo, exec_lo, s12
	v_cmp_le_f16_e64 s11, 0, v23
	s_mov_b32 s13, exec_lo
	v_cmpx_nle_f16_e32 0, v23
	s_xor_b32 s21, exec_lo, s13
	s_cbranch_execz .LBB149_305
; %bb.302:
	v_cmp_gt_f32_e64 s12, 0x4b000000, |v24|
	v_cmp_lt_f32_e64 s13, 0x35000000, |v24|
	s_and_b32 s12, s12, s13
	s_and_saveexec_b32 s22, s12
	s_cbranch_execz .LBB149_304
; %bb.303:
	v_mul_f32_e64 v27, |v24|, 0.5
	s_mov_b32 s13, 0x3d4be544
	v_xor_b32_e32 v25, v25, v24
	v_floor_f32_e32 v28, v27
	v_cmp_neq_f32_e64 s12, 0x7f800000, v27
	v_sub_f32_e32 v28, v27, v28
	v_min_f32_e32 v28, 0x3f7fffff, v28
	v_add_f32_e32 v28, v28, v28
	v_cndmask_b32_e64 v27, 0, v28, s12
	v_cmp_gt_f32_e64 s12, |v24|, 1.0
	v_cndmask_b32_e64 v27, |v24|, v27, s12
	s_mov_b32 s12, 0x3e75aa41
	v_add_f32_e32 v28, v27, v27
	v_rndne_f32_e32 v28, v28
	v_fmac_f32_e32 v27, -0.5, v28
	v_cvt_i32_f32_e32 v28, v28
	v_mul_f32_e32 v29, v27, v27
	v_fmaak_f32 v30, s12, v29, 0xbf1f24be
	v_fmaak_f32 v31, s13, v29, 0x3e642e9d
	v_mul_f32_e32 v32, v27, v29
	v_fmaak_f32 v30, v29, v30, 0x40234736
	v_fmaak_f32 v31, v29, v31, 0xbfaad1da
	;; [unrolled: 1-line block ×4, first 2 shown]
	v_mul_f32_e32 v30, v32, v30
	v_fmaak_f32 v31, v29, v31, 0xc09de9e6
	v_and_b32_e32 v32, 1, v28
	v_lshlrev_b32_e32 v28, 30, v28
	v_fmamk_f32 v27, v27, 0x40490fdb, v30
	v_fma_f32 v29, v29, v31, 1.0
	v_cmp_eq_u32_e64 s12, 0, v32
	v_and_b32_e32 v28, 0x80000000, v28
	v_cndmask_b32_e64 v27, v29, v27, s12
	v_xor3_b32 v25, v25, v28, v27
	v_mul_f32_e32 v25, v24, v25
	v_frexp_mant_f32_e64 v27, |v25|
	v_frexp_exp_i32_f32_e32 v25, v25
	v_rcp_f32_e32 v27, v27
	v_sub_nc_u32_e32 v25, 2, v25
	v_mul_f32_e32 v27, 0x3f490fdb, v27
	v_ldexp_f32 v25, v27, v25
	v_cmp_gt_f32_e64 s12, 0x800000, v25
	v_cndmask_b32_e64 v27, 0, 32, s12
	v_ldexp_f32 v25, v25, v27
	v_log_f32_e32 v25, v25
	v_mul_f32_e32 v27, 0x3f317217, v25
	v_cmp_gt_f32_e64 s13, 0x7f800000, |v25|
	v_fma_f32 v28, 0x3f317217, v25, -v27
	v_fmamk_f32 v28, v25, 0x3377d1cf, v28
	v_add_f32_e32 v27, v27, v28
	v_floor_f32_e32 v28, v24
	v_cndmask_b32_e64 v25, v25, v27, s13
	v_cndmask_b32_e64 v27, 0, 0x41b17218, s12
	v_sub_f32_e32 v28, v24, v28
	v_sub_f32_e32 v25, v25, v27
	v_min_f32_e32 v27, 0x3f7fffff, v28
	v_sub_f32_e32 v25, v25, v26
	v_cmp_neq_f32_e64 s12, 0, v27
	v_cndmask_b32_e64 v26, 0x7f800000, v25, s12
.LBB149_304:
	s_or_b32 exec_lo, exec_lo, s22
.LBB149_305:
	s_andn2_saveexec_b32 s21, s21
; %bb.306:
	v_cmp_eq_f16_e64 s12, 1.0, v23
	v_cmp_eq_f16_e64 s13, 2.0, v23
	s_or_b32 s12, s12, s13
	v_cndmask_b32_e64 v26, v26, 0, s12
; %bb.307:
	s_or_b32 exec_lo, exec_lo, s21
	v_cmp_gt_f32_e64 s12, 0x4b000000, |v21|
	v_cmp_gt_f32_e64 s13, 0x4b000000, |v19|
	v_cvt_f16_f32_e32 v22, v22
	v_cvt_f16_f32_e32 v20, v20
	;; [unrolled: 1-line block ×3, first 2 shown]
	s_or_b32 s10, s10, s12
	s_or_b32 s9, s9, s13
	v_cndmask_b32_e64 v22, 0x7c00, v22, s10
	v_cndmask_b32_e64 v20, 0x7c00, v20, s9
	v_cmp_class_f32_e64 s9, v21, 0x264
	v_cmp_gt_f32_e64 s12, 0x4b000000, |v11|
	v_cvt_f16_f32_e32 v12, v12
	v_cmp_gt_f32_e64 s10, 0x4b000000, |v14|
	v_cvt_f16_f32_e32 v15, v15
	v_cndmask_b32_e64 v21, v22, 0x7c00, s9
	v_cmp_class_f32_e64 s9, v19, 0x264
	s_or_b32 s5, s5, s12
	s_or_b32 s7, s7, s10
	v_cndmask_b32_e64 v12, 0x7c00, v12, s5
	v_cmp_class_f32_e64 s5, v16, 0x264
	v_cndmask_b32_e64 v19, v20, 0x7c00, s9
	v_cmp_u_f16_e64 s9, v4, v4
	v_cndmask_b32_e64 v15, 0x7c00, v15, s7
	v_cvt_f16_f32_e32 v10, v10
	v_cmp_gt_f32_e64 s7, 0x4b000000, |v6|
	v_cvt_f16_f32_e32 v7, v7
	v_cndmask_b32_e64 v4, v21, v4, s9
	v_cmp_u_f16_e64 s9, v18, v18
	s_or_b32 vcc_lo, vcc_lo, s7
	v_cndmask_b32_e32 v7, 0x7c00, v7, vcc_lo
	v_cndmask_b32_e64 v18, v19, v18, s9
	v_cmp_gt_f32_e64 s9, 0x4b000000, |v16|
	s_or_b32 s8, s8, s9
	v_cndmask_b32_e64 v17, 0x7c00, v17, s8
	v_cmp_gt_f32_e64 s8, 0x4b000000, |v24|
	v_cndmask_b32_e64 v16, v17, 0x7c00, s5
	v_cmp_class_f32_e64 s5, v14, 0x264
	s_or_b32 vcc_lo, s11, s8
	v_cndmask_b32_e64 v14, v15, 0x7c00, s5
	v_cmp_class_f32_e64 s5, v11, 0x264
	v_cndmask_b32_e64 v11, v12, 0x7c00, s5
	v_cmp_u_f16_e64 s5, v3, v3
	v_cndmask_b32_e64 v3, v16, v3, s5
	v_cmp_u_f16_e64 s5, v13, v13
	v_perm_b32 v3, v18, v3, 0x5040100
	v_cndmask_b32_e64 v12, v14, v13, s5
	v_cmp_u_f16_e64 s5, v2, v2
	v_cndmask_b32_e64 v2, v11, v2, s5
	v_cmp_gt_f32_e64 s5, 0x4b000000, |v9|
	v_cvt_f16_f32_e32 v11, v26
	v_perm_b32 v2, v12, v2, 0x5040100
	s_or_b32 s4, s4, s5
	v_cndmask_b32_e32 v11, 0x7c00, v11, vcc_lo
	v_cndmask_b32_e64 v10, 0x7c00, v10, s4
	v_cmp_class_f32_e64 s4, v9, 0x264
	v_cmp_u_f16_e32 vcc_lo, v8, v8
	v_cndmask_b32_e64 v9, v10, 0x7c00, s4
	v_cmp_class_f32_e64 s4, v6, 0x264
	v_cndmask_b32_e32 v8, v9, v8, vcc_lo
	v_cndmask_b32_e64 v6, v7, 0x7c00, s4
	v_cmp_class_f32_e64 s4, v24, 0x264
	v_cmp_u_f16_e32 vcc_lo, v1, v1
	v_cndmask_b32_e64 v7, v11, 0x7c00, s4
	v_cndmask_b32_e32 v1, v6, v1, vcc_lo
	v_cmp_u_f16_e32 vcc_lo, v23, v23
	s_add_u32 s4, s16, s14
	s_addc_u32 s5, s17, s15
	v_perm_b32 v1, v8, v1, 0x5040100
	v_cndmask_b32_e32 v6, v7, v23, vcc_lo
	v_add_co_u32 v7, s7, s4, v5
	v_add_co_ci_u32_e64 v9, null, s5, 0, s7
	v_perm_b32 v4, v6, v4, 0x5040100
	v_add_co_u32 v6, vcc_lo, 0x800, v7
	v_add_co_ci_u32_e64 v7, null, 0, v9, vcc_lo
	global_store_dwordx2 v5, v[1:2], s[4:5]
	global_store_dwordx2 v[6:7], v[3:4], off
	s_branch .LBB149_2
.LBB149_308:
	v_mov_b32_e32 v31, v0
	v_mov_b32_e32 v0, s16
	;; [unrolled: 1-line block ×6, first 2 shown]
	s_getpc_b64 s[4:5]
	s_add_u32 s4, s4, _ZN2at6native25elementwise_kernel_helperILb0EZZZNS0_18lgamma_kernel_cudaERNS_18TensorIteratorBaseEENKUlvE_clEvENKUlvE1_clEvEUlN3c104HalfEE_NS0_6memory8policies11unroll_baseILi256ESt5arrayIPcLm2EE23TrivialOffsetCalculatorILi1EjESG_NS9_15LoadWithoutCastENS9_16StoreWithoutCastELi8ELi1EEEEEvT0_T1_@rel32@lo+4
	s_addc_u32 s5, s5, _ZN2at6native25elementwise_kernel_helperILb0EZZZNS0_18lgamma_kernel_cudaERNS_18TensorIteratorBaseEENKUlvE_clEvENKUlvE1_clEvEUlN3c104HalfEE_NS0_6memory8policies11unroll_baseILi256ESt5arrayIPcLm2EE23TrivialOffsetCalculatorILi1EjESG_NS9_15LoadWithoutCastENS9_16StoreWithoutCastELi8ELi1EEEEEvT0_T1_@rel32@hi+12
	s_mov_b32 s12, s6
	s_swappc_b64 s[30:31], s[4:5]
	s_endpgm
	.section	.rodata,"a",@progbits
	.p2align	6, 0x0
	.amdhsa_kernel _ZN2at6native29vectorized_elementwise_kernelILi4EZZZNS0_18lgamma_kernel_cudaERNS_18TensorIteratorBaseEENKUlvE_clEvENKUlvE1_clEvEUlN3c104HalfEE_St5arrayIPcLm2EEEEviT0_T1_
		.amdhsa_group_segment_fixed_size 0
		.amdhsa_private_segment_fixed_size 0
		.amdhsa_kernarg_size 24
		.amdhsa_user_sgpr_count 6
		.amdhsa_user_sgpr_private_segment_buffer 1
		.amdhsa_user_sgpr_dispatch_ptr 0
		.amdhsa_user_sgpr_queue_ptr 0
		.amdhsa_user_sgpr_kernarg_segment_ptr 1
		.amdhsa_user_sgpr_dispatch_id 0
		.amdhsa_user_sgpr_flat_scratch_init 0
		.amdhsa_user_sgpr_private_segment_size 0
		.amdhsa_wavefront_size32 1
		.amdhsa_uses_dynamic_stack 0
		.amdhsa_system_sgpr_private_segment_wavefront_offset 0
		.amdhsa_system_sgpr_workgroup_id_x 1
		.amdhsa_system_sgpr_workgroup_id_y 0
		.amdhsa_system_sgpr_workgroup_id_z 0
		.amdhsa_system_sgpr_workgroup_info 0
		.amdhsa_system_vgpr_workitem_id 0
		.amdhsa_next_free_vgpr 33
		.amdhsa_next_free_sgpr 33
		.amdhsa_reserve_vcc 1
		.amdhsa_reserve_flat_scratch 0
		.amdhsa_float_round_mode_32 0
		.amdhsa_float_round_mode_16_64 0
		.amdhsa_float_denorm_mode_32 3
		.amdhsa_float_denorm_mode_16_64 3
		.amdhsa_dx10_clamp 1
		.amdhsa_ieee_mode 1
		.amdhsa_fp16_overflow 0
		.amdhsa_workgroup_processor_mode 1
		.amdhsa_memory_ordered 1
		.amdhsa_forward_progress 1
		.amdhsa_shared_vgpr_count 0
		.amdhsa_exception_fp_ieee_invalid_op 0
		.amdhsa_exception_fp_denorm_src 0
		.amdhsa_exception_fp_ieee_div_zero 0
		.amdhsa_exception_fp_ieee_overflow 0
		.amdhsa_exception_fp_ieee_underflow 0
		.amdhsa_exception_fp_ieee_inexact 0
		.amdhsa_exception_int_div_zero 0
	.end_amdhsa_kernel
	.section	.text._ZN2at6native29vectorized_elementwise_kernelILi4EZZZNS0_18lgamma_kernel_cudaERNS_18TensorIteratorBaseEENKUlvE_clEvENKUlvE1_clEvEUlN3c104HalfEE_St5arrayIPcLm2EEEEviT0_T1_,"axG",@progbits,_ZN2at6native29vectorized_elementwise_kernelILi4EZZZNS0_18lgamma_kernel_cudaERNS_18TensorIteratorBaseEENKUlvE_clEvENKUlvE1_clEvEUlN3c104HalfEE_St5arrayIPcLm2EEEEviT0_T1_,comdat
.Lfunc_end149:
	.size	_ZN2at6native29vectorized_elementwise_kernelILi4EZZZNS0_18lgamma_kernel_cudaERNS_18TensorIteratorBaseEENKUlvE_clEvENKUlvE1_clEvEUlN3c104HalfEE_St5arrayIPcLm2EEEEviT0_T1_, .Lfunc_end149-_ZN2at6native29vectorized_elementwise_kernelILi4EZZZNS0_18lgamma_kernel_cudaERNS_18TensorIteratorBaseEENKUlvE_clEvENKUlvE1_clEvEUlN3c104HalfEE_St5arrayIPcLm2EEEEviT0_T1_
                                        ; -- End function
	.set _ZN2at6native29vectorized_elementwise_kernelILi4EZZZNS0_18lgamma_kernel_cudaERNS_18TensorIteratorBaseEENKUlvE_clEvENKUlvE1_clEvEUlN3c104HalfEE_St5arrayIPcLm2EEEEviT0_T1_.num_vgpr, max(33, .L_ZN2at6native25elementwise_kernel_helperILb0EZZZNS0_18lgamma_kernel_cudaERNS_18TensorIteratorBaseEENKUlvE_clEvENKUlvE1_clEvEUlN3c104HalfEE_NS0_6memory8policies11unroll_baseILi256ESt5arrayIPcLm2EE23TrivialOffsetCalculatorILi1EjESG_NS9_15LoadWithoutCastENS9_16StoreWithoutCastELi8ELi1EEEEEvT0_T1_.num_vgpr)
	.set _ZN2at6native29vectorized_elementwise_kernelILi4EZZZNS0_18lgamma_kernel_cudaERNS_18TensorIteratorBaseEENKUlvE_clEvENKUlvE1_clEvEUlN3c104HalfEE_St5arrayIPcLm2EEEEviT0_T1_.num_agpr, max(0, .L_ZN2at6native25elementwise_kernel_helperILb0EZZZNS0_18lgamma_kernel_cudaERNS_18TensorIteratorBaseEENKUlvE_clEvENKUlvE1_clEvEUlN3c104HalfEE_NS0_6memory8policies11unroll_baseILi256ESt5arrayIPcLm2EE23TrivialOffsetCalculatorILi1EjESG_NS9_15LoadWithoutCastENS9_16StoreWithoutCastELi8ELi1EEEEEvT0_T1_.num_agpr)
	.set _ZN2at6native29vectorized_elementwise_kernelILi4EZZZNS0_18lgamma_kernel_cudaERNS_18TensorIteratorBaseEENKUlvE_clEvENKUlvE1_clEvEUlN3c104HalfEE_St5arrayIPcLm2EEEEviT0_T1_.numbered_sgpr, max(33, .L_ZN2at6native25elementwise_kernel_helperILb0EZZZNS0_18lgamma_kernel_cudaERNS_18TensorIteratorBaseEENKUlvE_clEvENKUlvE1_clEvEUlN3c104HalfEE_NS0_6memory8policies11unroll_baseILi256ESt5arrayIPcLm2EE23TrivialOffsetCalculatorILi1EjESG_NS9_15LoadWithoutCastENS9_16StoreWithoutCastELi8ELi1EEEEEvT0_T1_.numbered_sgpr)
	.set _ZN2at6native29vectorized_elementwise_kernelILi4EZZZNS0_18lgamma_kernel_cudaERNS_18TensorIteratorBaseEENKUlvE_clEvENKUlvE1_clEvEUlN3c104HalfEE_St5arrayIPcLm2EEEEviT0_T1_.num_named_barrier, max(0, .L_ZN2at6native25elementwise_kernel_helperILb0EZZZNS0_18lgamma_kernel_cudaERNS_18TensorIteratorBaseEENKUlvE_clEvENKUlvE1_clEvEUlN3c104HalfEE_NS0_6memory8policies11unroll_baseILi256ESt5arrayIPcLm2EE23TrivialOffsetCalculatorILi1EjESG_NS9_15LoadWithoutCastENS9_16StoreWithoutCastELi8ELi1EEEEEvT0_T1_.num_named_barrier)
	.set _ZN2at6native29vectorized_elementwise_kernelILi4EZZZNS0_18lgamma_kernel_cudaERNS_18TensorIteratorBaseEENKUlvE_clEvENKUlvE1_clEvEUlN3c104HalfEE_St5arrayIPcLm2EEEEviT0_T1_.private_seg_size, 0+max(.L_ZN2at6native25elementwise_kernel_helperILb0EZZZNS0_18lgamma_kernel_cudaERNS_18TensorIteratorBaseEENKUlvE_clEvENKUlvE1_clEvEUlN3c104HalfEE_NS0_6memory8policies11unroll_baseILi256ESt5arrayIPcLm2EE23TrivialOffsetCalculatorILi1EjESG_NS9_15LoadWithoutCastENS9_16StoreWithoutCastELi8ELi1EEEEEvT0_T1_.private_seg_size)
	.set _ZN2at6native29vectorized_elementwise_kernelILi4EZZZNS0_18lgamma_kernel_cudaERNS_18TensorIteratorBaseEENKUlvE_clEvENKUlvE1_clEvEUlN3c104HalfEE_St5arrayIPcLm2EEEEviT0_T1_.uses_vcc, or(1, .L_ZN2at6native25elementwise_kernel_helperILb0EZZZNS0_18lgamma_kernel_cudaERNS_18TensorIteratorBaseEENKUlvE_clEvENKUlvE1_clEvEUlN3c104HalfEE_NS0_6memory8policies11unroll_baseILi256ESt5arrayIPcLm2EE23TrivialOffsetCalculatorILi1EjESG_NS9_15LoadWithoutCastENS9_16StoreWithoutCastELi8ELi1EEEEEvT0_T1_.uses_vcc)
	.set _ZN2at6native29vectorized_elementwise_kernelILi4EZZZNS0_18lgamma_kernel_cudaERNS_18TensorIteratorBaseEENKUlvE_clEvENKUlvE1_clEvEUlN3c104HalfEE_St5arrayIPcLm2EEEEviT0_T1_.uses_flat_scratch, or(0, .L_ZN2at6native25elementwise_kernel_helperILb0EZZZNS0_18lgamma_kernel_cudaERNS_18TensorIteratorBaseEENKUlvE_clEvENKUlvE1_clEvEUlN3c104HalfEE_NS0_6memory8policies11unroll_baseILi256ESt5arrayIPcLm2EE23TrivialOffsetCalculatorILi1EjESG_NS9_15LoadWithoutCastENS9_16StoreWithoutCastELi8ELi1EEEEEvT0_T1_.uses_flat_scratch)
	.set _ZN2at6native29vectorized_elementwise_kernelILi4EZZZNS0_18lgamma_kernel_cudaERNS_18TensorIteratorBaseEENKUlvE_clEvENKUlvE1_clEvEUlN3c104HalfEE_St5arrayIPcLm2EEEEviT0_T1_.has_dyn_sized_stack, or(0, .L_ZN2at6native25elementwise_kernel_helperILb0EZZZNS0_18lgamma_kernel_cudaERNS_18TensorIteratorBaseEENKUlvE_clEvENKUlvE1_clEvEUlN3c104HalfEE_NS0_6memory8policies11unroll_baseILi256ESt5arrayIPcLm2EE23TrivialOffsetCalculatorILi1EjESG_NS9_15LoadWithoutCastENS9_16StoreWithoutCastELi8ELi1EEEEEvT0_T1_.has_dyn_sized_stack)
	.set _ZN2at6native29vectorized_elementwise_kernelILi4EZZZNS0_18lgamma_kernel_cudaERNS_18TensorIteratorBaseEENKUlvE_clEvENKUlvE1_clEvEUlN3c104HalfEE_St5arrayIPcLm2EEEEviT0_T1_.has_recursion, or(0, .L_ZN2at6native25elementwise_kernel_helperILb0EZZZNS0_18lgamma_kernel_cudaERNS_18TensorIteratorBaseEENKUlvE_clEvENKUlvE1_clEvEUlN3c104HalfEE_NS0_6memory8policies11unroll_baseILi256ESt5arrayIPcLm2EE23TrivialOffsetCalculatorILi1EjESG_NS9_15LoadWithoutCastENS9_16StoreWithoutCastELi8ELi1EEEEEvT0_T1_.has_recursion)
	.set _ZN2at6native29vectorized_elementwise_kernelILi4EZZZNS0_18lgamma_kernel_cudaERNS_18TensorIteratorBaseEENKUlvE_clEvENKUlvE1_clEvEUlN3c104HalfEE_St5arrayIPcLm2EEEEviT0_T1_.has_indirect_call, or(0, .L_ZN2at6native25elementwise_kernel_helperILb0EZZZNS0_18lgamma_kernel_cudaERNS_18TensorIteratorBaseEENKUlvE_clEvENKUlvE1_clEvEUlN3c104HalfEE_NS0_6memory8policies11unroll_baseILi256ESt5arrayIPcLm2EE23TrivialOffsetCalculatorILi1EjESG_NS9_15LoadWithoutCastENS9_16StoreWithoutCastELi8ELi1EEEEEvT0_T1_.has_indirect_call)
	.section	.AMDGPU.csdata,"",@progbits
; Kernel info:
; codeLenInByte = 18980
; TotalNumSgprs: 35
; NumVgprs: 33
; ScratchSize: 0
; MemoryBound: 0
; FloatMode: 240
; IeeeMode: 1
; LDSByteSize: 0 bytes/workgroup (compile time only)
; SGPRBlocks: 0
; VGPRBlocks: 4
; NumSGPRsForWavesPerEU: 35
; NumVGPRsForWavesPerEU: 33
; Occupancy: 16
; WaveLimiterHint : 1
; COMPUTE_PGM_RSRC2:SCRATCH_EN: 0
; COMPUTE_PGM_RSRC2:USER_SGPR: 6
; COMPUTE_PGM_RSRC2:TRAP_HANDLER: 0
; COMPUTE_PGM_RSRC2:TGID_X_EN: 1
; COMPUTE_PGM_RSRC2:TGID_Y_EN: 0
; COMPUTE_PGM_RSRC2:TGID_Z_EN: 0
; COMPUTE_PGM_RSRC2:TIDIG_COMP_CNT: 0
	.section	.text._ZN2at6native29vectorized_elementwise_kernelILi2EZZZNS0_18lgamma_kernel_cudaERNS_18TensorIteratorBaseEENKUlvE_clEvENKUlvE1_clEvEUlN3c104HalfEE_St5arrayIPcLm2EEEEviT0_T1_,"axG",@progbits,_ZN2at6native29vectorized_elementwise_kernelILi2EZZZNS0_18lgamma_kernel_cudaERNS_18TensorIteratorBaseEENKUlvE_clEvENKUlvE1_clEvEUlN3c104HalfEE_St5arrayIPcLm2EEEEviT0_T1_,comdat
	.globl	_ZN2at6native29vectorized_elementwise_kernelILi2EZZZNS0_18lgamma_kernel_cudaERNS_18TensorIteratorBaseEENKUlvE_clEvENKUlvE1_clEvEUlN3c104HalfEE_St5arrayIPcLm2EEEEviT0_T1_ ; -- Begin function _ZN2at6native29vectorized_elementwise_kernelILi2EZZZNS0_18lgamma_kernel_cudaERNS_18TensorIteratorBaseEENKUlvE_clEvENKUlvE1_clEvEUlN3c104HalfEE_St5arrayIPcLm2EEEEviT0_T1_
	.p2align	8
	.type	_ZN2at6native29vectorized_elementwise_kernelILi2EZZZNS0_18lgamma_kernel_cudaERNS_18TensorIteratorBaseEENKUlvE_clEvENKUlvE1_clEvEUlN3c104HalfEE_St5arrayIPcLm2EEEEviT0_T1_,@function
_ZN2at6native29vectorized_elementwise_kernelILi2EZZZNS0_18lgamma_kernel_cudaERNS_18TensorIteratorBaseEENKUlvE_clEvENKUlvE1_clEvEUlN3c104HalfEE_St5arrayIPcLm2EEEEviT0_T1_: ; @_ZN2at6native29vectorized_elementwise_kernelILi2EZZZNS0_18lgamma_kernel_cudaERNS_18TensorIteratorBaseEENKUlvE_clEvENKUlvE1_clEvEUlN3c104HalfEE_St5arrayIPcLm2EEEEviT0_T1_
; %bb.0:
	s_add_u32 s0, s0, s7
	s_clause 0x1
	s_load_dword s7, s[4:5], 0x0
	s_load_dwordx4 s[16:19], s[4:5], 0x8
	s_addc_u32 s1, s1, 0
	s_lshl_b32 s4, s6, 11
	s_mov_b32 s5, -1
	s_mov_b32 s32, 0
	s_waitcnt lgkmcnt(0)
	s_sub_i32 s20, s7, s4
	s_cmpk_gt_i32 s20, 0x7ff
	s_cbranch_scc1 .LBB150_3
; %bb.1:
	s_and_b32 vcc_lo, exec_lo, s5
	s_cbranch_vccnz .LBB150_308
.LBB150_2:
	s_endpgm
.LBB150_3:
	s_ashr_i32 s5, s4, 31
	v_lshlrev_b32_e32 v1, 2, v0
	s_lshl_b64 s[14:15], s[4:5], 1
	s_add_u32 s4, s18, s14
	s_addc_u32 s5, s19, s15
	v_add_co_u32 v3, s7, s4, v1
	v_add_co_ci_u32_e64 v4, null, s5, 0, s7
	global_load_dword v2, v1, s[4:5]
	v_add_co_u32 v6, vcc_lo, 0x800, v3
	v_add_co_ci_u32_e64 v7, null, 0, v4, vcc_lo
	s_clause 0x2
	global_load_dword v4, v1, s[4:5] offset:1024
	global_load_dword v5, v[6:7], off
	global_load_dword v6, v[6:7], off offset:1024
	s_mov_b32 s5, exec_lo
                                        ; implicit-def: $vgpr7
	s_waitcnt vmcnt(3)
	v_cvt_f32_f16_e32 v3, v2
	v_and_b32_e32 v8, 0x7fffffff, v3
	v_cmpx_ngt_f32_e64 0x3c800000, |v3|
	s_xor_b32 s5, exec_lo, s5
	s_cbranch_execz .LBB150_33
; %bb.4:
	s_mov_b32 s7, exec_lo
                                        ; implicit-def: $vgpr7
	v_cmpx_nlt_f32_e64 |v3|, 2.0
	s_xor_b32 s7, exec_lo, s7
	s_cbranch_execz .LBB150_14
; %bb.5:
	v_cmp_ngt_f32_e64 s4, 0x41000000, |v3|
                                        ; implicit-def: $vgpr7
	s_and_saveexec_b32 s8, s4
	s_xor_b32 s4, exec_lo, s8
	s_cbranch_execz .LBB150_11
; %bb.6:
	v_cmp_ngt_f32_e64 s8, 0x5c800000, |v3|
                                        ; implicit-def: $vgpr7
	s_and_saveexec_b32 s9, s8
	s_xor_b32 s8, exec_lo, s9
	s_cbranch_execz .LBB150_8
; %bb.7:
	v_cmp_gt_f32_e64 s9, 0x800000, |v3|
	v_cndmask_b32_e64 v7, 0, 32, s9
	v_ldexp_f32 v7, |v3|, v7
	v_log_f32_e32 v7, v7
	v_mul_f32_e32 v9, 0x3f317217, v7
	v_cmp_gt_f32_e64 vcc_lo, 0x7f800000, |v7|
	v_fma_f32 v10, 0x3f317217, v7, -v9
	v_fmamk_f32 v10, v7, 0x3377d1cf, v10
	v_add_f32_e32 v9, v9, v10
	v_cndmask_b32_e32 v7, v7, v9, vcc_lo
	v_cndmask_b32_e64 v9, 0, 0x41b17218, s9
	v_sub_f32_e32 v7, v7, v9
	v_fma_f32 v7, |v3|, v7, -|v3|
.LBB150_8:
	s_andn2_saveexec_b32 s8, s8
	s_cbranch_execz .LBB150_10
; %bb.9:
	v_cmp_gt_f32_e64 s9, 0x800000, |v3|
	v_rcp_f32_e64 v9, |v3|
	s_mov_b32 s10, 0xbad5c4e8
	v_cndmask_b32_e64 v7, 0, 32, s9
	v_ldexp_f32 v7, |v3|, v7
	v_mul_f32_e32 v10, v9, v9
	v_log_f32_e32 v7, v7
	v_fmaak_f32 v12, s10, v10, 0x3a5b3dd2
	v_fmaak_f32 v12, v10, v12, 0xba1c065c
	v_mul_f32_e32 v11, 0x3f317217, v7
	v_fmaak_f32 v12, v10, v12, 0x3a500cfd
	v_cmp_gt_f32_e64 vcc_lo, 0x7f800000, |v7|
	v_fma_f32 v13, 0x3f317217, v7, -v11
	v_fmaak_f32 v12, v10, v12, 0xbb360b61
	v_fmamk_f32 v13, v7, 0x3377d1cf, v13
	v_fmaak_f32 v10, v10, v12, 0x3daaaaab
	v_add_f32_e32 v11, v11, v13
	v_cndmask_b32_e32 v7, v7, v11, vcc_lo
	v_cndmask_b32_e64 v11, 0, 0x41b17218, s9
	v_sub_f32_e32 v11, v7, v11
	v_fmaak_f32 v7, v9, v10, 0x3ed67f1d
	v_add_f32_e64 v9, |v3|, -0.5
	v_add_f32_e32 v10, -1.0, v11
	v_fmac_f32_e32 v7, v9, v10
.LBB150_10:
	s_or_b32 exec_lo, exec_lo, s8
.LBB150_11:
	s_andn2_saveexec_b32 s8, s4
	s_cbranch_execz .LBB150_13
; %bb.12:
	v_cvt_i32_f32_e32 v7, v8
	s_mov_b32 s4, 0x36f5d7bd
	s_mov_b32 s9, 0x3805ff67
	v_cvt_f32_i32_e32 v9, v7
	v_cmp_lt_i32_e32 vcc_lo, 2, v7
	v_sub_f32_e64 v9, |v3|, v9
	v_add_f32_e32 v10, 2.0, v9
	v_add_f32_e32 v11, 0x40400000, v9
	v_add_f32_e32 v12, 4.0, v9
	v_add_f32_e32 v13, 0x40a00000, v9
	v_cndmask_b32_e32 v10, 1.0, v10, vcc_lo
	v_cmp_lt_i32_e32 vcc_lo, 3, v7
	v_cndmask_b32_e32 v11, 1.0, v11, vcc_lo
	v_cmp_lt_i32_e32 vcc_lo, 4, v7
	v_mul_f32_e32 v10, v10, v11
	v_cndmask_b32_e32 v12, 1.0, v12, vcc_lo
	v_cmp_lt_i32_e32 vcc_lo, 5, v7
	v_add_f32_e32 v11, 0x40c00000, v9
	v_mul_f32_e32 v10, v12, v10
	v_cndmask_b32_e32 v13, 1.0, v13, vcc_lo
	v_cmp_lt_i32_e32 vcc_lo, 6, v7
	v_fmaak_f32 v12, s9, v9, 0x3af135b4
	v_mul_f32_e32 v10, v13, v10
	v_cndmask_b32_e32 v7, 1.0, v11, vcc_lo
	v_mul_f32_e32 v7, v7, v10
	v_fmaak_f32 v10, s4, v9, 0x3a4beed6
	v_cmp_gt_f32_e32 vcc_lo, 0x800000, v7
	v_fmaak_f32 v10, v9, v10, 0x3c98bf54
	v_cndmask_b32_e64 v11, 0, 32, vcc_lo
	v_fmaak_f32 v10, v9, v10, 0x3e300f6e
	v_ldexp_f32 v7, v7, v11
	v_fmaak_f32 v11, v9, v12, 0x3cda40e4
	v_fmaak_f32 v10, v9, v10, 0x3f38d0c5
	v_log_f32_e32 v7, v7
	v_fmaak_f32 v11, v9, v11, 0x3e15dce6
	v_fmaak_f32 v10, v9, v10, 0x3fb22d3b
	;; [unrolled: 1-line block ×3, first 2 shown]
	v_fma_f32 v10, v9, v10, 1.0
	v_mul_f32_e32 v12, 0x3f317217, v7
	v_fmaak_f32 v11, v9, v11, 0x3e5c245a
	v_rcp_f32_e32 v10, v10
	v_cmp_gt_f32_e64 s4, 0x7f800000, |v7|
	v_fma_f32 v13, 0x3f317217, v7, -v12
	v_fmaak_f32 v11, v9, v11, 0xbd9e233f
	v_fmamk_f32 v13, v7, 0x3377d1cf, v13
	v_mul_f32_e32 v11, v9, v11
	v_add_f32_e32 v12, v12, v13
	v_mul_f32_e32 v10, v11, v10
	v_cndmask_b32_e64 v11, 0, 0x41b17218, vcc_lo
	v_cndmask_b32_e64 v7, v7, v12, s4
	v_fmac_f32_e32 v10, 0.5, v9
	v_sub_f32_e32 v7, v7, v11
	v_add_f32_e32 v7, v7, v10
.LBB150_13:
	s_or_b32 exec_lo, exec_lo, s8
.LBB150_14:
	s_andn2_saveexec_b32 s7, s7
	s_cbranch_execz .LBB150_32
; %bb.15:
	s_mov_b32 s8, exec_lo
                                        ; implicit-def: $vgpr7
                                        ; implicit-def: $vgpr10
                                        ; implicit-def: $vgpr9
	v_cmpx_ge_f32_e64 0x3f666666, |v3|
	s_xor_b32 s8, exec_lo, s8
	s_cbranch_execz .LBB150_17
; %bb.16:
	v_cmp_gt_f32_e64 s4, 0x800000, |v3|
	v_sub_f32_e64 v11, 1.0, |v3|
	v_cmp_gt_f32_e64 vcc_lo, 0x3f3b4a23, |v3|
	v_cndmask_b32_e64 v7, 0, 32, s4
	v_cndmask_b32_e64 v12, 0, 0x41b17218, s4
	v_ldexp_f32 v7, |v3|, v7
	v_log_f32_e32 v7, v7
	v_mul_f32_e32 v9, 0x3f317217, v7
	v_cmp_gt_f32_e64 s4, 0x7f800000, |v7|
	v_fma_f32 v10, 0x3f317217, v7, -v9
	v_fmamk_f32 v10, v7, 0x3377d1cf, v10
	v_add_f32_e32 v9, v9, v10
	v_add_f32_e64 v10, 0xbeec5b0c, |v3|
	v_cndmask_b32_e64 v7, v7, v9, s4
	v_cndmask_b32_e32 v9, v11, v10, vcc_lo
	v_cndmask_b32_e64 v10, 0, 1, vcc_lo
	v_cmp_gt_f32_e64 s4, 0x3e6d3309, |v3|
	v_sub_f32_e32 v7, v7, v12
	v_cndmask_b32_e64 v9, v9, |v3|, s4
	v_cndmask_b32_e64 v10, v10, 2, s4
	v_xor_b32_e32 v7, 0x80000000, v7
.LBB150_17:
	s_andn2_saveexec_b32 s4, s8
	s_cbranch_execz .LBB150_19
; %bb.18:
	v_sub_f32_e64 v7, 2.0, |v3|
	v_add_f32_e64 v9, 0xbfbb16c3, |v3|
	v_cmp_gt_f32_e64 vcc_lo, 0x3fdda512, |v3|
	v_add_f32_e64 v10, |v3|, -1.0
	v_cndmask_b32_e32 v9, v7, v9, vcc_lo
	v_cndmask_b32_e64 v7, v7, 1.0, vcc_lo
	v_cmp_gt_f32_e64 vcc_lo, 0x3f9d70a4, |v3|
	v_cvt_i32_f32_e32 v7, v7
	v_cndmask_b32_e32 v9, v9, v10, vcc_lo
	v_cndmask_b32_e64 v10, v7, 2, vcc_lo
	v_mov_b32_e32 v7, 0
.LBB150_19:
	s_or_b32 exec_lo, exec_lo, s4
	s_mov_b32 s4, exec_lo
	v_cmpx_lt_i32_e32 0, v10
	s_xor_b32 s4, exec_lo, s4
	s_cbranch_execz .LBB150_27
; %bb.20:
	s_mov_b32 s8, exec_lo
	v_cmpx_lt_i32_e32 1, v10
	s_xor_b32 s8, exec_lo, s8
	s_cbranch_execz .LBB150_24
; %bb.21:
	s_mov_b32 s9, exec_lo
	v_cmpx_eq_u32_e32 2, v10
	s_cbranch_execz .LBB150_23
; %bb.22:
	s_mov_b32 s10, 0x3b52d5db
	v_fmaak_f32 v10, s10, v9, 0x3dd572af
	s_mov_b32 s10, 0x3c5b3c5e
	v_fmaak_f32 v11, s10, v9, 0x3e6a7578
	v_fmaak_f32 v10, v9, v10, 0x3f44efdf
	;; [unrolled: 1-line block ×7, first 2 shown]
	v_fma_f32 v10, v9, v10, 1.0
	v_fmaak_f32 v11, v9, v11, 0xbd9e233f
	v_rcp_f32_e32 v10, v10
	v_mul_f32_e32 v11, v9, v11
	v_mul_f32_e32 v10, v11, v10
	v_fmac_f32_e32 v10, -0.5, v9
	v_add_f32_e32 v7, v7, v10
.LBB150_23:
	s_or_b32 exec_lo, exec_lo, s9
                                        ; implicit-def: $vgpr9
.LBB150_24:
	s_andn2_saveexec_b32 s8, s8
	s_cbranch_execz .LBB150_26
; %bb.25:
	v_mul_f32_e32 v10, v9, v9
	s_mov_b32 s9, 0xb9a3f927
	s_mov_b32 s10, 0x39afe9f7
	v_mul_f32_e32 v11, v9, v10
	v_fmaak_f32 v12, s9, v11, 0x3a66f867
	v_fmaak_f32 v13, s10, v11, 0xba0d3085
	s_mov_b32 s9, 0x39a57b6b
	v_fmaak_f32 v14, s9, v11, 0xbab7f476
	v_fmaak_f32 v12, v11, v12, 0xbb7177fe
	;; [unrolled: 1-line block ×9, first 2 shown]
	v_fmac_f32_e32 v12, v9, v13
	v_fmaak_f32 v9, v11, v14, 0x3ef7b95e
	v_fma_f32 v11, v11, -v12, 0xa2863e55
	v_fma_f32 v9, v10, v9, -v11
	v_add_f32_e32 v9, 0xbdf8cdce, v9
	v_add_f32_e32 v7, v7, v9
.LBB150_26:
	s_or_b32 exec_lo, exec_lo, s8
                                        ; implicit-def: $vgpr10
                                        ; implicit-def: $vgpr9
.LBB150_27:
	s_andn2_saveexec_b32 s4, s4
	s_cbranch_execz .LBB150_31
; %bb.28:
	s_mov_b32 s8, exec_lo
	v_cmpx_eq_u32_e32 0, v10
	s_cbranch_execz .LBB150_30
; %bb.29:
	v_mul_f32_e32 v10, v9, v9
	s_mov_b32 s9, 0x383c2c75
	v_fmaak_f32 v11, s9, v10, 0x38e28445
	s_mov_b32 s9, 0x37d383a2
	v_fmaak_f32 v12, s9, v10, 0x39679767
	v_fmaak_f32 v11, v10, v11, 0x3a05b634
	;; [unrolled: 1-line block ×9, first 2 shown]
	v_mul_f32_e32 v10, v10, v11
	v_fmac_f32_e32 v10, v9, v12
	v_fmac_f32_e32 v10, -0.5, v9
	v_add_f32_e32 v7, v7, v10
.LBB150_30:
	s_or_b32 exec_lo, exec_lo, s8
.LBB150_31:
	s_or_b32 exec_lo, exec_lo, s4
.LBB150_32:
	s_or_b32 exec_lo, exec_lo, s7
.LBB150_33:
	s_andn2_saveexec_b32 s4, s5
	s_cbranch_execz .LBB150_35
; %bb.34:
	v_cmp_gt_f32_e64 s5, 0x800000, |v3|
	s_mov_b32 s7, 0x3e8a8991
	v_fma_f32 v11, |v3|, s7, 0xbecd26ab
	v_cndmask_b32_e64 v7, 0, 32, s5
	v_ldexp_f32 v7, |v3|, v7
	v_log_f32_e32 v7, v7
	v_mul_f32_e32 v9, 0x3f317217, v7
	v_cmp_gt_f32_e64 vcc_lo, 0x7f800000, |v7|
	v_fma_f32 v10, 0x3f317217, v7, -v9
	v_fmamk_f32 v10, v7, 0x3377d1cf, v10
	v_add_f32_e32 v9, v9, v10
	v_fma_f32 v10, |v3|, v11, 0x3f528d33
	v_cndmask_b32_e32 v7, v7, v9, vcc_lo
	v_cndmask_b32_e64 v9, 0, 0x41b17218, s5
	v_fma_f32 v10, |v3|, v10, 0xbf13c468
	v_sub_f32_e32 v7, v7, v9
	v_fma_f32 v7, |v3|, v10, -v7
.LBB150_35:
	s_or_b32 exec_lo, exec_lo, s4
	v_cmp_le_f16_e32 vcc_lo, 0, v2
	s_mov_b32 s5, exec_lo
	v_cmpx_nle_f16_e32 0, v2
	s_xor_b32 s7, exec_lo, s5
	s_cbranch_execz .LBB150_39
; %bb.36:
	v_cmp_gt_f32_e64 s4, 0x4b000000, |v3|
	v_cmp_lt_f32_e64 s5, 0x35000000, |v3|
	s_and_b32 s4, s4, s5
	s_and_saveexec_b32 s8, s4
	s_cbranch_execz .LBB150_38
; %bb.37:
	v_mul_f32_e64 v9, |v3|, 0.5
	s_mov_b32 s5, 0x3d4be544
	v_xor_b32_e32 v8, v8, v3
	v_floor_f32_e32 v10, v9
	v_cmp_neq_f32_e64 s4, 0x7f800000, v9
	v_sub_f32_e32 v10, v9, v10
	v_min_f32_e32 v10, 0x3f7fffff, v10
	v_add_f32_e32 v10, v10, v10
	v_cndmask_b32_e64 v9, 0, v10, s4
	v_cmp_gt_f32_e64 s4, |v3|, 1.0
	v_cndmask_b32_e64 v9, |v3|, v9, s4
	s_mov_b32 s4, 0x3e75aa41
	v_add_f32_e32 v10, v9, v9
	v_rndne_f32_e32 v10, v10
	v_fmac_f32_e32 v9, -0.5, v10
	v_cvt_i32_f32_e32 v10, v10
	v_mul_f32_e32 v11, v9, v9
	v_fmaak_f32 v12, s4, v11, 0xbf1f24be
	v_fmaak_f32 v13, s5, v11, 0x3e642e9d
	v_mul_f32_e32 v14, v9, v11
	v_fmaak_f32 v12, v11, v12, 0x40234736
	v_fmaak_f32 v13, v11, v13, 0xbfaad1da
	v_fmaak_f32 v12, v11, v12, 0xc0a55e0e
	v_fmaak_f32 v13, v11, v13, 0x4081e0d3
	v_mul_f32_e32 v12, v14, v12
	v_fmaak_f32 v13, v11, v13, 0xc09de9e6
	v_and_b32_e32 v14, 1, v10
	v_lshlrev_b32_e32 v10, 30, v10
	v_fmamk_f32 v9, v9, 0x40490fdb, v12
	v_fma_f32 v11, v11, v13, 1.0
	v_cmp_eq_u32_e64 s4, 0, v14
	v_and_b32_e32 v10, 0x80000000, v10
	v_cndmask_b32_e64 v9, v11, v9, s4
	v_xor3_b32 v8, v8, v10, v9
	v_mul_f32_e32 v8, v3, v8
	v_frexp_mant_f32_e64 v9, |v8|
	v_frexp_exp_i32_f32_e32 v8, v8
	v_rcp_f32_e32 v9, v9
	v_sub_nc_u32_e32 v8, 2, v8
	v_mul_f32_e32 v9, 0x3f490fdb, v9
	v_ldexp_f32 v8, v9, v8
	v_cmp_gt_f32_e64 s4, 0x800000, v8
	v_cndmask_b32_e64 v9, 0, 32, s4
	v_ldexp_f32 v8, v8, v9
	v_log_f32_e32 v8, v8
	v_mul_f32_e32 v9, 0x3f317217, v8
	v_cmp_gt_f32_e64 s5, 0x7f800000, |v8|
	v_fma_f32 v10, 0x3f317217, v8, -v9
	v_fmamk_f32 v10, v8, 0x3377d1cf, v10
	v_add_f32_e32 v9, v9, v10
	v_floor_f32_e32 v10, v3
	v_cndmask_b32_e64 v8, v8, v9, s5
	v_cndmask_b32_e64 v9, 0, 0x41b17218, s4
	v_sub_f32_e32 v10, v3, v10
	v_sub_f32_e32 v8, v8, v9
	v_min_f32_e32 v9, 0x3f7fffff, v10
	v_sub_f32_e32 v7, v8, v7
	v_cmp_neq_f32_e64 s4, 0, v9
	v_cndmask_b32_e64 v7, 0x7f800000, v7, s4
.LBB150_38:
	s_or_b32 exec_lo, exec_lo, s8
.LBB150_39:
	s_andn2_saveexec_b32 s7, s7
; %bb.40:
	v_cmp_eq_f16_e64 s4, 1.0, v2
	v_cmp_eq_f16_e64 s5, 2.0, v2
	s_or_b32 s4, s4, s5
	v_cndmask_b32_e64 v7, v7, 0, s4
; %bb.41:
	s_or_b32 exec_lo, exec_lo, s7
	v_lshrrev_b32_e32 v8, 16, v2
                                        ; implicit-def: $vgpr10
	s_mov_b32 s5, exec_lo
	v_cvt_f32_f16_e32 v9, v8
	v_and_b32_e32 v11, 0x7fffffff, v9
	v_cmpx_ngt_f32_e64 0x3c800000, |v9|
	s_xor_b32 s7, exec_lo, s5
	s_cbranch_execz .LBB150_71
; %bb.42:
                                        ; implicit-def: $vgpr10
	s_mov_b32 s5, exec_lo
	v_cmpx_nlt_f32_e64 |v9|, 2.0
	s_xor_b32 s8, exec_lo, s5
	s_cbranch_execz .LBB150_52
; %bb.43:
	s_mov_b32 s5, exec_lo
                                        ; implicit-def: $vgpr10
	v_cmpx_ngt_f32_e64 0x41000000, |v9|
	s_xor_b32 s5, exec_lo, s5
	s_cbranch_execz .LBB150_49
; %bb.44:
	s_mov_b32 s9, exec_lo
                                        ; implicit-def: $vgpr10
	v_cmpx_ngt_f32_e64 0x5c800000, |v9|
	s_xor_b32 s9, exec_lo, s9
	s_cbranch_execz .LBB150_46
; %bb.45:
	v_cmp_gt_f32_e64 s10, 0x800000, |v9|
	v_cndmask_b32_e64 v10, 0, 32, s10
	v_ldexp_f32 v10, |v9|, v10
	v_log_f32_e32 v10, v10
	v_mul_f32_e32 v12, 0x3f317217, v10
	v_cmp_gt_f32_e64 s4, 0x7f800000, |v10|
	v_fma_f32 v13, 0x3f317217, v10, -v12
	v_fmamk_f32 v13, v10, 0x3377d1cf, v13
	v_add_f32_e32 v12, v12, v13
	v_cndmask_b32_e64 v10, v10, v12, s4
	v_cndmask_b32_e64 v12, 0, 0x41b17218, s10
	v_sub_f32_e32 v10, v10, v12
	v_fma_f32 v10, |v9|, v10, -|v9|
.LBB150_46:
	s_andn2_saveexec_b32 s9, s9
	s_cbranch_execz .LBB150_48
; %bb.47:
	v_cmp_gt_f32_e64 s10, 0x800000, |v9|
	v_rcp_f32_e64 v12, |v9|
	s_mov_b32 s4, 0xbad5c4e8
	v_cndmask_b32_e64 v10, 0, 32, s10
	v_ldexp_f32 v10, |v9|, v10
	v_mul_f32_e32 v13, v12, v12
	v_log_f32_e32 v10, v10
	v_fmaak_f32 v15, s4, v13, 0x3a5b3dd2
	v_fmaak_f32 v15, v13, v15, 0xba1c065c
	v_mul_f32_e32 v14, 0x3f317217, v10
	v_fmaak_f32 v15, v13, v15, 0x3a500cfd
	v_cmp_gt_f32_e64 s4, 0x7f800000, |v10|
	v_fma_f32 v16, 0x3f317217, v10, -v14
	v_fmaak_f32 v15, v13, v15, 0xbb360b61
	v_fmamk_f32 v16, v10, 0x3377d1cf, v16
	v_fmaak_f32 v13, v13, v15, 0x3daaaaab
	v_add_f32_e32 v14, v14, v16
	v_cndmask_b32_e64 v10, v10, v14, s4
	v_cndmask_b32_e64 v14, 0, 0x41b17218, s10
	v_sub_f32_e32 v14, v10, v14
	v_fmaak_f32 v10, v12, v13, 0x3ed67f1d
	v_add_f32_e64 v12, |v9|, -0.5
	v_add_f32_e32 v13, -1.0, v14
	v_fmac_f32_e32 v10, v12, v13
.LBB150_48:
	s_or_b32 exec_lo, exec_lo, s9
.LBB150_49:
	s_andn2_saveexec_b32 s9, s5
	s_cbranch_execz .LBB150_51
; %bb.50:
	v_cvt_i32_f32_e32 v10, v11
	s_mov_b32 s5, 0x3805ff67
	v_cvt_f32_i32_e32 v12, v10
	v_cmp_lt_i32_e64 s4, 2, v10
	v_sub_f32_e64 v12, |v9|, v12
	v_add_f32_e32 v13, 2.0, v12
	v_add_f32_e32 v14, 0x40400000, v12
	v_add_f32_e32 v15, 4.0, v12
	v_add_f32_e32 v16, 0x40a00000, v12
	v_cndmask_b32_e64 v13, 1.0, v13, s4
	v_cmp_lt_i32_e64 s4, 3, v10
	v_cndmask_b32_e64 v14, 1.0, v14, s4
	v_cmp_lt_i32_e64 s4, 4, v10
	v_mul_f32_e32 v13, v13, v14
	v_cndmask_b32_e64 v15, 1.0, v15, s4
	v_cmp_lt_i32_e64 s4, 5, v10
	v_add_f32_e32 v14, 0x40c00000, v12
	v_mul_f32_e32 v13, v15, v13
	v_cndmask_b32_e64 v16, 1.0, v16, s4
	v_cmp_lt_i32_e64 s4, 6, v10
	v_fmaak_f32 v15, s5, v12, 0x3af135b4
	v_mul_f32_e32 v13, v16, v13
	v_cndmask_b32_e64 v10, 1.0, v14, s4
	s_mov_b32 s4, 0x36f5d7bd
	v_mul_f32_e32 v10, v10, v13
	v_fmaak_f32 v13, s4, v12, 0x3a4beed6
	v_cmp_gt_f32_e64 s4, 0x800000, v10
	v_fmaak_f32 v13, v12, v13, 0x3c98bf54
	v_cndmask_b32_e64 v14, 0, 32, s4
	v_fmaak_f32 v13, v12, v13, 0x3e300f6e
	v_ldexp_f32 v10, v10, v14
	v_fmaak_f32 v14, v12, v15, 0x3cda40e4
	v_fmaak_f32 v13, v12, v13, 0x3f38d0c5
	v_log_f32_e32 v10, v10
	v_fmaak_f32 v14, v12, v14, 0x3e15dce6
	v_fmaak_f32 v13, v12, v13, 0x3fb22d3b
	;; [unrolled: 1-line block ×3, first 2 shown]
	v_fma_f32 v13, v12, v13, 1.0
	v_mul_f32_e32 v15, 0x3f317217, v10
	v_fmaak_f32 v14, v12, v14, 0x3e5c245a
	v_rcp_f32_e32 v13, v13
	v_cmp_gt_f32_e64 s5, 0x7f800000, |v10|
	v_fma_f32 v16, 0x3f317217, v10, -v15
	v_fmaak_f32 v14, v12, v14, 0xbd9e233f
	v_fmamk_f32 v16, v10, 0x3377d1cf, v16
	v_mul_f32_e32 v14, v12, v14
	v_add_f32_e32 v15, v15, v16
	v_mul_f32_e32 v13, v14, v13
	v_cndmask_b32_e64 v14, 0, 0x41b17218, s4
	v_cndmask_b32_e64 v10, v10, v15, s5
	v_fmac_f32_e32 v13, 0.5, v12
	v_sub_f32_e32 v10, v10, v14
	v_add_f32_e32 v10, v10, v13
.LBB150_51:
	s_or_b32 exec_lo, exec_lo, s9
.LBB150_52:
	s_andn2_saveexec_b32 s8, s8
	s_cbranch_execz .LBB150_70
; %bb.53:
                                        ; implicit-def: $vgpr10
                                        ; implicit-def: $vgpr13
                                        ; implicit-def: $vgpr12
	s_mov_b32 s5, exec_lo
	v_cmpx_ge_f32_e64 0x3f666666, |v9|
	s_xor_b32 s9, exec_lo, s5
	s_cbranch_execz .LBB150_55
; %bb.54:
	v_cmp_gt_f32_e64 s5, 0x800000, |v9|
	v_sub_f32_e64 v14, 1.0, |v9|
	v_cmp_gt_f32_e64 s4, 0x3f3b4a23, |v9|
	v_cndmask_b32_e64 v10, 0, 32, s5
	v_cndmask_b32_e64 v15, 0, 0x41b17218, s5
	v_ldexp_f32 v10, |v9|, v10
	v_log_f32_e32 v10, v10
	v_mul_f32_e32 v12, 0x3f317217, v10
	v_cmp_gt_f32_e64 s5, 0x7f800000, |v10|
	v_fma_f32 v13, 0x3f317217, v10, -v12
	v_fmamk_f32 v13, v10, 0x3377d1cf, v13
	v_add_f32_e32 v12, v12, v13
	v_add_f32_e64 v13, 0xbeec5b0c, |v9|
	v_cndmask_b32_e64 v10, v10, v12, s5
	v_cndmask_b32_e64 v12, v14, v13, s4
	;; [unrolled: 1-line block ×3, first 2 shown]
	v_cmp_gt_f32_e64 s4, 0x3e6d3309, |v9|
	v_sub_f32_e32 v10, v10, v15
	v_cndmask_b32_e64 v12, v12, |v9|, s4
	v_cndmask_b32_e64 v13, v13, 2, s4
	v_xor_b32_e32 v10, 0x80000000, v10
.LBB150_55:
	s_andn2_saveexec_b32 s5, s9
	s_cbranch_execz .LBB150_57
; %bb.56:
	v_sub_f32_e64 v10, 2.0, |v9|
	v_add_f32_e64 v12, 0xbfbb16c3, |v9|
	v_cmp_gt_f32_e64 s4, 0x3fdda512, |v9|
	v_add_f32_e64 v13, |v9|, -1.0
	v_cndmask_b32_e64 v12, v10, v12, s4
	v_cndmask_b32_e64 v10, v10, 1.0, s4
	v_cmp_gt_f32_e64 s4, 0x3f9d70a4, |v9|
	v_cvt_i32_f32_e32 v10, v10
	v_cndmask_b32_e64 v12, v12, v13, s4
	v_cndmask_b32_e64 v13, v10, 2, s4
	v_mov_b32_e32 v10, 0
.LBB150_57:
	s_or_b32 exec_lo, exec_lo, s5
	s_mov_b32 s5, exec_lo
	v_cmpx_lt_i32_e32 0, v13
	s_xor_b32 s5, exec_lo, s5
	s_cbranch_execz .LBB150_65
; %bb.58:
	s_mov_b32 s9, exec_lo
	v_cmpx_lt_i32_e32 1, v13
	s_xor_b32 s9, exec_lo, s9
	s_cbranch_execz .LBB150_62
; %bb.59:
	s_mov_b32 s10, exec_lo
	v_cmpx_eq_u32_e32 2, v13
	s_cbranch_execz .LBB150_61
; %bb.60:
	s_mov_b32 s4, 0x3b52d5db
	v_fmaak_f32 v13, s4, v12, 0x3dd572af
	s_mov_b32 s4, 0x3c5b3c5e
	v_fmaak_f32 v14, s4, v12, 0x3e6a7578
	v_fmaak_f32 v13, v12, v13, 0x3f44efdf
	;; [unrolled: 1-line block ×7, first 2 shown]
	v_fma_f32 v13, v12, v13, 1.0
	v_fmaak_f32 v14, v12, v14, 0xbd9e233f
	v_rcp_f32_e32 v13, v13
	v_mul_f32_e32 v14, v12, v14
	v_mul_f32_e32 v13, v14, v13
	v_fmac_f32_e32 v13, -0.5, v12
	v_add_f32_e32 v10, v10, v13
.LBB150_61:
	s_or_b32 exec_lo, exec_lo, s10
                                        ; implicit-def: $vgpr12
.LBB150_62:
	s_andn2_saveexec_b32 s4, s9
	s_cbranch_execz .LBB150_64
; %bb.63:
	v_mul_f32_e32 v13, v12, v12
	s_mov_b32 s9, 0xb9a3f927
	s_mov_b32 s10, 0x39afe9f7
	v_mul_f32_e32 v14, v12, v13
	v_fmaak_f32 v15, s9, v14, 0x3a66f867
	v_fmaak_f32 v16, s10, v14, 0xba0d3085
	s_mov_b32 s9, 0x39a57b6b
	v_fmaak_f32 v17, s9, v14, 0xbab7f476
	v_fmaak_f32 v15, v14, v15, 0xbb7177fe
	;; [unrolled: 1-line block ×9, first 2 shown]
	v_fmac_f32_e32 v15, v12, v16
	v_fmaak_f32 v12, v14, v17, 0x3ef7b95e
	v_fma_f32 v14, v14, -v15, 0xa2863e55
	v_fma_f32 v12, v13, v12, -v14
	v_add_f32_e32 v12, 0xbdf8cdce, v12
	v_add_f32_e32 v10, v10, v12
.LBB150_64:
	s_or_b32 exec_lo, exec_lo, s4
                                        ; implicit-def: $vgpr13
                                        ; implicit-def: $vgpr12
.LBB150_65:
	s_andn2_saveexec_b32 s5, s5
	s_cbranch_execz .LBB150_69
; %bb.66:
	s_mov_b32 s9, exec_lo
	v_cmpx_eq_u32_e32 0, v13
	s_cbranch_execz .LBB150_68
; %bb.67:
	v_mul_f32_e32 v13, v12, v12
	s_mov_b32 s4, 0x383c2c75
	v_fmaak_f32 v14, s4, v13, 0x38e28445
	s_mov_b32 s4, 0x37d383a2
	v_fmaak_f32 v15, s4, v13, 0x39679767
	v_fmaak_f32 v14, v13, v14, 0x3a05b634
	;; [unrolled: 1-line block ×9, first 2 shown]
	v_mul_f32_e32 v13, v13, v14
	v_fmac_f32_e32 v13, v12, v15
	v_fmac_f32_e32 v13, -0.5, v12
	v_add_f32_e32 v10, v10, v13
.LBB150_68:
	s_or_b32 exec_lo, exec_lo, s9
.LBB150_69:
	s_or_b32 exec_lo, exec_lo, s5
.LBB150_70:
	s_or_b32 exec_lo, exec_lo, s8
.LBB150_71:
	s_andn2_saveexec_b32 s5, s7
	s_cbranch_execz .LBB150_73
; %bb.72:
	v_cmp_gt_f32_e64 s7, 0x800000, |v9|
	s_mov_b32 s4, 0x3e8a8991
	v_fma_f32 v14, |v9|, s4, 0xbecd26ab
	v_cndmask_b32_e64 v10, 0, 32, s7
	v_ldexp_f32 v10, |v9|, v10
	v_log_f32_e32 v10, v10
	v_mul_f32_e32 v12, 0x3f317217, v10
	v_cmp_gt_f32_e64 s4, 0x7f800000, |v10|
	v_fma_f32 v13, 0x3f317217, v10, -v12
	v_fmamk_f32 v13, v10, 0x3377d1cf, v13
	v_add_f32_e32 v12, v12, v13
	v_fma_f32 v13, |v9|, v14, 0x3f528d33
	v_cndmask_b32_e64 v10, v10, v12, s4
	v_cndmask_b32_e64 v12, 0, 0x41b17218, s7
	v_fma_f32 v13, |v9|, v13, 0xbf13c468
	v_sub_f32_e32 v10, v10, v12
	v_fma_f32 v10, |v9|, v13, -v10
.LBB150_73:
	s_or_b32 exec_lo, exec_lo, s5
	v_cmp_le_f16_e64 s4, 0, v8
	s_mov_b32 s7, exec_lo
	v_cmpx_nle_f16_e32 0, v8
	s_xor_b32 s8, exec_lo, s7
	s_cbranch_execz .LBB150_77
; %bb.74:
	v_cmp_gt_f32_e64 s5, 0x4b000000, |v9|
	v_cmp_lt_f32_e64 s7, 0x35000000, |v9|
	s_and_b32 s5, s5, s7
	s_and_saveexec_b32 s9, s5
	s_cbranch_execz .LBB150_76
; %bb.75:
	v_mul_f32_e64 v12, |v9|, 0.5
	s_mov_b32 s7, 0x3d4be544
	v_xor_b32_e32 v11, v11, v9
	v_floor_f32_e32 v13, v12
	v_cmp_neq_f32_e64 s5, 0x7f800000, v12
	v_sub_f32_e32 v13, v12, v13
	v_min_f32_e32 v13, 0x3f7fffff, v13
	v_add_f32_e32 v13, v13, v13
	v_cndmask_b32_e64 v12, 0, v13, s5
	v_cmp_gt_f32_e64 s5, |v9|, 1.0
	v_cndmask_b32_e64 v12, |v9|, v12, s5
	s_mov_b32 s5, 0x3e75aa41
	v_add_f32_e32 v13, v12, v12
	v_rndne_f32_e32 v13, v13
	v_fmac_f32_e32 v12, -0.5, v13
	v_cvt_i32_f32_e32 v13, v13
	v_mul_f32_e32 v14, v12, v12
	v_fmaak_f32 v15, s5, v14, 0xbf1f24be
	v_fmaak_f32 v16, s7, v14, 0x3e642e9d
	v_mul_f32_e32 v17, v12, v14
	v_fmaak_f32 v15, v14, v15, 0x40234736
	v_fmaak_f32 v16, v14, v16, 0xbfaad1da
	;; [unrolled: 1-line block ×4, first 2 shown]
	v_mul_f32_e32 v15, v17, v15
	v_fmaak_f32 v16, v14, v16, 0xc09de9e6
	v_and_b32_e32 v17, 1, v13
	v_lshlrev_b32_e32 v13, 30, v13
	v_fmamk_f32 v12, v12, 0x40490fdb, v15
	v_fma_f32 v14, v14, v16, 1.0
	v_cmp_eq_u32_e64 s5, 0, v17
	v_and_b32_e32 v13, 0x80000000, v13
	v_cndmask_b32_e64 v12, v14, v12, s5
	v_xor3_b32 v11, v11, v13, v12
	v_mul_f32_e32 v11, v9, v11
	v_frexp_mant_f32_e64 v12, |v11|
	v_frexp_exp_i32_f32_e32 v11, v11
	v_rcp_f32_e32 v12, v12
	v_sub_nc_u32_e32 v11, 2, v11
	v_mul_f32_e32 v12, 0x3f490fdb, v12
	v_ldexp_f32 v11, v12, v11
	v_cmp_gt_f32_e64 s5, 0x800000, v11
	v_cndmask_b32_e64 v12, 0, 32, s5
	v_ldexp_f32 v11, v11, v12
	v_log_f32_e32 v11, v11
	v_mul_f32_e32 v12, 0x3f317217, v11
	v_cmp_gt_f32_e64 s7, 0x7f800000, |v11|
	v_fma_f32 v13, 0x3f317217, v11, -v12
	v_fmamk_f32 v13, v11, 0x3377d1cf, v13
	v_add_f32_e32 v12, v12, v13
	v_floor_f32_e32 v13, v9
	v_cndmask_b32_e64 v11, v11, v12, s7
	v_cndmask_b32_e64 v12, 0, 0x41b17218, s5
	v_sub_f32_e32 v13, v9, v13
	v_sub_f32_e32 v11, v11, v12
	v_min_f32_e32 v12, 0x3f7fffff, v13
	v_sub_f32_e32 v10, v11, v10
	v_cmp_neq_f32_e64 s5, 0, v12
	v_cndmask_b32_e64 v10, 0x7f800000, v10, s5
.LBB150_76:
	s_or_b32 exec_lo, exec_lo, s9
.LBB150_77:
	s_andn2_saveexec_b32 s8, s8
; %bb.78:
	v_cmp_eq_f16_e64 s5, 1.0, v8
	v_cmp_eq_f16_e64 s7, 2.0, v8
	s_or_b32 s5, s5, s7
	v_cndmask_b32_e64 v10, v10, 0, s5
; %bb.79:
	s_or_b32 exec_lo, exec_lo, s8
	s_waitcnt vmcnt(2)
	v_cvt_f32_f16_e32 v11, v4
                                        ; implicit-def: $vgpr12
	s_mov_b32 s7, exec_lo
	v_and_b32_e32 v13, 0x7fffffff, v11
	v_cmpx_ngt_f32_e64 0x3c800000, |v11|
	s_xor_b32 s8, exec_lo, s7
	s_cbranch_execz .LBB150_109
; %bb.80:
                                        ; implicit-def: $vgpr12
	s_mov_b32 s7, exec_lo
	v_cmpx_nlt_f32_e64 |v11|, 2.0
	s_xor_b32 s9, exec_lo, s7
	s_cbranch_execz .LBB150_90
; %bb.81:
	s_mov_b32 s7, exec_lo
                                        ; implicit-def: $vgpr12
	v_cmpx_ngt_f32_e64 0x41000000, |v11|
	s_xor_b32 s7, exec_lo, s7
	s_cbranch_execz .LBB150_87
; %bb.82:
	s_mov_b32 s10, exec_lo
                                        ; implicit-def: $vgpr12
	v_cmpx_ngt_f32_e64 0x5c800000, |v11|
	s_xor_b32 s10, exec_lo, s10
	s_cbranch_execz .LBB150_84
; %bb.83:
	v_cmp_gt_f32_e64 s11, 0x800000, |v11|
	v_cndmask_b32_e64 v12, 0, 32, s11
	v_ldexp_f32 v12, |v11|, v12
	v_log_f32_e32 v12, v12
	v_mul_f32_e32 v14, 0x3f317217, v12
	v_cmp_gt_f32_e64 s5, 0x7f800000, |v12|
	v_fma_f32 v15, 0x3f317217, v12, -v14
	v_fmamk_f32 v15, v12, 0x3377d1cf, v15
	v_add_f32_e32 v14, v14, v15
	v_cndmask_b32_e64 v12, v12, v14, s5
	v_cndmask_b32_e64 v14, 0, 0x41b17218, s11
	v_sub_f32_e32 v12, v12, v14
	v_fma_f32 v12, |v11|, v12, -|v11|
.LBB150_84:
	s_andn2_saveexec_b32 s10, s10
	s_cbranch_execz .LBB150_86
; %bb.85:
	v_cmp_gt_f32_e64 s11, 0x800000, |v11|
	v_rcp_f32_e64 v14, |v11|
	s_mov_b32 s5, 0xbad5c4e8
	v_cndmask_b32_e64 v12, 0, 32, s11
	v_ldexp_f32 v12, |v11|, v12
	v_mul_f32_e32 v15, v14, v14
	v_log_f32_e32 v12, v12
	v_fmaak_f32 v17, s5, v15, 0x3a5b3dd2
	v_fmaak_f32 v17, v15, v17, 0xba1c065c
	v_mul_f32_e32 v16, 0x3f317217, v12
	v_fmaak_f32 v17, v15, v17, 0x3a500cfd
	v_cmp_gt_f32_e64 s5, 0x7f800000, |v12|
	v_fma_f32 v18, 0x3f317217, v12, -v16
	v_fmaak_f32 v17, v15, v17, 0xbb360b61
	v_fmamk_f32 v18, v12, 0x3377d1cf, v18
	v_fmaak_f32 v15, v15, v17, 0x3daaaaab
	v_add_f32_e32 v16, v16, v18
	v_cndmask_b32_e64 v12, v12, v16, s5
	v_cndmask_b32_e64 v16, 0, 0x41b17218, s11
	v_sub_f32_e32 v16, v12, v16
	v_fmaak_f32 v12, v14, v15, 0x3ed67f1d
	v_add_f32_e64 v14, |v11|, -0.5
	v_add_f32_e32 v15, -1.0, v16
	v_fmac_f32_e32 v12, v14, v15
.LBB150_86:
	s_or_b32 exec_lo, exec_lo, s10
.LBB150_87:
	s_andn2_saveexec_b32 s10, s7
	s_cbranch_execz .LBB150_89
; %bb.88:
	v_cvt_i32_f32_e32 v12, v13
	s_mov_b32 s7, 0x3805ff67
	v_cvt_f32_i32_e32 v14, v12
	v_cmp_lt_i32_e64 s5, 2, v12
	v_sub_f32_e64 v14, |v11|, v14
	v_add_f32_e32 v15, 2.0, v14
	v_add_f32_e32 v16, 0x40400000, v14
	v_add_f32_e32 v17, 4.0, v14
	v_add_f32_e32 v18, 0x40a00000, v14
	v_cndmask_b32_e64 v15, 1.0, v15, s5
	v_cmp_lt_i32_e64 s5, 3, v12
	v_cndmask_b32_e64 v16, 1.0, v16, s5
	v_cmp_lt_i32_e64 s5, 4, v12
	v_mul_f32_e32 v15, v15, v16
	v_cndmask_b32_e64 v17, 1.0, v17, s5
	v_cmp_lt_i32_e64 s5, 5, v12
	v_add_f32_e32 v16, 0x40c00000, v14
	v_mul_f32_e32 v15, v17, v15
	v_cndmask_b32_e64 v18, 1.0, v18, s5
	v_cmp_lt_i32_e64 s5, 6, v12
	v_fmaak_f32 v17, s7, v14, 0x3af135b4
	v_mul_f32_e32 v15, v18, v15
	v_cndmask_b32_e64 v12, 1.0, v16, s5
	s_mov_b32 s5, 0x36f5d7bd
	v_mul_f32_e32 v12, v12, v15
	v_fmaak_f32 v15, s5, v14, 0x3a4beed6
	v_cmp_gt_f32_e64 s5, 0x800000, v12
	v_fmaak_f32 v15, v14, v15, 0x3c98bf54
	v_cndmask_b32_e64 v16, 0, 32, s5
	v_fmaak_f32 v15, v14, v15, 0x3e300f6e
	v_ldexp_f32 v12, v12, v16
	v_fmaak_f32 v16, v14, v17, 0x3cda40e4
	v_fmaak_f32 v15, v14, v15, 0x3f38d0c5
	v_log_f32_e32 v12, v12
	v_fmaak_f32 v16, v14, v16, 0x3e15dce6
	v_fmaak_f32 v15, v14, v15, 0x3fb22d3b
	;; [unrolled: 1-line block ×3, first 2 shown]
	v_fma_f32 v15, v14, v15, 1.0
	v_mul_f32_e32 v17, 0x3f317217, v12
	v_fmaak_f32 v16, v14, v16, 0x3e5c245a
	v_rcp_f32_e32 v15, v15
	v_cmp_gt_f32_e64 s7, 0x7f800000, |v12|
	v_fma_f32 v18, 0x3f317217, v12, -v17
	v_fmaak_f32 v16, v14, v16, 0xbd9e233f
	v_fmamk_f32 v18, v12, 0x3377d1cf, v18
	v_mul_f32_e32 v16, v14, v16
	v_add_f32_e32 v17, v17, v18
	v_mul_f32_e32 v15, v16, v15
	v_cndmask_b32_e64 v16, 0, 0x41b17218, s5
	v_cndmask_b32_e64 v12, v12, v17, s7
	v_fmac_f32_e32 v15, 0.5, v14
	v_sub_f32_e32 v12, v12, v16
	v_add_f32_e32 v12, v12, v15
.LBB150_89:
	s_or_b32 exec_lo, exec_lo, s10
.LBB150_90:
	s_andn2_saveexec_b32 s9, s9
	s_cbranch_execz .LBB150_108
; %bb.91:
                                        ; implicit-def: $vgpr12
                                        ; implicit-def: $vgpr15
                                        ; implicit-def: $vgpr14
	s_mov_b32 s7, exec_lo
	v_cmpx_ge_f32_e64 0x3f666666, |v11|
	s_xor_b32 s10, exec_lo, s7
	s_cbranch_execz .LBB150_93
; %bb.92:
	v_cmp_gt_f32_e64 s7, 0x800000, |v11|
	v_sub_f32_e64 v16, 1.0, |v11|
	v_cmp_gt_f32_e64 s5, 0x3f3b4a23, |v11|
	v_cndmask_b32_e64 v12, 0, 32, s7
	v_cndmask_b32_e64 v17, 0, 0x41b17218, s7
	v_ldexp_f32 v12, |v11|, v12
	v_log_f32_e32 v12, v12
	v_mul_f32_e32 v14, 0x3f317217, v12
	v_cmp_gt_f32_e64 s7, 0x7f800000, |v12|
	v_fma_f32 v15, 0x3f317217, v12, -v14
	v_fmamk_f32 v15, v12, 0x3377d1cf, v15
	v_add_f32_e32 v14, v14, v15
	v_add_f32_e64 v15, 0xbeec5b0c, |v11|
	v_cndmask_b32_e64 v12, v12, v14, s7
	v_cndmask_b32_e64 v14, v16, v15, s5
	;; [unrolled: 1-line block ×3, first 2 shown]
	v_cmp_gt_f32_e64 s5, 0x3e6d3309, |v11|
	v_sub_f32_e32 v12, v12, v17
	v_cndmask_b32_e64 v14, v14, |v11|, s5
	v_cndmask_b32_e64 v15, v15, 2, s5
	v_xor_b32_e32 v12, 0x80000000, v12
.LBB150_93:
	s_andn2_saveexec_b32 s7, s10
	s_cbranch_execz .LBB150_95
; %bb.94:
	v_sub_f32_e64 v12, 2.0, |v11|
	v_add_f32_e64 v14, 0xbfbb16c3, |v11|
	v_cmp_gt_f32_e64 s5, 0x3fdda512, |v11|
	v_add_f32_e64 v15, |v11|, -1.0
	v_cndmask_b32_e64 v14, v12, v14, s5
	v_cndmask_b32_e64 v12, v12, 1.0, s5
	v_cmp_gt_f32_e64 s5, 0x3f9d70a4, |v11|
	v_cvt_i32_f32_e32 v12, v12
	v_cndmask_b32_e64 v14, v14, v15, s5
	v_cndmask_b32_e64 v15, v12, 2, s5
	v_mov_b32_e32 v12, 0
.LBB150_95:
	s_or_b32 exec_lo, exec_lo, s7
	s_mov_b32 s7, exec_lo
	v_cmpx_lt_i32_e32 0, v15
	s_xor_b32 s7, exec_lo, s7
	s_cbranch_execz .LBB150_103
; %bb.96:
	s_mov_b32 s10, exec_lo
	v_cmpx_lt_i32_e32 1, v15
	s_xor_b32 s10, exec_lo, s10
	s_cbranch_execz .LBB150_100
; %bb.97:
	s_mov_b32 s11, exec_lo
	v_cmpx_eq_u32_e32 2, v15
	s_cbranch_execz .LBB150_99
; %bb.98:
	s_mov_b32 s5, 0x3b52d5db
	v_fmaak_f32 v15, s5, v14, 0x3dd572af
	s_mov_b32 s5, 0x3c5b3c5e
	v_fmaak_f32 v16, s5, v14, 0x3e6a7578
	v_fmaak_f32 v15, v14, v15, 0x3f44efdf
	v_fmaak_f32 v16, v14, v16, 0x3f7a4bb2
	v_fmaak_f32 v15, v14, v15, 0x4008392d
	v_fmaak_f32 v16, v14, v16, 0x3fba3ae7
	v_fmaak_f32 v15, v14, v15, 0x401d2ebe
	v_fmaak_f32 v16, v14, v16, 0x3f2200f4
	v_fma_f32 v15, v14, v15, 1.0
	v_fmaak_f32 v16, v14, v16, 0xbd9e233f
	v_rcp_f32_e32 v15, v15
	v_mul_f32_e32 v16, v14, v16
	v_mul_f32_e32 v15, v16, v15
	v_fmac_f32_e32 v15, -0.5, v14
	v_add_f32_e32 v12, v12, v15
.LBB150_99:
	s_or_b32 exec_lo, exec_lo, s11
                                        ; implicit-def: $vgpr14
.LBB150_100:
	s_andn2_saveexec_b32 s5, s10
	s_cbranch_execz .LBB150_102
; %bb.101:
	v_mul_f32_e32 v15, v14, v14
	s_mov_b32 s10, 0xb9a3f927
	s_mov_b32 s11, 0x39afe9f7
	v_mul_f32_e32 v16, v14, v15
	v_fmaak_f32 v17, s10, v16, 0x3a66f867
	v_fmaak_f32 v18, s11, v16, 0xba0d3085
	s_mov_b32 s10, 0x39a57b6b
	v_fmaak_f32 v19, s10, v16, 0xbab7f476
	v_fmaak_f32 v17, v16, v17, 0xbb7177fe
	;; [unrolled: 1-line block ×9, first 2 shown]
	v_fmac_f32_e32 v17, v14, v18
	v_fmaak_f32 v14, v16, v19, 0x3ef7b95e
	v_fma_f32 v16, v16, -v17, 0xa2863e55
	v_fma_f32 v14, v15, v14, -v16
	v_add_f32_e32 v14, 0xbdf8cdce, v14
	v_add_f32_e32 v12, v12, v14
.LBB150_102:
	s_or_b32 exec_lo, exec_lo, s5
                                        ; implicit-def: $vgpr15
                                        ; implicit-def: $vgpr14
.LBB150_103:
	s_andn2_saveexec_b32 s7, s7
	s_cbranch_execz .LBB150_107
; %bb.104:
	s_mov_b32 s10, exec_lo
	v_cmpx_eq_u32_e32 0, v15
	s_cbranch_execz .LBB150_106
; %bb.105:
	v_mul_f32_e32 v15, v14, v14
	s_mov_b32 s5, 0x383c2c75
	v_fmaak_f32 v16, s5, v15, 0x38e28445
	s_mov_b32 s5, 0x37d383a2
	v_fmaak_f32 v17, s5, v15, 0x39679767
	v_fmaak_f32 v16, v15, v16, 0x3a05b634
	;; [unrolled: 1-line block ×9, first 2 shown]
	v_mul_f32_e32 v15, v15, v16
	v_fmac_f32_e32 v15, v14, v17
	v_fmac_f32_e32 v15, -0.5, v14
	v_add_f32_e32 v12, v12, v15
.LBB150_106:
	s_or_b32 exec_lo, exec_lo, s10
.LBB150_107:
	s_or_b32 exec_lo, exec_lo, s7
.LBB150_108:
	s_or_b32 exec_lo, exec_lo, s9
.LBB150_109:
	s_andn2_saveexec_b32 s7, s8
	s_cbranch_execz .LBB150_111
; %bb.110:
	v_cmp_gt_f32_e64 s8, 0x800000, |v11|
	s_mov_b32 s5, 0x3e8a8991
	v_fma_f32 v16, |v11|, s5, 0xbecd26ab
	v_cndmask_b32_e64 v12, 0, 32, s8
	v_ldexp_f32 v12, |v11|, v12
	v_log_f32_e32 v12, v12
	v_mul_f32_e32 v14, 0x3f317217, v12
	v_cmp_gt_f32_e64 s5, 0x7f800000, |v12|
	v_fma_f32 v15, 0x3f317217, v12, -v14
	v_fmamk_f32 v15, v12, 0x3377d1cf, v15
	v_add_f32_e32 v14, v14, v15
	v_fma_f32 v15, |v11|, v16, 0x3f528d33
	v_cndmask_b32_e64 v12, v12, v14, s5
	v_cndmask_b32_e64 v14, 0, 0x41b17218, s8
	v_fma_f32 v15, |v11|, v15, 0xbf13c468
	v_sub_f32_e32 v12, v12, v14
	v_fma_f32 v12, |v11|, v15, -v12
.LBB150_111:
	s_or_b32 exec_lo, exec_lo, s7
	v_cmp_le_f16_e64 s5, 0, v4
	s_mov_b32 s8, exec_lo
	v_cmpx_nle_f16_e32 0, v4
	s_xor_b32 s9, exec_lo, s8
	s_cbranch_execz .LBB150_115
; %bb.112:
	v_cmp_gt_f32_e64 s7, 0x4b000000, |v11|
	v_cmp_lt_f32_e64 s8, 0x35000000, |v11|
	s_and_b32 s7, s7, s8
	s_and_saveexec_b32 s10, s7
	s_cbranch_execz .LBB150_114
; %bb.113:
	v_mul_f32_e64 v14, |v11|, 0.5
	s_mov_b32 s8, 0x3d4be544
	v_xor_b32_e32 v13, v13, v11
	v_floor_f32_e32 v15, v14
	v_cmp_neq_f32_e64 s7, 0x7f800000, v14
	v_sub_f32_e32 v15, v14, v15
	v_min_f32_e32 v15, 0x3f7fffff, v15
	v_add_f32_e32 v15, v15, v15
	v_cndmask_b32_e64 v14, 0, v15, s7
	v_cmp_gt_f32_e64 s7, |v11|, 1.0
	v_cndmask_b32_e64 v14, |v11|, v14, s7
	s_mov_b32 s7, 0x3e75aa41
	v_add_f32_e32 v15, v14, v14
	v_rndne_f32_e32 v15, v15
	v_fmac_f32_e32 v14, -0.5, v15
	v_cvt_i32_f32_e32 v15, v15
	v_mul_f32_e32 v16, v14, v14
	v_fmaak_f32 v17, s7, v16, 0xbf1f24be
	v_fmaak_f32 v18, s8, v16, 0x3e642e9d
	v_mul_f32_e32 v19, v14, v16
	v_fmaak_f32 v17, v16, v17, 0x40234736
	v_fmaak_f32 v18, v16, v18, 0xbfaad1da
	;; [unrolled: 1-line block ×4, first 2 shown]
	v_mul_f32_e32 v17, v19, v17
	v_fmaak_f32 v18, v16, v18, 0xc09de9e6
	v_and_b32_e32 v19, 1, v15
	v_lshlrev_b32_e32 v15, 30, v15
	v_fmamk_f32 v14, v14, 0x40490fdb, v17
	v_fma_f32 v16, v16, v18, 1.0
	v_cmp_eq_u32_e64 s7, 0, v19
	v_and_b32_e32 v15, 0x80000000, v15
	v_cndmask_b32_e64 v14, v16, v14, s7
	v_xor3_b32 v13, v13, v15, v14
	v_mul_f32_e32 v13, v11, v13
	v_frexp_mant_f32_e64 v14, |v13|
	v_frexp_exp_i32_f32_e32 v13, v13
	v_rcp_f32_e32 v14, v14
	v_sub_nc_u32_e32 v13, 2, v13
	v_mul_f32_e32 v14, 0x3f490fdb, v14
	v_ldexp_f32 v13, v14, v13
	v_cmp_gt_f32_e64 s7, 0x800000, v13
	v_cndmask_b32_e64 v14, 0, 32, s7
	v_ldexp_f32 v13, v13, v14
	v_log_f32_e32 v13, v13
	v_mul_f32_e32 v14, 0x3f317217, v13
	v_cmp_gt_f32_e64 s8, 0x7f800000, |v13|
	v_fma_f32 v15, 0x3f317217, v13, -v14
	v_fmamk_f32 v15, v13, 0x3377d1cf, v15
	v_add_f32_e32 v14, v14, v15
	v_floor_f32_e32 v15, v11
	v_cndmask_b32_e64 v13, v13, v14, s8
	v_cndmask_b32_e64 v14, 0, 0x41b17218, s7
	v_sub_f32_e32 v15, v11, v15
	v_sub_f32_e32 v13, v13, v14
	v_min_f32_e32 v14, 0x3f7fffff, v15
	v_sub_f32_e32 v12, v13, v12
	v_cmp_neq_f32_e64 s7, 0, v14
	v_cndmask_b32_e64 v12, 0x7f800000, v12, s7
.LBB150_114:
	s_or_b32 exec_lo, exec_lo, s10
.LBB150_115:
	s_andn2_saveexec_b32 s9, s9
; %bb.116:
	v_cmp_eq_f16_e64 s7, 1.0, v4
	v_cmp_eq_f16_e64 s8, 2.0, v4
	s_or_b32 s7, s7, s8
	v_cndmask_b32_e64 v12, v12, 0, s7
; %bb.117:
	s_or_b32 exec_lo, exec_lo, s9
	v_lshrrev_b32_e32 v13, 16, v4
                                        ; implicit-def: $vgpr15
	s_mov_b32 s8, exec_lo
	v_cvt_f32_f16_e32 v14, v13
	v_and_b32_e32 v16, 0x7fffffff, v14
	v_cmpx_ngt_f32_e64 0x3c800000, |v14|
	s_xor_b32 s9, exec_lo, s8
	s_cbranch_execz .LBB150_147
; %bb.118:
                                        ; implicit-def: $vgpr15
	s_mov_b32 s8, exec_lo
	v_cmpx_nlt_f32_e64 |v14|, 2.0
	s_xor_b32 s10, exec_lo, s8
	s_cbranch_execz .LBB150_128
; %bb.119:
	s_mov_b32 s8, exec_lo
                                        ; implicit-def: $vgpr15
	v_cmpx_ngt_f32_e64 0x41000000, |v14|
	s_xor_b32 s8, exec_lo, s8
	s_cbranch_execz .LBB150_125
; %bb.120:
	s_mov_b32 s11, exec_lo
                                        ; implicit-def: $vgpr15
	v_cmpx_ngt_f32_e64 0x5c800000, |v14|
	s_xor_b32 s11, exec_lo, s11
	s_cbranch_execz .LBB150_122
; %bb.121:
	v_cmp_gt_f32_e64 s12, 0x800000, |v14|
	v_cndmask_b32_e64 v15, 0, 32, s12
	v_ldexp_f32 v15, |v14|, v15
	v_log_f32_e32 v15, v15
	v_mul_f32_e32 v17, 0x3f317217, v15
	v_cmp_gt_f32_e64 s7, 0x7f800000, |v15|
	v_fma_f32 v18, 0x3f317217, v15, -v17
	v_fmamk_f32 v18, v15, 0x3377d1cf, v18
	v_add_f32_e32 v17, v17, v18
	v_cndmask_b32_e64 v15, v15, v17, s7
	v_cndmask_b32_e64 v17, 0, 0x41b17218, s12
	v_sub_f32_e32 v15, v15, v17
	v_fma_f32 v15, |v14|, v15, -|v14|
.LBB150_122:
	s_andn2_saveexec_b32 s11, s11
	s_cbranch_execz .LBB150_124
; %bb.123:
	v_cmp_gt_f32_e64 s12, 0x800000, |v14|
	v_rcp_f32_e64 v17, |v14|
	s_mov_b32 s7, 0xbad5c4e8
	v_cndmask_b32_e64 v15, 0, 32, s12
	v_ldexp_f32 v15, |v14|, v15
	v_mul_f32_e32 v18, v17, v17
	v_log_f32_e32 v15, v15
	v_fmaak_f32 v20, s7, v18, 0x3a5b3dd2
	v_fmaak_f32 v20, v18, v20, 0xba1c065c
	v_mul_f32_e32 v19, 0x3f317217, v15
	v_fmaak_f32 v20, v18, v20, 0x3a500cfd
	v_cmp_gt_f32_e64 s7, 0x7f800000, |v15|
	v_fma_f32 v21, 0x3f317217, v15, -v19
	v_fmaak_f32 v20, v18, v20, 0xbb360b61
	v_fmamk_f32 v21, v15, 0x3377d1cf, v21
	v_fmaak_f32 v18, v18, v20, 0x3daaaaab
	v_add_f32_e32 v19, v19, v21
	v_cndmask_b32_e64 v15, v15, v19, s7
	v_cndmask_b32_e64 v19, 0, 0x41b17218, s12
	v_sub_f32_e32 v19, v15, v19
	v_fmaak_f32 v15, v17, v18, 0x3ed67f1d
	v_add_f32_e64 v17, |v14|, -0.5
	v_add_f32_e32 v18, -1.0, v19
	v_fmac_f32_e32 v15, v17, v18
.LBB150_124:
	s_or_b32 exec_lo, exec_lo, s11
.LBB150_125:
	s_andn2_saveexec_b32 s11, s8
	s_cbranch_execz .LBB150_127
; %bb.126:
	v_cvt_i32_f32_e32 v15, v16
	s_mov_b32 s8, 0x3805ff67
	v_cvt_f32_i32_e32 v17, v15
	v_cmp_lt_i32_e64 s7, 2, v15
	v_sub_f32_e64 v17, |v14|, v17
	v_add_f32_e32 v18, 2.0, v17
	v_add_f32_e32 v19, 0x40400000, v17
	v_add_f32_e32 v20, 4.0, v17
	v_add_f32_e32 v21, 0x40a00000, v17
	v_cndmask_b32_e64 v18, 1.0, v18, s7
	v_cmp_lt_i32_e64 s7, 3, v15
	v_cndmask_b32_e64 v19, 1.0, v19, s7
	v_cmp_lt_i32_e64 s7, 4, v15
	v_mul_f32_e32 v18, v18, v19
	v_cndmask_b32_e64 v20, 1.0, v20, s7
	v_cmp_lt_i32_e64 s7, 5, v15
	v_add_f32_e32 v19, 0x40c00000, v17
	v_mul_f32_e32 v18, v20, v18
	v_cndmask_b32_e64 v21, 1.0, v21, s7
	v_cmp_lt_i32_e64 s7, 6, v15
	v_fmaak_f32 v20, s8, v17, 0x3af135b4
	v_mul_f32_e32 v18, v21, v18
	v_cndmask_b32_e64 v15, 1.0, v19, s7
	s_mov_b32 s7, 0x36f5d7bd
	v_mul_f32_e32 v15, v15, v18
	v_fmaak_f32 v18, s7, v17, 0x3a4beed6
	v_cmp_gt_f32_e64 s7, 0x800000, v15
	v_fmaak_f32 v18, v17, v18, 0x3c98bf54
	v_cndmask_b32_e64 v19, 0, 32, s7
	v_fmaak_f32 v18, v17, v18, 0x3e300f6e
	v_ldexp_f32 v15, v15, v19
	v_fmaak_f32 v19, v17, v20, 0x3cda40e4
	v_fmaak_f32 v18, v17, v18, 0x3f38d0c5
	v_log_f32_e32 v15, v15
	v_fmaak_f32 v19, v17, v19, 0x3e15dce6
	v_fmaak_f32 v18, v17, v18, 0x3fb22d3b
	;; [unrolled: 1-line block ×3, first 2 shown]
	v_fma_f32 v18, v17, v18, 1.0
	v_mul_f32_e32 v20, 0x3f317217, v15
	v_fmaak_f32 v19, v17, v19, 0x3e5c245a
	v_rcp_f32_e32 v18, v18
	v_cmp_gt_f32_e64 s8, 0x7f800000, |v15|
	v_fma_f32 v21, 0x3f317217, v15, -v20
	v_fmaak_f32 v19, v17, v19, 0xbd9e233f
	v_fmamk_f32 v21, v15, 0x3377d1cf, v21
	v_mul_f32_e32 v19, v17, v19
	v_add_f32_e32 v20, v20, v21
	v_mul_f32_e32 v18, v19, v18
	v_cndmask_b32_e64 v19, 0, 0x41b17218, s7
	v_cndmask_b32_e64 v15, v15, v20, s8
	v_fmac_f32_e32 v18, 0.5, v17
	v_sub_f32_e32 v15, v15, v19
	v_add_f32_e32 v15, v15, v18
.LBB150_127:
	s_or_b32 exec_lo, exec_lo, s11
.LBB150_128:
	s_andn2_saveexec_b32 s10, s10
	s_cbranch_execz .LBB150_146
; %bb.129:
                                        ; implicit-def: $vgpr15
                                        ; implicit-def: $vgpr18
                                        ; implicit-def: $vgpr17
	s_mov_b32 s8, exec_lo
	v_cmpx_ge_f32_e64 0x3f666666, |v14|
	s_xor_b32 s11, exec_lo, s8
	s_cbranch_execz .LBB150_131
; %bb.130:
	v_cmp_gt_f32_e64 s8, 0x800000, |v14|
	v_sub_f32_e64 v19, 1.0, |v14|
	v_cmp_gt_f32_e64 s7, 0x3f3b4a23, |v14|
	v_cndmask_b32_e64 v15, 0, 32, s8
	v_cndmask_b32_e64 v20, 0, 0x41b17218, s8
	v_ldexp_f32 v15, |v14|, v15
	v_log_f32_e32 v15, v15
	v_mul_f32_e32 v17, 0x3f317217, v15
	v_cmp_gt_f32_e64 s8, 0x7f800000, |v15|
	v_fma_f32 v18, 0x3f317217, v15, -v17
	v_fmamk_f32 v18, v15, 0x3377d1cf, v18
	v_add_f32_e32 v17, v17, v18
	v_add_f32_e64 v18, 0xbeec5b0c, |v14|
	v_cndmask_b32_e64 v15, v15, v17, s8
	v_cndmask_b32_e64 v17, v19, v18, s7
	v_cndmask_b32_e64 v18, 0, 1, s7
	v_cmp_gt_f32_e64 s7, 0x3e6d3309, |v14|
	v_sub_f32_e32 v15, v15, v20
	v_cndmask_b32_e64 v17, v17, |v14|, s7
	v_cndmask_b32_e64 v18, v18, 2, s7
	v_xor_b32_e32 v15, 0x80000000, v15
.LBB150_131:
	s_andn2_saveexec_b32 s8, s11
	s_cbranch_execz .LBB150_133
; %bb.132:
	v_sub_f32_e64 v15, 2.0, |v14|
	v_add_f32_e64 v17, 0xbfbb16c3, |v14|
	v_cmp_gt_f32_e64 s7, 0x3fdda512, |v14|
	v_add_f32_e64 v18, |v14|, -1.0
	v_cndmask_b32_e64 v17, v15, v17, s7
	v_cndmask_b32_e64 v15, v15, 1.0, s7
	v_cmp_gt_f32_e64 s7, 0x3f9d70a4, |v14|
	v_cvt_i32_f32_e32 v15, v15
	v_cndmask_b32_e64 v17, v17, v18, s7
	v_cndmask_b32_e64 v18, v15, 2, s7
	v_mov_b32_e32 v15, 0
.LBB150_133:
	s_or_b32 exec_lo, exec_lo, s8
	s_mov_b32 s8, exec_lo
	v_cmpx_lt_i32_e32 0, v18
	s_xor_b32 s8, exec_lo, s8
	s_cbranch_execz .LBB150_141
; %bb.134:
	s_mov_b32 s11, exec_lo
	v_cmpx_lt_i32_e32 1, v18
	s_xor_b32 s11, exec_lo, s11
	s_cbranch_execz .LBB150_138
; %bb.135:
	s_mov_b32 s12, exec_lo
	v_cmpx_eq_u32_e32 2, v18
	s_cbranch_execz .LBB150_137
; %bb.136:
	s_mov_b32 s7, 0x3b52d5db
	v_fmaak_f32 v18, s7, v17, 0x3dd572af
	s_mov_b32 s7, 0x3c5b3c5e
	v_fmaak_f32 v19, s7, v17, 0x3e6a7578
	v_fmaak_f32 v18, v17, v18, 0x3f44efdf
	v_fmaak_f32 v19, v17, v19, 0x3f7a4bb2
	v_fmaak_f32 v18, v17, v18, 0x4008392d
	v_fmaak_f32 v19, v17, v19, 0x3fba3ae7
	v_fmaak_f32 v18, v17, v18, 0x401d2ebe
	v_fmaak_f32 v19, v17, v19, 0x3f2200f4
	v_fma_f32 v18, v17, v18, 1.0
	v_fmaak_f32 v19, v17, v19, 0xbd9e233f
	v_rcp_f32_e32 v18, v18
	v_mul_f32_e32 v19, v17, v19
	v_mul_f32_e32 v18, v19, v18
	v_fmac_f32_e32 v18, -0.5, v17
	v_add_f32_e32 v15, v15, v18
.LBB150_137:
	s_or_b32 exec_lo, exec_lo, s12
                                        ; implicit-def: $vgpr17
.LBB150_138:
	s_andn2_saveexec_b32 s7, s11
	s_cbranch_execz .LBB150_140
; %bb.139:
	v_mul_f32_e32 v18, v17, v17
	s_mov_b32 s11, 0xb9a3f927
	s_mov_b32 s12, 0x39afe9f7
	v_mul_f32_e32 v19, v17, v18
	v_fmaak_f32 v20, s11, v19, 0x3a66f867
	v_fmaak_f32 v21, s12, v19, 0xba0d3085
	s_mov_b32 s11, 0x39a57b6b
	v_fmaak_f32 v22, s11, v19, 0xbab7f476
	v_fmaak_f32 v20, v19, v20, 0xbb7177fe
	;; [unrolled: 1-line block ×9, first 2 shown]
	v_fmac_f32_e32 v20, v17, v21
	v_fmaak_f32 v17, v19, v22, 0x3ef7b95e
	v_fma_f32 v19, v19, -v20, 0xa2863e55
	v_fma_f32 v17, v18, v17, -v19
	v_add_f32_e32 v17, 0xbdf8cdce, v17
	v_add_f32_e32 v15, v15, v17
.LBB150_140:
	s_or_b32 exec_lo, exec_lo, s7
                                        ; implicit-def: $vgpr18
                                        ; implicit-def: $vgpr17
.LBB150_141:
	s_andn2_saveexec_b32 s8, s8
	s_cbranch_execz .LBB150_145
; %bb.142:
	s_mov_b32 s11, exec_lo
	v_cmpx_eq_u32_e32 0, v18
	s_cbranch_execz .LBB150_144
; %bb.143:
	v_mul_f32_e32 v18, v17, v17
	s_mov_b32 s7, 0x383c2c75
	v_fmaak_f32 v19, s7, v18, 0x38e28445
	s_mov_b32 s7, 0x37d383a2
	v_fmaak_f32 v20, s7, v18, 0x39679767
	v_fmaak_f32 v19, v18, v19, 0x3a05b634
	;; [unrolled: 1-line block ×9, first 2 shown]
	v_mul_f32_e32 v18, v18, v19
	v_fmac_f32_e32 v18, v17, v20
	v_fmac_f32_e32 v18, -0.5, v17
	v_add_f32_e32 v15, v15, v18
.LBB150_144:
	s_or_b32 exec_lo, exec_lo, s11
.LBB150_145:
	s_or_b32 exec_lo, exec_lo, s8
.LBB150_146:
	s_or_b32 exec_lo, exec_lo, s10
.LBB150_147:
	s_andn2_saveexec_b32 s8, s9
	s_cbranch_execz .LBB150_149
; %bb.148:
	v_cmp_gt_f32_e64 s9, 0x800000, |v14|
	s_mov_b32 s7, 0x3e8a8991
	v_fma_f32 v19, |v14|, s7, 0xbecd26ab
	v_cndmask_b32_e64 v15, 0, 32, s9
	v_ldexp_f32 v15, |v14|, v15
	v_log_f32_e32 v15, v15
	v_mul_f32_e32 v17, 0x3f317217, v15
	v_cmp_gt_f32_e64 s7, 0x7f800000, |v15|
	v_fma_f32 v18, 0x3f317217, v15, -v17
	v_fmamk_f32 v18, v15, 0x3377d1cf, v18
	v_add_f32_e32 v17, v17, v18
	v_fma_f32 v18, |v14|, v19, 0x3f528d33
	v_cndmask_b32_e64 v15, v15, v17, s7
	v_cndmask_b32_e64 v17, 0, 0x41b17218, s9
	v_fma_f32 v18, |v14|, v18, 0xbf13c468
	v_sub_f32_e32 v15, v15, v17
	v_fma_f32 v15, |v14|, v18, -v15
.LBB150_149:
	s_or_b32 exec_lo, exec_lo, s8
	v_cmp_le_f16_e64 s7, 0, v13
	s_mov_b32 s9, exec_lo
	v_cmpx_nle_f16_e32 0, v13
	s_xor_b32 s10, exec_lo, s9
	s_cbranch_execz .LBB150_153
; %bb.150:
	v_cmp_gt_f32_e64 s8, 0x4b000000, |v14|
	v_cmp_lt_f32_e64 s9, 0x35000000, |v14|
	s_and_b32 s8, s8, s9
	s_and_saveexec_b32 s11, s8
	s_cbranch_execz .LBB150_152
; %bb.151:
	v_mul_f32_e64 v17, |v14|, 0.5
	s_mov_b32 s9, 0x3d4be544
	v_xor_b32_e32 v16, v16, v14
	v_floor_f32_e32 v18, v17
	v_cmp_neq_f32_e64 s8, 0x7f800000, v17
	v_sub_f32_e32 v18, v17, v18
	v_min_f32_e32 v18, 0x3f7fffff, v18
	v_add_f32_e32 v18, v18, v18
	v_cndmask_b32_e64 v17, 0, v18, s8
	v_cmp_gt_f32_e64 s8, |v14|, 1.0
	v_cndmask_b32_e64 v17, |v14|, v17, s8
	s_mov_b32 s8, 0x3e75aa41
	v_add_f32_e32 v18, v17, v17
	v_rndne_f32_e32 v18, v18
	v_fmac_f32_e32 v17, -0.5, v18
	v_cvt_i32_f32_e32 v18, v18
	v_mul_f32_e32 v19, v17, v17
	v_fmaak_f32 v20, s8, v19, 0xbf1f24be
	v_fmaak_f32 v21, s9, v19, 0x3e642e9d
	v_mul_f32_e32 v22, v17, v19
	v_fmaak_f32 v20, v19, v20, 0x40234736
	v_fmaak_f32 v21, v19, v21, 0xbfaad1da
	;; [unrolled: 1-line block ×4, first 2 shown]
	v_mul_f32_e32 v20, v22, v20
	v_fmaak_f32 v21, v19, v21, 0xc09de9e6
	v_and_b32_e32 v22, 1, v18
	v_lshlrev_b32_e32 v18, 30, v18
	v_fmamk_f32 v17, v17, 0x40490fdb, v20
	v_fma_f32 v19, v19, v21, 1.0
	v_cmp_eq_u32_e64 s8, 0, v22
	v_and_b32_e32 v18, 0x80000000, v18
	v_cndmask_b32_e64 v17, v19, v17, s8
	v_xor3_b32 v16, v16, v18, v17
	v_mul_f32_e32 v16, v14, v16
	v_frexp_mant_f32_e64 v17, |v16|
	v_frexp_exp_i32_f32_e32 v16, v16
	v_rcp_f32_e32 v17, v17
	v_sub_nc_u32_e32 v16, 2, v16
	v_mul_f32_e32 v17, 0x3f490fdb, v17
	v_ldexp_f32 v16, v17, v16
	v_cmp_gt_f32_e64 s8, 0x800000, v16
	v_cndmask_b32_e64 v17, 0, 32, s8
	v_ldexp_f32 v16, v16, v17
	v_log_f32_e32 v16, v16
	v_mul_f32_e32 v17, 0x3f317217, v16
	v_cmp_gt_f32_e64 s9, 0x7f800000, |v16|
	v_fma_f32 v18, 0x3f317217, v16, -v17
	v_fmamk_f32 v18, v16, 0x3377d1cf, v18
	v_add_f32_e32 v17, v17, v18
	v_floor_f32_e32 v18, v14
	v_cndmask_b32_e64 v16, v16, v17, s9
	v_cndmask_b32_e64 v17, 0, 0x41b17218, s8
	v_sub_f32_e32 v18, v14, v18
	v_sub_f32_e32 v16, v16, v17
	v_min_f32_e32 v17, 0x3f7fffff, v18
	v_sub_f32_e32 v15, v16, v15
	v_cmp_neq_f32_e64 s8, 0, v17
	v_cndmask_b32_e64 v15, 0x7f800000, v15, s8
.LBB150_152:
	s_or_b32 exec_lo, exec_lo, s11
.LBB150_153:
	s_andn2_saveexec_b32 s10, s10
; %bb.154:
	v_cmp_eq_f16_e64 s8, 1.0, v13
	v_cmp_eq_f16_e64 s9, 2.0, v13
	s_or_b32 s8, s8, s9
	v_cndmask_b32_e64 v15, v15, 0, s8
; %bb.155:
	s_or_b32 exec_lo, exec_lo, s10
	s_waitcnt vmcnt(1)
	v_cvt_f32_f16_e32 v16, v5
                                        ; implicit-def: $vgpr17
	s_mov_b32 s9, exec_lo
	v_and_b32_e32 v18, 0x7fffffff, v16
	v_cmpx_ngt_f32_e64 0x3c800000, |v16|
	s_xor_b32 s10, exec_lo, s9
	s_cbranch_execz .LBB150_185
; %bb.156:
                                        ; implicit-def: $vgpr17
	s_mov_b32 s9, exec_lo
	v_cmpx_nlt_f32_e64 |v16|, 2.0
	s_xor_b32 s11, exec_lo, s9
	s_cbranch_execz .LBB150_166
; %bb.157:
	s_mov_b32 s9, exec_lo
                                        ; implicit-def: $vgpr17
	v_cmpx_ngt_f32_e64 0x41000000, |v16|
	s_xor_b32 s9, exec_lo, s9
	s_cbranch_execz .LBB150_163
; %bb.158:
	s_mov_b32 s12, exec_lo
                                        ; implicit-def: $vgpr17
	v_cmpx_ngt_f32_e64 0x5c800000, |v16|
	s_xor_b32 s12, exec_lo, s12
	s_cbranch_execz .LBB150_160
; %bb.159:
	v_cmp_gt_f32_e64 s13, 0x800000, |v16|
	v_cndmask_b32_e64 v17, 0, 32, s13
	v_ldexp_f32 v17, |v16|, v17
	v_log_f32_e32 v17, v17
	v_mul_f32_e32 v19, 0x3f317217, v17
	v_cmp_gt_f32_e64 s8, 0x7f800000, |v17|
	v_fma_f32 v20, 0x3f317217, v17, -v19
	v_fmamk_f32 v20, v17, 0x3377d1cf, v20
	v_add_f32_e32 v19, v19, v20
	v_cndmask_b32_e64 v17, v17, v19, s8
	v_cndmask_b32_e64 v19, 0, 0x41b17218, s13
	v_sub_f32_e32 v17, v17, v19
	v_fma_f32 v17, |v16|, v17, -|v16|
.LBB150_160:
	s_andn2_saveexec_b32 s12, s12
	s_cbranch_execz .LBB150_162
; %bb.161:
	v_cmp_gt_f32_e64 s13, 0x800000, |v16|
	v_rcp_f32_e64 v19, |v16|
	s_mov_b32 s8, 0xbad5c4e8
	v_cndmask_b32_e64 v17, 0, 32, s13
	v_ldexp_f32 v17, |v16|, v17
	v_mul_f32_e32 v20, v19, v19
	v_log_f32_e32 v17, v17
	v_fmaak_f32 v22, s8, v20, 0x3a5b3dd2
	v_fmaak_f32 v22, v20, v22, 0xba1c065c
	v_mul_f32_e32 v21, 0x3f317217, v17
	v_fmaak_f32 v22, v20, v22, 0x3a500cfd
	v_cmp_gt_f32_e64 s8, 0x7f800000, |v17|
	v_fma_f32 v23, 0x3f317217, v17, -v21
	v_fmaak_f32 v22, v20, v22, 0xbb360b61
	v_fmamk_f32 v23, v17, 0x3377d1cf, v23
	v_fmaak_f32 v20, v20, v22, 0x3daaaaab
	v_add_f32_e32 v21, v21, v23
	v_cndmask_b32_e64 v17, v17, v21, s8
	v_cndmask_b32_e64 v21, 0, 0x41b17218, s13
	v_sub_f32_e32 v21, v17, v21
	v_fmaak_f32 v17, v19, v20, 0x3ed67f1d
	v_add_f32_e64 v19, |v16|, -0.5
	v_add_f32_e32 v20, -1.0, v21
	v_fmac_f32_e32 v17, v19, v20
.LBB150_162:
	s_or_b32 exec_lo, exec_lo, s12
.LBB150_163:
	s_andn2_saveexec_b32 s12, s9
	s_cbranch_execz .LBB150_165
; %bb.164:
	v_cvt_i32_f32_e32 v17, v18
	s_mov_b32 s9, 0x3805ff67
	v_cvt_f32_i32_e32 v19, v17
	v_cmp_lt_i32_e64 s8, 2, v17
	v_sub_f32_e64 v19, |v16|, v19
	v_add_f32_e32 v20, 2.0, v19
	v_add_f32_e32 v21, 0x40400000, v19
	v_add_f32_e32 v22, 4.0, v19
	v_add_f32_e32 v23, 0x40a00000, v19
	v_cndmask_b32_e64 v20, 1.0, v20, s8
	v_cmp_lt_i32_e64 s8, 3, v17
	v_cndmask_b32_e64 v21, 1.0, v21, s8
	v_cmp_lt_i32_e64 s8, 4, v17
	v_mul_f32_e32 v20, v20, v21
	v_cndmask_b32_e64 v22, 1.0, v22, s8
	v_cmp_lt_i32_e64 s8, 5, v17
	v_add_f32_e32 v21, 0x40c00000, v19
	v_mul_f32_e32 v20, v22, v20
	v_cndmask_b32_e64 v23, 1.0, v23, s8
	v_cmp_lt_i32_e64 s8, 6, v17
	v_fmaak_f32 v22, s9, v19, 0x3af135b4
	v_mul_f32_e32 v20, v23, v20
	v_cndmask_b32_e64 v17, 1.0, v21, s8
	s_mov_b32 s8, 0x36f5d7bd
	v_mul_f32_e32 v17, v17, v20
	v_fmaak_f32 v20, s8, v19, 0x3a4beed6
	v_cmp_gt_f32_e64 s8, 0x800000, v17
	v_fmaak_f32 v20, v19, v20, 0x3c98bf54
	v_cndmask_b32_e64 v21, 0, 32, s8
	v_fmaak_f32 v20, v19, v20, 0x3e300f6e
	v_ldexp_f32 v17, v17, v21
	v_fmaak_f32 v21, v19, v22, 0x3cda40e4
	v_fmaak_f32 v20, v19, v20, 0x3f38d0c5
	v_log_f32_e32 v17, v17
	v_fmaak_f32 v21, v19, v21, 0x3e15dce6
	v_fmaak_f32 v20, v19, v20, 0x3fb22d3b
	;; [unrolled: 1-line block ×3, first 2 shown]
	v_fma_f32 v20, v19, v20, 1.0
	v_mul_f32_e32 v22, 0x3f317217, v17
	v_fmaak_f32 v21, v19, v21, 0x3e5c245a
	v_rcp_f32_e32 v20, v20
	v_cmp_gt_f32_e64 s9, 0x7f800000, |v17|
	v_fma_f32 v23, 0x3f317217, v17, -v22
	v_fmaak_f32 v21, v19, v21, 0xbd9e233f
	v_fmamk_f32 v23, v17, 0x3377d1cf, v23
	v_mul_f32_e32 v21, v19, v21
	v_add_f32_e32 v22, v22, v23
	v_mul_f32_e32 v20, v21, v20
	v_cndmask_b32_e64 v21, 0, 0x41b17218, s8
	v_cndmask_b32_e64 v17, v17, v22, s9
	v_fmac_f32_e32 v20, 0.5, v19
	v_sub_f32_e32 v17, v17, v21
	v_add_f32_e32 v17, v17, v20
.LBB150_165:
	s_or_b32 exec_lo, exec_lo, s12
.LBB150_166:
	s_andn2_saveexec_b32 s11, s11
	s_cbranch_execz .LBB150_184
; %bb.167:
                                        ; implicit-def: $vgpr17
                                        ; implicit-def: $vgpr20
                                        ; implicit-def: $vgpr19
	s_mov_b32 s9, exec_lo
	v_cmpx_ge_f32_e64 0x3f666666, |v16|
	s_xor_b32 s12, exec_lo, s9
	s_cbranch_execz .LBB150_169
; %bb.168:
	v_cmp_gt_f32_e64 s9, 0x800000, |v16|
	v_sub_f32_e64 v21, 1.0, |v16|
	v_cmp_gt_f32_e64 s8, 0x3f3b4a23, |v16|
	v_cndmask_b32_e64 v17, 0, 32, s9
	v_cndmask_b32_e64 v22, 0, 0x41b17218, s9
	v_ldexp_f32 v17, |v16|, v17
	v_log_f32_e32 v17, v17
	v_mul_f32_e32 v19, 0x3f317217, v17
	v_cmp_gt_f32_e64 s9, 0x7f800000, |v17|
	v_fma_f32 v20, 0x3f317217, v17, -v19
	v_fmamk_f32 v20, v17, 0x3377d1cf, v20
	v_add_f32_e32 v19, v19, v20
	v_add_f32_e64 v20, 0xbeec5b0c, |v16|
	v_cndmask_b32_e64 v17, v17, v19, s9
	v_cndmask_b32_e64 v19, v21, v20, s8
	;; [unrolled: 1-line block ×3, first 2 shown]
	v_cmp_gt_f32_e64 s8, 0x3e6d3309, |v16|
	v_sub_f32_e32 v17, v17, v22
	v_cndmask_b32_e64 v19, v19, |v16|, s8
	v_cndmask_b32_e64 v20, v20, 2, s8
	v_xor_b32_e32 v17, 0x80000000, v17
.LBB150_169:
	s_andn2_saveexec_b32 s9, s12
	s_cbranch_execz .LBB150_171
; %bb.170:
	v_sub_f32_e64 v17, 2.0, |v16|
	v_add_f32_e64 v19, 0xbfbb16c3, |v16|
	v_cmp_gt_f32_e64 s8, 0x3fdda512, |v16|
	v_add_f32_e64 v20, |v16|, -1.0
	v_cndmask_b32_e64 v19, v17, v19, s8
	v_cndmask_b32_e64 v17, v17, 1.0, s8
	v_cmp_gt_f32_e64 s8, 0x3f9d70a4, |v16|
	v_cvt_i32_f32_e32 v17, v17
	v_cndmask_b32_e64 v19, v19, v20, s8
	v_cndmask_b32_e64 v20, v17, 2, s8
	v_mov_b32_e32 v17, 0
.LBB150_171:
	s_or_b32 exec_lo, exec_lo, s9
	s_mov_b32 s9, exec_lo
	v_cmpx_lt_i32_e32 0, v20
	s_xor_b32 s9, exec_lo, s9
	s_cbranch_execz .LBB150_179
; %bb.172:
	s_mov_b32 s12, exec_lo
	v_cmpx_lt_i32_e32 1, v20
	s_xor_b32 s12, exec_lo, s12
	s_cbranch_execz .LBB150_176
; %bb.173:
	s_mov_b32 s13, exec_lo
	v_cmpx_eq_u32_e32 2, v20
	s_cbranch_execz .LBB150_175
; %bb.174:
	s_mov_b32 s8, 0x3b52d5db
	v_fmaak_f32 v20, s8, v19, 0x3dd572af
	s_mov_b32 s8, 0x3c5b3c5e
	v_fmaak_f32 v21, s8, v19, 0x3e6a7578
	v_fmaak_f32 v20, v19, v20, 0x3f44efdf
	;; [unrolled: 1-line block ×7, first 2 shown]
	v_fma_f32 v20, v19, v20, 1.0
	v_fmaak_f32 v21, v19, v21, 0xbd9e233f
	v_rcp_f32_e32 v20, v20
	v_mul_f32_e32 v21, v19, v21
	v_mul_f32_e32 v20, v21, v20
	v_fmac_f32_e32 v20, -0.5, v19
	v_add_f32_e32 v17, v17, v20
.LBB150_175:
	s_or_b32 exec_lo, exec_lo, s13
                                        ; implicit-def: $vgpr19
.LBB150_176:
	s_andn2_saveexec_b32 s8, s12
	s_cbranch_execz .LBB150_178
; %bb.177:
	v_mul_f32_e32 v20, v19, v19
	s_mov_b32 s12, 0xb9a3f927
	s_mov_b32 s13, 0x39afe9f7
	v_mul_f32_e32 v21, v19, v20
	v_fmaak_f32 v22, s12, v21, 0x3a66f867
	v_fmaak_f32 v23, s13, v21, 0xba0d3085
	s_mov_b32 s12, 0x39a57b6b
	v_fmaak_f32 v24, s12, v21, 0xbab7f476
	v_fmaak_f32 v22, v21, v22, 0xbb7177fe
	v_fmaak_f32 v23, v21, v23, 0x3b141699
	v_fmaak_f32 v24, v21, v24, 0x3bc7e707
	v_fmaak_f32 v22, v21, v22, 0x3c93373d
	v_fmaak_f32 v23, v21, v23, 0xbc28fcfe
	v_fmaak_f32 v24, v21, v24, 0xbd064d47
	v_fmaak_f32 v22, v21, v22, 0xbe17213c
	v_fmaak_f32 v23, v21, v23, 0x3d845a15
	v_fmac_f32_e32 v22, v19, v23
	v_fmaak_f32 v19, v21, v24, 0x3ef7b95e
	v_fma_f32 v21, v21, -v22, 0xa2863e55
	v_fma_f32 v19, v20, v19, -v21
	v_add_f32_e32 v19, 0xbdf8cdce, v19
	v_add_f32_e32 v17, v17, v19
.LBB150_178:
	s_or_b32 exec_lo, exec_lo, s8
                                        ; implicit-def: $vgpr20
                                        ; implicit-def: $vgpr19
.LBB150_179:
	s_andn2_saveexec_b32 s9, s9
	s_cbranch_execz .LBB150_183
; %bb.180:
	s_mov_b32 s12, exec_lo
	v_cmpx_eq_u32_e32 0, v20
	s_cbranch_execz .LBB150_182
; %bb.181:
	v_mul_f32_e32 v20, v19, v19
	s_mov_b32 s8, 0x383c2c75
	v_fmaak_f32 v21, s8, v20, 0x38e28445
	s_mov_b32 s8, 0x37d383a2
	v_fmaak_f32 v22, s8, v20, 0x39679767
	v_fmaak_f32 v21, v20, v21, 0x3a05b634
	v_fmaak_f32 v22, v20, v22, 0x3a9c54a1
	v_fmaak_f32 v21, v20, v21, 0x3b3d6ec6
	v_fmaak_f32 v22, v20, v22, 0x3bf2027e
	v_fmaak_f32 v21, v20, v21, 0x3ca89915
	v_fmaak_f32 v22, v20, v22, 0x3d89f001
	v_fmaak_f32 v21, v20, v21, 0x3ea51a66
	v_fmaak_f32 v22, v20, v22, 0x3d9e233f
	v_mul_f32_e32 v20, v20, v21
	v_fmac_f32_e32 v20, v19, v22
	v_fmac_f32_e32 v20, -0.5, v19
	v_add_f32_e32 v17, v17, v20
.LBB150_182:
	s_or_b32 exec_lo, exec_lo, s12
.LBB150_183:
	s_or_b32 exec_lo, exec_lo, s9
.LBB150_184:
	s_or_b32 exec_lo, exec_lo, s11
.LBB150_185:
	s_andn2_saveexec_b32 s9, s10
	s_cbranch_execz .LBB150_187
; %bb.186:
	v_cmp_gt_f32_e64 s10, 0x800000, |v16|
	s_mov_b32 s8, 0x3e8a8991
	v_fma_f32 v21, |v16|, s8, 0xbecd26ab
	v_cndmask_b32_e64 v17, 0, 32, s10
	v_ldexp_f32 v17, |v16|, v17
	v_log_f32_e32 v17, v17
	v_mul_f32_e32 v19, 0x3f317217, v17
	v_cmp_gt_f32_e64 s8, 0x7f800000, |v17|
	v_fma_f32 v20, 0x3f317217, v17, -v19
	v_fmamk_f32 v20, v17, 0x3377d1cf, v20
	v_add_f32_e32 v19, v19, v20
	v_fma_f32 v20, |v16|, v21, 0x3f528d33
	v_cndmask_b32_e64 v17, v17, v19, s8
	v_cndmask_b32_e64 v19, 0, 0x41b17218, s10
	v_fma_f32 v20, |v16|, v20, 0xbf13c468
	v_sub_f32_e32 v17, v17, v19
	v_fma_f32 v17, |v16|, v20, -v17
.LBB150_187:
	s_or_b32 exec_lo, exec_lo, s9
	v_cmp_le_f16_e64 s8, 0, v5
	s_mov_b32 s10, exec_lo
	v_cmpx_nle_f16_e32 0, v5
	s_xor_b32 s11, exec_lo, s10
	s_cbranch_execz .LBB150_191
; %bb.188:
	v_cmp_gt_f32_e64 s9, 0x4b000000, |v16|
	v_cmp_lt_f32_e64 s10, 0x35000000, |v16|
	s_and_b32 s9, s9, s10
	s_and_saveexec_b32 s12, s9
	s_cbranch_execz .LBB150_190
; %bb.189:
	v_mul_f32_e64 v19, |v16|, 0.5
	s_mov_b32 s10, 0x3d4be544
	v_xor_b32_e32 v18, v18, v16
	v_floor_f32_e32 v20, v19
	v_cmp_neq_f32_e64 s9, 0x7f800000, v19
	v_sub_f32_e32 v20, v19, v20
	v_min_f32_e32 v20, 0x3f7fffff, v20
	v_add_f32_e32 v20, v20, v20
	v_cndmask_b32_e64 v19, 0, v20, s9
	v_cmp_gt_f32_e64 s9, |v16|, 1.0
	v_cndmask_b32_e64 v19, |v16|, v19, s9
	s_mov_b32 s9, 0x3e75aa41
	v_add_f32_e32 v20, v19, v19
	v_rndne_f32_e32 v20, v20
	v_fmac_f32_e32 v19, -0.5, v20
	v_cvt_i32_f32_e32 v20, v20
	v_mul_f32_e32 v21, v19, v19
	v_fmaak_f32 v22, s9, v21, 0xbf1f24be
	v_fmaak_f32 v23, s10, v21, 0x3e642e9d
	v_mul_f32_e32 v24, v19, v21
	v_fmaak_f32 v22, v21, v22, 0x40234736
	v_fmaak_f32 v23, v21, v23, 0xbfaad1da
	;; [unrolled: 1-line block ×4, first 2 shown]
	v_mul_f32_e32 v22, v24, v22
	v_fmaak_f32 v23, v21, v23, 0xc09de9e6
	v_and_b32_e32 v24, 1, v20
	v_lshlrev_b32_e32 v20, 30, v20
	v_fmamk_f32 v19, v19, 0x40490fdb, v22
	v_fma_f32 v21, v21, v23, 1.0
	v_cmp_eq_u32_e64 s9, 0, v24
	v_and_b32_e32 v20, 0x80000000, v20
	v_cndmask_b32_e64 v19, v21, v19, s9
	v_xor3_b32 v18, v18, v20, v19
	v_mul_f32_e32 v18, v16, v18
	v_frexp_mant_f32_e64 v19, |v18|
	v_frexp_exp_i32_f32_e32 v18, v18
	v_rcp_f32_e32 v19, v19
	v_sub_nc_u32_e32 v18, 2, v18
	v_mul_f32_e32 v19, 0x3f490fdb, v19
	v_ldexp_f32 v18, v19, v18
	v_cmp_gt_f32_e64 s9, 0x800000, v18
	v_cndmask_b32_e64 v19, 0, 32, s9
	v_ldexp_f32 v18, v18, v19
	v_log_f32_e32 v18, v18
	v_mul_f32_e32 v19, 0x3f317217, v18
	v_cmp_gt_f32_e64 s10, 0x7f800000, |v18|
	v_fma_f32 v20, 0x3f317217, v18, -v19
	v_fmamk_f32 v20, v18, 0x3377d1cf, v20
	v_add_f32_e32 v19, v19, v20
	v_floor_f32_e32 v20, v16
	v_cndmask_b32_e64 v18, v18, v19, s10
	v_cndmask_b32_e64 v19, 0, 0x41b17218, s9
	v_sub_f32_e32 v20, v16, v20
	v_sub_f32_e32 v18, v18, v19
	v_min_f32_e32 v19, 0x3f7fffff, v20
	v_sub_f32_e32 v17, v18, v17
	v_cmp_neq_f32_e64 s9, 0, v19
	v_cndmask_b32_e64 v17, 0x7f800000, v17, s9
.LBB150_190:
	s_or_b32 exec_lo, exec_lo, s12
.LBB150_191:
	s_andn2_saveexec_b32 s11, s11
; %bb.192:
	v_cmp_eq_f16_e64 s9, 1.0, v5
	v_cmp_eq_f16_e64 s10, 2.0, v5
	s_or_b32 s9, s9, s10
	v_cndmask_b32_e64 v17, v17, 0, s9
; %bb.193:
	s_or_b32 exec_lo, exec_lo, s11
	v_lshrrev_b32_e32 v18, 16, v5
                                        ; implicit-def: $vgpr20
	s_mov_b32 s10, exec_lo
	v_cvt_f32_f16_e32 v19, v18
	v_and_b32_e32 v21, 0x7fffffff, v19
	v_cmpx_ngt_f32_e64 0x3c800000, |v19|
	s_xor_b32 s11, exec_lo, s10
	s_cbranch_execz .LBB150_223
; %bb.194:
                                        ; implicit-def: $vgpr20
	s_mov_b32 s10, exec_lo
	v_cmpx_nlt_f32_e64 |v19|, 2.0
	s_xor_b32 s12, exec_lo, s10
	s_cbranch_execz .LBB150_204
; %bb.195:
	s_mov_b32 s10, exec_lo
                                        ; implicit-def: $vgpr20
	v_cmpx_ngt_f32_e64 0x41000000, |v19|
	s_xor_b32 s10, exec_lo, s10
	s_cbranch_execz .LBB150_201
; %bb.196:
	s_mov_b32 s13, exec_lo
                                        ; implicit-def: $vgpr20
	v_cmpx_ngt_f32_e64 0x5c800000, |v19|
	s_xor_b32 s13, exec_lo, s13
	s_cbranch_execz .LBB150_198
; %bb.197:
	v_cmp_gt_f32_e64 s21, 0x800000, |v19|
	v_cndmask_b32_e64 v20, 0, 32, s21
	v_ldexp_f32 v20, |v19|, v20
	v_log_f32_e32 v20, v20
	v_mul_f32_e32 v22, 0x3f317217, v20
	v_cmp_gt_f32_e64 s9, 0x7f800000, |v20|
	v_fma_f32 v23, 0x3f317217, v20, -v22
	v_fmamk_f32 v23, v20, 0x3377d1cf, v23
	v_add_f32_e32 v22, v22, v23
	v_cndmask_b32_e64 v20, v20, v22, s9
	v_cndmask_b32_e64 v22, 0, 0x41b17218, s21
	v_sub_f32_e32 v20, v20, v22
	v_fma_f32 v20, |v19|, v20, -|v19|
.LBB150_198:
	s_andn2_saveexec_b32 s13, s13
	s_cbranch_execz .LBB150_200
; %bb.199:
	v_cmp_gt_f32_e64 s21, 0x800000, |v19|
	v_rcp_f32_e64 v22, |v19|
	s_mov_b32 s9, 0xbad5c4e8
	v_cndmask_b32_e64 v20, 0, 32, s21
	v_ldexp_f32 v20, |v19|, v20
	v_mul_f32_e32 v23, v22, v22
	v_log_f32_e32 v20, v20
	v_fmaak_f32 v25, s9, v23, 0x3a5b3dd2
	v_fmaak_f32 v25, v23, v25, 0xba1c065c
	v_mul_f32_e32 v24, 0x3f317217, v20
	v_fmaak_f32 v25, v23, v25, 0x3a500cfd
	v_cmp_gt_f32_e64 s9, 0x7f800000, |v20|
	v_fma_f32 v26, 0x3f317217, v20, -v24
	v_fmaak_f32 v25, v23, v25, 0xbb360b61
	v_fmamk_f32 v26, v20, 0x3377d1cf, v26
	v_fmaak_f32 v23, v23, v25, 0x3daaaaab
	v_add_f32_e32 v24, v24, v26
	v_cndmask_b32_e64 v20, v20, v24, s9
	v_cndmask_b32_e64 v24, 0, 0x41b17218, s21
	v_sub_f32_e32 v24, v20, v24
	v_fmaak_f32 v20, v22, v23, 0x3ed67f1d
	v_add_f32_e64 v22, |v19|, -0.5
	v_add_f32_e32 v23, -1.0, v24
	v_fmac_f32_e32 v20, v22, v23
.LBB150_200:
	s_or_b32 exec_lo, exec_lo, s13
.LBB150_201:
	s_andn2_saveexec_b32 s13, s10
	s_cbranch_execz .LBB150_203
; %bb.202:
	v_cvt_i32_f32_e32 v20, v21
	s_mov_b32 s10, 0x3805ff67
	v_cvt_f32_i32_e32 v22, v20
	v_cmp_lt_i32_e64 s9, 2, v20
	v_sub_f32_e64 v22, |v19|, v22
	v_add_f32_e32 v23, 2.0, v22
	v_add_f32_e32 v24, 0x40400000, v22
	v_add_f32_e32 v25, 4.0, v22
	v_add_f32_e32 v26, 0x40a00000, v22
	v_cndmask_b32_e64 v23, 1.0, v23, s9
	v_cmp_lt_i32_e64 s9, 3, v20
	v_cndmask_b32_e64 v24, 1.0, v24, s9
	v_cmp_lt_i32_e64 s9, 4, v20
	v_mul_f32_e32 v23, v23, v24
	v_cndmask_b32_e64 v25, 1.0, v25, s9
	v_cmp_lt_i32_e64 s9, 5, v20
	v_add_f32_e32 v24, 0x40c00000, v22
	v_mul_f32_e32 v23, v25, v23
	v_cndmask_b32_e64 v26, 1.0, v26, s9
	v_cmp_lt_i32_e64 s9, 6, v20
	v_fmaak_f32 v25, s10, v22, 0x3af135b4
	v_mul_f32_e32 v23, v26, v23
	v_cndmask_b32_e64 v20, 1.0, v24, s9
	s_mov_b32 s9, 0x36f5d7bd
	v_mul_f32_e32 v20, v20, v23
	v_fmaak_f32 v23, s9, v22, 0x3a4beed6
	v_cmp_gt_f32_e64 s9, 0x800000, v20
	v_fmaak_f32 v23, v22, v23, 0x3c98bf54
	v_cndmask_b32_e64 v24, 0, 32, s9
	v_fmaak_f32 v23, v22, v23, 0x3e300f6e
	v_ldexp_f32 v20, v20, v24
	v_fmaak_f32 v24, v22, v25, 0x3cda40e4
	v_fmaak_f32 v23, v22, v23, 0x3f38d0c5
	v_log_f32_e32 v20, v20
	v_fmaak_f32 v24, v22, v24, 0x3e15dce6
	v_fmaak_f32 v23, v22, v23, 0x3fb22d3b
	;; [unrolled: 1-line block ×3, first 2 shown]
	v_fma_f32 v23, v22, v23, 1.0
	v_mul_f32_e32 v25, 0x3f317217, v20
	v_fmaak_f32 v24, v22, v24, 0x3e5c245a
	v_rcp_f32_e32 v23, v23
	v_cmp_gt_f32_e64 s10, 0x7f800000, |v20|
	v_fma_f32 v26, 0x3f317217, v20, -v25
	v_fmaak_f32 v24, v22, v24, 0xbd9e233f
	v_fmamk_f32 v26, v20, 0x3377d1cf, v26
	v_mul_f32_e32 v24, v22, v24
	v_add_f32_e32 v25, v25, v26
	v_mul_f32_e32 v23, v24, v23
	v_cndmask_b32_e64 v24, 0, 0x41b17218, s9
	v_cndmask_b32_e64 v20, v20, v25, s10
	v_fmac_f32_e32 v23, 0.5, v22
	v_sub_f32_e32 v20, v20, v24
	v_add_f32_e32 v20, v20, v23
.LBB150_203:
	s_or_b32 exec_lo, exec_lo, s13
.LBB150_204:
	s_andn2_saveexec_b32 s12, s12
	s_cbranch_execz .LBB150_222
; %bb.205:
                                        ; implicit-def: $vgpr20
                                        ; implicit-def: $vgpr23
                                        ; implicit-def: $vgpr22
	s_mov_b32 s10, exec_lo
	v_cmpx_ge_f32_e64 0x3f666666, |v19|
	s_xor_b32 s13, exec_lo, s10
	s_cbranch_execz .LBB150_207
; %bb.206:
	v_cmp_gt_f32_e64 s10, 0x800000, |v19|
	v_sub_f32_e64 v24, 1.0, |v19|
	v_cmp_gt_f32_e64 s9, 0x3f3b4a23, |v19|
	v_cndmask_b32_e64 v20, 0, 32, s10
	v_cndmask_b32_e64 v25, 0, 0x41b17218, s10
	v_ldexp_f32 v20, |v19|, v20
	v_log_f32_e32 v20, v20
	v_mul_f32_e32 v22, 0x3f317217, v20
	v_cmp_gt_f32_e64 s10, 0x7f800000, |v20|
	v_fma_f32 v23, 0x3f317217, v20, -v22
	v_fmamk_f32 v23, v20, 0x3377d1cf, v23
	v_add_f32_e32 v22, v22, v23
	v_add_f32_e64 v23, 0xbeec5b0c, |v19|
	v_cndmask_b32_e64 v20, v20, v22, s10
	v_cndmask_b32_e64 v22, v24, v23, s9
	;; [unrolled: 1-line block ×3, first 2 shown]
	v_cmp_gt_f32_e64 s9, 0x3e6d3309, |v19|
	v_sub_f32_e32 v20, v20, v25
	v_cndmask_b32_e64 v22, v22, |v19|, s9
	v_cndmask_b32_e64 v23, v23, 2, s9
	v_xor_b32_e32 v20, 0x80000000, v20
.LBB150_207:
	s_andn2_saveexec_b32 s10, s13
	s_cbranch_execz .LBB150_209
; %bb.208:
	v_sub_f32_e64 v20, 2.0, |v19|
	v_add_f32_e64 v22, 0xbfbb16c3, |v19|
	v_cmp_gt_f32_e64 s9, 0x3fdda512, |v19|
	v_add_f32_e64 v23, |v19|, -1.0
	v_cndmask_b32_e64 v22, v20, v22, s9
	v_cndmask_b32_e64 v20, v20, 1.0, s9
	v_cmp_gt_f32_e64 s9, 0x3f9d70a4, |v19|
	v_cvt_i32_f32_e32 v20, v20
	v_cndmask_b32_e64 v22, v22, v23, s9
	v_cndmask_b32_e64 v23, v20, 2, s9
	v_mov_b32_e32 v20, 0
.LBB150_209:
	s_or_b32 exec_lo, exec_lo, s10
	s_mov_b32 s10, exec_lo
	v_cmpx_lt_i32_e32 0, v23
	s_xor_b32 s10, exec_lo, s10
	s_cbranch_execz .LBB150_217
; %bb.210:
	s_mov_b32 s13, exec_lo
	v_cmpx_lt_i32_e32 1, v23
	s_xor_b32 s13, exec_lo, s13
	s_cbranch_execz .LBB150_214
; %bb.211:
	s_mov_b32 s21, exec_lo
	v_cmpx_eq_u32_e32 2, v23
	s_cbranch_execz .LBB150_213
; %bb.212:
	s_mov_b32 s9, 0x3b52d5db
	v_fmaak_f32 v23, s9, v22, 0x3dd572af
	s_mov_b32 s9, 0x3c5b3c5e
	v_fmaak_f32 v24, s9, v22, 0x3e6a7578
	v_fmaak_f32 v23, v22, v23, 0x3f44efdf
	;; [unrolled: 1-line block ×7, first 2 shown]
	v_fma_f32 v23, v22, v23, 1.0
	v_fmaak_f32 v24, v22, v24, 0xbd9e233f
	v_rcp_f32_e32 v23, v23
	v_mul_f32_e32 v24, v22, v24
	v_mul_f32_e32 v23, v24, v23
	v_fmac_f32_e32 v23, -0.5, v22
	v_add_f32_e32 v20, v20, v23
.LBB150_213:
	s_or_b32 exec_lo, exec_lo, s21
                                        ; implicit-def: $vgpr22
.LBB150_214:
	s_andn2_saveexec_b32 s9, s13
	s_cbranch_execz .LBB150_216
; %bb.215:
	v_mul_f32_e32 v23, v22, v22
	s_mov_b32 s13, 0xb9a3f927
	s_mov_b32 s21, 0x39afe9f7
	v_mul_f32_e32 v24, v22, v23
	v_fmaak_f32 v25, s13, v24, 0x3a66f867
	v_fmaak_f32 v26, s21, v24, 0xba0d3085
	s_mov_b32 s13, 0x39a57b6b
	v_fmaak_f32 v27, s13, v24, 0xbab7f476
	v_fmaak_f32 v25, v24, v25, 0xbb7177fe
	;; [unrolled: 1-line block ×9, first 2 shown]
	v_fmac_f32_e32 v25, v22, v26
	v_fmaak_f32 v22, v24, v27, 0x3ef7b95e
	v_fma_f32 v24, v24, -v25, 0xa2863e55
	v_fma_f32 v22, v23, v22, -v24
	v_add_f32_e32 v22, 0xbdf8cdce, v22
	v_add_f32_e32 v20, v20, v22
.LBB150_216:
	s_or_b32 exec_lo, exec_lo, s9
                                        ; implicit-def: $vgpr23
                                        ; implicit-def: $vgpr22
.LBB150_217:
	s_andn2_saveexec_b32 s10, s10
	s_cbranch_execz .LBB150_221
; %bb.218:
	s_mov_b32 s13, exec_lo
	v_cmpx_eq_u32_e32 0, v23
	s_cbranch_execz .LBB150_220
; %bb.219:
	v_mul_f32_e32 v23, v22, v22
	s_mov_b32 s9, 0x383c2c75
	v_fmaak_f32 v24, s9, v23, 0x38e28445
	s_mov_b32 s9, 0x37d383a2
	v_fmaak_f32 v25, s9, v23, 0x39679767
	v_fmaak_f32 v24, v23, v24, 0x3a05b634
	;; [unrolled: 1-line block ×9, first 2 shown]
	v_mul_f32_e32 v23, v23, v24
	v_fmac_f32_e32 v23, v22, v25
	v_fmac_f32_e32 v23, -0.5, v22
	v_add_f32_e32 v20, v20, v23
.LBB150_220:
	s_or_b32 exec_lo, exec_lo, s13
.LBB150_221:
	s_or_b32 exec_lo, exec_lo, s10
.LBB150_222:
	s_or_b32 exec_lo, exec_lo, s12
.LBB150_223:
	s_andn2_saveexec_b32 s10, s11
	s_cbranch_execz .LBB150_225
; %bb.224:
	v_cmp_gt_f32_e64 s11, 0x800000, |v19|
	s_mov_b32 s9, 0x3e8a8991
	v_fma_f32 v24, |v19|, s9, 0xbecd26ab
	v_cndmask_b32_e64 v20, 0, 32, s11
	v_ldexp_f32 v20, |v19|, v20
	v_log_f32_e32 v20, v20
	v_mul_f32_e32 v22, 0x3f317217, v20
	v_cmp_gt_f32_e64 s9, 0x7f800000, |v20|
	v_fma_f32 v23, 0x3f317217, v20, -v22
	v_fmamk_f32 v23, v20, 0x3377d1cf, v23
	v_add_f32_e32 v22, v22, v23
	v_fma_f32 v23, |v19|, v24, 0x3f528d33
	v_cndmask_b32_e64 v20, v20, v22, s9
	v_cndmask_b32_e64 v22, 0, 0x41b17218, s11
	v_fma_f32 v23, |v19|, v23, 0xbf13c468
	v_sub_f32_e32 v20, v20, v22
	v_fma_f32 v20, |v19|, v23, -v20
.LBB150_225:
	s_or_b32 exec_lo, exec_lo, s10
	v_cmp_le_f16_e64 s9, 0, v18
	s_mov_b32 s11, exec_lo
	v_cmpx_nle_f16_e32 0, v18
	s_xor_b32 s12, exec_lo, s11
	s_cbranch_execz .LBB150_229
; %bb.226:
	v_cmp_gt_f32_e64 s10, 0x4b000000, |v19|
	v_cmp_lt_f32_e64 s11, 0x35000000, |v19|
	s_and_b32 s10, s10, s11
	s_and_saveexec_b32 s13, s10
	s_cbranch_execz .LBB150_228
; %bb.227:
	v_mul_f32_e64 v22, |v19|, 0.5
	s_mov_b32 s11, 0x3d4be544
	v_xor_b32_e32 v21, v21, v19
	v_floor_f32_e32 v23, v22
	v_cmp_neq_f32_e64 s10, 0x7f800000, v22
	v_sub_f32_e32 v23, v22, v23
	v_min_f32_e32 v23, 0x3f7fffff, v23
	v_add_f32_e32 v23, v23, v23
	v_cndmask_b32_e64 v22, 0, v23, s10
	v_cmp_gt_f32_e64 s10, |v19|, 1.0
	v_cndmask_b32_e64 v22, |v19|, v22, s10
	s_mov_b32 s10, 0x3e75aa41
	v_add_f32_e32 v23, v22, v22
	v_rndne_f32_e32 v23, v23
	v_fmac_f32_e32 v22, -0.5, v23
	v_cvt_i32_f32_e32 v23, v23
	v_mul_f32_e32 v24, v22, v22
	v_fmaak_f32 v25, s10, v24, 0xbf1f24be
	v_fmaak_f32 v26, s11, v24, 0x3e642e9d
	v_mul_f32_e32 v27, v22, v24
	v_fmaak_f32 v25, v24, v25, 0x40234736
	v_fmaak_f32 v26, v24, v26, 0xbfaad1da
	;; [unrolled: 1-line block ×4, first 2 shown]
	v_mul_f32_e32 v25, v27, v25
	v_fmaak_f32 v26, v24, v26, 0xc09de9e6
	v_and_b32_e32 v27, 1, v23
	v_lshlrev_b32_e32 v23, 30, v23
	v_fmamk_f32 v22, v22, 0x40490fdb, v25
	v_fma_f32 v24, v24, v26, 1.0
	v_cmp_eq_u32_e64 s10, 0, v27
	v_and_b32_e32 v23, 0x80000000, v23
	v_cndmask_b32_e64 v22, v24, v22, s10
	v_xor3_b32 v21, v21, v23, v22
	v_mul_f32_e32 v21, v19, v21
	v_frexp_mant_f32_e64 v22, |v21|
	v_frexp_exp_i32_f32_e32 v21, v21
	v_rcp_f32_e32 v22, v22
	v_sub_nc_u32_e32 v21, 2, v21
	v_mul_f32_e32 v22, 0x3f490fdb, v22
	v_ldexp_f32 v21, v22, v21
	v_cmp_gt_f32_e64 s10, 0x800000, v21
	v_cndmask_b32_e64 v22, 0, 32, s10
	v_ldexp_f32 v21, v21, v22
	v_log_f32_e32 v21, v21
	v_mul_f32_e32 v22, 0x3f317217, v21
	v_cmp_gt_f32_e64 s11, 0x7f800000, |v21|
	v_fma_f32 v23, 0x3f317217, v21, -v22
	v_fmamk_f32 v23, v21, 0x3377d1cf, v23
	v_add_f32_e32 v22, v22, v23
	v_floor_f32_e32 v23, v19
	v_cndmask_b32_e64 v21, v21, v22, s11
	v_cndmask_b32_e64 v22, 0, 0x41b17218, s10
	v_sub_f32_e32 v23, v19, v23
	v_sub_f32_e32 v21, v21, v22
	v_min_f32_e32 v22, 0x3f7fffff, v23
	v_sub_f32_e32 v20, v21, v20
	v_cmp_neq_f32_e64 s10, 0, v22
	v_cndmask_b32_e64 v20, 0x7f800000, v20, s10
.LBB150_228:
	s_or_b32 exec_lo, exec_lo, s13
.LBB150_229:
	s_andn2_saveexec_b32 s12, s12
; %bb.230:
	v_cmp_eq_f16_e64 s10, 1.0, v18
	v_cmp_eq_f16_e64 s11, 2.0, v18
	s_or_b32 s10, s10, s11
	v_cndmask_b32_e64 v20, v20, 0, s10
; %bb.231:
	s_or_b32 exec_lo, exec_lo, s12
	s_waitcnt vmcnt(0)
	v_cvt_f32_f16_e32 v21, v6
                                        ; implicit-def: $vgpr22
	s_mov_b32 s11, exec_lo
	v_and_b32_e32 v23, 0x7fffffff, v21
	v_cmpx_ngt_f32_e64 0x3c800000, |v21|
	s_xor_b32 s12, exec_lo, s11
	s_cbranch_execz .LBB150_261
; %bb.232:
                                        ; implicit-def: $vgpr22
	s_mov_b32 s11, exec_lo
	v_cmpx_nlt_f32_e64 |v21|, 2.0
	s_xor_b32 s13, exec_lo, s11
	s_cbranch_execz .LBB150_242
; %bb.233:
	s_mov_b32 s11, exec_lo
                                        ; implicit-def: $vgpr22
	v_cmpx_ngt_f32_e64 0x41000000, |v21|
	s_xor_b32 s11, exec_lo, s11
	s_cbranch_execz .LBB150_239
; %bb.234:
	s_mov_b32 s21, exec_lo
                                        ; implicit-def: $vgpr22
	v_cmpx_ngt_f32_e64 0x5c800000, |v21|
	s_xor_b32 s21, exec_lo, s21
	s_cbranch_execz .LBB150_236
; %bb.235:
	v_cmp_gt_f32_e64 s22, 0x800000, |v21|
	v_cndmask_b32_e64 v22, 0, 32, s22
	v_ldexp_f32 v22, |v21|, v22
	v_log_f32_e32 v22, v22
	v_mul_f32_e32 v24, 0x3f317217, v22
	v_cmp_gt_f32_e64 s10, 0x7f800000, |v22|
	v_fma_f32 v25, 0x3f317217, v22, -v24
	v_fmamk_f32 v25, v22, 0x3377d1cf, v25
	v_add_f32_e32 v24, v24, v25
	v_cndmask_b32_e64 v22, v22, v24, s10
	v_cndmask_b32_e64 v24, 0, 0x41b17218, s22
	v_sub_f32_e32 v22, v22, v24
	v_fma_f32 v22, |v21|, v22, -|v21|
.LBB150_236:
	s_andn2_saveexec_b32 s21, s21
	s_cbranch_execz .LBB150_238
; %bb.237:
	v_cmp_gt_f32_e64 s22, 0x800000, |v21|
	v_rcp_f32_e64 v24, |v21|
	s_mov_b32 s10, 0xbad5c4e8
	v_cndmask_b32_e64 v22, 0, 32, s22
	v_ldexp_f32 v22, |v21|, v22
	v_mul_f32_e32 v25, v24, v24
	v_log_f32_e32 v22, v22
	v_fmaak_f32 v27, s10, v25, 0x3a5b3dd2
	v_fmaak_f32 v27, v25, v27, 0xba1c065c
	v_mul_f32_e32 v26, 0x3f317217, v22
	v_fmaak_f32 v27, v25, v27, 0x3a500cfd
	v_cmp_gt_f32_e64 s10, 0x7f800000, |v22|
	v_fma_f32 v28, 0x3f317217, v22, -v26
	v_fmaak_f32 v27, v25, v27, 0xbb360b61
	v_fmamk_f32 v28, v22, 0x3377d1cf, v28
	v_fmaak_f32 v25, v25, v27, 0x3daaaaab
	v_add_f32_e32 v26, v26, v28
	v_cndmask_b32_e64 v22, v22, v26, s10
	v_cndmask_b32_e64 v26, 0, 0x41b17218, s22
	v_sub_f32_e32 v26, v22, v26
	v_fmaak_f32 v22, v24, v25, 0x3ed67f1d
	v_add_f32_e64 v24, |v21|, -0.5
	v_add_f32_e32 v25, -1.0, v26
	v_fmac_f32_e32 v22, v24, v25
.LBB150_238:
	s_or_b32 exec_lo, exec_lo, s21
.LBB150_239:
	s_andn2_saveexec_b32 s21, s11
	s_cbranch_execz .LBB150_241
; %bb.240:
	v_cvt_i32_f32_e32 v22, v23
	s_mov_b32 s11, 0x3805ff67
	v_cvt_f32_i32_e32 v24, v22
	v_cmp_lt_i32_e64 s10, 2, v22
	v_sub_f32_e64 v24, |v21|, v24
	v_add_f32_e32 v25, 2.0, v24
	v_add_f32_e32 v26, 0x40400000, v24
	v_add_f32_e32 v27, 4.0, v24
	v_add_f32_e32 v28, 0x40a00000, v24
	v_cndmask_b32_e64 v25, 1.0, v25, s10
	v_cmp_lt_i32_e64 s10, 3, v22
	v_cndmask_b32_e64 v26, 1.0, v26, s10
	v_cmp_lt_i32_e64 s10, 4, v22
	v_mul_f32_e32 v25, v25, v26
	v_cndmask_b32_e64 v27, 1.0, v27, s10
	v_cmp_lt_i32_e64 s10, 5, v22
	v_add_f32_e32 v26, 0x40c00000, v24
	v_mul_f32_e32 v25, v27, v25
	v_cndmask_b32_e64 v28, 1.0, v28, s10
	v_cmp_lt_i32_e64 s10, 6, v22
	v_fmaak_f32 v27, s11, v24, 0x3af135b4
	v_mul_f32_e32 v25, v28, v25
	v_cndmask_b32_e64 v22, 1.0, v26, s10
	s_mov_b32 s10, 0x36f5d7bd
	v_mul_f32_e32 v22, v22, v25
	v_fmaak_f32 v25, s10, v24, 0x3a4beed6
	v_cmp_gt_f32_e64 s10, 0x800000, v22
	v_fmaak_f32 v25, v24, v25, 0x3c98bf54
	v_cndmask_b32_e64 v26, 0, 32, s10
	v_fmaak_f32 v25, v24, v25, 0x3e300f6e
	v_ldexp_f32 v22, v22, v26
	v_fmaak_f32 v26, v24, v27, 0x3cda40e4
	v_fmaak_f32 v25, v24, v25, 0x3f38d0c5
	v_log_f32_e32 v22, v22
	v_fmaak_f32 v26, v24, v26, 0x3e15dce6
	v_fmaak_f32 v25, v24, v25, 0x3fb22d3b
	;; [unrolled: 1-line block ×3, first 2 shown]
	v_fma_f32 v25, v24, v25, 1.0
	v_mul_f32_e32 v27, 0x3f317217, v22
	v_fmaak_f32 v26, v24, v26, 0x3e5c245a
	v_rcp_f32_e32 v25, v25
	v_cmp_gt_f32_e64 s11, 0x7f800000, |v22|
	v_fma_f32 v28, 0x3f317217, v22, -v27
	v_fmaak_f32 v26, v24, v26, 0xbd9e233f
	v_fmamk_f32 v28, v22, 0x3377d1cf, v28
	v_mul_f32_e32 v26, v24, v26
	v_add_f32_e32 v27, v27, v28
	v_mul_f32_e32 v25, v26, v25
	v_cndmask_b32_e64 v26, 0, 0x41b17218, s10
	v_cndmask_b32_e64 v22, v22, v27, s11
	v_fmac_f32_e32 v25, 0.5, v24
	v_sub_f32_e32 v22, v22, v26
	v_add_f32_e32 v22, v22, v25
.LBB150_241:
	s_or_b32 exec_lo, exec_lo, s21
.LBB150_242:
	s_andn2_saveexec_b32 s13, s13
	s_cbranch_execz .LBB150_260
; %bb.243:
                                        ; implicit-def: $vgpr22
                                        ; implicit-def: $vgpr25
                                        ; implicit-def: $vgpr24
	s_mov_b32 s11, exec_lo
	v_cmpx_ge_f32_e64 0x3f666666, |v21|
	s_xor_b32 s21, exec_lo, s11
	s_cbranch_execz .LBB150_245
; %bb.244:
	v_cmp_gt_f32_e64 s11, 0x800000, |v21|
	v_sub_f32_e64 v26, 1.0, |v21|
	v_cmp_gt_f32_e64 s10, 0x3f3b4a23, |v21|
	v_cndmask_b32_e64 v22, 0, 32, s11
	v_cndmask_b32_e64 v27, 0, 0x41b17218, s11
	v_ldexp_f32 v22, |v21|, v22
	v_log_f32_e32 v22, v22
	v_mul_f32_e32 v24, 0x3f317217, v22
	v_cmp_gt_f32_e64 s11, 0x7f800000, |v22|
	v_fma_f32 v25, 0x3f317217, v22, -v24
	v_fmamk_f32 v25, v22, 0x3377d1cf, v25
	v_add_f32_e32 v24, v24, v25
	v_add_f32_e64 v25, 0xbeec5b0c, |v21|
	v_cndmask_b32_e64 v22, v22, v24, s11
	v_cndmask_b32_e64 v24, v26, v25, s10
	;; [unrolled: 1-line block ×3, first 2 shown]
	v_cmp_gt_f32_e64 s10, 0x3e6d3309, |v21|
	v_sub_f32_e32 v22, v22, v27
	v_cndmask_b32_e64 v24, v24, |v21|, s10
	v_cndmask_b32_e64 v25, v25, 2, s10
	v_xor_b32_e32 v22, 0x80000000, v22
.LBB150_245:
	s_andn2_saveexec_b32 s11, s21
	s_cbranch_execz .LBB150_247
; %bb.246:
	v_sub_f32_e64 v22, 2.0, |v21|
	v_add_f32_e64 v24, 0xbfbb16c3, |v21|
	v_cmp_gt_f32_e64 s10, 0x3fdda512, |v21|
	v_add_f32_e64 v25, |v21|, -1.0
	v_cndmask_b32_e64 v24, v22, v24, s10
	v_cndmask_b32_e64 v22, v22, 1.0, s10
	v_cmp_gt_f32_e64 s10, 0x3f9d70a4, |v21|
	v_cvt_i32_f32_e32 v22, v22
	v_cndmask_b32_e64 v24, v24, v25, s10
	v_cndmask_b32_e64 v25, v22, 2, s10
	v_mov_b32_e32 v22, 0
.LBB150_247:
	s_or_b32 exec_lo, exec_lo, s11
	s_mov_b32 s11, exec_lo
	v_cmpx_lt_i32_e32 0, v25
	s_xor_b32 s11, exec_lo, s11
	s_cbranch_execz .LBB150_255
; %bb.248:
	s_mov_b32 s21, exec_lo
	v_cmpx_lt_i32_e32 1, v25
	s_xor_b32 s21, exec_lo, s21
	s_cbranch_execz .LBB150_252
; %bb.249:
	s_mov_b32 s22, exec_lo
	v_cmpx_eq_u32_e32 2, v25
	s_cbranch_execz .LBB150_251
; %bb.250:
	s_mov_b32 s10, 0x3b52d5db
	v_fmaak_f32 v25, s10, v24, 0x3dd572af
	s_mov_b32 s10, 0x3c5b3c5e
	v_fmaak_f32 v26, s10, v24, 0x3e6a7578
	v_fmaak_f32 v25, v24, v25, 0x3f44efdf
	;; [unrolled: 1-line block ×7, first 2 shown]
	v_fma_f32 v25, v24, v25, 1.0
	v_fmaak_f32 v26, v24, v26, 0xbd9e233f
	v_rcp_f32_e32 v25, v25
	v_mul_f32_e32 v26, v24, v26
	v_mul_f32_e32 v25, v26, v25
	v_fmac_f32_e32 v25, -0.5, v24
	v_add_f32_e32 v22, v22, v25
.LBB150_251:
	s_or_b32 exec_lo, exec_lo, s22
                                        ; implicit-def: $vgpr24
.LBB150_252:
	s_andn2_saveexec_b32 s10, s21
	s_cbranch_execz .LBB150_254
; %bb.253:
	v_mul_f32_e32 v25, v24, v24
	s_mov_b32 s21, 0xb9a3f927
	s_mov_b32 s22, 0x39afe9f7
	v_mul_f32_e32 v26, v24, v25
	v_fmaak_f32 v27, s21, v26, 0x3a66f867
	v_fmaak_f32 v28, s22, v26, 0xba0d3085
	s_mov_b32 s21, 0x39a57b6b
	v_fmaak_f32 v29, s21, v26, 0xbab7f476
	v_fmaak_f32 v27, v26, v27, 0xbb7177fe
	;; [unrolled: 1-line block ×9, first 2 shown]
	v_fmac_f32_e32 v27, v24, v28
	v_fmaak_f32 v24, v26, v29, 0x3ef7b95e
	v_fma_f32 v26, v26, -v27, 0xa2863e55
	v_fma_f32 v24, v25, v24, -v26
	v_add_f32_e32 v24, 0xbdf8cdce, v24
	v_add_f32_e32 v22, v22, v24
.LBB150_254:
	s_or_b32 exec_lo, exec_lo, s10
                                        ; implicit-def: $vgpr25
                                        ; implicit-def: $vgpr24
.LBB150_255:
	s_andn2_saveexec_b32 s11, s11
	s_cbranch_execz .LBB150_259
; %bb.256:
	s_mov_b32 s21, exec_lo
	v_cmpx_eq_u32_e32 0, v25
	s_cbranch_execz .LBB150_258
; %bb.257:
	v_mul_f32_e32 v25, v24, v24
	s_mov_b32 s10, 0x383c2c75
	v_fmaak_f32 v26, s10, v25, 0x38e28445
	s_mov_b32 s10, 0x37d383a2
	v_fmaak_f32 v27, s10, v25, 0x39679767
	v_fmaak_f32 v26, v25, v26, 0x3a05b634
	v_fmaak_f32 v27, v25, v27, 0x3a9c54a1
	v_fmaak_f32 v26, v25, v26, 0x3b3d6ec6
	v_fmaak_f32 v27, v25, v27, 0x3bf2027e
	v_fmaak_f32 v26, v25, v26, 0x3ca89915
	v_fmaak_f32 v27, v25, v27, 0x3d89f001
	v_fmaak_f32 v26, v25, v26, 0x3ea51a66
	v_fmaak_f32 v27, v25, v27, 0x3d9e233f
	v_mul_f32_e32 v25, v25, v26
	v_fmac_f32_e32 v25, v24, v27
	v_fmac_f32_e32 v25, -0.5, v24
	v_add_f32_e32 v22, v22, v25
.LBB150_258:
	s_or_b32 exec_lo, exec_lo, s21
.LBB150_259:
	s_or_b32 exec_lo, exec_lo, s11
.LBB150_260:
	s_or_b32 exec_lo, exec_lo, s13
.LBB150_261:
	s_andn2_saveexec_b32 s11, s12
	s_cbranch_execz .LBB150_263
; %bb.262:
	v_cmp_gt_f32_e64 s12, 0x800000, |v21|
	s_mov_b32 s10, 0x3e8a8991
	v_fma_f32 v26, |v21|, s10, 0xbecd26ab
	v_cndmask_b32_e64 v22, 0, 32, s12
	v_ldexp_f32 v22, |v21|, v22
	v_log_f32_e32 v22, v22
	v_mul_f32_e32 v24, 0x3f317217, v22
	v_cmp_gt_f32_e64 s10, 0x7f800000, |v22|
	v_fma_f32 v25, 0x3f317217, v22, -v24
	v_fmamk_f32 v25, v22, 0x3377d1cf, v25
	v_add_f32_e32 v24, v24, v25
	v_fma_f32 v25, |v21|, v26, 0x3f528d33
	v_cndmask_b32_e64 v22, v22, v24, s10
	v_cndmask_b32_e64 v24, 0, 0x41b17218, s12
	v_fma_f32 v25, |v21|, v25, 0xbf13c468
	v_sub_f32_e32 v22, v22, v24
	v_fma_f32 v22, |v21|, v25, -v22
.LBB150_263:
	s_or_b32 exec_lo, exec_lo, s11
	v_cmp_le_f16_e64 s10, 0, v6
	s_mov_b32 s12, exec_lo
	v_cmpx_nle_f16_e32 0, v6
	s_xor_b32 s13, exec_lo, s12
	s_cbranch_execz .LBB150_267
; %bb.264:
	v_cmp_gt_f32_e64 s11, 0x4b000000, |v21|
	v_cmp_lt_f32_e64 s12, 0x35000000, |v21|
	s_and_b32 s11, s11, s12
	s_and_saveexec_b32 s21, s11
	s_cbranch_execz .LBB150_266
; %bb.265:
	v_mul_f32_e64 v24, |v21|, 0.5
	s_mov_b32 s12, 0x3d4be544
	v_xor_b32_e32 v23, v23, v21
	v_floor_f32_e32 v25, v24
	v_cmp_neq_f32_e64 s11, 0x7f800000, v24
	v_sub_f32_e32 v25, v24, v25
	v_min_f32_e32 v25, 0x3f7fffff, v25
	v_add_f32_e32 v25, v25, v25
	v_cndmask_b32_e64 v24, 0, v25, s11
	v_cmp_gt_f32_e64 s11, |v21|, 1.0
	v_cndmask_b32_e64 v24, |v21|, v24, s11
	s_mov_b32 s11, 0x3e75aa41
	v_add_f32_e32 v25, v24, v24
	v_rndne_f32_e32 v25, v25
	v_fmac_f32_e32 v24, -0.5, v25
	v_cvt_i32_f32_e32 v25, v25
	v_mul_f32_e32 v26, v24, v24
	v_fmaak_f32 v27, s11, v26, 0xbf1f24be
	v_fmaak_f32 v28, s12, v26, 0x3e642e9d
	v_mul_f32_e32 v29, v24, v26
	v_fmaak_f32 v27, v26, v27, 0x40234736
	v_fmaak_f32 v28, v26, v28, 0xbfaad1da
	v_fmaak_f32 v27, v26, v27, 0xc0a55e0e
	v_fmaak_f32 v28, v26, v28, 0x4081e0d3
	v_mul_f32_e32 v27, v29, v27
	v_fmaak_f32 v28, v26, v28, 0xc09de9e6
	v_and_b32_e32 v29, 1, v25
	v_lshlrev_b32_e32 v25, 30, v25
	v_fmamk_f32 v24, v24, 0x40490fdb, v27
	v_fma_f32 v26, v26, v28, 1.0
	v_cmp_eq_u32_e64 s11, 0, v29
	v_and_b32_e32 v25, 0x80000000, v25
	v_cndmask_b32_e64 v24, v26, v24, s11
	v_xor3_b32 v23, v23, v25, v24
	v_mul_f32_e32 v23, v21, v23
	v_frexp_mant_f32_e64 v24, |v23|
	v_frexp_exp_i32_f32_e32 v23, v23
	v_rcp_f32_e32 v24, v24
	v_sub_nc_u32_e32 v23, 2, v23
	v_mul_f32_e32 v24, 0x3f490fdb, v24
	v_ldexp_f32 v23, v24, v23
	v_cmp_gt_f32_e64 s11, 0x800000, v23
	v_cndmask_b32_e64 v24, 0, 32, s11
	v_ldexp_f32 v23, v23, v24
	v_log_f32_e32 v23, v23
	v_mul_f32_e32 v24, 0x3f317217, v23
	v_cmp_gt_f32_e64 s12, 0x7f800000, |v23|
	v_fma_f32 v25, 0x3f317217, v23, -v24
	v_fmamk_f32 v25, v23, 0x3377d1cf, v25
	v_add_f32_e32 v24, v24, v25
	v_floor_f32_e32 v25, v21
	v_cndmask_b32_e64 v23, v23, v24, s12
	v_cndmask_b32_e64 v24, 0, 0x41b17218, s11
	v_sub_f32_e32 v25, v21, v25
	v_sub_f32_e32 v23, v23, v24
	v_min_f32_e32 v24, 0x3f7fffff, v25
	v_sub_f32_e32 v22, v23, v22
	v_cmp_neq_f32_e64 s11, 0, v24
	v_cndmask_b32_e64 v22, 0x7f800000, v22, s11
.LBB150_266:
	s_or_b32 exec_lo, exec_lo, s21
.LBB150_267:
	s_andn2_saveexec_b32 s13, s13
; %bb.268:
	v_cmp_eq_f16_e64 s11, 1.0, v6
	v_cmp_eq_f16_e64 s12, 2.0, v6
	s_or_b32 s11, s11, s12
	v_cndmask_b32_e64 v22, v22, 0, s11
; %bb.269:
	s_or_b32 exec_lo, exec_lo, s13
	v_lshrrev_b32_e32 v23, 16, v6
                                        ; implicit-def: $vgpr26
	s_mov_b32 s12, exec_lo
	v_cvt_f32_f16_e32 v24, v23
	v_and_b32_e32 v25, 0x7fffffff, v24
	v_cmpx_ngt_f32_e64 0x3c800000, |v24|
	s_xor_b32 s13, exec_lo, s12
	s_cbranch_execz .LBB150_299
; %bb.270:
                                        ; implicit-def: $vgpr26
	s_mov_b32 s12, exec_lo
	v_cmpx_nlt_f32_e64 |v24|, 2.0
	s_xor_b32 s21, exec_lo, s12
	s_cbranch_execz .LBB150_280
; %bb.271:
	s_mov_b32 s12, exec_lo
                                        ; implicit-def: $vgpr26
	v_cmpx_ngt_f32_e64 0x41000000, |v24|
	s_xor_b32 s12, exec_lo, s12
	s_cbranch_execz .LBB150_277
; %bb.272:
	s_mov_b32 s22, exec_lo
                                        ; implicit-def: $vgpr26
	v_cmpx_ngt_f32_e64 0x5c800000, |v24|
	s_xor_b32 s22, exec_lo, s22
	s_cbranch_execz .LBB150_274
; %bb.273:
	v_cmp_gt_f32_e64 s23, 0x800000, |v24|
	v_cndmask_b32_e64 v26, 0, 32, s23
	v_ldexp_f32 v26, |v24|, v26
	v_log_f32_e32 v26, v26
	v_mul_f32_e32 v27, 0x3f317217, v26
	v_cmp_gt_f32_e64 s11, 0x7f800000, |v26|
	v_fma_f32 v28, 0x3f317217, v26, -v27
	v_fmamk_f32 v28, v26, 0x3377d1cf, v28
	v_add_f32_e32 v27, v27, v28
	v_cndmask_b32_e64 v26, v26, v27, s11
	v_cndmask_b32_e64 v27, 0, 0x41b17218, s23
	v_sub_f32_e32 v26, v26, v27
	v_fma_f32 v26, |v24|, v26, -|v24|
.LBB150_274:
	s_andn2_saveexec_b32 s22, s22
	s_cbranch_execz .LBB150_276
; %bb.275:
	v_cmp_gt_f32_e64 s23, 0x800000, |v24|
	v_rcp_f32_e64 v27, |v24|
	s_mov_b32 s11, 0xbad5c4e8
	v_cndmask_b32_e64 v26, 0, 32, s23
	v_ldexp_f32 v26, |v24|, v26
	v_mul_f32_e32 v28, v27, v27
	v_log_f32_e32 v26, v26
	v_fmaak_f32 v30, s11, v28, 0x3a5b3dd2
	v_fmaak_f32 v30, v28, v30, 0xba1c065c
	v_mul_f32_e32 v29, 0x3f317217, v26
	v_fmaak_f32 v30, v28, v30, 0x3a500cfd
	v_cmp_gt_f32_e64 s11, 0x7f800000, |v26|
	v_fma_f32 v31, 0x3f317217, v26, -v29
	v_fmaak_f32 v30, v28, v30, 0xbb360b61
	v_fmamk_f32 v31, v26, 0x3377d1cf, v31
	v_fmaak_f32 v28, v28, v30, 0x3daaaaab
	v_add_f32_e32 v29, v29, v31
	v_cndmask_b32_e64 v26, v26, v29, s11
	v_cndmask_b32_e64 v29, 0, 0x41b17218, s23
	v_sub_f32_e32 v29, v26, v29
	v_fmaak_f32 v26, v27, v28, 0x3ed67f1d
	v_add_f32_e64 v27, |v24|, -0.5
	v_add_f32_e32 v28, -1.0, v29
	v_fmac_f32_e32 v26, v27, v28
.LBB150_276:
	s_or_b32 exec_lo, exec_lo, s22
.LBB150_277:
	s_andn2_saveexec_b32 s22, s12
	s_cbranch_execz .LBB150_279
; %bb.278:
	v_cvt_i32_f32_e32 v26, v25
	s_mov_b32 s12, 0x3805ff67
	v_cvt_f32_i32_e32 v27, v26
	v_cmp_lt_i32_e64 s11, 2, v26
	v_sub_f32_e64 v27, |v24|, v27
	v_add_f32_e32 v28, 2.0, v27
	v_add_f32_e32 v29, 0x40400000, v27
	v_add_f32_e32 v30, 4.0, v27
	v_add_f32_e32 v31, 0x40a00000, v27
	v_cndmask_b32_e64 v28, 1.0, v28, s11
	v_cmp_lt_i32_e64 s11, 3, v26
	v_cndmask_b32_e64 v29, 1.0, v29, s11
	v_cmp_lt_i32_e64 s11, 4, v26
	v_mul_f32_e32 v28, v28, v29
	v_cndmask_b32_e64 v30, 1.0, v30, s11
	v_cmp_lt_i32_e64 s11, 5, v26
	v_add_f32_e32 v29, 0x40c00000, v27
	v_mul_f32_e32 v28, v30, v28
	v_cndmask_b32_e64 v31, 1.0, v31, s11
	v_cmp_lt_i32_e64 s11, 6, v26
	v_fmaak_f32 v30, s12, v27, 0x3af135b4
	v_mul_f32_e32 v28, v31, v28
	v_cndmask_b32_e64 v26, 1.0, v29, s11
	s_mov_b32 s11, 0x36f5d7bd
	v_mul_f32_e32 v26, v26, v28
	v_fmaak_f32 v28, s11, v27, 0x3a4beed6
	v_cmp_gt_f32_e64 s11, 0x800000, v26
	v_fmaak_f32 v28, v27, v28, 0x3c98bf54
	v_cndmask_b32_e64 v29, 0, 32, s11
	v_fmaak_f32 v28, v27, v28, 0x3e300f6e
	v_ldexp_f32 v26, v26, v29
	v_fmaak_f32 v29, v27, v30, 0x3cda40e4
	v_fmaak_f32 v28, v27, v28, 0x3f38d0c5
	v_log_f32_e32 v26, v26
	v_fmaak_f32 v29, v27, v29, 0x3e15dce6
	v_fmaak_f32 v28, v27, v28, 0x3fb22d3b
	v_fmaak_f32 v29, v27, v29, 0x3ea6cc7a
	v_fma_f32 v28, v27, v28, 1.0
	v_mul_f32_e32 v30, 0x3f317217, v26
	v_fmaak_f32 v29, v27, v29, 0x3e5c245a
	v_rcp_f32_e32 v28, v28
	v_cmp_gt_f32_e64 s12, 0x7f800000, |v26|
	v_fma_f32 v31, 0x3f317217, v26, -v30
	v_fmaak_f32 v29, v27, v29, 0xbd9e233f
	v_fmamk_f32 v31, v26, 0x3377d1cf, v31
	v_mul_f32_e32 v29, v27, v29
	v_add_f32_e32 v30, v30, v31
	v_mul_f32_e32 v28, v29, v28
	v_cndmask_b32_e64 v29, 0, 0x41b17218, s11
	v_cndmask_b32_e64 v26, v26, v30, s12
	v_fmac_f32_e32 v28, 0.5, v27
	v_sub_f32_e32 v26, v26, v29
	v_add_f32_e32 v26, v26, v28
.LBB150_279:
	s_or_b32 exec_lo, exec_lo, s22
.LBB150_280:
	s_andn2_saveexec_b32 s21, s21
	s_cbranch_execz .LBB150_298
; %bb.281:
                                        ; implicit-def: $vgpr26
                                        ; implicit-def: $vgpr28
                                        ; implicit-def: $vgpr27
	s_mov_b32 s12, exec_lo
	v_cmpx_ge_f32_e64 0x3f666666, |v24|
	s_xor_b32 s22, exec_lo, s12
	s_cbranch_execz .LBB150_283
; %bb.282:
	v_cmp_gt_f32_e64 s12, 0x800000, |v24|
	v_sub_f32_e64 v29, 1.0, |v24|
	v_cmp_gt_f32_e64 s11, 0x3f3b4a23, |v24|
	v_cndmask_b32_e64 v26, 0, 32, s12
	v_cndmask_b32_e64 v30, 0, 0x41b17218, s12
	v_ldexp_f32 v26, |v24|, v26
	v_log_f32_e32 v26, v26
	v_mul_f32_e32 v27, 0x3f317217, v26
	v_cmp_gt_f32_e64 s12, 0x7f800000, |v26|
	v_fma_f32 v28, 0x3f317217, v26, -v27
	v_fmamk_f32 v28, v26, 0x3377d1cf, v28
	v_add_f32_e32 v27, v27, v28
	v_add_f32_e64 v28, 0xbeec5b0c, |v24|
	v_cndmask_b32_e64 v26, v26, v27, s12
	v_cndmask_b32_e64 v27, v29, v28, s11
	;; [unrolled: 1-line block ×3, first 2 shown]
	v_cmp_gt_f32_e64 s11, 0x3e6d3309, |v24|
	v_sub_f32_e32 v26, v26, v30
	v_cndmask_b32_e64 v27, v27, |v24|, s11
	v_cndmask_b32_e64 v28, v28, 2, s11
	v_xor_b32_e32 v26, 0x80000000, v26
.LBB150_283:
	s_andn2_saveexec_b32 s12, s22
	s_cbranch_execz .LBB150_285
; %bb.284:
	v_sub_f32_e64 v26, 2.0, |v24|
	v_add_f32_e64 v27, 0xbfbb16c3, |v24|
	v_cmp_gt_f32_e64 s11, 0x3fdda512, |v24|
	v_add_f32_e64 v28, |v24|, -1.0
	v_cndmask_b32_e64 v27, v26, v27, s11
	v_cndmask_b32_e64 v26, v26, 1.0, s11
	v_cmp_gt_f32_e64 s11, 0x3f9d70a4, |v24|
	v_cvt_i32_f32_e32 v26, v26
	v_cndmask_b32_e64 v27, v27, v28, s11
	v_cndmask_b32_e64 v28, v26, 2, s11
	v_mov_b32_e32 v26, 0
.LBB150_285:
	s_or_b32 exec_lo, exec_lo, s12
	s_mov_b32 s12, exec_lo
	v_cmpx_lt_i32_e32 0, v28
	s_xor_b32 s12, exec_lo, s12
	s_cbranch_execz .LBB150_293
; %bb.286:
	s_mov_b32 s22, exec_lo
	v_cmpx_lt_i32_e32 1, v28
	s_xor_b32 s22, exec_lo, s22
	s_cbranch_execz .LBB150_290
; %bb.287:
	s_mov_b32 s23, exec_lo
	v_cmpx_eq_u32_e32 2, v28
	s_cbranch_execz .LBB150_289
; %bb.288:
	s_mov_b32 s11, 0x3b52d5db
	v_fmaak_f32 v28, s11, v27, 0x3dd572af
	s_mov_b32 s11, 0x3c5b3c5e
	v_fmaak_f32 v29, s11, v27, 0x3e6a7578
	v_fmaak_f32 v28, v27, v28, 0x3f44efdf
	v_fmaak_f32 v29, v27, v29, 0x3f7a4bb2
	v_fmaak_f32 v28, v27, v28, 0x4008392d
	v_fmaak_f32 v29, v27, v29, 0x3fba3ae7
	v_fmaak_f32 v28, v27, v28, 0x401d2ebe
	v_fmaak_f32 v29, v27, v29, 0x3f2200f4
	v_fma_f32 v28, v27, v28, 1.0
	v_fmaak_f32 v29, v27, v29, 0xbd9e233f
	v_rcp_f32_e32 v28, v28
	v_mul_f32_e32 v29, v27, v29
	v_mul_f32_e32 v28, v29, v28
	v_fmac_f32_e32 v28, -0.5, v27
	v_add_f32_e32 v26, v26, v28
.LBB150_289:
	s_or_b32 exec_lo, exec_lo, s23
                                        ; implicit-def: $vgpr27
.LBB150_290:
	s_andn2_saveexec_b32 s11, s22
	s_cbranch_execz .LBB150_292
; %bb.291:
	v_mul_f32_e32 v28, v27, v27
	s_mov_b32 s22, 0xb9a3f927
	s_mov_b32 s23, 0x39afe9f7
	v_mul_f32_e32 v29, v27, v28
	v_fmaak_f32 v30, s22, v29, 0x3a66f867
	v_fmaak_f32 v31, s23, v29, 0xba0d3085
	s_mov_b32 s22, 0x39a57b6b
	v_fmaak_f32 v32, s22, v29, 0xbab7f476
	v_fmaak_f32 v30, v29, v30, 0xbb7177fe
	;; [unrolled: 1-line block ×9, first 2 shown]
	v_fmac_f32_e32 v30, v27, v31
	v_fmaak_f32 v27, v29, v32, 0x3ef7b95e
	v_fma_f32 v29, v29, -v30, 0xa2863e55
	v_fma_f32 v27, v28, v27, -v29
	v_add_f32_e32 v27, 0xbdf8cdce, v27
	v_add_f32_e32 v26, v26, v27
.LBB150_292:
	s_or_b32 exec_lo, exec_lo, s11
                                        ; implicit-def: $vgpr28
                                        ; implicit-def: $vgpr27
.LBB150_293:
	s_andn2_saveexec_b32 s12, s12
	s_cbranch_execz .LBB150_297
; %bb.294:
	s_mov_b32 s22, exec_lo
	v_cmpx_eq_u32_e32 0, v28
	s_cbranch_execz .LBB150_296
; %bb.295:
	v_mul_f32_e32 v28, v27, v27
	s_mov_b32 s11, 0x383c2c75
	v_fmaak_f32 v29, s11, v28, 0x38e28445
	s_mov_b32 s11, 0x37d383a2
	v_fmaak_f32 v30, s11, v28, 0x39679767
	v_fmaak_f32 v29, v28, v29, 0x3a05b634
	;; [unrolled: 1-line block ×9, first 2 shown]
	v_mul_f32_e32 v28, v28, v29
	v_fmac_f32_e32 v28, v27, v30
	v_fmac_f32_e32 v28, -0.5, v27
	v_add_f32_e32 v26, v26, v28
.LBB150_296:
	s_or_b32 exec_lo, exec_lo, s22
.LBB150_297:
	s_or_b32 exec_lo, exec_lo, s12
.LBB150_298:
	s_or_b32 exec_lo, exec_lo, s21
.LBB150_299:
	s_andn2_saveexec_b32 s12, s13
	s_cbranch_execz .LBB150_301
; %bb.300:
	v_cmp_gt_f32_e64 s13, 0x800000, |v24|
	s_mov_b32 s11, 0x3e8a8991
	v_fma_f32 v29, |v24|, s11, 0xbecd26ab
	v_cndmask_b32_e64 v26, 0, 32, s13
	v_ldexp_f32 v26, |v24|, v26
	v_log_f32_e32 v26, v26
	v_mul_f32_e32 v27, 0x3f317217, v26
	v_cmp_gt_f32_e64 s11, 0x7f800000, |v26|
	v_fma_f32 v28, 0x3f317217, v26, -v27
	v_fmamk_f32 v28, v26, 0x3377d1cf, v28
	v_add_f32_e32 v27, v27, v28
	v_fma_f32 v28, |v24|, v29, 0x3f528d33
	v_cndmask_b32_e64 v26, v26, v27, s11
	v_cndmask_b32_e64 v27, 0, 0x41b17218, s13
	v_fma_f32 v28, |v24|, v28, 0xbf13c468
	v_sub_f32_e32 v26, v26, v27
	v_fma_f32 v26, |v24|, v28, -v26
.LBB150_301:
	s_or_b32 exec_lo, exec_lo, s12
	v_cmp_le_f16_e64 s11, 0, v23
	s_mov_b32 s13, exec_lo
	v_cmpx_nle_f16_e32 0, v23
	s_xor_b32 s21, exec_lo, s13
	s_cbranch_execz .LBB150_305
; %bb.302:
	v_cmp_gt_f32_e64 s12, 0x4b000000, |v24|
	v_cmp_lt_f32_e64 s13, 0x35000000, |v24|
	s_and_b32 s12, s12, s13
	s_and_saveexec_b32 s22, s12
	s_cbranch_execz .LBB150_304
; %bb.303:
	v_mul_f32_e64 v27, |v24|, 0.5
	s_mov_b32 s13, 0x3d4be544
	v_xor_b32_e32 v25, v25, v24
	v_floor_f32_e32 v28, v27
	v_cmp_neq_f32_e64 s12, 0x7f800000, v27
	v_sub_f32_e32 v28, v27, v28
	v_min_f32_e32 v28, 0x3f7fffff, v28
	v_add_f32_e32 v28, v28, v28
	v_cndmask_b32_e64 v27, 0, v28, s12
	v_cmp_gt_f32_e64 s12, |v24|, 1.0
	v_cndmask_b32_e64 v27, |v24|, v27, s12
	s_mov_b32 s12, 0x3e75aa41
	v_add_f32_e32 v28, v27, v27
	v_rndne_f32_e32 v28, v28
	v_fmac_f32_e32 v27, -0.5, v28
	v_cvt_i32_f32_e32 v28, v28
	v_mul_f32_e32 v29, v27, v27
	v_fmaak_f32 v30, s12, v29, 0xbf1f24be
	v_fmaak_f32 v31, s13, v29, 0x3e642e9d
	v_mul_f32_e32 v32, v27, v29
	v_fmaak_f32 v30, v29, v30, 0x40234736
	v_fmaak_f32 v31, v29, v31, 0xbfaad1da
	;; [unrolled: 1-line block ×4, first 2 shown]
	v_mul_f32_e32 v30, v32, v30
	v_fmaak_f32 v31, v29, v31, 0xc09de9e6
	v_and_b32_e32 v32, 1, v28
	v_lshlrev_b32_e32 v28, 30, v28
	v_fmamk_f32 v27, v27, 0x40490fdb, v30
	v_fma_f32 v29, v29, v31, 1.0
	v_cmp_eq_u32_e64 s12, 0, v32
	v_and_b32_e32 v28, 0x80000000, v28
	v_cndmask_b32_e64 v27, v29, v27, s12
	v_xor3_b32 v25, v25, v28, v27
	v_mul_f32_e32 v25, v24, v25
	v_frexp_mant_f32_e64 v27, |v25|
	v_frexp_exp_i32_f32_e32 v25, v25
	v_rcp_f32_e32 v27, v27
	v_sub_nc_u32_e32 v25, 2, v25
	v_mul_f32_e32 v27, 0x3f490fdb, v27
	v_ldexp_f32 v25, v27, v25
	v_cmp_gt_f32_e64 s12, 0x800000, v25
	v_cndmask_b32_e64 v27, 0, 32, s12
	v_ldexp_f32 v25, v25, v27
	v_log_f32_e32 v25, v25
	v_mul_f32_e32 v27, 0x3f317217, v25
	v_cmp_gt_f32_e64 s13, 0x7f800000, |v25|
	v_fma_f32 v28, 0x3f317217, v25, -v27
	v_fmamk_f32 v28, v25, 0x3377d1cf, v28
	v_add_f32_e32 v27, v27, v28
	v_floor_f32_e32 v28, v24
	v_cndmask_b32_e64 v25, v25, v27, s13
	v_cndmask_b32_e64 v27, 0, 0x41b17218, s12
	v_sub_f32_e32 v28, v24, v28
	v_sub_f32_e32 v25, v25, v27
	v_min_f32_e32 v27, 0x3f7fffff, v28
	v_sub_f32_e32 v25, v25, v26
	v_cmp_neq_f32_e64 s12, 0, v27
	v_cndmask_b32_e64 v26, 0x7f800000, v25, s12
.LBB150_304:
	s_or_b32 exec_lo, exec_lo, s22
.LBB150_305:
	s_andn2_saveexec_b32 s21, s21
; %bb.306:
	v_cmp_eq_f16_e64 s12, 1.0, v23
	v_cmp_eq_f16_e64 s13, 2.0, v23
	s_or_b32 s12, s12, s13
	v_cndmask_b32_e64 v26, v26, 0, s12
; %bb.307:
	s_or_b32 exec_lo, exec_lo, s21
	v_cmp_gt_f32_e64 s12, 0x4b000000, |v21|
	v_cmp_gt_f32_e64 s13, 0x4b000000, |v19|
	v_cvt_f16_f32_e32 v22, v22
	v_cvt_f16_f32_e32 v20, v20
	;; [unrolled: 1-line block ×3, first 2 shown]
	s_or_b32 s10, s10, s12
	s_or_b32 s9, s9, s13
	v_cndmask_b32_e64 v22, 0x7c00, v22, s10
	v_cndmask_b32_e64 v20, 0x7c00, v20, s9
	v_cmp_class_f32_e64 s9, v21, 0x264
	v_cmp_gt_f32_e64 s12, 0x4b000000, |v11|
	v_cvt_f16_f32_e32 v12, v12
	v_cmp_gt_f32_e64 s10, 0x4b000000, |v14|
	v_cvt_f16_f32_e32 v15, v15
	v_cndmask_b32_e64 v21, v22, 0x7c00, s9
	v_cmp_class_f32_e64 s9, v19, 0x264
	s_or_b32 s5, s5, s12
	s_or_b32 s7, s7, s10
	v_cndmask_b32_e64 v12, 0x7c00, v12, s5
	v_cmp_class_f32_e64 s5, v16, 0x264
	v_cndmask_b32_e64 v19, v20, 0x7c00, s9
	v_cmp_u_f16_e64 s9, v6, v6
	v_cndmask_b32_e64 v15, 0x7c00, v15, s7
	v_cvt_f16_f32_e32 v10, v10
	v_cmp_gt_f32_e64 s7, 0x4b000000, |v3|
	v_cvt_f16_f32_e32 v7, v7
	v_cndmask_b32_e64 v6, v21, v6, s9
	v_cmp_u_f16_e64 s9, v18, v18
	s_or_b32 vcc_lo, vcc_lo, s7
	v_cndmask_b32_e32 v7, 0x7c00, v7, vcc_lo
	v_cndmask_b32_e64 v18, v19, v18, s9
	v_cmp_gt_f32_e64 s9, 0x4b000000, |v16|
	s_or_b32 s8, s8, s9
	v_cndmask_b32_e64 v17, 0x7c00, v17, s8
	v_cmp_gt_f32_e64 s8, 0x4b000000, |v24|
	v_cndmask_b32_e64 v16, v17, 0x7c00, s5
	v_cmp_class_f32_e64 s5, v14, 0x264
	s_or_b32 vcc_lo, s11, s8
	v_cndmask_b32_e64 v14, v15, 0x7c00, s5
	v_cmp_class_f32_e64 s5, v11, 0x264
	v_cndmask_b32_e64 v11, v12, 0x7c00, s5
	v_cmp_u_f16_e64 s5, v5, v5
	v_cndmask_b32_e64 v5, v16, v5, s5
	v_cmp_u_f16_e64 s5, v13, v13
	v_perm_b32 v5, v18, v5, 0x5040100
	v_cndmask_b32_e64 v12, v14, v13, s5
	v_cmp_u_f16_e64 s5, v4, v4
	v_cndmask_b32_e64 v4, v11, v4, s5
	v_cmp_gt_f32_e64 s5, 0x4b000000, |v9|
	v_cvt_f16_f32_e32 v11, v26
	v_perm_b32 v4, v12, v4, 0x5040100
	s_or_b32 s4, s4, s5
	v_cndmask_b32_e32 v11, 0x7c00, v11, vcc_lo
	v_cndmask_b32_e64 v10, 0x7c00, v10, s4
	v_cmp_class_f32_e64 s4, v9, 0x264
	v_cmp_u_f16_e32 vcc_lo, v8, v8
	v_cndmask_b32_e64 v9, v10, 0x7c00, s4
	v_cmp_class_f32_e64 s4, v3, 0x264
	v_cndmask_b32_e32 v8, v9, v8, vcc_lo
	v_cndmask_b32_e64 v3, v7, 0x7c00, s4
	v_cmp_class_f32_e64 s4, v24, 0x264
	v_cmp_u_f16_e32 vcc_lo, v2, v2
	v_cndmask_b32_e64 v7, v11, 0x7c00, s4
	v_cndmask_b32_e32 v2, v3, v2, vcc_lo
	v_cmp_u_f16_e32 vcc_lo, v23, v23
	s_add_u32 s4, s16, s14
	s_addc_u32 s5, s17, s15
	v_add_co_u32 v3, s7, s4, v1
	v_add_co_ci_u32_e64 v9, null, s5, 0, s7
	v_cndmask_b32_e32 v7, v7, v23, vcc_lo
	v_perm_b32 v8, v8, v2, 0x5040100
	v_add_co_u32 v2, vcc_lo, 0x800, v3
	v_add_co_ci_u32_e64 v3, null, 0, v9, vcc_lo
	v_perm_b32 v6, v7, v6, 0x5040100
	global_store_dword v1, v8, s[4:5]
	global_store_dword v1, v4, s[4:5] offset:1024
	global_store_dword v[2:3], v5, off
	global_store_dword v[2:3], v6, off offset:1024
	s_branch .LBB150_2
.LBB150_308:
	v_mov_b32_e32 v31, v0
	v_mov_b32_e32 v0, s16
	;; [unrolled: 1-line block ×6, first 2 shown]
	s_getpc_b64 s[4:5]
	s_add_u32 s4, s4, _ZN2at6native25elementwise_kernel_helperILb0EZZZNS0_18lgamma_kernel_cudaERNS_18TensorIteratorBaseEENKUlvE_clEvENKUlvE1_clEvEUlN3c104HalfEE_NS0_6memory8policies11unroll_baseILi256ESt5arrayIPcLm2EE23TrivialOffsetCalculatorILi1EjESG_NS9_15LoadWithoutCastENS9_16StoreWithoutCastELi8ELi1EEEEEvT0_T1_@rel32@lo+4
	s_addc_u32 s5, s5, _ZN2at6native25elementwise_kernel_helperILb0EZZZNS0_18lgamma_kernel_cudaERNS_18TensorIteratorBaseEENKUlvE_clEvENKUlvE1_clEvEUlN3c104HalfEE_NS0_6memory8policies11unroll_baseILi256ESt5arrayIPcLm2EE23TrivialOffsetCalculatorILi1EjESG_NS9_15LoadWithoutCastENS9_16StoreWithoutCastELi8ELi1EEEEEvT0_T1_@rel32@hi+12
	s_mov_b32 s12, s6
	s_swappc_b64 s[30:31], s[4:5]
	s_endpgm
	.section	.rodata,"a",@progbits
	.p2align	6, 0x0
	.amdhsa_kernel _ZN2at6native29vectorized_elementwise_kernelILi2EZZZNS0_18lgamma_kernel_cudaERNS_18TensorIteratorBaseEENKUlvE_clEvENKUlvE1_clEvEUlN3c104HalfEE_St5arrayIPcLm2EEEEviT0_T1_
		.amdhsa_group_segment_fixed_size 0
		.amdhsa_private_segment_fixed_size 0
		.amdhsa_kernarg_size 24
		.amdhsa_user_sgpr_count 6
		.amdhsa_user_sgpr_private_segment_buffer 1
		.amdhsa_user_sgpr_dispatch_ptr 0
		.amdhsa_user_sgpr_queue_ptr 0
		.amdhsa_user_sgpr_kernarg_segment_ptr 1
		.amdhsa_user_sgpr_dispatch_id 0
		.amdhsa_user_sgpr_flat_scratch_init 0
		.amdhsa_user_sgpr_private_segment_size 0
		.amdhsa_wavefront_size32 1
		.amdhsa_uses_dynamic_stack 0
		.amdhsa_system_sgpr_private_segment_wavefront_offset 0
		.amdhsa_system_sgpr_workgroup_id_x 1
		.amdhsa_system_sgpr_workgroup_id_y 0
		.amdhsa_system_sgpr_workgroup_id_z 0
		.amdhsa_system_sgpr_workgroup_info 0
		.amdhsa_system_vgpr_workitem_id 0
		.amdhsa_next_free_vgpr 33
		.amdhsa_next_free_sgpr 33
		.amdhsa_reserve_vcc 1
		.amdhsa_reserve_flat_scratch 0
		.amdhsa_float_round_mode_32 0
		.amdhsa_float_round_mode_16_64 0
		.amdhsa_float_denorm_mode_32 3
		.amdhsa_float_denorm_mode_16_64 3
		.amdhsa_dx10_clamp 1
		.amdhsa_ieee_mode 1
		.amdhsa_fp16_overflow 0
		.amdhsa_workgroup_processor_mode 1
		.amdhsa_memory_ordered 1
		.amdhsa_forward_progress 1
		.amdhsa_shared_vgpr_count 0
		.amdhsa_exception_fp_ieee_invalid_op 0
		.amdhsa_exception_fp_denorm_src 0
		.amdhsa_exception_fp_ieee_div_zero 0
		.amdhsa_exception_fp_ieee_overflow 0
		.amdhsa_exception_fp_ieee_underflow 0
		.amdhsa_exception_fp_ieee_inexact 0
		.amdhsa_exception_int_div_zero 0
	.end_amdhsa_kernel
	.section	.text._ZN2at6native29vectorized_elementwise_kernelILi2EZZZNS0_18lgamma_kernel_cudaERNS_18TensorIteratorBaseEENKUlvE_clEvENKUlvE1_clEvEUlN3c104HalfEE_St5arrayIPcLm2EEEEviT0_T1_,"axG",@progbits,_ZN2at6native29vectorized_elementwise_kernelILi2EZZZNS0_18lgamma_kernel_cudaERNS_18TensorIteratorBaseEENKUlvE_clEvENKUlvE1_clEvEUlN3c104HalfEE_St5arrayIPcLm2EEEEviT0_T1_,comdat
.Lfunc_end150:
	.size	_ZN2at6native29vectorized_elementwise_kernelILi2EZZZNS0_18lgamma_kernel_cudaERNS_18TensorIteratorBaseEENKUlvE_clEvENKUlvE1_clEvEUlN3c104HalfEE_St5arrayIPcLm2EEEEviT0_T1_, .Lfunc_end150-_ZN2at6native29vectorized_elementwise_kernelILi2EZZZNS0_18lgamma_kernel_cudaERNS_18TensorIteratorBaseEENKUlvE_clEvENKUlvE1_clEvEUlN3c104HalfEE_St5arrayIPcLm2EEEEviT0_T1_
                                        ; -- End function
	.set _ZN2at6native29vectorized_elementwise_kernelILi2EZZZNS0_18lgamma_kernel_cudaERNS_18TensorIteratorBaseEENKUlvE_clEvENKUlvE1_clEvEUlN3c104HalfEE_St5arrayIPcLm2EEEEviT0_T1_.num_vgpr, max(33, .L_ZN2at6native25elementwise_kernel_helperILb0EZZZNS0_18lgamma_kernel_cudaERNS_18TensorIteratorBaseEENKUlvE_clEvENKUlvE1_clEvEUlN3c104HalfEE_NS0_6memory8policies11unroll_baseILi256ESt5arrayIPcLm2EE23TrivialOffsetCalculatorILi1EjESG_NS9_15LoadWithoutCastENS9_16StoreWithoutCastELi8ELi1EEEEEvT0_T1_.num_vgpr)
	.set _ZN2at6native29vectorized_elementwise_kernelILi2EZZZNS0_18lgamma_kernel_cudaERNS_18TensorIteratorBaseEENKUlvE_clEvENKUlvE1_clEvEUlN3c104HalfEE_St5arrayIPcLm2EEEEviT0_T1_.num_agpr, max(0, .L_ZN2at6native25elementwise_kernel_helperILb0EZZZNS0_18lgamma_kernel_cudaERNS_18TensorIteratorBaseEENKUlvE_clEvENKUlvE1_clEvEUlN3c104HalfEE_NS0_6memory8policies11unroll_baseILi256ESt5arrayIPcLm2EE23TrivialOffsetCalculatorILi1EjESG_NS9_15LoadWithoutCastENS9_16StoreWithoutCastELi8ELi1EEEEEvT0_T1_.num_agpr)
	.set _ZN2at6native29vectorized_elementwise_kernelILi2EZZZNS0_18lgamma_kernel_cudaERNS_18TensorIteratorBaseEENKUlvE_clEvENKUlvE1_clEvEUlN3c104HalfEE_St5arrayIPcLm2EEEEviT0_T1_.numbered_sgpr, max(33, .L_ZN2at6native25elementwise_kernel_helperILb0EZZZNS0_18lgamma_kernel_cudaERNS_18TensorIteratorBaseEENKUlvE_clEvENKUlvE1_clEvEUlN3c104HalfEE_NS0_6memory8policies11unroll_baseILi256ESt5arrayIPcLm2EE23TrivialOffsetCalculatorILi1EjESG_NS9_15LoadWithoutCastENS9_16StoreWithoutCastELi8ELi1EEEEEvT0_T1_.numbered_sgpr)
	.set _ZN2at6native29vectorized_elementwise_kernelILi2EZZZNS0_18lgamma_kernel_cudaERNS_18TensorIteratorBaseEENKUlvE_clEvENKUlvE1_clEvEUlN3c104HalfEE_St5arrayIPcLm2EEEEviT0_T1_.num_named_barrier, max(0, .L_ZN2at6native25elementwise_kernel_helperILb0EZZZNS0_18lgamma_kernel_cudaERNS_18TensorIteratorBaseEENKUlvE_clEvENKUlvE1_clEvEUlN3c104HalfEE_NS0_6memory8policies11unroll_baseILi256ESt5arrayIPcLm2EE23TrivialOffsetCalculatorILi1EjESG_NS9_15LoadWithoutCastENS9_16StoreWithoutCastELi8ELi1EEEEEvT0_T1_.num_named_barrier)
	.set _ZN2at6native29vectorized_elementwise_kernelILi2EZZZNS0_18lgamma_kernel_cudaERNS_18TensorIteratorBaseEENKUlvE_clEvENKUlvE1_clEvEUlN3c104HalfEE_St5arrayIPcLm2EEEEviT0_T1_.private_seg_size, 0+max(.L_ZN2at6native25elementwise_kernel_helperILb0EZZZNS0_18lgamma_kernel_cudaERNS_18TensorIteratorBaseEENKUlvE_clEvENKUlvE1_clEvEUlN3c104HalfEE_NS0_6memory8policies11unroll_baseILi256ESt5arrayIPcLm2EE23TrivialOffsetCalculatorILi1EjESG_NS9_15LoadWithoutCastENS9_16StoreWithoutCastELi8ELi1EEEEEvT0_T1_.private_seg_size)
	.set _ZN2at6native29vectorized_elementwise_kernelILi2EZZZNS0_18lgamma_kernel_cudaERNS_18TensorIteratorBaseEENKUlvE_clEvENKUlvE1_clEvEUlN3c104HalfEE_St5arrayIPcLm2EEEEviT0_T1_.uses_vcc, or(1, .L_ZN2at6native25elementwise_kernel_helperILb0EZZZNS0_18lgamma_kernel_cudaERNS_18TensorIteratorBaseEENKUlvE_clEvENKUlvE1_clEvEUlN3c104HalfEE_NS0_6memory8policies11unroll_baseILi256ESt5arrayIPcLm2EE23TrivialOffsetCalculatorILi1EjESG_NS9_15LoadWithoutCastENS9_16StoreWithoutCastELi8ELi1EEEEEvT0_T1_.uses_vcc)
	.set _ZN2at6native29vectorized_elementwise_kernelILi2EZZZNS0_18lgamma_kernel_cudaERNS_18TensorIteratorBaseEENKUlvE_clEvENKUlvE1_clEvEUlN3c104HalfEE_St5arrayIPcLm2EEEEviT0_T1_.uses_flat_scratch, or(0, .L_ZN2at6native25elementwise_kernel_helperILb0EZZZNS0_18lgamma_kernel_cudaERNS_18TensorIteratorBaseEENKUlvE_clEvENKUlvE1_clEvEUlN3c104HalfEE_NS0_6memory8policies11unroll_baseILi256ESt5arrayIPcLm2EE23TrivialOffsetCalculatorILi1EjESG_NS9_15LoadWithoutCastENS9_16StoreWithoutCastELi8ELi1EEEEEvT0_T1_.uses_flat_scratch)
	.set _ZN2at6native29vectorized_elementwise_kernelILi2EZZZNS0_18lgamma_kernel_cudaERNS_18TensorIteratorBaseEENKUlvE_clEvENKUlvE1_clEvEUlN3c104HalfEE_St5arrayIPcLm2EEEEviT0_T1_.has_dyn_sized_stack, or(0, .L_ZN2at6native25elementwise_kernel_helperILb0EZZZNS0_18lgamma_kernel_cudaERNS_18TensorIteratorBaseEENKUlvE_clEvENKUlvE1_clEvEUlN3c104HalfEE_NS0_6memory8policies11unroll_baseILi256ESt5arrayIPcLm2EE23TrivialOffsetCalculatorILi1EjESG_NS9_15LoadWithoutCastENS9_16StoreWithoutCastELi8ELi1EEEEEvT0_T1_.has_dyn_sized_stack)
	.set _ZN2at6native29vectorized_elementwise_kernelILi2EZZZNS0_18lgamma_kernel_cudaERNS_18TensorIteratorBaseEENKUlvE_clEvENKUlvE1_clEvEUlN3c104HalfEE_St5arrayIPcLm2EEEEviT0_T1_.has_recursion, or(0, .L_ZN2at6native25elementwise_kernel_helperILb0EZZZNS0_18lgamma_kernel_cudaERNS_18TensorIteratorBaseEENKUlvE_clEvENKUlvE1_clEvEUlN3c104HalfEE_NS0_6memory8policies11unroll_baseILi256ESt5arrayIPcLm2EE23TrivialOffsetCalculatorILi1EjESG_NS9_15LoadWithoutCastENS9_16StoreWithoutCastELi8ELi1EEEEEvT0_T1_.has_recursion)
	.set _ZN2at6native29vectorized_elementwise_kernelILi2EZZZNS0_18lgamma_kernel_cudaERNS_18TensorIteratorBaseEENKUlvE_clEvENKUlvE1_clEvEUlN3c104HalfEE_St5arrayIPcLm2EEEEviT0_T1_.has_indirect_call, or(0, .L_ZN2at6native25elementwise_kernel_helperILb0EZZZNS0_18lgamma_kernel_cudaERNS_18TensorIteratorBaseEENKUlvE_clEvENKUlvE1_clEvEUlN3c104HalfEE_NS0_6memory8policies11unroll_baseILi256ESt5arrayIPcLm2EE23TrivialOffsetCalculatorILi1EjESG_NS9_15LoadWithoutCastENS9_16StoreWithoutCastELi8ELi1EEEEEvT0_T1_.has_indirect_call)
	.section	.AMDGPU.csdata,"",@progbits
; Kernel info:
; codeLenInByte = 19024
; TotalNumSgprs: 35
; NumVgprs: 33
; ScratchSize: 0
; MemoryBound: 0
; FloatMode: 240
; IeeeMode: 1
; LDSByteSize: 0 bytes/workgroup (compile time only)
; SGPRBlocks: 0
; VGPRBlocks: 4
; NumSGPRsForWavesPerEU: 35
; NumVGPRsForWavesPerEU: 33
; Occupancy: 16
; WaveLimiterHint : 1
; COMPUTE_PGM_RSRC2:SCRATCH_EN: 0
; COMPUTE_PGM_RSRC2:USER_SGPR: 6
; COMPUTE_PGM_RSRC2:TRAP_HANDLER: 0
; COMPUTE_PGM_RSRC2:TGID_X_EN: 1
; COMPUTE_PGM_RSRC2:TGID_Y_EN: 0
; COMPUTE_PGM_RSRC2:TGID_Z_EN: 0
; COMPUTE_PGM_RSRC2:TIDIG_COMP_CNT: 0
	.section	.text._ZN2at6native27unrolled_elementwise_kernelIZZZNS0_18lgamma_kernel_cudaERNS_18TensorIteratorBaseEENKUlvE_clEvENKUlvE1_clEvEUlN3c104HalfEE_St5arrayIPcLm2EELi4E23TrivialOffsetCalculatorILi1EjESD_NS0_6memory15LoadWithoutCastENSE_16StoreWithoutCastEEEviT_T0_T2_T3_T4_T5_,"axG",@progbits,_ZN2at6native27unrolled_elementwise_kernelIZZZNS0_18lgamma_kernel_cudaERNS_18TensorIteratorBaseEENKUlvE_clEvENKUlvE1_clEvEUlN3c104HalfEE_St5arrayIPcLm2EELi4E23TrivialOffsetCalculatorILi1EjESD_NS0_6memory15LoadWithoutCastENSE_16StoreWithoutCastEEEviT_T0_T2_T3_T4_T5_,comdat
	.globl	_ZN2at6native27unrolled_elementwise_kernelIZZZNS0_18lgamma_kernel_cudaERNS_18TensorIteratorBaseEENKUlvE_clEvENKUlvE1_clEvEUlN3c104HalfEE_St5arrayIPcLm2EELi4E23TrivialOffsetCalculatorILi1EjESD_NS0_6memory15LoadWithoutCastENSE_16StoreWithoutCastEEEviT_T0_T2_T3_T4_T5_ ; -- Begin function _ZN2at6native27unrolled_elementwise_kernelIZZZNS0_18lgamma_kernel_cudaERNS_18TensorIteratorBaseEENKUlvE_clEvENKUlvE1_clEvEUlN3c104HalfEE_St5arrayIPcLm2EELi4E23TrivialOffsetCalculatorILi1EjESD_NS0_6memory15LoadWithoutCastENSE_16StoreWithoutCastEEEviT_T0_T2_T3_T4_T5_
	.p2align	8
	.type	_ZN2at6native27unrolled_elementwise_kernelIZZZNS0_18lgamma_kernel_cudaERNS_18TensorIteratorBaseEENKUlvE_clEvENKUlvE1_clEvEUlN3c104HalfEE_St5arrayIPcLm2EELi4E23TrivialOffsetCalculatorILi1EjESD_NS0_6memory15LoadWithoutCastENSE_16StoreWithoutCastEEEviT_T0_T2_T3_T4_T5_,@function
_ZN2at6native27unrolled_elementwise_kernelIZZZNS0_18lgamma_kernel_cudaERNS_18TensorIteratorBaseEENKUlvE_clEvENKUlvE1_clEvEUlN3c104HalfEE_St5arrayIPcLm2EELi4E23TrivialOffsetCalculatorILi1EjESD_NS0_6memory15LoadWithoutCastENSE_16StoreWithoutCastEEEviT_T0_T2_T3_T4_T5_: ; @_ZN2at6native27unrolled_elementwise_kernelIZZZNS0_18lgamma_kernel_cudaERNS_18TensorIteratorBaseEENKUlvE_clEvENKUlvE1_clEvEUlN3c104HalfEE_St5arrayIPcLm2EELi4E23TrivialOffsetCalculatorILi1EjESD_NS0_6memory15LoadWithoutCastENSE_16StoreWithoutCastEEEviT_T0_T2_T3_T4_T5_
; %bb.0:
	s_clause 0x1
	s_load_dword s0, s[4:5], 0x0
	s_load_dwordx4 s[8:11], s[4:5], 0x8
	s_lshl_b32 s3, s6, 10
	v_mov_b32_e32 v6, 0
	v_mov_b32_e32 v7, 0
	v_or_b32_e32 v1, s3, v0
	v_or_b32_e32 v3, 0x100, v0
	v_mov_b32_e32 v4, v0
	s_waitcnt lgkmcnt(0)
	s_sub_i32 s4, s0, s3
	v_cmp_gt_i32_e32 vcc_lo, s4, v0
	s_and_saveexec_b32 s1, vcc_lo
	s_cbranch_execz .LBB151_2
; %bb.1:
	v_mov_b32_e32 v2, 0
	v_lshlrev_b64 v[4:5], 1, v[1:2]
	v_add_co_u32 v4, s0, s10, v4
	v_add_co_ci_u32_e64 v5, null, s11, v5, s0
	global_load_ushort v7, v[4:5], off
	v_or_b32_e32 v4, 0x100, v0
.LBB151_2:
	s_or_b32 exec_lo, exec_lo, s1
	s_mov_b32 s1, exec_lo
	v_cmpx_gt_i32_e64 s4, v4
	s_cbranch_execz .LBB151_4
; %bb.3:
	v_add_nc_u32_e32 v5, s3, v4
	v_mov_b32_e32 v6, 0
	v_add_nc_u32_e32 v4, 0x100, v4
	v_lshlrev_b64 v[5:6], 1, v[5:6]
	v_add_co_u32 v5, s0, s10, v5
	v_add_co_ci_u32_e64 v6, null, s11, v6, s0
	global_load_ushort v6, v[5:6], off
.LBB151_4:
	s_or_b32 exec_lo, exec_lo, s1
	v_mov_b32_e32 v2, 0
	v_mov_b32_e32 v5, 0
	s_mov_b32 s1, exec_lo
	v_cmpx_gt_i32_e64 s4, v4
	s_cbranch_execz .LBB151_8
; %bb.5:
	v_add_nc_u32_e32 v8, s3, v4
	v_mov_b32_e32 v9, 0
	v_add_nc_u32_e32 v4, 0x100, v4
	v_lshlrev_b64 v[8:9], 1, v[8:9]
	v_add_co_u32 v8, s0, s10, v8
	v_add_co_ci_u32_e64 v9, null, s11, v9, s0
	global_load_ushort v5, v[8:9], off
	s_or_b32 exec_lo, exec_lo, s1
	s_mov_b32 s1, exec_lo
	v_cmpx_gt_i32_e64 s4, v4
	s_cbranch_execnz .LBB151_9
.LBB151_6:
	s_or_b32 exec_lo, exec_lo, s1
                                        ; implicit-def: $vgpr4
	s_and_saveexec_b32 s5, vcc_lo
	s_cbranch_execnz .LBB151_10
.LBB151_7:
	s_or_b32 exec_lo, exec_lo, s5
	s_mov_b32 s5, exec_lo
                                        ; implicit-def: $vgpr7
	v_cmpx_gt_i32_e64 s4, v3
	s_cbranch_execz .LBB151_88
	s_branch .LBB151_49
.LBB151_8:
	s_or_b32 exec_lo, exec_lo, s1
	s_mov_b32 s1, exec_lo
	v_cmpx_gt_i32_e64 s4, v4
	s_cbranch_execz .LBB151_6
.LBB151_9:
	v_add_nc_u32_e32 v8, s3, v4
	v_mov_b32_e32 v9, 0
	v_lshlrev_b64 v[8:9], 1, v[8:9]
	v_add_co_u32 v8, s0, s10, v8
	v_add_co_ci_u32_e64 v9, null, s11, v9, s0
	global_load_ushort v2, v[8:9], off
	s_or_b32 exec_lo, exec_lo, s1
                                        ; implicit-def: $vgpr4
	s_and_saveexec_b32 s5, vcc_lo
	s_cbranch_execz .LBB151_7
.LBB151_10:
	s_waitcnt vmcnt(0)
	v_cvt_f32_f16_e32 v4, v7
                                        ; implicit-def: $vgpr9
	s_mov_b32 s1, exec_lo
	v_and_b32_e32 v8, 0x7fffffff, v4
	v_cmpx_ngt_f32_e64 0x3c800000, |v4|
	s_xor_b32 s2, exec_lo, s1
	s_cbranch_execz .LBB151_40
; %bb.11:
                                        ; implicit-def: $vgpr9
	s_mov_b32 s1, exec_lo
	v_cmpx_nlt_f32_e64 |v4|, 2.0
	s_xor_b32 s6, exec_lo, s1
	s_cbranch_execz .LBB151_21
; %bb.12:
	s_mov_b32 s1, exec_lo
                                        ; implicit-def: $vgpr9
	v_cmpx_ngt_f32_e64 0x41000000, |v4|
	s_xor_b32 s1, exec_lo, s1
	s_cbranch_execz .LBB151_18
; %bb.13:
	s_mov_b32 s7, exec_lo
                                        ; implicit-def: $vgpr9
	v_cmpx_ngt_f32_e64 0x5c800000, |v4|
	s_xor_b32 s7, exec_lo, s7
	s_cbranch_execz .LBB151_15
; %bb.14:
	v_cmp_gt_f32_e64 s10, 0x800000, |v4|
	v_cndmask_b32_e64 v9, 0, 32, s10
	v_ldexp_f32 v9, |v4|, v9
	v_log_f32_e32 v9, v9
	v_mul_f32_e32 v10, 0x3f317217, v9
	v_cmp_gt_f32_e64 s0, 0x7f800000, |v9|
	v_fma_f32 v11, 0x3f317217, v9, -v10
	v_fmamk_f32 v11, v9, 0x3377d1cf, v11
	v_add_f32_e32 v10, v10, v11
	v_cndmask_b32_e64 v9, v9, v10, s0
	v_cndmask_b32_e64 v10, 0, 0x41b17218, s10
	v_sub_f32_e32 v9, v9, v10
	v_fma_f32 v9, |v4|, v9, -|v4|
.LBB151_15:
	s_andn2_saveexec_b32 s7, s7
	s_cbranch_execz .LBB151_17
; %bb.16:
	v_cmp_gt_f32_e64 s10, 0x800000, |v4|
	v_rcp_f32_e64 v10, |v4|
	s_mov_b32 s0, 0xbad5c4e8
	v_cndmask_b32_e64 v9, 0, 32, s10
	v_ldexp_f32 v9, |v4|, v9
	v_mul_f32_e32 v11, v10, v10
	v_log_f32_e32 v9, v9
	v_fmaak_f32 v13, s0, v11, 0x3a5b3dd2
	v_fmaak_f32 v13, v11, v13, 0xba1c065c
	v_mul_f32_e32 v12, 0x3f317217, v9
	v_fmaak_f32 v13, v11, v13, 0x3a500cfd
	v_cmp_gt_f32_e64 s0, 0x7f800000, |v9|
	v_fma_f32 v14, 0x3f317217, v9, -v12
	v_fmaak_f32 v13, v11, v13, 0xbb360b61
	v_fmamk_f32 v14, v9, 0x3377d1cf, v14
	v_fmaak_f32 v11, v11, v13, 0x3daaaaab
	v_add_f32_e32 v12, v12, v14
	v_cndmask_b32_e64 v9, v9, v12, s0
	v_cndmask_b32_e64 v12, 0, 0x41b17218, s10
	v_sub_f32_e32 v12, v9, v12
	v_fmaak_f32 v9, v10, v11, 0x3ed67f1d
	v_add_f32_e64 v10, |v4|, -0.5
	v_add_f32_e32 v11, -1.0, v12
	v_fmac_f32_e32 v9, v10, v11
.LBB151_17:
	s_or_b32 exec_lo, exec_lo, s7
.LBB151_18:
	s_andn2_saveexec_b32 s7, s1
	s_cbranch_execz .LBB151_20
; %bb.19:
	v_cvt_i32_f32_e32 v9, v8
	s_mov_b32 s1, 0x3805ff67
	v_cvt_f32_i32_e32 v10, v9
	v_cmp_lt_i32_e64 s0, 2, v9
	v_sub_f32_e64 v10, |v4|, v10
	v_add_f32_e32 v11, 2.0, v10
	v_add_f32_e32 v12, 0x40400000, v10
	v_add_f32_e32 v13, 4.0, v10
	v_add_f32_e32 v14, 0x40a00000, v10
	v_cndmask_b32_e64 v11, 1.0, v11, s0
	v_cmp_lt_i32_e64 s0, 3, v9
	v_cndmask_b32_e64 v12, 1.0, v12, s0
	v_cmp_lt_i32_e64 s0, 4, v9
	v_mul_f32_e32 v11, v11, v12
	v_cndmask_b32_e64 v13, 1.0, v13, s0
	v_cmp_lt_i32_e64 s0, 5, v9
	v_add_f32_e32 v12, 0x40c00000, v10
	v_mul_f32_e32 v11, v13, v11
	v_cndmask_b32_e64 v14, 1.0, v14, s0
	v_cmp_lt_i32_e64 s0, 6, v9
	v_fmaak_f32 v13, s1, v10, 0x3af135b4
	v_mul_f32_e32 v11, v14, v11
	v_cndmask_b32_e64 v9, 1.0, v12, s0
	s_mov_b32 s0, 0x36f5d7bd
	v_mul_f32_e32 v9, v9, v11
	v_fmaak_f32 v11, s0, v10, 0x3a4beed6
	v_cmp_gt_f32_e64 s0, 0x800000, v9
	v_fmaak_f32 v11, v10, v11, 0x3c98bf54
	v_cndmask_b32_e64 v12, 0, 32, s0
	v_fmaak_f32 v11, v10, v11, 0x3e300f6e
	v_ldexp_f32 v9, v9, v12
	v_fmaak_f32 v12, v10, v13, 0x3cda40e4
	v_fmaak_f32 v11, v10, v11, 0x3f38d0c5
	v_log_f32_e32 v9, v9
	v_fmaak_f32 v12, v10, v12, 0x3e15dce6
	v_fmaak_f32 v11, v10, v11, 0x3fb22d3b
	;; [unrolled: 1-line block ×3, first 2 shown]
	v_fma_f32 v11, v10, v11, 1.0
	v_mul_f32_e32 v13, 0x3f317217, v9
	v_fmaak_f32 v12, v10, v12, 0x3e5c245a
	v_rcp_f32_e32 v11, v11
	v_cmp_gt_f32_e64 s1, 0x7f800000, |v9|
	v_fma_f32 v14, 0x3f317217, v9, -v13
	v_fmaak_f32 v12, v10, v12, 0xbd9e233f
	v_fmamk_f32 v14, v9, 0x3377d1cf, v14
	v_mul_f32_e32 v12, v10, v12
	v_add_f32_e32 v13, v13, v14
	v_mul_f32_e32 v11, v12, v11
	v_cndmask_b32_e64 v12, 0, 0x41b17218, s0
	v_cndmask_b32_e64 v9, v9, v13, s1
	v_fmac_f32_e32 v11, 0.5, v10
	v_sub_f32_e32 v9, v9, v12
	v_add_f32_e32 v9, v9, v11
.LBB151_20:
	s_or_b32 exec_lo, exec_lo, s7
.LBB151_21:
	s_andn2_saveexec_b32 s6, s6
	s_cbranch_execz .LBB151_39
; %bb.22:
                                        ; implicit-def: $vgpr9
                                        ; implicit-def: $vgpr11
                                        ; implicit-def: $vgpr10
	s_mov_b32 s1, exec_lo
	v_cmpx_ge_f32_e64 0x3f666666, |v4|
	s_xor_b32 s7, exec_lo, s1
	s_cbranch_execz .LBB151_24
; %bb.23:
	v_cmp_gt_f32_e64 s1, 0x800000, |v4|
	v_sub_f32_e64 v12, 1.0, |v4|
	v_cmp_gt_f32_e64 s0, 0x3f3b4a23, |v4|
	v_cndmask_b32_e64 v9, 0, 32, s1
	v_cndmask_b32_e64 v13, 0, 0x41b17218, s1
	v_ldexp_f32 v9, |v4|, v9
	v_log_f32_e32 v9, v9
	v_mul_f32_e32 v10, 0x3f317217, v9
	v_cmp_gt_f32_e64 s1, 0x7f800000, |v9|
	v_fma_f32 v11, 0x3f317217, v9, -v10
	v_fmamk_f32 v11, v9, 0x3377d1cf, v11
	v_add_f32_e32 v10, v10, v11
	v_add_f32_e64 v11, 0xbeec5b0c, |v4|
	v_cndmask_b32_e64 v9, v9, v10, s1
	v_cndmask_b32_e64 v10, v12, v11, s0
	;; [unrolled: 1-line block ×3, first 2 shown]
	v_cmp_gt_f32_e64 s0, 0x3e6d3309, |v4|
	v_sub_f32_e32 v9, v9, v13
	v_cndmask_b32_e64 v10, v10, |v4|, s0
	v_cndmask_b32_e64 v11, v11, 2, s0
	v_xor_b32_e32 v9, 0x80000000, v9
.LBB151_24:
	s_andn2_saveexec_b32 s1, s7
	s_cbranch_execz .LBB151_26
; %bb.25:
	v_sub_f32_e64 v9, 2.0, |v4|
	v_add_f32_e64 v10, 0xbfbb16c3, |v4|
	v_cmp_gt_f32_e64 s0, 0x3fdda512, |v4|
	v_add_f32_e64 v11, |v4|, -1.0
	v_cndmask_b32_e64 v10, v9, v10, s0
	v_cndmask_b32_e64 v9, v9, 1.0, s0
	v_cmp_gt_f32_e64 s0, 0x3f9d70a4, |v4|
	v_cvt_i32_f32_e32 v9, v9
	v_cndmask_b32_e64 v10, v10, v11, s0
	v_cndmask_b32_e64 v11, v9, 2, s0
	v_mov_b32_e32 v9, 0
.LBB151_26:
	s_or_b32 exec_lo, exec_lo, s1
	s_mov_b32 s1, exec_lo
	v_cmpx_lt_i32_e32 0, v11
	s_xor_b32 s1, exec_lo, s1
	s_cbranch_execz .LBB151_34
; %bb.27:
	s_mov_b32 s7, exec_lo
	v_cmpx_lt_i32_e32 1, v11
	s_xor_b32 s7, exec_lo, s7
	s_cbranch_execz .LBB151_31
; %bb.28:
	s_mov_b32 s10, exec_lo
	v_cmpx_eq_u32_e32 2, v11
	s_cbranch_execz .LBB151_30
; %bb.29:
	s_mov_b32 s0, 0x3b52d5db
	v_fmaak_f32 v11, s0, v10, 0x3dd572af
	s_mov_b32 s0, 0x3c5b3c5e
	v_fmaak_f32 v12, s0, v10, 0x3e6a7578
	v_fmaak_f32 v11, v10, v11, 0x3f44efdf
	v_fmaak_f32 v12, v10, v12, 0x3f7a4bb2
	v_fmaak_f32 v11, v10, v11, 0x4008392d
	v_fmaak_f32 v12, v10, v12, 0x3fba3ae7
	v_fmaak_f32 v11, v10, v11, 0x401d2ebe
	v_fmaak_f32 v12, v10, v12, 0x3f2200f4
	v_fma_f32 v11, v10, v11, 1.0
	v_fmaak_f32 v12, v10, v12, 0xbd9e233f
	v_rcp_f32_e32 v11, v11
	v_mul_f32_e32 v12, v10, v12
	v_mul_f32_e32 v11, v12, v11
	v_fmac_f32_e32 v11, -0.5, v10
	v_add_f32_e32 v9, v9, v11
.LBB151_30:
	s_or_b32 exec_lo, exec_lo, s10
                                        ; implicit-def: $vgpr10
.LBB151_31:
	s_andn2_saveexec_b32 s0, s7
	s_cbranch_execz .LBB151_33
; %bb.32:
	v_mul_f32_e32 v11, v10, v10
	s_mov_b32 s7, 0xb9a3f927
	s_mov_b32 s10, 0x39afe9f7
	v_mul_f32_e32 v12, v10, v11
	v_fmaak_f32 v13, s7, v12, 0x3a66f867
	v_fmaak_f32 v14, s10, v12, 0xba0d3085
	s_mov_b32 s7, 0x39a57b6b
	v_fmaak_f32 v15, s7, v12, 0xbab7f476
	v_fmaak_f32 v13, v12, v13, 0xbb7177fe
	;; [unrolled: 1-line block ×9, first 2 shown]
	v_fmac_f32_e32 v13, v10, v14
	v_fmaak_f32 v10, v12, v15, 0x3ef7b95e
	v_fma_f32 v12, v12, -v13, 0xa2863e55
	v_fma_f32 v10, v11, v10, -v12
	v_add_f32_e32 v10, 0xbdf8cdce, v10
	v_add_f32_e32 v9, v9, v10
.LBB151_33:
	s_or_b32 exec_lo, exec_lo, s0
                                        ; implicit-def: $vgpr11
                                        ; implicit-def: $vgpr10
.LBB151_34:
	s_andn2_saveexec_b32 s1, s1
	s_cbranch_execz .LBB151_38
; %bb.35:
	s_mov_b32 s7, exec_lo
	v_cmpx_eq_u32_e32 0, v11
	s_cbranch_execz .LBB151_37
; %bb.36:
	v_mul_f32_e32 v11, v10, v10
	s_mov_b32 s0, 0x383c2c75
	v_fmaak_f32 v12, s0, v11, 0x38e28445
	s_mov_b32 s0, 0x37d383a2
	v_fmaak_f32 v13, s0, v11, 0x39679767
	v_fmaak_f32 v12, v11, v12, 0x3a05b634
	;; [unrolled: 1-line block ×9, first 2 shown]
	v_mul_f32_e32 v11, v11, v12
	v_fmac_f32_e32 v11, v10, v13
	v_fmac_f32_e32 v11, -0.5, v10
	v_add_f32_e32 v9, v9, v11
.LBB151_37:
	s_or_b32 exec_lo, exec_lo, s7
.LBB151_38:
	s_or_b32 exec_lo, exec_lo, s1
.LBB151_39:
	s_or_b32 exec_lo, exec_lo, s6
.LBB151_40:
	s_andn2_saveexec_b32 s1, s2
	s_cbranch_execz .LBB151_42
; %bb.41:
	v_cmp_gt_f32_e64 s2, 0x800000, |v4|
	s_mov_b32 s0, 0x3e8a8991
	v_fma_f32 v12, |v4|, s0, 0xbecd26ab
	v_cndmask_b32_e64 v9, 0, 32, s2
	v_ldexp_f32 v9, |v4|, v9
	v_log_f32_e32 v9, v9
	v_mul_f32_e32 v10, 0x3f317217, v9
	v_cmp_gt_f32_e64 s0, 0x7f800000, |v9|
	v_fma_f32 v11, 0x3f317217, v9, -v10
	v_fmamk_f32 v11, v9, 0x3377d1cf, v11
	v_add_f32_e32 v10, v10, v11
	v_fma_f32 v11, |v4|, v12, 0x3f528d33
	v_cndmask_b32_e64 v9, v9, v10, s0
	v_cndmask_b32_e64 v10, 0, 0x41b17218, s2
	v_fma_f32 v11, |v4|, v11, 0xbf13c468
	v_sub_f32_e32 v9, v9, v10
	v_fma_f32 v9, |v4|, v11, -v9
.LBB151_42:
	s_or_b32 exec_lo, exec_lo, s1
	v_cmp_le_f16_e64 s0, 0, v7
	s_mov_b32 s2, exec_lo
	v_cmpx_nle_f16_e32 0, v7
	s_xor_b32 s6, exec_lo, s2
	s_cbranch_execz .LBB151_46
; %bb.43:
	v_cmp_gt_f32_e64 s1, 0x4b000000, |v4|
	v_cmp_lt_f32_e64 s2, 0x35000000, |v4|
	s_and_b32 s1, s1, s2
	s_and_saveexec_b32 s7, s1
	s_cbranch_execz .LBB151_45
; %bb.44:
	v_mul_f32_e64 v10, |v4|, 0.5
	s_mov_b32 s2, 0x3d4be544
	v_xor_b32_e32 v8, v8, v4
	v_floor_f32_e32 v11, v10
	v_cmp_neq_f32_e64 s1, 0x7f800000, v10
	v_sub_f32_e32 v11, v10, v11
	v_min_f32_e32 v11, 0x3f7fffff, v11
	v_add_f32_e32 v11, v11, v11
	v_cndmask_b32_e64 v10, 0, v11, s1
	v_cmp_gt_f32_e64 s1, |v4|, 1.0
	v_cndmask_b32_e64 v10, |v4|, v10, s1
	s_mov_b32 s1, 0x3e75aa41
	v_add_f32_e32 v11, v10, v10
	v_rndne_f32_e32 v11, v11
	v_fmac_f32_e32 v10, -0.5, v11
	v_cvt_i32_f32_e32 v11, v11
	v_mul_f32_e32 v12, v10, v10
	v_fmaak_f32 v13, s1, v12, 0xbf1f24be
	v_fmaak_f32 v14, s2, v12, 0x3e642e9d
	v_mul_f32_e32 v15, v10, v12
	v_fmaak_f32 v13, v12, v13, 0x40234736
	v_fmaak_f32 v14, v12, v14, 0xbfaad1da
	;; [unrolled: 1-line block ×4, first 2 shown]
	v_mul_f32_e32 v13, v15, v13
	v_fmaak_f32 v14, v12, v14, 0xc09de9e6
	v_and_b32_e32 v15, 1, v11
	v_lshlrev_b32_e32 v11, 30, v11
	v_fmamk_f32 v10, v10, 0x40490fdb, v13
	v_fma_f32 v12, v12, v14, 1.0
	v_cmp_eq_u32_e64 s1, 0, v15
	v_and_b32_e32 v11, 0x80000000, v11
	v_cndmask_b32_e64 v10, v12, v10, s1
	v_xor3_b32 v8, v8, v11, v10
	v_mul_f32_e32 v8, v4, v8
	v_frexp_mant_f32_e64 v10, |v8|
	v_frexp_exp_i32_f32_e32 v8, v8
	v_rcp_f32_e32 v10, v10
	v_sub_nc_u32_e32 v8, 2, v8
	v_mul_f32_e32 v10, 0x3f490fdb, v10
	v_ldexp_f32 v8, v10, v8
	v_cmp_gt_f32_e64 s1, 0x800000, v8
	v_cndmask_b32_e64 v10, 0, 32, s1
	v_ldexp_f32 v8, v8, v10
	v_log_f32_e32 v8, v8
	v_mul_f32_e32 v10, 0x3f317217, v8
	v_cmp_gt_f32_e64 s2, 0x7f800000, |v8|
	v_fma_f32 v11, 0x3f317217, v8, -v10
	v_fmamk_f32 v11, v8, 0x3377d1cf, v11
	v_add_f32_e32 v10, v10, v11
	v_floor_f32_e32 v11, v4
	v_cndmask_b32_e64 v8, v8, v10, s2
	v_cndmask_b32_e64 v10, 0, 0x41b17218, s1
	v_sub_f32_e32 v11, v4, v11
	v_sub_f32_e32 v8, v8, v10
	v_min_f32_e32 v10, 0x3f7fffff, v11
	v_sub_f32_e32 v8, v8, v9
	v_cmp_neq_f32_e64 s1, 0, v10
	v_cndmask_b32_e64 v9, 0x7f800000, v8, s1
.LBB151_45:
	s_or_b32 exec_lo, exec_lo, s7
.LBB151_46:
	s_andn2_saveexec_b32 s6, s6
; %bb.47:
	v_cmp_eq_f16_e64 s1, 1.0, v7
	v_cmp_eq_f16_e64 s2, 2.0, v7
	s_or_b32 s1, s1, s2
	v_cndmask_b32_e64 v9, v9, 0, s1
; %bb.48:
	s_or_b32 exec_lo, exec_lo, s6
	v_cmp_gt_f32_e64 s1, 0x4b000000, |v4|
	v_cvt_f16_f32_e32 v8, v9
	s_or_b32 s0, s0, s1
	v_cndmask_b32_e64 v8, 0x7c00, v8, s0
	v_cmp_class_f32_e64 s0, v4, 0x264
	v_cndmask_b32_e64 v4, v8, 0x7c00, s0
	v_cmp_u_f16_e64 s0, v7, v7
	v_cndmask_b32_e64 v4, v4, v7, s0
	s_or_b32 exec_lo, exec_lo, s5
	s_mov_b32 s5, exec_lo
                                        ; implicit-def: $vgpr7
	v_cmpx_gt_i32_e64 s4, v3
	s_cbranch_execz .LBB151_88
.LBB151_49:
	s_waitcnt vmcnt(0)
	v_cvt_f32_f16_e32 v7, v6
                                        ; implicit-def: $vgpr9
	s_mov_b32 s1, exec_lo
	v_and_b32_e32 v8, 0x7fffffff, v7
	v_cmpx_ngt_f32_e64 0x3c800000, |v7|
	s_xor_b32 s2, exec_lo, s1
	s_cbranch_execz .LBB151_79
; %bb.50:
                                        ; implicit-def: $vgpr9
	s_mov_b32 s1, exec_lo
	v_cmpx_nlt_f32_e64 |v7|, 2.0
	s_xor_b32 s6, exec_lo, s1
	s_cbranch_execz .LBB151_60
; %bb.51:
	s_mov_b32 s1, exec_lo
                                        ; implicit-def: $vgpr9
	v_cmpx_ngt_f32_e64 0x41000000, |v7|
	s_xor_b32 s1, exec_lo, s1
	s_cbranch_execz .LBB151_57
; %bb.52:
	s_mov_b32 s7, exec_lo
                                        ; implicit-def: $vgpr9
	v_cmpx_ngt_f32_e64 0x5c800000, |v7|
	s_xor_b32 s7, exec_lo, s7
	s_cbranch_execz .LBB151_54
; %bb.53:
	v_cmp_gt_f32_e64 s10, 0x800000, |v7|
	v_cndmask_b32_e64 v9, 0, 32, s10
	v_ldexp_f32 v9, |v7|, v9
	v_log_f32_e32 v9, v9
	v_mul_f32_e32 v10, 0x3f317217, v9
	v_cmp_gt_f32_e64 s0, 0x7f800000, |v9|
	v_fma_f32 v11, 0x3f317217, v9, -v10
	v_fmamk_f32 v11, v9, 0x3377d1cf, v11
	v_add_f32_e32 v10, v10, v11
	v_cndmask_b32_e64 v9, v9, v10, s0
	v_cndmask_b32_e64 v10, 0, 0x41b17218, s10
	v_sub_f32_e32 v9, v9, v10
	v_fma_f32 v9, |v7|, v9, -|v7|
.LBB151_54:
	s_andn2_saveexec_b32 s7, s7
	s_cbranch_execz .LBB151_56
; %bb.55:
	v_cmp_gt_f32_e64 s10, 0x800000, |v7|
	v_rcp_f32_e64 v10, |v7|
	s_mov_b32 s0, 0xbad5c4e8
	v_cndmask_b32_e64 v9, 0, 32, s10
	v_ldexp_f32 v9, |v7|, v9
	v_mul_f32_e32 v11, v10, v10
	v_log_f32_e32 v9, v9
	v_fmaak_f32 v13, s0, v11, 0x3a5b3dd2
	v_fmaak_f32 v13, v11, v13, 0xba1c065c
	v_mul_f32_e32 v12, 0x3f317217, v9
	v_fmaak_f32 v13, v11, v13, 0x3a500cfd
	v_cmp_gt_f32_e64 s0, 0x7f800000, |v9|
	v_fma_f32 v14, 0x3f317217, v9, -v12
	v_fmaak_f32 v13, v11, v13, 0xbb360b61
	v_fmamk_f32 v14, v9, 0x3377d1cf, v14
	v_fmaak_f32 v11, v11, v13, 0x3daaaaab
	v_add_f32_e32 v12, v12, v14
	v_cndmask_b32_e64 v9, v9, v12, s0
	v_cndmask_b32_e64 v12, 0, 0x41b17218, s10
	v_sub_f32_e32 v12, v9, v12
	v_fmaak_f32 v9, v10, v11, 0x3ed67f1d
	v_add_f32_e64 v10, |v7|, -0.5
	v_add_f32_e32 v11, -1.0, v12
	v_fmac_f32_e32 v9, v10, v11
.LBB151_56:
	s_or_b32 exec_lo, exec_lo, s7
.LBB151_57:
	s_andn2_saveexec_b32 s7, s1
	s_cbranch_execz .LBB151_59
; %bb.58:
	v_cvt_i32_f32_e32 v9, v8
	s_mov_b32 s1, 0x3805ff67
	v_cvt_f32_i32_e32 v10, v9
	v_cmp_lt_i32_e64 s0, 2, v9
	v_sub_f32_e64 v10, |v7|, v10
	v_add_f32_e32 v11, 2.0, v10
	v_add_f32_e32 v12, 0x40400000, v10
	v_add_f32_e32 v13, 4.0, v10
	v_add_f32_e32 v14, 0x40a00000, v10
	v_cndmask_b32_e64 v11, 1.0, v11, s0
	v_cmp_lt_i32_e64 s0, 3, v9
	v_cndmask_b32_e64 v12, 1.0, v12, s0
	v_cmp_lt_i32_e64 s0, 4, v9
	v_mul_f32_e32 v11, v11, v12
	v_cndmask_b32_e64 v13, 1.0, v13, s0
	v_cmp_lt_i32_e64 s0, 5, v9
	v_add_f32_e32 v12, 0x40c00000, v10
	v_mul_f32_e32 v11, v13, v11
	v_cndmask_b32_e64 v14, 1.0, v14, s0
	v_cmp_lt_i32_e64 s0, 6, v9
	v_fmaak_f32 v13, s1, v10, 0x3af135b4
	v_mul_f32_e32 v11, v14, v11
	v_cndmask_b32_e64 v9, 1.0, v12, s0
	s_mov_b32 s0, 0x36f5d7bd
	v_mul_f32_e32 v9, v9, v11
	v_fmaak_f32 v11, s0, v10, 0x3a4beed6
	v_cmp_gt_f32_e64 s0, 0x800000, v9
	v_fmaak_f32 v11, v10, v11, 0x3c98bf54
	v_cndmask_b32_e64 v12, 0, 32, s0
	v_fmaak_f32 v11, v10, v11, 0x3e300f6e
	v_ldexp_f32 v9, v9, v12
	v_fmaak_f32 v12, v10, v13, 0x3cda40e4
	v_fmaak_f32 v11, v10, v11, 0x3f38d0c5
	v_log_f32_e32 v9, v9
	v_fmaak_f32 v12, v10, v12, 0x3e15dce6
	v_fmaak_f32 v11, v10, v11, 0x3fb22d3b
	;; [unrolled: 1-line block ×3, first 2 shown]
	v_fma_f32 v11, v10, v11, 1.0
	v_mul_f32_e32 v13, 0x3f317217, v9
	v_fmaak_f32 v12, v10, v12, 0x3e5c245a
	v_rcp_f32_e32 v11, v11
	v_cmp_gt_f32_e64 s1, 0x7f800000, |v9|
	v_fma_f32 v14, 0x3f317217, v9, -v13
	v_fmaak_f32 v12, v10, v12, 0xbd9e233f
	v_fmamk_f32 v14, v9, 0x3377d1cf, v14
	v_mul_f32_e32 v12, v10, v12
	v_add_f32_e32 v13, v13, v14
	v_mul_f32_e32 v11, v12, v11
	v_cndmask_b32_e64 v12, 0, 0x41b17218, s0
	v_cndmask_b32_e64 v9, v9, v13, s1
	v_fmac_f32_e32 v11, 0.5, v10
	v_sub_f32_e32 v9, v9, v12
	v_add_f32_e32 v9, v9, v11
.LBB151_59:
	s_or_b32 exec_lo, exec_lo, s7
.LBB151_60:
	s_andn2_saveexec_b32 s6, s6
	s_cbranch_execz .LBB151_78
; %bb.61:
                                        ; implicit-def: $vgpr9
                                        ; implicit-def: $vgpr11
                                        ; implicit-def: $vgpr10
	s_mov_b32 s1, exec_lo
	v_cmpx_ge_f32_e64 0x3f666666, |v7|
	s_xor_b32 s7, exec_lo, s1
	s_cbranch_execz .LBB151_63
; %bb.62:
	v_cmp_gt_f32_e64 s1, 0x800000, |v7|
	v_sub_f32_e64 v12, 1.0, |v7|
	v_cmp_gt_f32_e64 s0, 0x3f3b4a23, |v7|
	v_cndmask_b32_e64 v9, 0, 32, s1
	v_cndmask_b32_e64 v13, 0, 0x41b17218, s1
	v_ldexp_f32 v9, |v7|, v9
	v_log_f32_e32 v9, v9
	v_mul_f32_e32 v10, 0x3f317217, v9
	v_cmp_gt_f32_e64 s1, 0x7f800000, |v9|
	v_fma_f32 v11, 0x3f317217, v9, -v10
	v_fmamk_f32 v11, v9, 0x3377d1cf, v11
	v_add_f32_e32 v10, v10, v11
	v_add_f32_e64 v11, 0xbeec5b0c, |v7|
	v_cndmask_b32_e64 v9, v9, v10, s1
	v_cndmask_b32_e64 v10, v12, v11, s0
	;; [unrolled: 1-line block ×3, first 2 shown]
	v_cmp_gt_f32_e64 s0, 0x3e6d3309, |v7|
	v_sub_f32_e32 v9, v9, v13
	v_cndmask_b32_e64 v10, v10, |v7|, s0
	v_cndmask_b32_e64 v11, v11, 2, s0
	v_xor_b32_e32 v9, 0x80000000, v9
.LBB151_63:
	s_andn2_saveexec_b32 s1, s7
	s_cbranch_execz .LBB151_65
; %bb.64:
	v_sub_f32_e64 v9, 2.0, |v7|
	v_add_f32_e64 v10, 0xbfbb16c3, |v7|
	v_cmp_gt_f32_e64 s0, 0x3fdda512, |v7|
	v_add_f32_e64 v11, |v7|, -1.0
	v_cndmask_b32_e64 v10, v9, v10, s0
	v_cndmask_b32_e64 v9, v9, 1.0, s0
	v_cmp_gt_f32_e64 s0, 0x3f9d70a4, |v7|
	v_cvt_i32_f32_e32 v9, v9
	v_cndmask_b32_e64 v10, v10, v11, s0
	v_cndmask_b32_e64 v11, v9, 2, s0
	v_mov_b32_e32 v9, 0
.LBB151_65:
	s_or_b32 exec_lo, exec_lo, s1
	s_mov_b32 s1, exec_lo
	v_cmpx_lt_i32_e32 0, v11
	s_xor_b32 s1, exec_lo, s1
	s_cbranch_execz .LBB151_73
; %bb.66:
	s_mov_b32 s7, exec_lo
	v_cmpx_lt_i32_e32 1, v11
	s_xor_b32 s7, exec_lo, s7
	s_cbranch_execz .LBB151_70
; %bb.67:
	s_mov_b32 s10, exec_lo
	v_cmpx_eq_u32_e32 2, v11
	s_cbranch_execz .LBB151_69
; %bb.68:
	s_mov_b32 s0, 0x3b52d5db
	v_fmaak_f32 v11, s0, v10, 0x3dd572af
	s_mov_b32 s0, 0x3c5b3c5e
	v_fmaak_f32 v12, s0, v10, 0x3e6a7578
	v_fmaak_f32 v11, v10, v11, 0x3f44efdf
	;; [unrolled: 1-line block ×7, first 2 shown]
	v_fma_f32 v11, v10, v11, 1.0
	v_fmaak_f32 v12, v10, v12, 0xbd9e233f
	v_rcp_f32_e32 v11, v11
	v_mul_f32_e32 v12, v10, v12
	v_mul_f32_e32 v11, v12, v11
	v_fmac_f32_e32 v11, -0.5, v10
	v_add_f32_e32 v9, v9, v11
.LBB151_69:
	s_or_b32 exec_lo, exec_lo, s10
                                        ; implicit-def: $vgpr10
.LBB151_70:
	s_andn2_saveexec_b32 s0, s7
	s_cbranch_execz .LBB151_72
; %bb.71:
	v_mul_f32_e32 v11, v10, v10
	s_mov_b32 s7, 0xb9a3f927
	s_mov_b32 s10, 0x39afe9f7
	v_mul_f32_e32 v12, v10, v11
	v_fmaak_f32 v13, s7, v12, 0x3a66f867
	v_fmaak_f32 v14, s10, v12, 0xba0d3085
	s_mov_b32 s7, 0x39a57b6b
	v_fmaak_f32 v15, s7, v12, 0xbab7f476
	v_fmaak_f32 v13, v12, v13, 0xbb7177fe
	;; [unrolled: 1-line block ×9, first 2 shown]
	v_fmac_f32_e32 v13, v10, v14
	v_fmaak_f32 v10, v12, v15, 0x3ef7b95e
	v_fma_f32 v12, v12, -v13, 0xa2863e55
	v_fma_f32 v10, v11, v10, -v12
	v_add_f32_e32 v10, 0xbdf8cdce, v10
	v_add_f32_e32 v9, v9, v10
.LBB151_72:
	s_or_b32 exec_lo, exec_lo, s0
                                        ; implicit-def: $vgpr11
                                        ; implicit-def: $vgpr10
.LBB151_73:
	s_andn2_saveexec_b32 s1, s1
	s_cbranch_execz .LBB151_77
; %bb.74:
	s_mov_b32 s7, exec_lo
	v_cmpx_eq_u32_e32 0, v11
	s_cbranch_execz .LBB151_76
; %bb.75:
	v_mul_f32_e32 v11, v10, v10
	s_mov_b32 s0, 0x383c2c75
	v_fmaak_f32 v12, s0, v11, 0x38e28445
	s_mov_b32 s0, 0x37d383a2
	v_fmaak_f32 v13, s0, v11, 0x39679767
	v_fmaak_f32 v12, v11, v12, 0x3a05b634
	;; [unrolled: 1-line block ×9, first 2 shown]
	v_mul_f32_e32 v11, v11, v12
	v_fmac_f32_e32 v11, v10, v13
	v_fmac_f32_e32 v11, -0.5, v10
	v_add_f32_e32 v9, v9, v11
.LBB151_76:
	s_or_b32 exec_lo, exec_lo, s7
.LBB151_77:
	s_or_b32 exec_lo, exec_lo, s1
.LBB151_78:
	s_or_b32 exec_lo, exec_lo, s6
.LBB151_79:
	s_andn2_saveexec_b32 s1, s2
	s_cbranch_execz .LBB151_81
; %bb.80:
	v_cmp_gt_f32_e64 s2, 0x800000, |v7|
	s_mov_b32 s0, 0x3e8a8991
	v_fma_f32 v12, |v7|, s0, 0xbecd26ab
	v_cndmask_b32_e64 v9, 0, 32, s2
	v_ldexp_f32 v9, |v7|, v9
	v_log_f32_e32 v9, v9
	v_mul_f32_e32 v10, 0x3f317217, v9
	v_cmp_gt_f32_e64 s0, 0x7f800000, |v9|
	v_fma_f32 v11, 0x3f317217, v9, -v10
	v_fmamk_f32 v11, v9, 0x3377d1cf, v11
	v_add_f32_e32 v10, v10, v11
	v_fma_f32 v11, |v7|, v12, 0x3f528d33
	v_cndmask_b32_e64 v9, v9, v10, s0
	v_cndmask_b32_e64 v10, 0, 0x41b17218, s2
	v_fma_f32 v11, |v7|, v11, 0xbf13c468
	v_sub_f32_e32 v9, v9, v10
	v_fma_f32 v9, |v7|, v11, -v9
.LBB151_81:
	s_or_b32 exec_lo, exec_lo, s1
	v_cmp_le_f16_e64 s0, 0, v6
	s_mov_b32 s2, exec_lo
	v_cmpx_nle_f16_e32 0, v6
	s_xor_b32 s6, exec_lo, s2
	s_cbranch_execz .LBB151_85
; %bb.82:
	v_cmp_gt_f32_e64 s1, 0x4b000000, |v7|
	v_cmp_lt_f32_e64 s2, 0x35000000, |v7|
	s_and_b32 s1, s1, s2
	s_and_saveexec_b32 s7, s1
	s_cbranch_execz .LBB151_84
; %bb.83:
	v_mul_f32_e64 v10, |v7|, 0.5
	s_mov_b32 s2, 0x3d4be544
	v_xor_b32_e32 v8, v8, v7
	v_floor_f32_e32 v11, v10
	v_cmp_neq_f32_e64 s1, 0x7f800000, v10
	v_sub_f32_e32 v11, v10, v11
	v_min_f32_e32 v11, 0x3f7fffff, v11
	v_add_f32_e32 v11, v11, v11
	v_cndmask_b32_e64 v10, 0, v11, s1
	v_cmp_gt_f32_e64 s1, |v7|, 1.0
	v_cndmask_b32_e64 v10, |v7|, v10, s1
	s_mov_b32 s1, 0x3e75aa41
	v_add_f32_e32 v11, v10, v10
	v_rndne_f32_e32 v11, v11
	v_fmac_f32_e32 v10, -0.5, v11
	v_cvt_i32_f32_e32 v11, v11
	v_mul_f32_e32 v12, v10, v10
	v_fmaak_f32 v13, s1, v12, 0xbf1f24be
	v_fmaak_f32 v14, s2, v12, 0x3e642e9d
	v_mul_f32_e32 v15, v10, v12
	v_fmaak_f32 v13, v12, v13, 0x40234736
	v_fmaak_f32 v14, v12, v14, 0xbfaad1da
	;; [unrolled: 1-line block ×4, first 2 shown]
	v_mul_f32_e32 v13, v15, v13
	v_fmaak_f32 v14, v12, v14, 0xc09de9e6
	v_and_b32_e32 v15, 1, v11
	v_lshlrev_b32_e32 v11, 30, v11
	v_fmamk_f32 v10, v10, 0x40490fdb, v13
	v_fma_f32 v12, v12, v14, 1.0
	v_cmp_eq_u32_e64 s1, 0, v15
	v_and_b32_e32 v11, 0x80000000, v11
	v_cndmask_b32_e64 v10, v12, v10, s1
	v_xor3_b32 v8, v8, v11, v10
	v_mul_f32_e32 v8, v7, v8
	v_frexp_mant_f32_e64 v10, |v8|
	v_frexp_exp_i32_f32_e32 v8, v8
	v_rcp_f32_e32 v10, v10
	v_sub_nc_u32_e32 v8, 2, v8
	v_mul_f32_e32 v10, 0x3f490fdb, v10
	v_ldexp_f32 v8, v10, v8
	v_cmp_gt_f32_e64 s1, 0x800000, v8
	v_cndmask_b32_e64 v10, 0, 32, s1
	v_ldexp_f32 v8, v8, v10
	v_log_f32_e32 v8, v8
	v_mul_f32_e32 v10, 0x3f317217, v8
	v_cmp_gt_f32_e64 s2, 0x7f800000, |v8|
	v_fma_f32 v11, 0x3f317217, v8, -v10
	v_fmamk_f32 v11, v8, 0x3377d1cf, v11
	v_add_f32_e32 v10, v10, v11
	v_floor_f32_e32 v11, v7
	v_cndmask_b32_e64 v8, v8, v10, s2
	v_cndmask_b32_e64 v10, 0, 0x41b17218, s1
	v_sub_f32_e32 v11, v7, v11
	v_sub_f32_e32 v8, v8, v10
	v_min_f32_e32 v10, 0x3f7fffff, v11
	v_sub_f32_e32 v8, v8, v9
	v_cmp_neq_f32_e64 s1, 0, v10
	v_cndmask_b32_e64 v9, 0x7f800000, v8, s1
.LBB151_84:
	s_or_b32 exec_lo, exec_lo, s7
.LBB151_85:
	s_andn2_saveexec_b32 s6, s6
; %bb.86:
	v_cmp_eq_f16_e64 s1, 1.0, v6
	v_cmp_eq_f16_e64 s2, 2.0, v6
	s_or_b32 s1, s1, s2
	v_cndmask_b32_e64 v9, v9, 0, s1
; %bb.87:
	s_or_b32 exec_lo, exec_lo, s6
	v_cmp_gt_f32_e64 s1, 0x4b000000, |v7|
	v_cvt_f16_f32_e32 v8, v9
	s_or_b32 s0, s0, s1
	v_cndmask_b32_e64 v8, 0x7c00, v8, s0
	v_cmp_class_f32_e64 s0, v7, 0x264
	v_cndmask_b32_e64 v7, v8, 0x7c00, s0
	v_cmp_u_f16_e64 s0, v6, v6
	v_cndmask_b32_e64 v7, v7, v6, s0
.LBB151_88:
	s_or_b32 exec_lo, exec_lo, s5
	s_waitcnt vmcnt(0)
	v_or_b32_e32 v6, 0x200, v0
	v_cmp_gt_i32_e64 s0, s4, v6
                                        ; implicit-def: $vgpr6
	s_and_saveexec_b32 s5, s0
	s_cbranch_execz .LBB151_128
; %bb.89:
	v_cvt_f32_f16_e32 v6, v5
                                        ; implicit-def: $vgpr9
	s_mov_b32 s1, exec_lo
	v_and_b32_e32 v8, 0x7fffffff, v6
	v_cmpx_ngt_f32_e64 0x3c800000, |v6|
	s_xor_b32 s2, exec_lo, s1
	s_cbranch_execz .LBB151_119
; %bb.90:
                                        ; implicit-def: $vgpr9
	s_mov_b32 s1, exec_lo
	v_cmpx_nlt_f32_e64 |v6|, 2.0
	s_xor_b32 s6, exec_lo, s1
	s_cbranch_execz .LBB151_100
; %bb.91:
	s_mov_b32 s1, exec_lo
                                        ; implicit-def: $vgpr9
	v_cmpx_ngt_f32_e64 0x41000000, |v6|
	s_xor_b32 s1, exec_lo, s1
	s_cbranch_execz .LBB151_97
; %bb.92:
	s_mov_b32 s7, exec_lo
                                        ; implicit-def: $vgpr9
	v_cmpx_ngt_f32_e64 0x5c800000, |v6|
	s_xor_b32 s7, exec_lo, s7
	s_cbranch_execz .LBB151_94
; %bb.93:
	v_cmp_gt_f32_e64 s10, 0x800000, |v6|
	v_cndmask_b32_e64 v9, 0, 32, s10
	v_ldexp_f32 v9, |v6|, v9
	v_log_f32_e32 v9, v9
	v_mul_f32_e32 v10, 0x3f317217, v9
	v_cmp_gt_f32_e64 s0, 0x7f800000, |v9|
	v_fma_f32 v11, 0x3f317217, v9, -v10
	v_fmamk_f32 v11, v9, 0x3377d1cf, v11
	v_add_f32_e32 v10, v10, v11
	v_cndmask_b32_e64 v9, v9, v10, s0
	v_cndmask_b32_e64 v10, 0, 0x41b17218, s10
	v_sub_f32_e32 v9, v9, v10
	v_fma_f32 v9, |v6|, v9, -|v6|
.LBB151_94:
	s_andn2_saveexec_b32 s7, s7
	s_cbranch_execz .LBB151_96
; %bb.95:
	v_cmp_gt_f32_e64 s10, 0x800000, |v6|
	v_rcp_f32_e64 v10, |v6|
	s_mov_b32 s0, 0xbad5c4e8
	v_cndmask_b32_e64 v9, 0, 32, s10
	v_ldexp_f32 v9, |v6|, v9
	v_mul_f32_e32 v11, v10, v10
	v_log_f32_e32 v9, v9
	v_fmaak_f32 v13, s0, v11, 0x3a5b3dd2
	v_fmaak_f32 v13, v11, v13, 0xba1c065c
	v_mul_f32_e32 v12, 0x3f317217, v9
	v_fmaak_f32 v13, v11, v13, 0x3a500cfd
	v_cmp_gt_f32_e64 s0, 0x7f800000, |v9|
	v_fma_f32 v14, 0x3f317217, v9, -v12
	v_fmaak_f32 v13, v11, v13, 0xbb360b61
	v_fmamk_f32 v14, v9, 0x3377d1cf, v14
	v_fmaak_f32 v11, v11, v13, 0x3daaaaab
	v_add_f32_e32 v12, v12, v14
	v_cndmask_b32_e64 v9, v9, v12, s0
	v_cndmask_b32_e64 v12, 0, 0x41b17218, s10
	v_sub_f32_e32 v12, v9, v12
	v_fmaak_f32 v9, v10, v11, 0x3ed67f1d
	v_add_f32_e64 v10, |v6|, -0.5
	v_add_f32_e32 v11, -1.0, v12
	v_fmac_f32_e32 v9, v10, v11
.LBB151_96:
	s_or_b32 exec_lo, exec_lo, s7
.LBB151_97:
	s_andn2_saveexec_b32 s7, s1
	s_cbranch_execz .LBB151_99
; %bb.98:
	v_cvt_i32_f32_e32 v9, v8
	s_mov_b32 s1, 0x3805ff67
	v_cvt_f32_i32_e32 v10, v9
	v_cmp_lt_i32_e64 s0, 2, v9
	v_sub_f32_e64 v10, |v6|, v10
	v_add_f32_e32 v11, 2.0, v10
	v_add_f32_e32 v12, 0x40400000, v10
	v_add_f32_e32 v13, 4.0, v10
	v_add_f32_e32 v14, 0x40a00000, v10
	v_cndmask_b32_e64 v11, 1.0, v11, s0
	v_cmp_lt_i32_e64 s0, 3, v9
	v_cndmask_b32_e64 v12, 1.0, v12, s0
	v_cmp_lt_i32_e64 s0, 4, v9
	v_mul_f32_e32 v11, v11, v12
	v_cndmask_b32_e64 v13, 1.0, v13, s0
	v_cmp_lt_i32_e64 s0, 5, v9
	v_add_f32_e32 v12, 0x40c00000, v10
	v_mul_f32_e32 v11, v13, v11
	v_cndmask_b32_e64 v14, 1.0, v14, s0
	v_cmp_lt_i32_e64 s0, 6, v9
	v_fmaak_f32 v13, s1, v10, 0x3af135b4
	v_mul_f32_e32 v11, v14, v11
	v_cndmask_b32_e64 v9, 1.0, v12, s0
	s_mov_b32 s0, 0x36f5d7bd
	v_mul_f32_e32 v9, v9, v11
	v_fmaak_f32 v11, s0, v10, 0x3a4beed6
	v_cmp_gt_f32_e64 s0, 0x800000, v9
	v_fmaak_f32 v11, v10, v11, 0x3c98bf54
	v_cndmask_b32_e64 v12, 0, 32, s0
	v_fmaak_f32 v11, v10, v11, 0x3e300f6e
	v_ldexp_f32 v9, v9, v12
	v_fmaak_f32 v12, v10, v13, 0x3cda40e4
	v_fmaak_f32 v11, v10, v11, 0x3f38d0c5
	v_log_f32_e32 v9, v9
	v_fmaak_f32 v12, v10, v12, 0x3e15dce6
	v_fmaak_f32 v11, v10, v11, 0x3fb22d3b
	;; [unrolled: 1-line block ×3, first 2 shown]
	v_fma_f32 v11, v10, v11, 1.0
	v_mul_f32_e32 v13, 0x3f317217, v9
	v_fmaak_f32 v12, v10, v12, 0x3e5c245a
	v_rcp_f32_e32 v11, v11
	v_cmp_gt_f32_e64 s1, 0x7f800000, |v9|
	v_fma_f32 v14, 0x3f317217, v9, -v13
	v_fmaak_f32 v12, v10, v12, 0xbd9e233f
	v_fmamk_f32 v14, v9, 0x3377d1cf, v14
	v_mul_f32_e32 v12, v10, v12
	v_add_f32_e32 v13, v13, v14
	v_mul_f32_e32 v11, v12, v11
	v_cndmask_b32_e64 v12, 0, 0x41b17218, s0
	v_cndmask_b32_e64 v9, v9, v13, s1
	v_fmac_f32_e32 v11, 0.5, v10
	v_sub_f32_e32 v9, v9, v12
	v_add_f32_e32 v9, v9, v11
.LBB151_99:
	s_or_b32 exec_lo, exec_lo, s7
.LBB151_100:
	s_andn2_saveexec_b32 s6, s6
	s_cbranch_execz .LBB151_118
; %bb.101:
                                        ; implicit-def: $vgpr9
                                        ; implicit-def: $vgpr11
                                        ; implicit-def: $vgpr10
	s_mov_b32 s1, exec_lo
	v_cmpx_ge_f32_e64 0x3f666666, |v6|
	s_xor_b32 s7, exec_lo, s1
	s_cbranch_execz .LBB151_103
; %bb.102:
	v_cmp_gt_f32_e64 s1, 0x800000, |v6|
	v_sub_f32_e64 v12, 1.0, |v6|
	v_cmp_gt_f32_e64 s0, 0x3f3b4a23, |v6|
	v_cndmask_b32_e64 v9, 0, 32, s1
	v_cndmask_b32_e64 v13, 0, 0x41b17218, s1
	v_ldexp_f32 v9, |v6|, v9
	v_log_f32_e32 v9, v9
	v_mul_f32_e32 v10, 0x3f317217, v9
	v_cmp_gt_f32_e64 s1, 0x7f800000, |v9|
	v_fma_f32 v11, 0x3f317217, v9, -v10
	v_fmamk_f32 v11, v9, 0x3377d1cf, v11
	v_add_f32_e32 v10, v10, v11
	v_add_f32_e64 v11, 0xbeec5b0c, |v6|
	v_cndmask_b32_e64 v9, v9, v10, s1
	v_cndmask_b32_e64 v10, v12, v11, s0
	;; [unrolled: 1-line block ×3, first 2 shown]
	v_cmp_gt_f32_e64 s0, 0x3e6d3309, |v6|
	v_sub_f32_e32 v9, v9, v13
	v_cndmask_b32_e64 v10, v10, |v6|, s0
	v_cndmask_b32_e64 v11, v11, 2, s0
	v_xor_b32_e32 v9, 0x80000000, v9
.LBB151_103:
	s_andn2_saveexec_b32 s1, s7
	s_cbranch_execz .LBB151_105
; %bb.104:
	v_sub_f32_e64 v9, 2.0, |v6|
	v_add_f32_e64 v10, 0xbfbb16c3, |v6|
	v_cmp_gt_f32_e64 s0, 0x3fdda512, |v6|
	v_add_f32_e64 v11, |v6|, -1.0
	v_cndmask_b32_e64 v10, v9, v10, s0
	v_cndmask_b32_e64 v9, v9, 1.0, s0
	v_cmp_gt_f32_e64 s0, 0x3f9d70a4, |v6|
	v_cvt_i32_f32_e32 v9, v9
	v_cndmask_b32_e64 v10, v10, v11, s0
	v_cndmask_b32_e64 v11, v9, 2, s0
	v_mov_b32_e32 v9, 0
.LBB151_105:
	s_or_b32 exec_lo, exec_lo, s1
	s_mov_b32 s1, exec_lo
	v_cmpx_lt_i32_e32 0, v11
	s_xor_b32 s1, exec_lo, s1
	s_cbranch_execz .LBB151_113
; %bb.106:
	s_mov_b32 s7, exec_lo
	v_cmpx_lt_i32_e32 1, v11
	s_xor_b32 s7, exec_lo, s7
	s_cbranch_execz .LBB151_110
; %bb.107:
	s_mov_b32 s10, exec_lo
	v_cmpx_eq_u32_e32 2, v11
	s_cbranch_execz .LBB151_109
; %bb.108:
	s_mov_b32 s0, 0x3b52d5db
	v_fmaak_f32 v11, s0, v10, 0x3dd572af
	s_mov_b32 s0, 0x3c5b3c5e
	v_fmaak_f32 v12, s0, v10, 0x3e6a7578
	v_fmaak_f32 v11, v10, v11, 0x3f44efdf
	v_fmaak_f32 v12, v10, v12, 0x3f7a4bb2
	v_fmaak_f32 v11, v10, v11, 0x4008392d
	v_fmaak_f32 v12, v10, v12, 0x3fba3ae7
	v_fmaak_f32 v11, v10, v11, 0x401d2ebe
	v_fmaak_f32 v12, v10, v12, 0x3f2200f4
	v_fma_f32 v11, v10, v11, 1.0
	v_fmaak_f32 v12, v10, v12, 0xbd9e233f
	v_rcp_f32_e32 v11, v11
	v_mul_f32_e32 v12, v10, v12
	v_mul_f32_e32 v11, v12, v11
	v_fmac_f32_e32 v11, -0.5, v10
	v_add_f32_e32 v9, v9, v11
.LBB151_109:
	s_or_b32 exec_lo, exec_lo, s10
                                        ; implicit-def: $vgpr10
.LBB151_110:
	s_andn2_saveexec_b32 s0, s7
	s_cbranch_execz .LBB151_112
; %bb.111:
	v_mul_f32_e32 v11, v10, v10
	s_mov_b32 s7, 0xb9a3f927
	s_mov_b32 s10, 0x39afe9f7
	v_mul_f32_e32 v12, v10, v11
	v_fmaak_f32 v13, s7, v12, 0x3a66f867
	v_fmaak_f32 v14, s10, v12, 0xba0d3085
	s_mov_b32 s7, 0x39a57b6b
	v_fmaak_f32 v15, s7, v12, 0xbab7f476
	v_fmaak_f32 v13, v12, v13, 0xbb7177fe
	;; [unrolled: 1-line block ×9, first 2 shown]
	v_fmac_f32_e32 v13, v10, v14
	v_fmaak_f32 v10, v12, v15, 0x3ef7b95e
	v_fma_f32 v12, v12, -v13, 0xa2863e55
	v_fma_f32 v10, v11, v10, -v12
	v_add_f32_e32 v10, 0xbdf8cdce, v10
	v_add_f32_e32 v9, v9, v10
.LBB151_112:
	s_or_b32 exec_lo, exec_lo, s0
                                        ; implicit-def: $vgpr11
                                        ; implicit-def: $vgpr10
.LBB151_113:
	s_andn2_saveexec_b32 s1, s1
	s_cbranch_execz .LBB151_117
; %bb.114:
	s_mov_b32 s7, exec_lo
	v_cmpx_eq_u32_e32 0, v11
	s_cbranch_execz .LBB151_116
; %bb.115:
	v_mul_f32_e32 v11, v10, v10
	s_mov_b32 s0, 0x383c2c75
	v_fmaak_f32 v12, s0, v11, 0x38e28445
	s_mov_b32 s0, 0x37d383a2
	v_fmaak_f32 v13, s0, v11, 0x39679767
	v_fmaak_f32 v12, v11, v12, 0x3a05b634
	;; [unrolled: 1-line block ×9, first 2 shown]
	v_mul_f32_e32 v11, v11, v12
	v_fmac_f32_e32 v11, v10, v13
	v_fmac_f32_e32 v11, -0.5, v10
	v_add_f32_e32 v9, v9, v11
.LBB151_116:
	s_or_b32 exec_lo, exec_lo, s7
.LBB151_117:
	s_or_b32 exec_lo, exec_lo, s1
.LBB151_118:
	s_or_b32 exec_lo, exec_lo, s6
.LBB151_119:
	s_andn2_saveexec_b32 s1, s2
	s_cbranch_execz .LBB151_121
; %bb.120:
	v_cmp_gt_f32_e64 s2, 0x800000, |v6|
	s_mov_b32 s0, 0x3e8a8991
	v_fma_f32 v12, |v6|, s0, 0xbecd26ab
	v_cndmask_b32_e64 v9, 0, 32, s2
	v_ldexp_f32 v9, |v6|, v9
	v_log_f32_e32 v9, v9
	v_mul_f32_e32 v10, 0x3f317217, v9
	v_cmp_gt_f32_e64 s0, 0x7f800000, |v9|
	v_fma_f32 v11, 0x3f317217, v9, -v10
	v_fmamk_f32 v11, v9, 0x3377d1cf, v11
	v_add_f32_e32 v10, v10, v11
	v_fma_f32 v11, |v6|, v12, 0x3f528d33
	v_cndmask_b32_e64 v9, v9, v10, s0
	v_cndmask_b32_e64 v10, 0, 0x41b17218, s2
	v_fma_f32 v11, |v6|, v11, 0xbf13c468
	v_sub_f32_e32 v9, v9, v10
	v_fma_f32 v9, |v6|, v11, -v9
.LBB151_121:
	s_or_b32 exec_lo, exec_lo, s1
	v_cmp_le_f16_e64 s0, 0, v5
	s_mov_b32 s2, exec_lo
	v_cmpx_nle_f16_e32 0, v5
	s_xor_b32 s6, exec_lo, s2
	s_cbranch_execz .LBB151_125
; %bb.122:
	v_cmp_gt_f32_e64 s1, 0x4b000000, |v6|
	v_cmp_lt_f32_e64 s2, 0x35000000, |v6|
	s_and_b32 s1, s1, s2
	s_and_saveexec_b32 s7, s1
	s_cbranch_execz .LBB151_124
; %bb.123:
	v_mul_f32_e64 v10, |v6|, 0.5
	s_mov_b32 s2, 0x3d4be544
	v_xor_b32_e32 v8, v8, v6
	v_floor_f32_e32 v11, v10
	v_cmp_neq_f32_e64 s1, 0x7f800000, v10
	v_sub_f32_e32 v11, v10, v11
	v_min_f32_e32 v11, 0x3f7fffff, v11
	v_add_f32_e32 v11, v11, v11
	v_cndmask_b32_e64 v10, 0, v11, s1
	v_cmp_gt_f32_e64 s1, |v6|, 1.0
	v_cndmask_b32_e64 v10, |v6|, v10, s1
	s_mov_b32 s1, 0x3e75aa41
	v_add_f32_e32 v11, v10, v10
	v_rndne_f32_e32 v11, v11
	v_fmac_f32_e32 v10, -0.5, v11
	v_cvt_i32_f32_e32 v11, v11
	v_mul_f32_e32 v12, v10, v10
	v_fmaak_f32 v13, s1, v12, 0xbf1f24be
	v_fmaak_f32 v14, s2, v12, 0x3e642e9d
	v_mul_f32_e32 v15, v10, v12
	v_fmaak_f32 v13, v12, v13, 0x40234736
	v_fmaak_f32 v14, v12, v14, 0xbfaad1da
	;; [unrolled: 1-line block ×4, first 2 shown]
	v_mul_f32_e32 v13, v15, v13
	v_fmaak_f32 v14, v12, v14, 0xc09de9e6
	v_and_b32_e32 v15, 1, v11
	v_lshlrev_b32_e32 v11, 30, v11
	v_fmamk_f32 v10, v10, 0x40490fdb, v13
	v_fma_f32 v12, v12, v14, 1.0
	v_cmp_eq_u32_e64 s1, 0, v15
	v_and_b32_e32 v11, 0x80000000, v11
	v_cndmask_b32_e64 v10, v12, v10, s1
	v_xor3_b32 v8, v8, v11, v10
	v_mul_f32_e32 v8, v6, v8
	v_frexp_mant_f32_e64 v10, |v8|
	v_frexp_exp_i32_f32_e32 v8, v8
	v_rcp_f32_e32 v10, v10
	v_sub_nc_u32_e32 v8, 2, v8
	v_mul_f32_e32 v10, 0x3f490fdb, v10
	v_ldexp_f32 v8, v10, v8
	v_cmp_gt_f32_e64 s1, 0x800000, v8
	v_cndmask_b32_e64 v10, 0, 32, s1
	v_ldexp_f32 v8, v8, v10
	v_log_f32_e32 v8, v8
	v_mul_f32_e32 v10, 0x3f317217, v8
	v_cmp_gt_f32_e64 s2, 0x7f800000, |v8|
	v_fma_f32 v11, 0x3f317217, v8, -v10
	v_fmamk_f32 v11, v8, 0x3377d1cf, v11
	v_add_f32_e32 v10, v10, v11
	v_floor_f32_e32 v11, v6
	v_cndmask_b32_e64 v8, v8, v10, s2
	v_cndmask_b32_e64 v10, 0, 0x41b17218, s1
	v_sub_f32_e32 v11, v6, v11
	v_sub_f32_e32 v8, v8, v10
	v_min_f32_e32 v10, 0x3f7fffff, v11
	v_sub_f32_e32 v8, v8, v9
	v_cmp_neq_f32_e64 s1, 0, v10
	v_cndmask_b32_e64 v9, 0x7f800000, v8, s1
.LBB151_124:
	s_or_b32 exec_lo, exec_lo, s7
.LBB151_125:
	s_andn2_saveexec_b32 s6, s6
; %bb.126:
	v_cmp_eq_f16_e64 s1, 1.0, v5
	v_cmp_eq_f16_e64 s2, 2.0, v5
	s_or_b32 s1, s1, s2
	v_cndmask_b32_e64 v9, v9, 0, s1
; %bb.127:
	s_or_b32 exec_lo, exec_lo, s6
	v_cmp_gt_f32_e64 s1, 0x4b000000, |v6|
	v_cvt_f16_f32_e32 v8, v9
	s_or_b32 s0, s0, s1
	v_cndmask_b32_e64 v8, 0x7c00, v8, s0
	v_cmp_class_f32_e64 s0, v6, 0x264
	v_cndmask_b32_e64 v6, v8, 0x7c00, s0
	v_cmp_u_f16_e64 s0, v5, v5
	v_cndmask_b32_e64 v6, v6, v5, s0
.LBB151_128:
	s_or_b32 exec_lo, exec_lo, s5
	v_or_b32_e32 v5, 0x300, v0
	v_cmp_gt_i32_e64 s0, s4, v5
                                        ; implicit-def: $vgpr5
	s_and_saveexec_b32 s5, s0
	s_cbranch_execz .LBB151_172
; %bb.129:
	v_cvt_f32_f16_e32 v5, v2
                                        ; implicit-def: $vgpr9
	s_mov_b32 s1, exec_lo
	v_and_b32_e32 v8, 0x7fffffff, v5
	v_cmpx_ngt_f32_e64 0x3c800000, |v5|
	s_xor_b32 s2, exec_lo, s1
	s_cbranch_execz .LBB151_159
; %bb.130:
                                        ; implicit-def: $vgpr9
	s_mov_b32 s1, exec_lo
	v_cmpx_nlt_f32_e64 |v5|, 2.0
	s_xor_b32 s6, exec_lo, s1
	s_cbranch_execz .LBB151_140
; %bb.131:
	s_mov_b32 s1, exec_lo
                                        ; implicit-def: $vgpr9
	v_cmpx_ngt_f32_e64 0x41000000, |v5|
	s_xor_b32 s1, exec_lo, s1
	s_cbranch_execz .LBB151_137
; %bb.132:
	s_mov_b32 s7, exec_lo
                                        ; implicit-def: $vgpr9
	v_cmpx_ngt_f32_e64 0x5c800000, |v5|
	s_xor_b32 s7, exec_lo, s7
	s_cbranch_execz .LBB151_134
; %bb.133:
	v_cmp_gt_f32_e64 s10, 0x800000, |v5|
	v_cndmask_b32_e64 v9, 0, 32, s10
	v_ldexp_f32 v9, |v5|, v9
	v_log_f32_e32 v9, v9
	v_mul_f32_e32 v10, 0x3f317217, v9
	v_cmp_gt_f32_e64 s0, 0x7f800000, |v9|
	v_fma_f32 v11, 0x3f317217, v9, -v10
	v_fmamk_f32 v11, v9, 0x3377d1cf, v11
	v_add_f32_e32 v10, v10, v11
	v_cndmask_b32_e64 v9, v9, v10, s0
	v_cndmask_b32_e64 v10, 0, 0x41b17218, s10
	v_sub_f32_e32 v9, v9, v10
	v_fma_f32 v9, |v5|, v9, -|v5|
.LBB151_134:
	s_andn2_saveexec_b32 s7, s7
	s_cbranch_execz .LBB151_136
; %bb.135:
	v_cmp_gt_f32_e64 s10, 0x800000, |v5|
	v_rcp_f32_e64 v10, |v5|
	s_mov_b32 s0, 0xbad5c4e8
	v_cndmask_b32_e64 v9, 0, 32, s10
	v_ldexp_f32 v9, |v5|, v9
	v_mul_f32_e32 v11, v10, v10
	v_log_f32_e32 v9, v9
	v_fmaak_f32 v13, s0, v11, 0x3a5b3dd2
	v_fmaak_f32 v13, v11, v13, 0xba1c065c
	v_mul_f32_e32 v12, 0x3f317217, v9
	v_fmaak_f32 v13, v11, v13, 0x3a500cfd
	v_cmp_gt_f32_e64 s0, 0x7f800000, |v9|
	v_fma_f32 v14, 0x3f317217, v9, -v12
	v_fmaak_f32 v13, v11, v13, 0xbb360b61
	v_fmamk_f32 v14, v9, 0x3377d1cf, v14
	v_fmaak_f32 v11, v11, v13, 0x3daaaaab
	v_add_f32_e32 v12, v12, v14
	v_cndmask_b32_e64 v9, v9, v12, s0
	v_cndmask_b32_e64 v12, 0, 0x41b17218, s10
	v_sub_f32_e32 v12, v9, v12
	v_fmaak_f32 v9, v10, v11, 0x3ed67f1d
	v_add_f32_e64 v10, |v5|, -0.5
	v_add_f32_e32 v11, -1.0, v12
	v_fmac_f32_e32 v9, v10, v11
.LBB151_136:
	s_or_b32 exec_lo, exec_lo, s7
.LBB151_137:
	s_andn2_saveexec_b32 s7, s1
	s_cbranch_execz .LBB151_139
; %bb.138:
	v_cvt_i32_f32_e32 v9, v8
	s_mov_b32 s1, 0x3805ff67
	v_cvt_f32_i32_e32 v10, v9
	v_cmp_lt_i32_e64 s0, 2, v9
	v_sub_f32_e64 v10, |v5|, v10
	v_add_f32_e32 v11, 2.0, v10
	v_add_f32_e32 v12, 0x40400000, v10
	v_add_f32_e32 v13, 4.0, v10
	v_add_f32_e32 v14, 0x40a00000, v10
	v_cndmask_b32_e64 v11, 1.0, v11, s0
	v_cmp_lt_i32_e64 s0, 3, v9
	v_cndmask_b32_e64 v12, 1.0, v12, s0
	v_cmp_lt_i32_e64 s0, 4, v9
	v_mul_f32_e32 v11, v11, v12
	v_cndmask_b32_e64 v13, 1.0, v13, s0
	v_cmp_lt_i32_e64 s0, 5, v9
	v_add_f32_e32 v12, 0x40c00000, v10
	v_mul_f32_e32 v11, v13, v11
	v_cndmask_b32_e64 v14, 1.0, v14, s0
	v_cmp_lt_i32_e64 s0, 6, v9
	v_fmaak_f32 v13, s1, v10, 0x3af135b4
	v_mul_f32_e32 v11, v14, v11
	v_cndmask_b32_e64 v9, 1.0, v12, s0
	s_mov_b32 s0, 0x36f5d7bd
	v_mul_f32_e32 v9, v9, v11
	v_fmaak_f32 v11, s0, v10, 0x3a4beed6
	v_cmp_gt_f32_e64 s0, 0x800000, v9
	v_fmaak_f32 v11, v10, v11, 0x3c98bf54
	v_cndmask_b32_e64 v12, 0, 32, s0
	v_fmaak_f32 v11, v10, v11, 0x3e300f6e
	v_ldexp_f32 v9, v9, v12
	v_fmaak_f32 v12, v10, v13, 0x3cda40e4
	v_fmaak_f32 v11, v10, v11, 0x3f38d0c5
	v_log_f32_e32 v9, v9
	v_fmaak_f32 v12, v10, v12, 0x3e15dce6
	v_fmaak_f32 v11, v10, v11, 0x3fb22d3b
	;; [unrolled: 1-line block ×3, first 2 shown]
	v_fma_f32 v11, v10, v11, 1.0
	v_mul_f32_e32 v13, 0x3f317217, v9
	v_fmaak_f32 v12, v10, v12, 0x3e5c245a
	v_rcp_f32_e32 v11, v11
	v_cmp_gt_f32_e64 s1, 0x7f800000, |v9|
	v_fma_f32 v14, 0x3f317217, v9, -v13
	v_fmaak_f32 v12, v10, v12, 0xbd9e233f
	v_fmamk_f32 v14, v9, 0x3377d1cf, v14
	v_mul_f32_e32 v12, v10, v12
	v_add_f32_e32 v13, v13, v14
	v_mul_f32_e32 v11, v12, v11
	v_cndmask_b32_e64 v12, 0, 0x41b17218, s0
	v_cndmask_b32_e64 v9, v9, v13, s1
	v_fmac_f32_e32 v11, 0.5, v10
	v_sub_f32_e32 v9, v9, v12
	v_add_f32_e32 v9, v9, v11
.LBB151_139:
	s_or_b32 exec_lo, exec_lo, s7
.LBB151_140:
	s_andn2_saveexec_b32 s6, s6
	s_cbranch_execz .LBB151_158
; %bb.141:
                                        ; implicit-def: $vgpr9
                                        ; implicit-def: $vgpr11
                                        ; implicit-def: $vgpr10
	s_mov_b32 s1, exec_lo
	v_cmpx_ge_f32_e64 0x3f666666, |v5|
	s_xor_b32 s7, exec_lo, s1
	s_cbranch_execz .LBB151_143
; %bb.142:
	v_cmp_gt_f32_e64 s1, 0x800000, |v5|
	v_sub_f32_e64 v12, 1.0, |v5|
	v_cmp_gt_f32_e64 s0, 0x3f3b4a23, |v5|
	v_cndmask_b32_e64 v9, 0, 32, s1
	v_cndmask_b32_e64 v13, 0, 0x41b17218, s1
	v_ldexp_f32 v9, |v5|, v9
	v_log_f32_e32 v9, v9
	v_mul_f32_e32 v10, 0x3f317217, v9
	v_cmp_gt_f32_e64 s1, 0x7f800000, |v9|
	v_fma_f32 v11, 0x3f317217, v9, -v10
	v_fmamk_f32 v11, v9, 0x3377d1cf, v11
	v_add_f32_e32 v10, v10, v11
	v_add_f32_e64 v11, 0xbeec5b0c, |v5|
	v_cndmask_b32_e64 v9, v9, v10, s1
	v_cndmask_b32_e64 v10, v12, v11, s0
	;; [unrolled: 1-line block ×3, first 2 shown]
	v_cmp_gt_f32_e64 s0, 0x3e6d3309, |v5|
	v_sub_f32_e32 v9, v9, v13
	v_cndmask_b32_e64 v10, v10, |v5|, s0
	v_cndmask_b32_e64 v11, v11, 2, s0
	v_xor_b32_e32 v9, 0x80000000, v9
.LBB151_143:
	s_andn2_saveexec_b32 s1, s7
	s_cbranch_execz .LBB151_145
; %bb.144:
	v_sub_f32_e64 v9, 2.0, |v5|
	v_add_f32_e64 v10, 0xbfbb16c3, |v5|
	v_cmp_gt_f32_e64 s0, 0x3fdda512, |v5|
	v_add_f32_e64 v11, |v5|, -1.0
	v_cndmask_b32_e64 v10, v9, v10, s0
	v_cndmask_b32_e64 v9, v9, 1.0, s0
	v_cmp_gt_f32_e64 s0, 0x3f9d70a4, |v5|
	v_cvt_i32_f32_e32 v9, v9
	v_cndmask_b32_e64 v10, v10, v11, s0
	v_cndmask_b32_e64 v11, v9, 2, s0
	v_mov_b32_e32 v9, 0
.LBB151_145:
	s_or_b32 exec_lo, exec_lo, s1
	s_mov_b32 s1, exec_lo
	v_cmpx_lt_i32_e32 0, v11
	s_xor_b32 s1, exec_lo, s1
	s_cbranch_execz .LBB151_153
; %bb.146:
	s_mov_b32 s7, exec_lo
	v_cmpx_lt_i32_e32 1, v11
	s_xor_b32 s7, exec_lo, s7
	s_cbranch_execz .LBB151_150
; %bb.147:
	s_mov_b32 s10, exec_lo
	v_cmpx_eq_u32_e32 2, v11
	s_cbranch_execz .LBB151_149
; %bb.148:
	s_mov_b32 s0, 0x3b52d5db
	v_fmaak_f32 v11, s0, v10, 0x3dd572af
	s_mov_b32 s0, 0x3c5b3c5e
	v_fmaak_f32 v12, s0, v10, 0x3e6a7578
	v_fmaak_f32 v11, v10, v11, 0x3f44efdf
	;; [unrolled: 1-line block ×7, first 2 shown]
	v_fma_f32 v11, v10, v11, 1.0
	v_fmaak_f32 v12, v10, v12, 0xbd9e233f
	v_rcp_f32_e32 v11, v11
	v_mul_f32_e32 v12, v10, v12
	v_mul_f32_e32 v11, v12, v11
	v_fmac_f32_e32 v11, -0.5, v10
	v_add_f32_e32 v9, v9, v11
.LBB151_149:
	s_or_b32 exec_lo, exec_lo, s10
                                        ; implicit-def: $vgpr10
.LBB151_150:
	s_andn2_saveexec_b32 s0, s7
	s_cbranch_execz .LBB151_152
; %bb.151:
	v_mul_f32_e32 v11, v10, v10
	s_mov_b32 s7, 0xb9a3f927
	s_mov_b32 s10, 0x39afe9f7
	v_mul_f32_e32 v12, v10, v11
	v_fmaak_f32 v13, s7, v12, 0x3a66f867
	v_fmaak_f32 v14, s10, v12, 0xba0d3085
	s_mov_b32 s7, 0x39a57b6b
	v_fmaak_f32 v15, s7, v12, 0xbab7f476
	v_fmaak_f32 v13, v12, v13, 0xbb7177fe
	;; [unrolled: 1-line block ×9, first 2 shown]
	v_fmac_f32_e32 v13, v10, v14
	v_fmaak_f32 v10, v12, v15, 0x3ef7b95e
	v_fma_f32 v12, v12, -v13, 0xa2863e55
	v_fma_f32 v10, v11, v10, -v12
	v_add_f32_e32 v10, 0xbdf8cdce, v10
	v_add_f32_e32 v9, v9, v10
.LBB151_152:
	s_or_b32 exec_lo, exec_lo, s0
                                        ; implicit-def: $vgpr11
                                        ; implicit-def: $vgpr10
.LBB151_153:
	s_andn2_saveexec_b32 s1, s1
	s_cbranch_execz .LBB151_157
; %bb.154:
	s_mov_b32 s7, exec_lo
	v_cmpx_eq_u32_e32 0, v11
	s_cbranch_execz .LBB151_156
; %bb.155:
	v_mul_f32_e32 v11, v10, v10
	s_mov_b32 s0, 0x383c2c75
	v_fmaak_f32 v12, s0, v11, 0x38e28445
	s_mov_b32 s0, 0x37d383a2
	v_fmaak_f32 v13, s0, v11, 0x39679767
	v_fmaak_f32 v12, v11, v12, 0x3a05b634
	;; [unrolled: 1-line block ×9, first 2 shown]
	v_mul_f32_e32 v11, v11, v12
	v_fmac_f32_e32 v11, v10, v13
	v_fmac_f32_e32 v11, -0.5, v10
	v_add_f32_e32 v9, v9, v11
.LBB151_156:
	s_or_b32 exec_lo, exec_lo, s7
.LBB151_157:
	s_or_b32 exec_lo, exec_lo, s1
.LBB151_158:
	s_or_b32 exec_lo, exec_lo, s6
.LBB151_159:
	s_andn2_saveexec_b32 s1, s2
	s_cbranch_execz .LBB151_161
; %bb.160:
	v_cmp_gt_f32_e64 s2, 0x800000, |v5|
	s_mov_b32 s0, 0x3e8a8991
	v_fma_f32 v12, |v5|, s0, 0xbecd26ab
	v_cndmask_b32_e64 v9, 0, 32, s2
	v_ldexp_f32 v9, |v5|, v9
	v_log_f32_e32 v9, v9
	v_mul_f32_e32 v10, 0x3f317217, v9
	v_cmp_gt_f32_e64 s0, 0x7f800000, |v9|
	v_fma_f32 v11, 0x3f317217, v9, -v10
	v_fmamk_f32 v11, v9, 0x3377d1cf, v11
	v_add_f32_e32 v10, v10, v11
	v_fma_f32 v11, |v5|, v12, 0x3f528d33
	v_cndmask_b32_e64 v9, v9, v10, s0
	v_cndmask_b32_e64 v10, 0, 0x41b17218, s2
	v_fma_f32 v11, |v5|, v11, 0xbf13c468
	v_sub_f32_e32 v9, v9, v10
	v_fma_f32 v9, |v5|, v11, -v9
.LBB151_161:
	s_or_b32 exec_lo, exec_lo, s1
	v_cmp_le_f16_e64 s0, 0, v2
	s_mov_b32 s2, exec_lo
	v_cmpx_nle_f16_e32 0, v2
	s_xor_b32 s6, exec_lo, s2
	s_cbranch_execz .LBB151_165
; %bb.162:
	v_cmp_gt_f32_e64 s1, 0x4b000000, |v5|
	v_cmp_lt_f32_e64 s2, 0x35000000, |v5|
	s_and_b32 s1, s1, s2
	s_and_saveexec_b32 s7, s1
	s_cbranch_execz .LBB151_164
; %bb.163:
	v_mul_f32_e64 v10, |v5|, 0.5
	s_mov_b32 s2, 0x3d4be544
	v_xor_b32_e32 v8, v8, v5
	v_floor_f32_e32 v11, v10
	v_cmp_neq_f32_e64 s1, 0x7f800000, v10
	v_sub_f32_e32 v11, v10, v11
	v_min_f32_e32 v11, 0x3f7fffff, v11
	v_add_f32_e32 v11, v11, v11
	v_cndmask_b32_e64 v10, 0, v11, s1
	v_cmp_gt_f32_e64 s1, |v5|, 1.0
	v_cndmask_b32_e64 v10, |v5|, v10, s1
	s_mov_b32 s1, 0x3e75aa41
	v_add_f32_e32 v11, v10, v10
	v_rndne_f32_e32 v11, v11
	v_fmac_f32_e32 v10, -0.5, v11
	v_cvt_i32_f32_e32 v11, v11
	v_mul_f32_e32 v12, v10, v10
	v_fmaak_f32 v13, s1, v12, 0xbf1f24be
	v_fmaak_f32 v14, s2, v12, 0x3e642e9d
	v_mul_f32_e32 v15, v10, v12
	v_fmaak_f32 v13, v12, v13, 0x40234736
	v_fmaak_f32 v14, v12, v14, 0xbfaad1da
	;; [unrolled: 1-line block ×4, first 2 shown]
	v_mul_f32_e32 v13, v15, v13
	v_fmaak_f32 v14, v12, v14, 0xc09de9e6
	v_and_b32_e32 v15, 1, v11
	v_lshlrev_b32_e32 v11, 30, v11
	v_fmamk_f32 v10, v10, 0x40490fdb, v13
	v_fma_f32 v12, v12, v14, 1.0
	v_cmp_eq_u32_e64 s1, 0, v15
	v_and_b32_e32 v11, 0x80000000, v11
	v_cndmask_b32_e64 v10, v12, v10, s1
	v_xor3_b32 v8, v8, v11, v10
	v_mul_f32_e32 v8, v5, v8
	v_frexp_mant_f32_e64 v10, |v8|
	v_frexp_exp_i32_f32_e32 v8, v8
	v_rcp_f32_e32 v10, v10
	v_sub_nc_u32_e32 v8, 2, v8
	v_mul_f32_e32 v10, 0x3f490fdb, v10
	v_ldexp_f32 v8, v10, v8
	v_cmp_gt_f32_e64 s1, 0x800000, v8
	v_cndmask_b32_e64 v10, 0, 32, s1
	v_ldexp_f32 v8, v8, v10
	v_log_f32_e32 v8, v8
	v_mul_f32_e32 v10, 0x3f317217, v8
	v_cmp_gt_f32_e64 s2, 0x7f800000, |v8|
	v_fma_f32 v11, 0x3f317217, v8, -v10
	v_fmamk_f32 v11, v8, 0x3377d1cf, v11
	v_add_f32_e32 v10, v10, v11
	v_floor_f32_e32 v11, v5
	v_cndmask_b32_e64 v8, v8, v10, s2
	v_cndmask_b32_e64 v10, 0, 0x41b17218, s1
	v_sub_f32_e32 v11, v5, v11
	v_sub_f32_e32 v8, v8, v10
	v_min_f32_e32 v10, 0x3f7fffff, v11
	v_sub_f32_e32 v8, v8, v9
	v_cmp_neq_f32_e64 s1, 0, v10
	v_cndmask_b32_e64 v9, 0x7f800000, v8, s1
.LBB151_164:
	s_or_b32 exec_lo, exec_lo, s7
.LBB151_165:
	s_andn2_saveexec_b32 s6, s6
; %bb.166:
	v_cmp_eq_f16_e64 s1, 1.0, v2
	v_cmp_eq_f16_e64 s2, 2.0, v2
	s_or_b32 s1, s1, s2
	v_cndmask_b32_e64 v9, v9, 0, s1
; %bb.167:
	s_or_b32 exec_lo, exec_lo, s6
	v_cmp_gt_f32_e64 s1, 0x4b000000, |v5|
	v_cvt_f16_f32_e32 v8, v9
	s_or_b32 s0, s0, s1
	v_cndmask_b32_e64 v8, 0x7c00, v8, s0
	v_cmp_class_f32_e64 s0, v5, 0x264
	v_cndmask_b32_e64 v5, v8, 0x7c00, s0
	v_cmp_u_f16_e64 s0, v2, v2
	v_cndmask_b32_e64 v5, v5, v2, s0
	s_or_b32 exec_lo, exec_lo, s5
	s_and_saveexec_b32 s0, vcc_lo
	s_xor_b32 s0, exec_lo, s0
	s_cbranch_execnz .LBB151_173
.LBB151_168:
	s_or_b32 exec_lo, exec_lo, s0
	s_mov_b32 s0, exec_lo
	v_cmpx_gt_i32_e64 s4, v0
	s_cbranch_execz .LBB151_174
.LBB151_169:
	v_add_nc_u32_e32 v1, s3, v0
	v_mov_b32_e32 v2, 0
	v_add_nc_u32_e32 v0, 0x100, v0
	v_lshlrev_b64 v[1:2], 1, v[1:2]
	v_add_co_u32 v1, vcc_lo, s8, v1
	v_add_co_ci_u32_e64 v2, null, s9, v2, vcc_lo
	global_store_short v[1:2], v7, off
	s_or_b32 exec_lo, exec_lo, s0
	s_mov_b32 s0, exec_lo
	v_cmpx_gt_i32_e64 s4, v0
	s_cbranch_execnz .LBB151_175
.LBB151_170:
	s_or_b32 exec_lo, exec_lo, s0
	s_mov_b32 s0, exec_lo
	v_cmpx_gt_i32_e64 s4, v0
	s_cbranch_execz .LBB151_176
.LBB151_171:
	v_add_nc_u32_e32 v0, s3, v0
	v_mov_b32_e32 v1, 0
	v_lshlrev_b64 v[0:1], 1, v[0:1]
	v_add_co_u32 v0, vcc_lo, s8, v0
	v_add_co_ci_u32_e64 v1, null, s9, v1, vcc_lo
	global_store_short v[0:1], v5, off
	s_endpgm
.LBB151_172:
	s_or_b32 exec_lo, exec_lo, s5
	s_and_saveexec_b32 s0, vcc_lo
	s_xor_b32 s0, exec_lo, s0
	s_cbranch_execz .LBB151_168
.LBB151_173:
	v_mov_b32_e32 v2, 0
	v_lshlrev_b64 v[0:1], 1, v[1:2]
	v_add_co_u32 v8, vcc_lo, s8, v0
	v_add_co_ci_u32_e64 v9, null, s9, v1, vcc_lo
	v_mov_b32_e32 v0, v3
	global_store_short v[8:9], v4, off
	s_or_b32 exec_lo, exec_lo, s0
	s_mov_b32 s0, exec_lo
	v_cmpx_gt_i32_e64 s4, v0
	s_cbranch_execnz .LBB151_169
.LBB151_174:
	s_or_b32 exec_lo, exec_lo, s0
	s_mov_b32 s0, exec_lo
	v_cmpx_gt_i32_e64 s4, v0
	s_cbranch_execz .LBB151_170
.LBB151_175:
	v_add_nc_u32_e32 v1, s3, v0
	v_mov_b32_e32 v2, 0
	v_add_nc_u32_e32 v0, 0x100, v0
	v_lshlrev_b64 v[1:2], 1, v[1:2]
	v_add_co_u32 v1, vcc_lo, s8, v1
	v_add_co_ci_u32_e64 v2, null, s9, v2, vcc_lo
	global_store_short v[1:2], v6, off
	s_or_b32 exec_lo, exec_lo, s0
	s_mov_b32 s0, exec_lo
	v_cmpx_gt_i32_e64 s4, v0
	s_cbranch_execnz .LBB151_171
.LBB151_176:
	s_endpgm
	.section	.rodata,"a",@progbits
	.p2align	6, 0x0
	.amdhsa_kernel _ZN2at6native27unrolled_elementwise_kernelIZZZNS0_18lgamma_kernel_cudaERNS_18TensorIteratorBaseEENKUlvE_clEvENKUlvE1_clEvEUlN3c104HalfEE_St5arrayIPcLm2EELi4E23TrivialOffsetCalculatorILi1EjESD_NS0_6memory15LoadWithoutCastENSE_16StoreWithoutCastEEEviT_T0_T2_T3_T4_T5_
		.amdhsa_group_segment_fixed_size 0
		.amdhsa_private_segment_fixed_size 0
		.amdhsa_kernarg_size 28
		.amdhsa_user_sgpr_count 6
		.amdhsa_user_sgpr_private_segment_buffer 1
		.amdhsa_user_sgpr_dispatch_ptr 0
		.amdhsa_user_sgpr_queue_ptr 0
		.amdhsa_user_sgpr_kernarg_segment_ptr 1
		.amdhsa_user_sgpr_dispatch_id 0
		.amdhsa_user_sgpr_flat_scratch_init 0
		.amdhsa_user_sgpr_private_segment_size 0
		.amdhsa_wavefront_size32 1
		.amdhsa_uses_dynamic_stack 0
		.amdhsa_system_sgpr_private_segment_wavefront_offset 0
		.amdhsa_system_sgpr_workgroup_id_x 1
		.amdhsa_system_sgpr_workgroup_id_y 0
		.amdhsa_system_sgpr_workgroup_id_z 0
		.amdhsa_system_sgpr_workgroup_info 0
		.amdhsa_system_vgpr_workitem_id 0
		.amdhsa_next_free_vgpr 16
		.amdhsa_next_free_sgpr 12
		.amdhsa_reserve_vcc 1
		.amdhsa_reserve_flat_scratch 0
		.amdhsa_float_round_mode_32 0
		.amdhsa_float_round_mode_16_64 0
		.amdhsa_float_denorm_mode_32 3
		.amdhsa_float_denorm_mode_16_64 3
		.amdhsa_dx10_clamp 1
		.amdhsa_ieee_mode 1
		.amdhsa_fp16_overflow 0
		.amdhsa_workgroup_processor_mode 1
		.amdhsa_memory_ordered 1
		.amdhsa_forward_progress 1
		.amdhsa_shared_vgpr_count 0
		.amdhsa_exception_fp_ieee_invalid_op 0
		.amdhsa_exception_fp_denorm_src 0
		.amdhsa_exception_fp_ieee_div_zero 0
		.amdhsa_exception_fp_ieee_overflow 0
		.amdhsa_exception_fp_ieee_underflow 0
		.amdhsa_exception_fp_ieee_inexact 0
		.amdhsa_exception_int_div_zero 0
	.end_amdhsa_kernel
	.section	.text._ZN2at6native27unrolled_elementwise_kernelIZZZNS0_18lgamma_kernel_cudaERNS_18TensorIteratorBaseEENKUlvE_clEvENKUlvE1_clEvEUlN3c104HalfEE_St5arrayIPcLm2EELi4E23TrivialOffsetCalculatorILi1EjESD_NS0_6memory15LoadWithoutCastENSE_16StoreWithoutCastEEEviT_T0_T2_T3_T4_T5_,"axG",@progbits,_ZN2at6native27unrolled_elementwise_kernelIZZZNS0_18lgamma_kernel_cudaERNS_18TensorIteratorBaseEENKUlvE_clEvENKUlvE1_clEvEUlN3c104HalfEE_St5arrayIPcLm2EELi4E23TrivialOffsetCalculatorILi1EjESD_NS0_6memory15LoadWithoutCastENSE_16StoreWithoutCastEEEviT_T0_T2_T3_T4_T5_,comdat
.Lfunc_end151:
	.size	_ZN2at6native27unrolled_elementwise_kernelIZZZNS0_18lgamma_kernel_cudaERNS_18TensorIteratorBaseEENKUlvE_clEvENKUlvE1_clEvEUlN3c104HalfEE_St5arrayIPcLm2EELi4E23TrivialOffsetCalculatorILi1EjESD_NS0_6memory15LoadWithoutCastENSE_16StoreWithoutCastEEEviT_T0_T2_T3_T4_T5_, .Lfunc_end151-_ZN2at6native27unrolled_elementwise_kernelIZZZNS0_18lgamma_kernel_cudaERNS_18TensorIteratorBaseEENKUlvE_clEvENKUlvE1_clEvEUlN3c104HalfEE_St5arrayIPcLm2EELi4E23TrivialOffsetCalculatorILi1EjESD_NS0_6memory15LoadWithoutCastENSE_16StoreWithoutCastEEEviT_T0_T2_T3_T4_T5_
                                        ; -- End function
	.set _ZN2at6native27unrolled_elementwise_kernelIZZZNS0_18lgamma_kernel_cudaERNS_18TensorIteratorBaseEENKUlvE_clEvENKUlvE1_clEvEUlN3c104HalfEE_St5arrayIPcLm2EELi4E23TrivialOffsetCalculatorILi1EjESD_NS0_6memory15LoadWithoutCastENSE_16StoreWithoutCastEEEviT_T0_T2_T3_T4_T5_.num_vgpr, 16
	.set _ZN2at6native27unrolled_elementwise_kernelIZZZNS0_18lgamma_kernel_cudaERNS_18TensorIteratorBaseEENKUlvE_clEvENKUlvE1_clEvEUlN3c104HalfEE_St5arrayIPcLm2EELi4E23TrivialOffsetCalculatorILi1EjESD_NS0_6memory15LoadWithoutCastENSE_16StoreWithoutCastEEEviT_T0_T2_T3_T4_T5_.num_agpr, 0
	.set _ZN2at6native27unrolled_elementwise_kernelIZZZNS0_18lgamma_kernel_cudaERNS_18TensorIteratorBaseEENKUlvE_clEvENKUlvE1_clEvEUlN3c104HalfEE_St5arrayIPcLm2EELi4E23TrivialOffsetCalculatorILi1EjESD_NS0_6memory15LoadWithoutCastENSE_16StoreWithoutCastEEEviT_T0_T2_T3_T4_T5_.numbered_sgpr, 12
	.set _ZN2at6native27unrolled_elementwise_kernelIZZZNS0_18lgamma_kernel_cudaERNS_18TensorIteratorBaseEENKUlvE_clEvENKUlvE1_clEvEUlN3c104HalfEE_St5arrayIPcLm2EELi4E23TrivialOffsetCalculatorILi1EjESD_NS0_6memory15LoadWithoutCastENSE_16StoreWithoutCastEEEviT_T0_T2_T3_T4_T5_.num_named_barrier, 0
	.set _ZN2at6native27unrolled_elementwise_kernelIZZZNS0_18lgamma_kernel_cudaERNS_18TensorIteratorBaseEENKUlvE_clEvENKUlvE1_clEvEUlN3c104HalfEE_St5arrayIPcLm2EELi4E23TrivialOffsetCalculatorILi1EjESD_NS0_6memory15LoadWithoutCastENSE_16StoreWithoutCastEEEviT_T0_T2_T3_T4_T5_.private_seg_size, 0
	.set _ZN2at6native27unrolled_elementwise_kernelIZZZNS0_18lgamma_kernel_cudaERNS_18TensorIteratorBaseEENKUlvE_clEvENKUlvE1_clEvEUlN3c104HalfEE_St5arrayIPcLm2EELi4E23TrivialOffsetCalculatorILi1EjESD_NS0_6memory15LoadWithoutCastENSE_16StoreWithoutCastEEEviT_T0_T2_T3_T4_T5_.uses_vcc, 1
	.set _ZN2at6native27unrolled_elementwise_kernelIZZZNS0_18lgamma_kernel_cudaERNS_18TensorIteratorBaseEENKUlvE_clEvENKUlvE1_clEvEUlN3c104HalfEE_St5arrayIPcLm2EELi4E23TrivialOffsetCalculatorILi1EjESD_NS0_6memory15LoadWithoutCastENSE_16StoreWithoutCastEEEviT_T0_T2_T3_T4_T5_.uses_flat_scratch, 0
	.set _ZN2at6native27unrolled_elementwise_kernelIZZZNS0_18lgamma_kernel_cudaERNS_18TensorIteratorBaseEENKUlvE_clEvENKUlvE1_clEvEUlN3c104HalfEE_St5arrayIPcLm2EELi4E23TrivialOffsetCalculatorILi1EjESD_NS0_6memory15LoadWithoutCastENSE_16StoreWithoutCastEEEviT_T0_T2_T3_T4_T5_.has_dyn_sized_stack, 0
	.set _ZN2at6native27unrolled_elementwise_kernelIZZZNS0_18lgamma_kernel_cudaERNS_18TensorIteratorBaseEENKUlvE_clEvENKUlvE1_clEvEUlN3c104HalfEE_St5arrayIPcLm2EELi4E23TrivialOffsetCalculatorILi1EjESD_NS0_6memory15LoadWithoutCastENSE_16StoreWithoutCastEEEviT_T0_T2_T3_T4_T5_.has_recursion, 0
	.set _ZN2at6native27unrolled_elementwise_kernelIZZZNS0_18lgamma_kernel_cudaERNS_18TensorIteratorBaseEENKUlvE_clEvENKUlvE1_clEvEUlN3c104HalfEE_St5arrayIPcLm2EELi4E23TrivialOffsetCalculatorILi1EjESD_NS0_6memory15LoadWithoutCastENSE_16StoreWithoutCastEEEviT_T0_T2_T3_T4_T5_.has_indirect_call, 0
	.section	.AMDGPU.csdata,"",@progbits
; Kernel info:
; codeLenInByte = 10184
; TotalNumSgprs: 14
; NumVgprs: 16
; ScratchSize: 0
; MemoryBound: 0
; FloatMode: 240
; IeeeMode: 1
; LDSByteSize: 0 bytes/workgroup (compile time only)
; SGPRBlocks: 0
; VGPRBlocks: 1
; NumSGPRsForWavesPerEU: 14
; NumVGPRsForWavesPerEU: 16
; Occupancy: 16
; WaveLimiterHint : 0
; COMPUTE_PGM_RSRC2:SCRATCH_EN: 0
; COMPUTE_PGM_RSRC2:USER_SGPR: 6
; COMPUTE_PGM_RSRC2:TRAP_HANDLER: 0
; COMPUTE_PGM_RSRC2:TGID_X_EN: 1
; COMPUTE_PGM_RSRC2:TGID_Y_EN: 0
; COMPUTE_PGM_RSRC2:TGID_Z_EN: 0
; COMPUTE_PGM_RSRC2:TIDIG_COMP_CNT: 0
	.section	.text._ZN2at6native32elementwise_kernel_manual_unrollILi128ELi8EZNS0_22gpu_kernel_impl_nocastIZZZNS0_18lgamma_kernel_cudaERNS_18TensorIteratorBaseEENKUlvE_clEvENKUlvE1_clEvEUlN3c104HalfEE_EEvS4_RKT_EUlibE_EEviT1_,"axG",@progbits,_ZN2at6native32elementwise_kernel_manual_unrollILi128ELi8EZNS0_22gpu_kernel_impl_nocastIZZZNS0_18lgamma_kernel_cudaERNS_18TensorIteratorBaseEENKUlvE_clEvENKUlvE1_clEvEUlN3c104HalfEE_EEvS4_RKT_EUlibE_EEviT1_,comdat
	.globl	_ZN2at6native32elementwise_kernel_manual_unrollILi128ELi8EZNS0_22gpu_kernel_impl_nocastIZZZNS0_18lgamma_kernel_cudaERNS_18TensorIteratorBaseEENKUlvE_clEvENKUlvE1_clEvEUlN3c104HalfEE_EEvS4_RKT_EUlibE_EEviT1_ ; -- Begin function _ZN2at6native32elementwise_kernel_manual_unrollILi128ELi8EZNS0_22gpu_kernel_impl_nocastIZZZNS0_18lgamma_kernel_cudaERNS_18TensorIteratorBaseEENKUlvE_clEvENKUlvE1_clEvEUlN3c104HalfEE_EEvS4_RKT_EUlibE_EEviT1_
	.p2align	8
	.type	_ZN2at6native32elementwise_kernel_manual_unrollILi128ELi8EZNS0_22gpu_kernel_impl_nocastIZZZNS0_18lgamma_kernel_cudaERNS_18TensorIteratorBaseEENKUlvE_clEvENKUlvE1_clEvEUlN3c104HalfEE_EEvS4_RKT_EUlibE_EEviT1_,@function
_ZN2at6native32elementwise_kernel_manual_unrollILi128ELi8EZNS0_22gpu_kernel_impl_nocastIZZZNS0_18lgamma_kernel_cudaERNS_18TensorIteratorBaseEENKUlvE_clEvENKUlvE1_clEvEUlN3c104HalfEE_EEvS4_RKT_EUlibE_EEviT1_: ; @_ZN2at6native32elementwise_kernel_manual_unrollILi128ELi8EZNS0_22gpu_kernel_impl_nocastIZZZNS0_18lgamma_kernel_cudaERNS_18TensorIteratorBaseEENKUlvE_clEvENKUlvE1_clEvEUlN3c104HalfEE_EEvS4_RKT_EUlibE_EEviT1_
; %bb.0:
	s_clause 0x1
	s_load_dword s22, s[4:5], 0x8
	s_load_dword s27, s[4:5], 0x0
	v_lshl_or_b32 v7, s6, 10, v0
	s_add_u32 s2, s4, 8
	s_addc_u32 s3, s5, 0
	s_mov_b32 s0, exec_lo
	v_or_b32_e32 v25, 0x380, v7
	s_waitcnt lgkmcnt(0)
	s_add_i32 s23, s22, -1
	s_cmp_gt_u32 s23, 1
	s_cselect_b32 s24, -1, 0
	v_cmpx_le_i32_e64 s27, v25
	s_xor_b32 s25, exec_lo, s0
	s_cbranch_execz .LBB152_7
; %bb.1:
	s_clause 0x3
	s_load_dwordx4 s[12:15], s[2:3], 0x4
	s_load_dwordx2 s[16:17], s[2:3], 0x14
	s_load_dwordx4 s[8:11], s[2:3], 0xc4
	s_load_dwordx4 s[4:7], s[2:3], 0x148
	s_cmp_lg_u32 s22, 0
	s_mov_b32 s30, exec_lo
	s_cselect_b32 s29, -1, 0
	s_add_u32 s18, s2, 0xc4
	s_addc_u32 s19, s3, 0
	s_min_u32 s28, s23, 15
	s_cmp_gt_u32 s22, 1
	s_cselect_b32 s26, -1, 0
	v_cmpx_gt_i32_e64 s27, v7
	s_cbranch_execz .LBB152_14
; %bb.2:
	s_andn2_b32 vcc_lo, exec_lo, s24
	s_cbranch_vccnz .LBB152_21
; %bb.3:
	s_andn2_b32 vcc_lo, exec_lo, s29
	s_cbranch_vccnz .LBB152_433
; %bb.4:
	s_add_i32 s33, s28, 1
	s_cmp_eq_u32 s23, 2
	s_cbranch_scc1 .LBB152_435
; %bb.5:
	v_mov_b32_e32 v2, 0
	v_mov_b32_e32 v0, 0
	;; [unrolled: 1-line block ×3, first 2 shown]
	s_and_b32 s31, s33, 28
	s_mov_b32 s34, 0
	s_mov_b64 s[0:1], s[2:3]
	s_mov_b64 s[20:21], s[18:19]
.LBB152_6:                              ; =>This Inner Loop Header: Depth=1
	s_clause 0x1
	s_load_dwordx8 s[36:43], s[0:1], 0x4
	s_load_dwordx4 s[52:55], s[0:1], 0x24
	s_load_dwordx8 s[44:51], s[20:21], 0x0
	s_add_u32 s0, s0, 48
	s_addc_u32 s1, s1, 0
	s_add_i32 s34, s34, 4
	s_add_u32 s20, s20, 32
	s_addc_u32 s21, s21, 0
	s_cmp_lg_u32 s31, s34
	s_waitcnt lgkmcnt(0)
	v_mul_hi_u32 v3, s37, v1
	v_add_nc_u32_e32 v3, v1, v3
	v_lshrrev_b32_e32 v3, s38, v3
	v_mul_hi_u32 v4, s40, v3
	v_mul_lo_u32 v6, v3, s36
	v_add_nc_u32_e32 v4, v3, v4
	v_sub_nc_u32_e32 v1, v1, v6
	v_lshrrev_b32_e32 v4, s41, v4
	v_mul_lo_u32 v6, v1, s44
	v_mul_lo_u32 v9, v1, s45
	v_mul_hi_u32 v5, s43, v4
	v_add_nc_u32_e32 v5, v4, v5
	v_lshrrev_b32_e32 v5, s52, v5
	v_mul_hi_u32 v8, s54, v5
	v_mul_lo_u32 v10, v5, s42
	v_add_nc_u32_e32 v1, v5, v8
	v_mul_lo_u32 v8, v4, s39
	v_sub_nc_u32_e32 v4, v4, v10
	v_lshrrev_b32_e32 v1, s55, v1
	v_mul_lo_u32 v10, v4, s48
	v_mul_lo_u32 v4, v4, s49
	v_sub_nc_u32_e32 v3, v3, v8
	v_mul_lo_u32 v11, v1, s53
	v_mul_lo_u32 v8, v3, s46
	;; [unrolled: 1-line block ×3, first 2 shown]
	v_sub_nc_u32_e32 v5, v5, v11
	v_add3_u32 v0, v6, v0, v8
	v_mul_lo_u32 v11, v5, s50
	v_mul_lo_u32 v5, v5, s51
	v_add3_u32 v2, v9, v2, v3
	v_add3_u32 v0, v10, v0, v11
	;; [unrolled: 1-line block ×3, first 2 shown]
	s_cbranch_scc1 .LBB152_6
	s_branch .LBB152_436
.LBB152_7:
	s_andn2_saveexec_b32 s0, s25
	s_cbranch_execz .LBB152_753
.LBB152_8:
	v_cndmask_b32_e64 v8, 0, 1, s24
	s_andn2_b32 vcc_lo, exec_lo, s24
	s_cbranch_vccnz .LBB152_20
; %bb.9:
	s_cmp_lg_u32 s22, 0
	s_waitcnt lgkmcnt(0)
	s_mov_b32 s6, 0
	s_cbranch_scc0 .LBB152_23
; %bb.10:
	s_min_u32 s8, s23, 15
	s_add_i32 s8, s8, 1
	s_cmp_eq_u32 s23, 2
	s_cbranch_scc1 .LBB152_24
; %bb.11:
	v_mov_b32_e32 v23, 0
	v_mov_b32_e32 v0, 0
	;; [unrolled: 1-line block ×3, first 2 shown]
	s_and_b32 s7, s8, 28
	s_add_u32 s0, s2, 0xc4
	s_addc_u32 s1, s3, 0
	s_mov_b32 s9, 0
	s_mov_b64 s[4:5], s[2:3]
.LBB152_12:                             ; =>This Inner Loop Header: Depth=1
	s_clause 0x1
	s_load_dwordx8 s[12:19], s[4:5], 0x4
	s_load_dwordx4 s[36:39], s[4:5], 0x24
	s_load_dwordx8 s[24:31], s[0:1], 0x0
	s_add_u32 s4, s4, 48
	s_addc_u32 s5, s5, 0
	s_add_i32 s9, s9, 4
	s_add_u32 s0, s0, 32
	s_addc_u32 s1, s1, 0
	s_cmp_lg_u32 s7, s9
	s_waitcnt lgkmcnt(0)
	v_mul_hi_u32 v2, s13, v1
	v_add_nc_u32_e32 v2, v1, v2
	v_lshrrev_b32_e32 v2, s14, v2
	v_mul_hi_u32 v3, s16, v2
	v_mul_lo_u32 v5, v2, s12
	v_add_nc_u32_e32 v3, v2, v3
	v_sub_nc_u32_e32 v1, v1, v5
	v_lshrrev_b32_e32 v3, s17, v3
	v_mul_lo_u32 v5, v1, s24
	v_mul_lo_u32 v9, v1, s25
	v_mul_hi_u32 v4, s19, v3
	v_add_nc_u32_e32 v4, v3, v4
	v_lshrrev_b32_e32 v4, s36, v4
	v_mul_hi_u32 v6, s38, v4
	v_mul_lo_u32 v10, v4, s18
	v_add_nc_u32_e32 v1, v4, v6
	v_mul_lo_u32 v6, v3, s15
	v_sub_nc_u32_e32 v3, v3, v10
	v_lshrrev_b32_e32 v1, s39, v1
	v_mul_lo_u32 v10, v3, s28
	v_mul_lo_u32 v3, v3, s29
	v_sub_nc_u32_e32 v2, v2, v6
	v_mul_lo_u32 v11, v1, s37
	v_mul_lo_u32 v6, v2, s26
	;; [unrolled: 1-line block ×3, first 2 shown]
	v_sub_nc_u32_e32 v4, v4, v11
	v_add3_u32 v0, v5, v0, v6
	v_mul_lo_u32 v11, v4, s30
	v_mul_lo_u32 v4, v4, s31
	v_add3_u32 v2, v9, v23, v2
	v_add3_u32 v0, v10, v0, v11
	;; [unrolled: 1-line block ×3, first 2 shown]
	s_cbranch_scc1 .LBB152_12
; %bb.13:
	s_and_b32 s8, s8, 3
	s_cmp_eq_u32 s8, 0
	s_cbranch_scc0 .LBB152_25
	s_branch .LBB152_27
.LBB152_14:
	s_or_b32 exec_lo, exec_lo, s30
	s_mov_b32 s30, exec_lo
	v_cmpx_gt_i32_e64 s27, v7
	s_cbranch_execz .LBB152_481
.LBB152_15:
	s_andn2_b32 vcc_lo, exec_lo, s24
	s_cbranch_vccnz .LBB152_22
; %bb.16:
	s_andn2_b32 vcc_lo, exec_lo, s29
	s_cbranch_vccnz .LBB152_434
; %bb.17:
	s_add_i32 s33, s28, 1
	s_cmp_eq_u32 s23, 2
	s_cbranch_scc1 .LBB152_489
; %bb.18:
	v_mov_b32_e32 v2, 0
	v_mov_b32_e32 v0, 0
	;; [unrolled: 1-line block ×3, first 2 shown]
	s_and_b32 s31, s33, 28
	s_mov_b32 s34, 0
	s_mov_b64 s[0:1], s[2:3]
	s_mov_b64 s[20:21], s[18:19]
.LBB152_19:                             ; =>This Inner Loop Header: Depth=1
	s_clause 0x1
	s_load_dwordx8 s[36:43], s[0:1], 0x4
	s_load_dwordx4 s[52:55], s[0:1], 0x24
	s_load_dwordx8 s[44:51], s[20:21], 0x0
	s_add_u32 s0, s0, 48
	s_addc_u32 s1, s1, 0
	s_add_i32 s34, s34, 4
	s_add_u32 s20, s20, 32
	s_addc_u32 s21, s21, 0
	s_cmp_eq_u32 s31, s34
	s_waitcnt lgkmcnt(0)
	v_mul_hi_u32 v3, s37, v1
	v_add_nc_u32_e32 v3, v1, v3
	v_lshrrev_b32_e32 v3, s38, v3
	v_mul_hi_u32 v4, s40, v3
	v_mul_lo_u32 v6, v3, s36
	v_add_nc_u32_e32 v4, v3, v4
	v_sub_nc_u32_e32 v1, v1, v6
	v_lshrrev_b32_e32 v4, s41, v4
	v_mul_lo_u32 v6, v1, s44
	v_mul_lo_u32 v9, v1, s45
	v_mul_hi_u32 v5, s43, v4
	v_add_nc_u32_e32 v5, v4, v5
	v_lshrrev_b32_e32 v5, s52, v5
	v_mul_hi_u32 v8, s54, v5
	v_mul_lo_u32 v10, v5, s42
	v_add_nc_u32_e32 v1, v5, v8
	v_mul_lo_u32 v8, v4, s39
	v_sub_nc_u32_e32 v4, v4, v10
	v_lshrrev_b32_e32 v1, s55, v1
	v_mul_lo_u32 v10, v4, s48
	v_mul_lo_u32 v4, v4, s49
	v_sub_nc_u32_e32 v3, v3, v8
	v_mul_lo_u32 v11, v1, s53
	v_mul_lo_u32 v8, v3, s46
	;; [unrolled: 1-line block ×3, first 2 shown]
	v_sub_nc_u32_e32 v5, v5, v11
	v_add3_u32 v0, v6, v0, v8
	v_mul_lo_u32 v11, v5, s50
	v_mul_lo_u32 v5, v5, s51
	v_add3_u32 v2, v9, v2, v3
	v_add3_u32 v0, v10, v0, v11
	;; [unrolled: 1-line block ×3, first 2 shown]
	s_cbranch_scc0 .LBB152_19
	s_branch .LBB152_490
.LBB152_20:
	s_waitcnt lgkmcnt(0)
	s_mov_b32 s6, -1
                                        ; implicit-def: $vgpr0
                                        ; implicit-def: $vgpr23
	s_branch .LBB152_27
.LBB152_21:
                                        ; implicit-def: $vgpr0
                                        ; implicit-def: $vgpr2
	s_branch .LBB152_440
.LBB152_22:
                                        ; implicit-def: $vgpr0
                                        ; implicit-def: $vgpr2
	s_branch .LBB152_494
.LBB152_23:
	v_mov_b32_e32 v0, 0
	v_mov_b32_e32 v23, 0
	s_branch .LBB152_27
.LBB152_24:
	v_mov_b32_e32 v0, 0
	v_mov_b32_e32 v23, 0
	;; [unrolled: 1-line block ×3, first 2 shown]
	s_mov_b32 s7, 0
	s_and_b32 s8, s8, 3
	s_cmp_eq_u32 s8, 0
	s_cbranch_scc1 .LBB152_27
.LBB152_25:
	s_lshl_b32 s0, s7, 3
	s_mul_i32 s4, s7, 12
	s_add_u32 s0, s2, s0
	s_addc_u32 s1, s3, 0
	s_add_u32 s0, s0, 0xc4
	s_addc_u32 s1, s1, 0
	;; [unrolled: 2-line block ×3, first 2 shown]
	.p2align	6
.LBB152_26:                             ; =>This Inner Loop Header: Depth=1
	s_clause 0x1
	s_load_dwordx2 s[10:11], s[4:5], 0x4
	s_load_dword s7, s[4:5], 0xc
	s_load_dwordx2 s[12:13], s[0:1], 0x0
	s_add_u32 s4, s4, 12
	s_addc_u32 s5, s5, 0
	s_add_u32 s0, s0, 8
	s_addc_u32 s1, s1, 0
	s_add_i32 s8, s8, -1
	s_cmp_lg_u32 s8, 0
	s_waitcnt lgkmcnt(0)
	v_mul_hi_u32 v2, s11, v1
	v_add_nc_u32_e32 v2, v1, v2
	v_lshrrev_b32_e32 v2, s7, v2
	v_mul_lo_u32 v3, v2, s10
	v_sub_nc_u32_e32 v3, v1, v3
	v_mad_u64_u32 v[0:1], null, v3, s12, v[0:1]
	v_mad_u64_u32 v[23:24], null, v3, s13, v[23:24]
	v_mov_b32_e32 v1, v2
	s_cbranch_scc1 .LBB152_26
.LBB152_27:
	s_andn2_b32 vcc_lo, exec_lo, s6
	s_cbranch_vccnz .LBB152_30
; %bb.28:
	s_clause 0x1
	s_load_dwordx4 s[4:7], s[2:3], 0x4
	s_load_dwordx2 s[0:1], s[2:3], 0xc4
	s_cmp_lt_u32 s22, 2
	s_waitcnt lgkmcnt(0)
	v_mul_hi_u32 v0, s5, v7
	v_add_nc_u32_e32 v0, v7, v0
	v_lshrrev_b32_e32 v1, s6, v0
	v_mul_lo_u32 v0, v1, s4
	v_sub_nc_u32_e32 v2, v7, v0
	v_mul_lo_u32 v0, v2, s0
	v_mul_lo_u32 v23, v2, s1
	s_cbranch_scc1 .LBB152_30
; %bb.29:
	s_clause 0x1
	s_load_dwordx4 s[4:7], s[2:3], 0x10
	s_load_dwordx2 s[0:1], s[2:3], 0xcc
	s_waitcnt lgkmcnt(0)
	v_mul_hi_u32 v2, s5, v1
	v_add_nc_u32_e32 v2, v1, v2
	v_lshrrev_b32_e32 v2, s6, v2
	v_mul_lo_u32 v2, v2, s4
	v_sub_nc_u32_e32 v2, v1, v2
	v_mad_u64_u32 v[0:1], null, v2, s0, v[0:1]
	v_mad_u64_u32 v[23:24], null, v2, s1, v[23:24]
.LBB152_30:
	v_cmp_ne_u32_e32 vcc_lo, 1, v8
	v_add_nc_u32_e32 v3, 0x80, v7
	s_cbranch_vccnz .LBB152_36
; %bb.31:
	s_cmp_lg_u32 s22, 0
	s_mov_b32 s6, 0
	s_cbranch_scc0 .LBB152_37
; %bb.32:
	s_min_u32 s8, s23, 15
	s_add_i32 s8, s8, 1
	s_cmp_eq_u32 s23, 2
	s_cbranch_scc1 .LBB152_38
; %bb.33:
	v_mov_b32_e32 v21, 0
	v_mov_b32_e32 v1, 0
	;; [unrolled: 1-line block ×3, first 2 shown]
	s_and_b32 s7, s8, 28
	s_add_u32 s0, s2, 0xc4
	s_addc_u32 s1, s3, 0
	s_mov_b32 s9, 0
	s_mov_b64 s[4:5], s[2:3]
.LBB152_34:                             ; =>This Inner Loop Header: Depth=1
	s_clause 0x1
	s_load_dwordx8 s[12:19], s[4:5], 0x4
	s_load_dwordx4 s[36:39], s[4:5], 0x24
	s_load_dwordx8 s[24:31], s[0:1], 0x0
	s_add_u32 s4, s4, 48
	s_addc_u32 s5, s5, 0
	s_add_i32 s9, s9, 4
	s_add_u32 s0, s0, 32
	s_addc_u32 s1, s1, 0
	s_cmp_lg_u32 s7, s9
	s_waitcnt lgkmcnt(0)
	v_mul_hi_u32 v4, s13, v2
	v_add_nc_u32_e32 v4, v2, v4
	v_lshrrev_b32_e32 v4, s14, v4
	v_mul_hi_u32 v5, s16, v4
	v_mul_lo_u32 v9, v4, s12
	v_add_nc_u32_e32 v5, v4, v5
	v_sub_nc_u32_e32 v2, v2, v9
	v_lshrrev_b32_e32 v5, s17, v5
	v_mul_lo_u32 v9, v2, s24
	v_mul_lo_u32 v11, v2, s25
	v_mul_hi_u32 v6, s19, v5
	v_add_nc_u32_e32 v6, v5, v6
	v_lshrrev_b32_e32 v6, s36, v6
	v_mul_hi_u32 v10, s38, v6
	v_mul_lo_u32 v12, v6, s18
	v_add_nc_u32_e32 v2, v6, v10
	v_mul_lo_u32 v10, v5, s15
	v_sub_nc_u32_e32 v5, v5, v12
	v_lshrrev_b32_e32 v2, s39, v2
	v_mul_lo_u32 v12, v5, s28
	v_mul_lo_u32 v5, v5, s29
	v_sub_nc_u32_e32 v4, v4, v10
	v_mul_lo_u32 v13, v2, s37
	v_mul_lo_u32 v10, v4, s26
	;; [unrolled: 1-line block ×3, first 2 shown]
	v_sub_nc_u32_e32 v6, v6, v13
	v_add3_u32 v1, v9, v1, v10
	v_mul_lo_u32 v13, v6, s30
	v_mul_lo_u32 v6, v6, s31
	v_add3_u32 v4, v11, v21, v4
	v_add3_u32 v1, v12, v1, v13
	;; [unrolled: 1-line block ×3, first 2 shown]
	s_cbranch_scc1 .LBB152_34
; %bb.35:
	s_and_b32 s8, s8, 3
	s_cmp_eq_u32 s8, 0
	s_cbranch_scc0 .LBB152_39
	s_branch .LBB152_41
.LBB152_36:
	s_mov_b32 s6, -1
                                        ; implicit-def: $vgpr1
                                        ; implicit-def: $vgpr21
	s_branch .LBB152_41
.LBB152_37:
	v_mov_b32_e32 v1, 0
	v_mov_b32_e32 v21, 0
	s_branch .LBB152_41
.LBB152_38:
	v_mov_b32_e32 v1, 0
	v_mov_b32_e32 v21, 0
	v_mov_b32_e32 v2, v3
	s_mov_b32 s7, 0
	s_and_b32 s8, s8, 3
	s_cmp_eq_u32 s8, 0
	s_cbranch_scc1 .LBB152_41
.LBB152_39:
	s_lshl_b32 s0, s7, 3
	s_mul_i32 s4, s7, 12
	s_add_u32 s0, s2, s0
	s_addc_u32 s1, s3, 0
	s_add_u32 s0, s0, 0xc4
	s_addc_u32 s1, s1, 0
	;; [unrolled: 2-line block ×3, first 2 shown]
	.p2align	6
.LBB152_40:                             ; =>This Inner Loop Header: Depth=1
	s_clause 0x1
	s_load_dwordx2 s[10:11], s[4:5], 0x4
	s_load_dword s7, s[4:5], 0xc
	s_load_dwordx2 s[12:13], s[0:1], 0x0
	s_add_u32 s4, s4, 12
	s_addc_u32 s5, s5, 0
	s_add_u32 s0, s0, 8
	s_addc_u32 s1, s1, 0
	s_add_i32 s8, s8, -1
	s_cmp_lg_u32 s8, 0
	s_waitcnt lgkmcnt(0)
	v_mul_hi_u32 v4, s11, v2
	v_add_nc_u32_e32 v4, v2, v4
	v_lshrrev_b32_e32 v4, s7, v4
	v_mul_lo_u32 v5, v4, s10
	v_sub_nc_u32_e32 v5, v2, v5
	v_mad_u64_u32 v[1:2], null, v5, s12, v[1:2]
	v_mad_u64_u32 v[21:22], null, v5, s13, v[21:22]
	v_mov_b32_e32 v2, v4
	s_cbranch_scc1 .LBB152_40
.LBB152_41:
	s_andn2_b32 vcc_lo, exec_lo, s6
	s_cbranch_vccnz .LBB152_44
; %bb.42:
	s_clause 0x1
	s_load_dwordx4 s[4:7], s[2:3], 0x4
	s_load_dwordx2 s[0:1], s[2:3], 0xc4
	s_cmp_lt_u32 s22, 2
	s_waitcnt lgkmcnt(0)
	v_mul_hi_u32 v1, s5, v3
	v_add_nc_u32_e32 v1, v3, v1
	v_lshrrev_b32_e32 v2, s6, v1
	v_mul_lo_u32 v1, v2, s4
	v_sub_nc_u32_e32 v3, v3, v1
	v_mul_lo_u32 v1, v3, s0
	v_mul_lo_u32 v21, v3, s1
	s_cbranch_scc1 .LBB152_44
; %bb.43:
	s_clause 0x1
	s_load_dwordx4 s[4:7], s[2:3], 0x10
	s_load_dwordx2 s[0:1], s[2:3], 0xcc
	s_waitcnt lgkmcnt(0)
	v_mul_hi_u32 v3, s5, v2
	v_add_nc_u32_e32 v3, v2, v3
	v_lshrrev_b32_e32 v3, s6, v3
	v_mul_lo_u32 v3, v3, s4
	v_sub_nc_u32_e32 v3, v2, v3
	v_mad_u64_u32 v[1:2], null, v3, s0, v[1:2]
	v_mad_u64_u32 v[21:22], null, v3, s1, v[21:22]
.LBB152_44:
	v_cmp_ne_u32_e32 vcc_lo, 1, v8
	v_add_nc_u32_e32 v4, 0x100, v7
	s_cbranch_vccnz .LBB152_50
; %bb.45:
	s_cmp_lg_u32 s22, 0
	s_mov_b32 s6, 0
	s_cbranch_scc0 .LBB152_51
; %bb.46:
	s_min_u32 s8, s23, 15
	s_add_i32 s8, s8, 1
	s_cmp_eq_u32 s23, 2
	s_cbranch_scc1 .LBB152_52
; %bb.47:
	v_mov_b32_e32 v19, 0
	v_mov_b32_e32 v2, 0
	;; [unrolled: 1-line block ×3, first 2 shown]
	s_and_b32 s7, s8, 28
	s_add_u32 s0, s2, 0xc4
	s_addc_u32 s1, s3, 0
	s_mov_b32 s9, 0
	s_mov_b64 s[4:5], s[2:3]
.LBB152_48:                             ; =>This Inner Loop Header: Depth=1
	s_clause 0x1
	s_load_dwordx8 s[12:19], s[4:5], 0x4
	s_load_dwordx4 s[36:39], s[4:5], 0x24
	s_load_dwordx8 s[24:31], s[0:1], 0x0
	s_add_u32 s4, s4, 48
	s_addc_u32 s5, s5, 0
	s_add_i32 s9, s9, 4
	s_add_u32 s0, s0, 32
	s_addc_u32 s1, s1, 0
	s_cmp_lg_u32 s7, s9
	s_waitcnt lgkmcnt(0)
	v_mul_hi_u32 v5, s13, v3
	v_add_nc_u32_e32 v5, v3, v5
	v_lshrrev_b32_e32 v5, s14, v5
	v_mul_hi_u32 v6, s16, v5
	v_mul_lo_u32 v10, v5, s12
	v_add_nc_u32_e32 v6, v5, v6
	v_sub_nc_u32_e32 v3, v3, v10
	v_lshrrev_b32_e32 v6, s17, v6
	v_mul_lo_u32 v10, v3, s24
	v_mul_lo_u32 v12, v3, s25
	v_mul_hi_u32 v9, s19, v6
	v_add_nc_u32_e32 v9, v6, v9
	v_lshrrev_b32_e32 v9, s36, v9
	v_mul_hi_u32 v11, s38, v9
	v_mul_lo_u32 v13, v9, s18
	v_add_nc_u32_e32 v3, v9, v11
	v_mul_lo_u32 v11, v6, s15
	v_sub_nc_u32_e32 v6, v6, v13
	v_lshrrev_b32_e32 v3, s39, v3
	v_mul_lo_u32 v13, v6, s28
	v_mul_lo_u32 v6, v6, s29
	v_sub_nc_u32_e32 v5, v5, v11
	v_mul_lo_u32 v14, v3, s37
	v_mul_lo_u32 v11, v5, s26
	;; [unrolled: 1-line block ×3, first 2 shown]
	v_sub_nc_u32_e32 v9, v9, v14
	v_add3_u32 v2, v10, v2, v11
	v_mul_lo_u32 v14, v9, s30
	v_mul_lo_u32 v9, v9, s31
	v_add3_u32 v5, v12, v19, v5
	v_add3_u32 v2, v13, v2, v14
	;; [unrolled: 1-line block ×3, first 2 shown]
	s_cbranch_scc1 .LBB152_48
; %bb.49:
	s_and_b32 s8, s8, 3
	s_cmp_eq_u32 s8, 0
	s_cbranch_scc0 .LBB152_53
	s_branch .LBB152_55
.LBB152_50:
	s_mov_b32 s6, -1
                                        ; implicit-def: $vgpr2
                                        ; implicit-def: $vgpr19
	s_branch .LBB152_55
.LBB152_51:
	v_mov_b32_e32 v2, 0
	v_mov_b32_e32 v19, 0
	s_branch .LBB152_55
.LBB152_52:
	v_mov_b32_e32 v2, 0
	v_mov_b32_e32 v19, 0
	;; [unrolled: 1-line block ×3, first 2 shown]
	s_mov_b32 s7, 0
	s_and_b32 s8, s8, 3
	s_cmp_eq_u32 s8, 0
	s_cbranch_scc1 .LBB152_55
.LBB152_53:
	s_lshl_b32 s0, s7, 3
	s_mul_i32 s4, s7, 12
	s_add_u32 s0, s2, s0
	s_addc_u32 s1, s3, 0
	s_add_u32 s0, s0, 0xc4
	s_addc_u32 s1, s1, 0
	;; [unrolled: 2-line block ×3, first 2 shown]
	.p2align	6
.LBB152_54:                             ; =>This Inner Loop Header: Depth=1
	s_clause 0x1
	s_load_dwordx2 s[10:11], s[4:5], 0x4
	s_load_dword s7, s[4:5], 0xc
	s_load_dwordx2 s[12:13], s[0:1], 0x0
	s_add_u32 s4, s4, 12
	s_addc_u32 s5, s5, 0
	s_add_u32 s0, s0, 8
	s_addc_u32 s1, s1, 0
	s_add_i32 s8, s8, -1
	s_cmp_lg_u32 s8, 0
	s_waitcnt lgkmcnt(0)
	v_mul_hi_u32 v5, s11, v3
	v_add_nc_u32_e32 v5, v3, v5
	v_lshrrev_b32_e32 v5, s7, v5
	v_mul_lo_u32 v6, v5, s10
	v_sub_nc_u32_e32 v6, v3, v6
	v_mad_u64_u32 v[2:3], null, v6, s12, v[2:3]
	v_mad_u64_u32 v[19:20], null, v6, s13, v[19:20]
	v_mov_b32_e32 v3, v5
	s_cbranch_scc1 .LBB152_54
.LBB152_55:
	s_andn2_b32 vcc_lo, exec_lo, s6
	s_cbranch_vccnz .LBB152_58
; %bb.56:
	s_clause 0x1
	s_load_dwordx4 s[4:7], s[2:3], 0x4
	s_load_dwordx2 s[0:1], s[2:3], 0xc4
	s_cmp_lt_u32 s22, 2
	s_waitcnt lgkmcnt(0)
	v_mul_hi_u32 v2, s5, v4
	v_add_nc_u32_e32 v2, v4, v2
	v_lshrrev_b32_e32 v3, s6, v2
	v_mul_lo_u32 v2, v3, s4
	v_sub_nc_u32_e32 v4, v4, v2
	v_mul_lo_u32 v2, v4, s0
	v_mul_lo_u32 v19, v4, s1
	s_cbranch_scc1 .LBB152_58
; %bb.57:
	s_clause 0x1
	s_load_dwordx4 s[4:7], s[2:3], 0x10
	s_load_dwordx2 s[0:1], s[2:3], 0xcc
	s_waitcnt lgkmcnt(0)
	v_mul_hi_u32 v4, s5, v3
	v_add_nc_u32_e32 v4, v3, v4
	v_lshrrev_b32_e32 v4, s6, v4
	v_mul_lo_u32 v4, v4, s4
	v_sub_nc_u32_e32 v4, v3, v4
	v_mad_u64_u32 v[2:3], null, v4, s0, v[2:3]
	v_mad_u64_u32 v[19:20], null, v4, s1, v[19:20]
.LBB152_58:
	v_cmp_ne_u32_e32 vcc_lo, 1, v8
	v_add_nc_u32_e32 v5, 0x180, v7
	s_cbranch_vccnz .LBB152_64
; %bb.59:
	s_cmp_lg_u32 s22, 0
	s_mov_b32 s6, 0
	s_cbranch_scc0 .LBB152_65
; %bb.60:
	s_min_u32 s8, s23, 15
	s_add_i32 s8, s8, 1
	s_cmp_eq_u32 s23, 2
	s_cbranch_scc1 .LBB152_66
; %bb.61:
	v_mov_b32_e32 v17, 0
	v_mov_b32_e32 v3, 0
	;; [unrolled: 1-line block ×3, first 2 shown]
	s_and_b32 s7, s8, 28
	s_add_u32 s0, s2, 0xc4
	s_addc_u32 s1, s3, 0
	s_mov_b32 s9, 0
	s_mov_b64 s[4:5], s[2:3]
.LBB152_62:                             ; =>This Inner Loop Header: Depth=1
	s_clause 0x1
	s_load_dwordx8 s[12:19], s[4:5], 0x4
	s_load_dwordx4 s[36:39], s[4:5], 0x24
	s_load_dwordx8 s[24:31], s[0:1], 0x0
	s_add_u32 s4, s4, 48
	s_addc_u32 s5, s5, 0
	s_add_i32 s9, s9, 4
	s_add_u32 s0, s0, 32
	s_addc_u32 s1, s1, 0
	s_cmp_lg_u32 s7, s9
	s_waitcnt lgkmcnt(0)
	v_mul_hi_u32 v6, s13, v4
	v_add_nc_u32_e32 v6, v4, v6
	v_lshrrev_b32_e32 v6, s14, v6
	v_mul_hi_u32 v9, s16, v6
	v_mul_lo_u32 v11, v6, s12
	v_add_nc_u32_e32 v9, v6, v9
	v_sub_nc_u32_e32 v4, v4, v11
	v_lshrrev_b32_e32 v9, s17, v9
	v_mul_lo_u32 v11, v4, s24
	v_mul_lo_u32 v13, v4, s25
	v_mul_hi_u32 v10, s19, v9
	v_add_nc_u32_e32 v10, v9, v10
	v_lshrrev_b32_e32 v10, s36, v10
	v_mul_hi_u32 v12, s38, v10
	v_mul_lo_u32 v14, v10, s18
	v_add_nc_u32_e32 v4, v10, v12
	v_mul_lo_u32 v12, v9, s15
	v_sub_nc_u32_e32 v9, v9, v14
	v_lshrrev_b32_e32 v4, s39, v4
	v_mul_lo_u32 v14, v9, s28
	v_mul_lo_u32 v9, v9, s29
	v_sub_nc_u32_e32 v6, v6, v12
	v_mul_lo_u32 v15, v4, s37
	v_mul_lo_u32 v12, v6, s26
	;; [unrolled: 1-line block ×3, first 2 shown]
	v_sub_nc_u32_e32 v10, v10, v15
	v_add3_u32 v3, v11, v3, v12
	v_mul_lo_u32 v15, v10, s30
	v_mul_lo_u32 v10, v10, s31
	v_add3_u32 v6, v13, v17, v6
	v_add3_u32 v3, v14, v3, v15
	;; [unrolled: 1-line block ×3, first 2 shown]
	s_cbranch_scc1 .LBB152_62
; %bb.63:
	s_and_b32 s8, s8, 3
	s_cmp_eq_u32 s8, 0
	s_cbranch_scc0 .LBB152_67
	s_branch .LBB152_69
.LBB152_64:
	s_mov_b32 s6, -1
                                        ; implicit-def: $vgpr3
                                        ; implicit-def: $vgpr17
	s_branch .LBB152_69
.LBB152_65:
	v_mov_b32_e32 v3, 0
	v_mov_b32_e32 v17, 0
	s_branch .LBB152_69
.LBB152_66:
	v_mov_b32_e32 v3, 0
	v_mov_b32_e32 v17, 0
	;; [unrolled: 1-line block ×3, first 2 shown]
	s_mov_b32 s7, 0
	s_and_b32 s8, s8, 3
	s_cmp_eq_u32 s8, 0
	s_cbranch_scc1 .LBB152_69
.LBB152_67:
	s_lshl_b32 s0, s7, 3
	s_mul_i32 s4, s7, 12
	s_add_u32 s0, s2, s0
	s_addc_u32 s1, s3, 0
	s_add_u32 s0, s0, 0xc4
	s_addc_u32 s1, s1, 0
	;; [unrolled: 2-line block ×3, first 2 shown]
	.p2align	6
.LBB152_68:                             ; =>This Inner Loop Header: Depth=1
	s_clause 0x1
	s_load_dwordx2 s[10:11], s[4:5], 0x4
	s_load_dword s7, s[4:5], 0xc
	s_load_dwordx2 s[12:13], s[0:1], 0x0
	s_add_u32 s4, s4, 12
	s_addc_u32 s5, s5, 0
	s_add_u32 s0, s0, 8
	s_addc_u32 s1, s1, 0
	s_add_i32 s8, s8, -1
	s_cmp_lg_u32 s8, 0
	s_waitcnt lgkmcnt(0)
	v_mul_hi_u32 v6, s11, v4
	v_add_nc_u32_e32 v6, v4, v6
	v_lshrrev_b32_e32 v6, s7, v6
	v_mul_lo_u32 v9, v6, s10
	v_sub_nc_u32_e32 v9, v4, v9
	v_mad_u64_u32 v[3:4], null, v9, s12, v[3:4]
	v_mad_u64_u32 v[17:18], null, v9, s13, v[17:18]
	v_mov_b32_e32 v4, v6
	s_cbranch_scc1 .LBB152_68
.LBB152_69:
	s_andn2_b32 vcc_lo, exec_lo, s6
	s_cbranch_vccnz .LBB152_72
; %bb.70:
	s_clause 0x1
	s_load_dwordx4 s[4:7], s[2:3], 0x4
	s_load_dwordx2 s[0:1], s[2:3], 0xc4
	s_cmp_lt_u32 s22, 2
	s_waitcnt lgkmcnt(0)
	v_mul_hi_u32 v3, s5, v5
	v_add_nc_u32_e32 v3, v5, v3
	v_lshrrev_b32_e32 v4, s6, v3
	v_mul_lo_u32 v3, v4, s4
	v_sub_nc_u32_e32 v5, v5, v3
	v_mul_lo_u32 v3, v5, s0
	v_mul_lo_u32 v17, v5, s1
	s_cbranch_scc1 .LBB152_72
; %bb.71:
	s_clause 0x1
	s_load_dwordx4 s[4:7], s[2:3], 0x10
	s_load_dwordx2 s[0:1], s[2:3], 0xcc
	s_waitcnt lgkmcnt(0)
	v_mul_hi_u32 v5, s5, v4
	v_add_nc_u32_e32 v5, v4, v5
	v_lshrrev_b32_e32 v5, s6, v5
	v_mul_lo_u32 v5, v5, s4
	v_sub_nc_u32_e32 v5, v4, v5
	v_mad_u64_u32 v[3:4], null, v5, s0, v[3:4]
	v_mad_u64_u32 v[17:18], null, v5, s1, v[17:18]
.LBB152_72:
	v_cmp_ne_u32_e32 vcc_lo, 1, v8
	v_add_nc_u32_e32 v6, 0x200, v7
	s_cbranch_vccnz .LBB152_78
; %bb.73:
	s_cmp_lg_u32 s22, 0
	s_mov_b32 s6, 0
	s_cbranch_scc0 .LBB152_79
; %bb.74:
	s_min_u32 s8, s23, 15
	s_add_i32 s8, s8, 1
	s_cmp_eq_u32 s23, 2
	s_cbranch_scc1 .LBB152_80
; %bb.75:
	v_mov_b32_e32 v15, 0
	v_mov_b32_e32 v4, 0
	v_mov_b32_e32 v5, v6
	s_and_b32 s7, s8, 28
	s_add_u32 s0, s2, 0xc4
	s_addc_u32 s1, s3, 0
	s_mov_b32 s9, 0
	s_mov_b64 s[4:5], s[2:3]
.LBB152_76:                             ; =>This Inner Loop Header: Depth=1
	s_clause 0x1
	s_load_dwordx8 s[12:19], s[4:5], 0x4
	s_load_dwordx4 s[36:39], s[4:5], 0x24
	s_load_dwordx8 s[24:31], s[0:1], 0x0
	s_add_u32 s4, s4, 48
	s_addc_u32 s5, s5, 0
	s_add_i32 s9, s9, 4
	s_add_u32 s0, s0, 32
	s_addc_u32 s1, s1, 0
	s_cmp_lg_u32 s7, s9
	s_waitcnt lgkmcnt(0)
	v_mul_hi_u32 v9, s13, v5
	v_add_nc_u32_e32 v9, v5, v9
	v_lshrrev_b32_e32 v9, s14, v9
	v_mul_hi_u32 v10, s16, v9
	v_mul_lo_u32 v12, v9, s12
	v_add_nc_u32_e32 v10, v9, v10
	v_sub_nc_u32_e32 v5, v5, v12
	v_lshrrev_b32_e32 v10, s17, v10
	v_mul_lo_u32 v12, v5, s24
	v_mul_lo_u32 v14, v5, s25
	v_mul_hi_u32 v11, s19, v10
	v_add_nc_u32_e32 v11, v10, v11
	v_lshrrev_b32_e32 v11, s36, v11
	v_mul_hi_u32 v13, s38, v11
	v_mul_lo_u32 v16, v11, s18
	v_add_nc_u32_e32 v5, v11, v13
	v_mul_lo_u32 v13, v10, s15
	v_sub_nc_u32_e32 v10, v10, v16
	v_lshrrev_b32_e32 v5, s39, v5
	v_mul_lo_u32 v16, v10, s28
	v_mul_lo_u32 v10, v10, s29
	v_sub_nc_u32_e32 v9, v9, v13
	v_mul_lo_u32 v18, v5, s37
	v_mul_lo_u32 v13, v9, s26
	;; [unrolled: 1-line block ×3, first 2 shown]
	v_sub_nc_u32_e32 v11, v11, v18
	v_add3_u32 v4, v12, v4, v13
	v_mul_lo_u32 v18, v11, s30
	v_mul_lo_u32 v11, v11, s31
	v_add3_u32 v9, v14, v15, v9
	v_add3_u32 v4, v16, v4, v18
	;; [unrolled: 1-line block ×3, first 2 shown]
	s_cbranch_scc1 .LBB152_76
; %bb.77:
	s_and_b32 s8, s8, 3
	s_cmp_eq_u32 s8, 0
	s_cbranch_scc0 .LBB152_81
	s_branch .LBB152_83
.LBB152_78:
	s_mov_b32 s6, -1
                                        ; implicit-def: $vgpr4
                                        ; implicit-def: $vgpr15
	s_branch .LBB152_83
.LBB152_79:
	v_mov_b32_e32 v4, 0
	v_mov_b32_e32 v15, 0
	s_branch .LBB152_83
.LBB152_80:
	v_mov_b32_e32 v4, 0
	v_mov_b32_e32 v15, 0
	;; [unrolled: 1-line block ×3, first 2 shown]
	s_mov_b32 s7, 0
	s_and_b32 s8, s8, 3
	s_cmp_eq_u32 s8, 0
	s_cbranch_scc1 .LBB152_83
.LBB152_81:
	s_lshl_b32 s0, s7, 3
	s_mul_i32 s4, s7, 12
	s_add_u32 s0, s2, s0
	s_addc_u32 s1, s3, 0
	s_add_u32 s0, s0, 0xc4
	s_addc_u32 s1, s1, 0
	;; [unrolled: 2-line block ×3, first 2 shown]
	.p2align	6
.LBB152_82:                             ; =>This Inner Loop Header: Depth=1
	s_clause 0x1
	s_load_dwordx2 s[10:11], s[4:5], 0x4
	s_load_dword s7, s[4:5], 0xc
	s_load_dwordx2 s[12:13], s[0:1], 0x0
	s_add_u32 s4, s4, 12
	s_addc_u32 s5, s5, 0
	s_add_u32 s0, s0, 8
	s_addc_u32 s1, s1, 0
	s_add_i32 s8, s8, -1
	s_cmp_lg_u32 s8, 0
	s_waitcnt lgkmcnt(0)
	v_mul_hi_u32 v9, s11, v5
	v_add_nc_u32_e32 v9, v5, v9
	v_lshrrev_b32_e32 v9, s7, v9
	v_mul_lo_u32 v10, v9, s10
	v_sub_nc_u32_e32 v10, v5, v10
	v_mad_u64_u32 v[4:5], null, v10, s12, v[4:5]
	v_mad_u64_u32 v[15:16], null, v10, s13, v[15:16]
	v_mov_b32_e32 v5, v9
	s_cbranch_scc1 .LBB152_82
.LBB152_83:
	s_andn2_b32 vcc_lo, exec_lo, s6
	s_cbranch_vccnz .LBB152_86
; %bb.84:
	s_clause 0x1
	s_load_dwordx4 s[4:7], s[2:3], 0x4
	s_load_dwordx2 s[0:1], s[2:3], 0xc4
	s_cmp_lt_u32 s22, 2
	s_waitcnt lgkmcnt(0)
	v_mul_hi_u32 v4, s5, v6
	v_add_nc_u32_e32 v4, v6, v4
	v_lshrrev_b32_e32 v5, s6, v4
	v_mul_lo_u32 v4, v5, s4
	v_sub_nc_u32_e32 v6, v6, v4
	v_mul_lo_u32 v4, v6, s0
	v_mul_lo_u32 v15, v6, s1
	s_cbranch_scc1 .LBB152_86
; %bb.85:
	s_clause 0x1
	s_load_dwordx4 s[4:7], s[2:3], 0x10
	s_load_dwordx2 s[0:1], s[2:3], 0xcc
	s_waitcnt lgkmcnt(0)
	v_mul_hi_u32 v6, s5, v5
	v_add_nc_u32_e32 v6, v5, v6
	v_lshrrev_b32_e32 v6, s6, v6
	v_mul_lo_u32 v6, v6, s4
	v_sub_nc_u32_e32 v6, v5, v6
	v_mad_u64_u32 v[4:5], null, v6, s0, v[4:5]
	v_mad_u64_u32 v[15:16], null, v6, s1, v[15:16]
.LBB152_86:
	v_cmp_ne_u32_e32 vcc_lo, 1, v8
	v_add_nc_u32_e32 v9, 0x280, v7
	s_cbranch_vccnz .LBB152_92
; %bb.87:
	s_cmp_lg_u32 s22, 0
	s_mov_b32 s6, 0
	s_cbranch_scc0 .LBB152_93
; %bb.88:
	s_min_u32 s8, s23, 15
	s_add_i32 s8, s8, 1
	s_cmp_eq_u32 s23, 2
	s_cbranch_scc1 .LBB152_94
; %bb.89:
	v_mov_b32_e32 v13, 0
	v_mov_b32_e32 v5, 0
	v_mov_b32_e32 v6, v9
	s_and_b32 s7, s8, 28
	s_add_u32 s0, s2, 0xc4
	s_addc_u32 s1, s3, 0
	s_mov_b32 s9, 0
	s_mov_b64 s[4:5], s[2:3]
.LBB152_90:                             ; =>This Inner Loop Header: Depth=1
	s_clause 0x1
	s_load_dwordx8 s[12:19], s[4:5], 0x4
	s_load_dwordx4 s[36:39], s[4:5], 0x24
	s_load_dwordx8 s[24:31], s[0:1], 0x0
	s_add_u32 s4, s4, 48
	s_addc_u32 s5, s5, 0
	s_add_i32 s9, s9, 4
	s_add_u32 s0, s0, 32
	s_addc_u32 s1, s1, 0
	s_cmp_lg_u32 s7, s9
	s_waitcnt lgkmcnt(0)
	v_mul_hi_u32 v10, s13, v6
	v_add_nc_u32_e32 v10, v6, v10
	v_lshrrev_b32_e32 v10, s14, v10
	v_mul_hi_u32 v11, s16, v10
	v_mul_lo_u32 v14, v10, s12
	v_add_nc_u32_e32 v11, v10, v11
	v_sub_nc_u32_e32 v6, v6, v14
	v_lshrrev_b32_e32 v11, s17, v11
	v_mul_lo_u32 v14, v6, s24
	v_mul_lo_u32 v18, v6, s25
	v_mul_hi_u32 v12, s19, v11
	v_add_nc_u32_e32 v12, v11, v12
	v_lshrrev_b32_e32 v12, s36, v12
	v_mul_hi_u32 v16, s38, v12
	v_mul_lo_u32 v20, v12, s18
	v_add_nc_u32_e32 v6, v12, v16
	v_mul_lo_u32 v16, v11, s15
	v_sub_nc_u32_e32 v11, v11, v20
	v_lshrrev_b32_e32 v6, s39, v6
	v_mul_lo_u32 v20, v11, s28
	v_mul_lo_u32 v11, v11, s29
	v_sub_nc_u32_e32 v10, v10, v16
	v_mul_lo_u32 v22, v6, s37
	v_mul_lo_u32 v16, v10, s26
	;; [unrolled: 1-line block ×3, first 2 shown]
	v_sub_nc_u32_e32 v12, v12, v22
	v_add3_u32 v5, v14, v5, v16
	v_mul_lo_u32 v22, v12, s30
	v_mul_lo_u32 v12, v12, s31
	v_add3_u32 v10, v18, v13, v10
	v_add3_u32 v5, v20, v5, v22
	;; [unrolled: 1-line block ×3, first 2 shown]
	s_cbranch_scc1 .LBB152_90
; %bb.91:
	s_and_b32 s8, s8, 3
	s_cmp_eq_u32 s8, 0
	s_cbranch_scc0 .LBB152_95
	s_branch .LBB152_97
.LBB152_92:
	s_mov_b32 s6, -1
                                        ; implicit-def: $vgpr5
                                        ; implicit-def: $vgpr13
	s_branch .LBB152_97
.LBB152_93:
	v_mov_b32_e32 v5, 0
	v_mov_b32_e32 v13, 0
	s_branch .LBB152_97
.LBB152_94:
	v_mov_b32_e32 v5, 0
	v_mov_b32_e32 v13, 0
	;; [unrolled: 1-line block ×3, first 2 shown]
	s_mov_b32 s7, 0
	s_and_b32 s8, s8, 3
	s_cmp_eq_u32 s8, 0
	s_cbranch_scc1 .LBB152_97
.LBB152_95:
	s_lshl_b32 s0, s7, 3
	s_mul_i32 s4, s7, 12
	s_add_u32 s0, s2, s0
	s_addc_u32 s1, s3, 0
	s_add_u32 s0, s0, 0xc4
	s_addc_u32 s1, s1, 0
	;; [unrolled: 2-line block ×3, first 2 shown]
	.p2align	6
.LBB152_96:                             ; =>This Inner Loop Header: Depth=1
	s_clause 0x1
	s_load_dwordx2 s[10:11], s[4:5], 0x4
	s_load_dword s7, s[4:5], 0xc
	s_load_dwordx2 s[12:13], s[0:1], 0x0
	s_add_u32 s4, s4, 12
	s_addc_u32 s5, s5, 0
	s_add_u32 s0, s0, 8
	s_addc_u32 s1, s1, 0
	s_add_i32 s8, s8, -1
	s_cmp_lg_u32 s8, 0
	s_waitcnt lgkmcnt(0)
	v_mul_hi_u32 v10, s11, v6
	v_add_nc_u32_e32 v10, v6, v10
	v_lshrrev_b32_e32 v10, s7, v10
	v_mul_lo_u32 v11, v10, s10
	v_sub_nc_u32_e32 v11, v6, v11
	v_mad_u64_u32 v[5:6], null, v11, s12, v[5:6]
	v_mad_u64_u32 v[13:14], null, v11, s13, v[13:14]
	v_mov_b32_e32 v6, v10
	s_cbranch_scc1 .LBB152_96
.LBB152_97:
	s_andn2_b32 vcc_lo, exec_lo, s6
	s_cbranch_vccnz .LBB152_100
; %bb.98:
	s_clause 0x1
	s_load_dwordx4 s[4:7], s[2:3], 0x4
	s_load_dwordx2 s[0:1], s[2:3], 0xc4
	s_cmp_lt_u32 s22, 2
	s_waitcnt lgkmcnt(0)
	v_mul_hi_u32 v5, s5, v9
	v_add_nc_u32_e32 v5, v9, v5
	v_lshrrev_b32_e32 v6, s6, v5
	v_mul_lo_u32 v5, v6, s4
	v_sub_nc_u32_e32 v9, v9, v5
	v_mul_lo_u32 v5, v9, s0
	v_mul_lo_u32 v13, v9, s1
	s_cbranch_scc1 .LBB152_100
; %bb.99:
	s_clause 0x1
	s_load_dwordx4 s[4:7], s[2:3], 0x10
	s_load_dwordx2 s[0:1], s[2:3], 0xcc
	s_waitcnt lgkmcnt(0)
	v_mul_hi_u32 v9, s5, v6
	v_add_nc_u32_e32 v9, v6, v9
	v_lshrrev_b32_e32 v9, s6, v9
	v_mul_lo_u32 v9, v9, s4
	v_sub_nc_u32_e32 v9, v6, v9
	v_mad_u64_u32 v[5:6], null, v9, s0, v[5:6]
	v_mad_u64_u32 v[13:14], null, v9, s1, v[13:14]
.LBB152_100:
	v_cmp_ne_u32_e32 vcc_lo, 1, v8
	v_add_nc_u32_e32 v9, 0x300, v7
	s_cbranch_vccnz .LBB152_106
; %bb.101:
	s_cmp_lg_u32 s22, 0
	s_mov_b32 s6, 0
	s_cbranch_scc0 .LBB152_107
; %bb.102:
	s_min_u32 s8, s23, 15
	s_add_i32 s8, s8, 1
	s_cmp_eq_u32 s23, 2
	s_cbranch_scc1 .LBB152_108
; %bb.103:
	v_mov_b32_e32 v11, 0
	v_mov_b32_e32 v6, 0
	v_mov_b32_e32 v7, v9
	s_and_b32 s7, s8, 28
	s_add_u32 s0, s2, 0xc4
	s_addc_u32 s1, s3, 0
	s_mov_b32 s9, 0
	s_mov_b64 s[4:5], s[2:3]
.LBB152_104:                            ; =>This Inner Loop Header: Depth=1
	s_clause 0x1
	s_load_dwordx8 s[12:19], s[4:5], 0x4
	s_load_dwordx4 s[36:39], s[4:5], 0x24
	s_load_dwordx8 s[24:31], s[0:1], 0x0
	s_add_u32 s4, s4, 48
	s_addc_u32 s5, s5, 0
	s_add_i32 s9, s9, 4
	s_add_u32 s0, s0, 32
	s_addc_u32 s1, s1, 0
	s_cmp_lg_u32 s7, s9
	s_waitcnt lgkmcnt(0)
	v_mul_hi_u32 v10, s13, v7
	v_add_nc_u32_e32 v10, v7, v10
	v_lshrrev_b32_e32 v10, s14, v10
	v_mul_hi_u32 v12, s16, v10
	v_mul_lo_u32 v16, v10, s12
	v_add_nc_u32_e32 v12, v10, v12
	v_sub_nc_u32_e32 v7, v7, v16
	v_lshrrev_b32_e32 v12, s17, v12
	v_mul_lo_u32 v16, v7, s24
	v_mul_lo_u32 v20, v7, s25
	v_mul_hi_u32 v14, s19, v12
	v_add_nc_u32_e32 v14, v12, v14
	v_lshrrev_b32_e32 v14, s36, v14
	v_mul_hi_u32 v18, s38, v14
	v_mul_lo_u32 v22, v14, s18
	v_add_nc_u32_e32 v7, v14, v18
	v_mul_lo_u32 v18, v12, s15
	v_sub_nc_u32_e32 v12, v12, v22
	v_lshrrev_b32_e32 v7, s39, v7
	v_mul_lo_u32 v22, v12, s28
	v_mul_lo_u32 v12, v12, s29
	v_sub_nc_u32_e32 v10, v10, v18
	v_mul_lo_u32 v24, v7, s37
	v_mul_lo_u32 v18, v10, s26
	;; [unrolled: 1-line block ×3, first 2 shown]
	v_sub_nc_u32_e32 v14, v14, v24
	v_add3_u32 v6, v16, v6, v18
	v_mul_lo_u32 v24, v14, s30
	v_mul_lo_u32 v14, v14, s31
	v_add3_u32 v10, v20, v11, v10
	v_add3_u32 v6, v22, v6, v24
	;; [unrolled: 1-line block ×3, first 2 shown]
	s_cbranch_scc1 .LBB152_104
; %bb.105:
	s_and_b32 s8, s8, 3
	s_cmp_eq_u32 s8, 0
	s_cbranch_scc0 .LBB152_109
	s_branch .LBB152_111
.LBB152_106:
	s_mov_b32 s6, -1
                                        ; implicit-def: $vgpr6
                                        ; implicit-def: $vgpr11
	s_branch .LBB152_111
.LBB152_107:
	v_mov_b32_e32 v6, 0
	v_mov_b32_e32 v11, 0
	s_branch .LBB152_111
.LBB152_108:
	v_mov_b32_e32 v6, 0
	v_mov_b32_e32 v11, 0
	;; [unrolled: 1-line block ×3, first 2 shown]
	s_mov_b32 s7, 0
	s_and_b32 s8, s8, 3
	s_cmp_eq_u32 s8, 0
	s_cbranch_scc1 .LBB152_111
.LBB152_109:
	s_lshl_b32 s0, s7, 3
	s_mul_i32 s4, s7, 12
	s_add_u32 s0, s2, s0
	s_addc_u32 s1, s3, 0
	s_add_u32 s0, s0, 0xc4
	s_addc_u32 s1, s1, 0
	s_add_u32 s4, s2, s4
	s_addc_u32 s5, s3, 0
	.p2align	6
.LBB152_110:                            ; =>This Inner Loop Header: Depth=1
	s_clause 0x1
	s_load_dwordx2 s[10:11], s[4:5], 0x4
	s_load_dword s7, s[4:5], 0xc
	s_load_dwordx2 s[12:13], s[0:1], 0x0
	s_add_u32 s4, s4, 12
	s_addc_u32 s5, s5, 0
	s_add_u32 s0, s0, 8
	s_addc_u32 s1, s1, 0
	s_add_i32 s8, s8, -1
	s_cmp_lg_u32 s8, 0
	s_waitcnt lgkmcnt(0)
	v_mul_hi_u32 v10, s11, v7
	v_add_nc_u32_e32 v10, v7, v10
	v_lshrrev_b32_e32 v10, s7, v10
	v_mul_lo_u32 v12, v10, s10
	v_sub_nc_u32_e32 v12, v7, v12
	v_mad_u64_u32 v[6:7], null, v12, s12, v[6:7]
	v_mad_u64_u32 v[11:12], null, v12, s13, v[11:12]
	v_mov_b32_e32 v7, v10
	s_cbranch_scc1 .LBB152_110
.LBB152_111:
	s_andn2_b32 vcc_lo, exec_lo, s6
	s_cbranch_vccnz .LBB152_114
; %bb.112:
	s_clause 0x1
	s_load_dwordx4 s[4:7], s[2:3], 0x4
	s_load_dwordx2 s[0:1], s[2:3], 0xc4
	s_cmp_lt_u32 s22, 2
	s_waitcnt lgkmcnt(0)
	v_mul_hi_u32 v6, s5, v9
	v_add_nc_u32_e32 v6, v9, v6
	v_lshrrev_b32_e32 v7, s6, v6
	v_mul_lo_u32 v6, v7, s4
	v_sub_nc_u32_e32 v9, v9, v6
	v_mul_lo_u32 v6, v9, s0
	v_mul_lo_u32 v11, v9, s1
	s_cbranch_scc1 .LBB152_114
; %bb.113:
	s_clause 0x1
	s_load_dwordx4 s[4:7], s[2:3], 0x10
	s_load_dwordx2 s[0:1], s[2:3], 0xcc
	s_waitcnt lgkmcnt(0)
	v_mul_hi_u32 v9, s5, v7
	v_add_nc_u32_e32 v9, v7, v9
	v_lshrrev_b32_e32 v9, s6, v9
	v_mul_lo_u32 v9, v9, s4
	v_sub_nc_u32_e32 v9, v7, v9
	v_mad_u64_u32 v[6:7], null, v9, s0, v[6:7]
	v_mad_u64_u32 v[11:12], null, v9, s1, v[11:12]
.LBB152_114:
	v_cmp_ne_u32_e32 vcc_lo, 1, v8
	s_cbranch_vccnz .LBB152_120
; %bb.115:
	s_cmp_lg_u32 s22, 0
	s_mov_b32 s6, 0
	s_cbranch_scc0 .LBB152_121
; %bb.116:
	s_min_u32 s8, s23, 15
	s_add_i32 s8, s8, 1
	s_cmp_eq_u32 s23, 2
	s_cbranch_scc1 .LBB152_122
; %bb.117:
	v_mov_b32_e32 v9, 0
	v_mov_b32_e32 v7, 0
	;; [unrolled: 1-line block ×3, first 2 shown]
	s_and_b32 s7, s8, 28
	s_add_u32 s0, s2, 0xc4
	s_addc_u32 s1, s3, 0
	s_mov_b32 s9, 0
	s_mov_b64 s[4:5], s[2:3]
.LBB152_118:                            ; =>This Inner Loop Header: Depth=1
	s_clause 0x1
	s_load_dwordx8 s[12:19], s[4:5], 0x4
	s_load_dwordx4 s[36:39], s[4:5], 0x24
	s_load_dwordx8 s[24:31], s[0:1], 0x0
	s_add_u32 s4, s4, 48
	s_addc_u32 s5, s5, 0
	s_add_i32 s9, s9, 4
	s_add_u32 s0, s0, 32
	s_addc_u32 s1, s1, 0
	s_cmp_lg_u32 s7, s9
	s_waitcnt lgkmcnt(0)
	v_mul_hi_u32 v10, s13, v8
	v_add_nc_u32_e32 v10, v8, v10
	v_lshrrev_b32_e32 v10, s14, v10
	v_mul_hi_u32 v12, s16, v10
	v_mul_lo_u32 v16, v10, s12
	v_add_nc_u32_e32 v12, v10, v12
	v_sub_nc_u32_e32 v8, v8, v16
	v_lshrrev_b32_e32 v12, s17, v12
	v_mul_lo_u32 v16, v8, s24
	v_mul_lo_u32 v20, v8, s25
	v_mul_hi_u32 v14, s19, v12
	v_add_nc_u32_e32 v14, v12, v14
	v_lshrrev_b32_e32 v14, s36, v14
	v_mul_hi_u32 v18, s38, v14
	v_mul_lo_u32 v22, v14, s18
	v_add_nc_u32_e32 v8, v14, v18
	v_mul_lo_u32 v18, v12, s15
	v_sub_nc_u32_e32 v12, v12, v22
	v_lshrrev_b32_e32 v8, s39, v8
	v_mul_lo_u32 v22, v12, s28
	v_mul_lo_u32 v12, v12, s29
	v_sub_nc_u32_e32 v10, v10, v18
	v_mul_lo_u32 v24, v8, s37
	v_mul_lo_u32 v18, v10, s26
	;; [unrolled: 1-line block ×3, first 2 shown]
	v_sub_nc_u32_e32 v14, v14, v24
	v_add3_u32 v7, v16, v7, v18
	v_mul_lo_u32 v24, v14, s30
	v_mul_lo_u32 v14, v14, s31
	v_add3_u32 v9, v20, v9, v10
	v_add3_u32 v7, v22, v7, v24
	;; [unrolled: 1-line block ×3, first 2 shown]
	s_cbranch_scc1 .LBB152_118
; %bb.119:
	s_and_b32 s8, s8, 3
	s_cmp_eq_u32 s8, 0
	s_cbranch_scc0 .LBB152_123
	s_branch .LBB152_125
.LBB152_120:
	s_mov_b32 s6, -1
                                        ; implicit-def: $vgpr7
                                        ; implicit-def: $vgpr9
	s_branch .LBB152_125
.LBB152_121:
	v_mov_b32_e32 v7, 0
	v_mov_b32_e32 v9, 0
	s_branch .LBB152_125
.LBB152_122:
	v_mov_b32_e32 v7, 0
	v_mov_b32_e32 v9, 0
	;; [unrolled: 1-line block ×3, first 2 shown]
	s_mov_b32 s7, 0
	s_and_b32 s8, s8, 3
	s_cmp_eq_u32 s8, 0
	s_cbranch_scc1 .LBB152_125
.LBB152_123:
	s_lshl_b32 s0, s7, 3
	s_mul_i32 s4, s7, 12
	s_add_u32 s0, s2, s0
	s_addc_u32 s1, s3, 0
	s_add_u32 s0, s0, 0xc4
	s_addc_u32 s1, s1, 0
	;; [unrolled: 2-line block ×3, first 2 shown]
	.p2align	6
.LBB152_124:                            ; =>This Inner Loop Header: Depth=1
	s_clause 0x1
	s_load_dwordx2 s[10:11], s[4:5], 0x4
	s_load_dword s7, s[4:5], 0xc
	s_load_dwordx2 s[12:13], s[0:1], 0x0
	s_add_u32 s4, s4, 12
	s_addc_u32 s5, s5, 0
	s_add_u32 s0, s0, 8
	s_addc_u32 s1, s1, 0
	s_add_i32 s8, s8, -1
	s_cmp_lg_u32 s8, 0
	s_waitcnt lgkmcnt(0)
	v_mul_hi_u32 v10, s11, v8
	v_add_nc_u32_e32 v10, v8, v10
	v_lshrrev_b32_e32 v12, s7, v10
	v_mul_lo_u32 v10, v12, s10
	v_sub_nc_u32_e32 v10, v8, v10
	v_mad_u64_u32 v[7:8], null, v10, s12, v[7:8]
	v_mad_u64_u32 v[9:10], null, v10, s13, v[9:10]
	v_mov_b32_e32 v8, v12
	s_cbranch_scc1 .LBB152_124
.LBB152_125:
	s_andn2_b32 vcc_lo, exec_lo, s6
	s_cbranch_vccnz .LBB152_128
; %bb.126:
	s_clause 0x1
	s_load_dwordx4 s[4:7], s[2:3], 0x4
	s_load_dwordx2 s[0:1], s[2:3], 0xc4
	s_cmp_lt_u32 s22, 2
	s_waitcnt lgkmcnt(0)
	v_mul_hi_u32 v7, s5, v25
	v_add_nc_u32_e32 v7, v25, v7
	v_lshrrev_b32_e32 v8, s6, v7
	v_mul_lo_u32 v7, v8, s4
	v_sub_nc_u32_e32 v9, v25, v7
	v_mul_lo_u32 v7, v9, s0
	v_mul_lo_u32 v9, v9, s1
	s_cbranch_scc1 .LBB152_128
; %bb.127:
	s_clause 0x1
	s_load_dwordx4 s[4:7], s[2:3], 0x10
	s_load_dwordx2 s[0:1], s[2:3], 0xcc
	s_waitcnt lgkmcnt(0)
	v_mul_hi_u32 v10, s5, v8
	v_add_nc_u32_e32 v10, v8, v10
	v_lshrrev_b32_e32 v10, s6, v10
	v_mul_lo_u32 v10, v10, s4
	v_sub_nc_u32_e32 v10, v8, v10
	v_mad_u64_u32 v[7:8], null, v10, s0, v[7:8]
	v_mad_u64_u32 v[9:10], null, v10, s1, v[9:10]
.LBB152_128:
	s_load_dwordx4 s[12:15], s[2:3], 0x148
	s_mov_b32 s1, exec_lo
                                        ; implicit-def: $vgpr12
	s_waitcnt lgkmcnt(0)
	global_load_ushort v8, v23, s[14:15]
	s_waitcnt vmcnt(0)
	v_cvt_f32_f16_e32 v10, v8
	v_and_b32_e32 v14, 0x7fffffff, v10
	v_cmpx_ngt_f32_e64 0x3c800000, |v10|
	s_xor_b32 s1, exec_lo, s1
	s_cbranch_execz .LBB152_158
; %bb.129:
	s_mov_b32 s2, exec_lo
                                        ; implicit-def: $vgpr12
	v_cmpx_nlt_f32_e64 |v10|, 2.0
	s_xor_b32 s2, exec_lo, s2
	s_cbranch_execz .LBB152_139
; %bb.130:
	v_cmp_ngt_f32_e64 s0, 0x41000000, |v10|
                                        ; implicit-def: $vgpr12
	s_and_saveexec_b32 s3, s0
	s_xor_b32 s0, exec_lo, s3
	s_cbranch_execz .LBB152_136
; %bb.131:
	v_cmp_ngt_f32_e64 s3, 0x5c800000, |v10|
                                        ; implicit-def: $vgpr12
	s_and_saveexec_b32 s4, s3
	s_xor_b32 s3, exec_lo, s4
	s_cbranch_execz .LBB152_133
; %bb.132:
	v_cmp_gt_f32_e64 s4, 0x800000, |v10|
	v_cndmask_b32_e64 v12, 0, 32, s4
	v_ldexp_f32 v12, |v10|, v12
	v_log_f32_e32 v12, v12
	v_mul_f32_e32 v16, 0x3f317217, v12
	v_cmp_gt_f32_e64 vcc_lo, 0x7f800000, |v12|
	v_fma_f32 v18, 0x3f317217, v12, -v16
	v_fmamk_f32 v18, v12, 0x3377d1cf, v18
	v_add_f32_e32 v16, v16, v18
	v_cndmask_b32_e32 v12, v12, v16, vcc_lo
	v_cndmask_b32_e64 v16, 0, 0x41b17218, s4
	v_sub_f32_e32 v12, v12, v16
	v_fma_f32 v12, |v10|, v12, -|v10|
.LBB152_133:
	s_andn2_saveexec_b32 s3, s3
	s_cbranch_execz .LBB152_135
; %bb.134:
	v_cmp_gt_f32_e64 s4, 0x800000, |v10|
	v_rcp_f32_e64 v16, |v10|
	s_mov_b32 s5, 0xbad5c4e8
	v_cndmask_b32_e64 v12, 0, 32, s4
	v_ldexp_f32 v12, |v10|, v12
	v_mul_f32_e32 v18, v16, v16
	v_log_f32_e32 v12, v12
	v_fmaak_f32 v22, s5, v18, 0x3a5b3dd2
	v_fmaak_f32 v22, v18, v22, 0xba1c065c
	v_mul_f32_e32 v20, 0x3f317217, v12
	v_fmaak_f32 v22, v18, v22, 0x3a500cfd
	v_cmp_gt_f32_e64 vcc_lo, 0x7f800000, |v12|
	v_fma_f32 v23, 0x3f317217, v12, -v20
	v_fmaak_f32 v22, v18, v22, 0xbb360b61
	v_fmamk_f32 v23, v12, 0x3377d1cf, v23
	v_fmaak_f32 v18, v18, v22, 0x3daaaaab
	v_add_f32_e32 v20, v20, v23
	v_cndmask_b32_e32 v12, v12, v20, vcc_lo
	v_cndmask_b32_e64 v20, 0, 0x41b17218, s4
	v_sub_f32_e32 v20, v12, v20
	v_fmaak_f32 v12, v16, v18, 0x3ed67f1d
	v_add_f32_e64 v16, |v10|, -0.5
	v_add_f32_e32 v18, -1.0, v20
	v_fmac_f32_e32 v12, v16, v18
.LBB152_135:
	s_or_b32 exec_lo, exec_lo, s3
.LBB152_136:
	s_andn2_saveexec_b32 s3, s0
	s_cbranch_execz .LBB152_138
; %bb.137:
	v_cvt_i32_f32_e32 v12, v14
	s_mov_b32 s0, 0x36f5d7bd
	s_mov_b32 s4, 0x3805ff67
	v_cvt_f32_i32_e32 v16, v12
	v_cmp_lt_i32_e32 vcc_lo, 2, v12
	v_sub_f32_e64 v16, |v10|, v16
	v_add_f32_e32 v18, 2.0, v16
	v_add_f32_e32 v20, 0x40400000, v16
	v_add_f32_e32 v22, 4.0, v16
	v_add_f32_e32 v23, 0x40a00000, v16
	v_cndmask_b32_e32 v18, 1.0, v18, vcc_lo
	v_cmp_lt_i32_e32 vcc_lo, 3, v12
	v_cndmask_b32_e32 v20, 1.0, v20, vcc_lo
	v_cmp_lt_i32_e32 vcc_lo, 4, v12
	v_mul_f32_e32 v18, v18, v20
	v_cndmask_b32_e32 v22, 1.0, v22, vcc_lo
	v_cmp_lt_i32_e32 vcc_lo, 5, v12
	v_add_f32_e32 v20, 0x40c00000, v16
	v_mul_f32_e32 v18, v22, v18
	v_cndmask_b32_e32 v23, 1.0, v23, vcc_lo
	v_cmp_lt_i32_e32 vcc_lo, 6, v12
	v_fmaak_f32 v22, s4, v16, 0x3af135b4
	v_mul_f32_e32 v18, v23, v18
	v_cndmask_b32_e32 v12, 1.0, v20, vcc_lo
	v_mul_f32_e32 v12, v12, v18
	v_fmaak_f32 v18, s0, v16, 0x3a4beed6
	v_cmp_gt_f32_e32 vcc_lo, 0x800000, v12
	v_fmaak_f32 v18, v16, v18, 0x3c98bf54
	v_cndmask_b32_e64 v20, 0, 32, vcc_lo
	v_fmaak_f32 v18, v16, v18, 0x3e300f6e
	v_ldexp_f32 v12, v12, v20
	v_fmaak_f32 v20, v16, v22, 0x3cda40e4
	v_fmaak_f32 v18, v16, v18, 0x3f38d0c5
	v_log_f32_e32 v12, v12
	v_fmaak_f32 v20, v16, v20, 0x3e15dce6
	v_fmaak_f32 v18, v16, v18, 0x3fb22d3b
	;; [unrolled: 1-line block ×3, first 2 shown]
	v_fma_f32 v18, v16, v18, 1.0
	v_mul_f32_e32 v22, 0x3f317217, v12
	v_fmaak_f32 v20, v16, v20, 0x3e5c245a
	v_rcp_f32_e32 v18, v18
	v_cmp_gt_f32_e64 s0, 0x7f800000, |v12|
	v_fma_f32 v23, 0x3f317217, v12, -v22
	v_fmaak_f32 v20, v16, v20, 0xbd9e233f
	v_fmamk_f32 v23, v12, 0x3377d1cf, v23
	v_mul_f32_e32 v20, v16, v20
	v_add_f32_e32 v22, v22, v23
	v_mul_f32_e32 v18, v20, v18
	v_cndmask_b32_e64 v20, 0, 0x41b17218, vcc_lo
	v_cndmask_b32_e64 v12, v12, v22, s0
	v_fmac_f32_e32 v18, 0.5, v16
	v_sub_f32_e32 v12, v12, v20
	v_add_f32_e32 v12, v12, v18
.LBB152_138:
	s_or_b32 exec_lo, exec_lo, s3
.LBB152_139:
	s_andn2_saveexec_b32 s2, s2
	s_cbranch_execz .LBB152_157
; %bb.140:
	s_mov_b32 s3, exec_lo
                                        ; implicit-def: $vgpr12
                                        ; implicit-def: $vgpr18
                                        ; implicit-def: $vgpr16
	v_cmpx_ge_f32_e64 0x3f666666, |v10|
	s_xor_b32 s3, exec_lo, s3
	s_cbranch_execz .LBB152_142
; %bb.141:
	v_cmp_gt_f32_e64 s0, 0x800000, |v10|
	v_sub_f32_e64 v20, 1.0, |v10|
	v_cmp_gt_f32_e64 vcc_lo, 0x3f3b4a23, |v10|
	v_cndmask_b32_e64 v12, 0, 32, s0
	v_cndmask_b32_e64 v22, 0, 0x41b17218, s0
	v_ldexp_f32 v12, |v10|, v12
	v_log_f32_e32 v12, v12
	v_mul_f32_e32 v16, 0x3f317217, v12
	v_cmp_gt_f32_e64 s0, 0x7f800000, |v12|
	v_fma_f32 v18, 0x3f317217, v12, -v16
	v_fmamk_f32 v18, v12, 0x3377d1cf, v18
	v_add_f32_e32 v16, v16, v18
	v_add_f32_e64 v18, 0xbeec5b0c, |v10|
	v_cndmask_b32_e64 v12, v12, v16, s0
	v_cndmask_b32_e32 v16, v20, v18, vcc_lo
	v_cndmask_b32_e64 v18, 0, 1, vcc_lo
	v_cmp_gt_f32_e64 s0, 0x3e6d3309, |v10|
	v_sub_f32_e32 v12, v12, v22
	v_cndmask_b32_e64 v16, v16, |v10|, s0
	v_cndmask_b32_e64 v18, v18, 2, s0
	v_xor_b32_e32 v12, 0x80000000, v12
.LBB152_142:
	s_andn2_saveexec_b32 s0, s3
	s_cbranch_execz .LBB152_144
; %bb.143:
	v_sub_f32_e64 v12, 2.0, |v10|
	v_add_f32_e64 v16, 0xbfbb16c3, |v10|
	v_cmp_gt_f32_e64 vcc_lo, 0x3fdda512, |v10|
	v_add_f32_e64 v18, |v10|, -1.0
	v_cndmask_b32_e32 v16, v12, v16, vcc_lo
	v_cndmask_b32_e64 v12, v12, 1.0, vcc_lo
	v_cmp_gt_f32_e64 vcc_lo, 0x3f9d70a4, |v10|
	v_cvt_i32_f32_e32 v12, v12
	v_cndmask_b32_e32 v16, v16, v18, vcc_lo
	v_cndmask_b32_e64 v18, v12, 2, vcc_lo
	v_mov_b32_e32 v12, 0
.LBB152_144:
	s_or_b32 exec_lo, exec_lo, s0
	s_mov_b32 s0, exec_lo
	v_cmpx_lt_i32_e32 0, v18
	s_xor_b32 s0, exec_lo, s0
	s_cbranch_execz .LBB152_152
; %bb.145:
	s_mov_b32 s3, exec_lo
	v_cmpx_lt_i32_e32 1, v18
	s_xor_b32 s3, exec_lo, s3
	s_cbranch_execz .LBB152_149
; %bb.146:
	s_mov_b32 s4, exec_lo
	v_cmpx_eq_u32_e32 2, v18
	s_cbranch_execz .LBB152_148
; %bb.147:
	s_mov_b32 s5, 0x3b52d5db
	v_fmaak_f32 v18, s5, v16, 0x3dd572af
	s_mov_b32 s5, 0x3c5b3c5e
	v_fmaak_f32 v20, s5, v16, 0x3e6a7578
	v_fmaak_f32 v18, v16, v18, 0x3f44efdf
	;; [unrolled: 1-line block ×7, first 2 shown]
	v_fma_f32 v18, v16, v18, 1.0
	v_fmaak_f32 v20, v16, v20, 0xbd9e233f
	v_rcp_f32_e32 v18, v18
	v_mul_f32_e32 v20, v16, v20
	v_mul_f32_e32 v18, v20, v18
	v_fmac_f32_e32 v18, -0.5, v16
	v_add_f32_e32 v12, v12, v18
.LBB152_148:
	s_or_b32 exec_lo, exec_lo, s4
                                        ; implicit-def: $vgpr16
.LBB152_149:
	s_andn2_saveexec_b32 s3, s3
	s_cbranch_execz .LBB152_151
; %bb.150:
	v_mul_f32_e32 v18, v16, v16
	s_mov_b32 s4, 0xb9a3f927
	s_mov_b32 s5, 0x39afe9f7
	v_mul_f32_e32 v20, v16, v18
	v_fmaak_f32 v22, s4, v20, 0x3a66f867
	v_fmaak_f32 v23, s5, v20, 0xba0d3085
	s_mov_b32 s4, 0x39a57b6b
	v_fmaak_f32 v24, s4, v20, 0xbab7f476
	v_fmaak_f32 v22, v20, v22, 0xbb7177fe
	;; [unrolled: 1-line block ×9, first 2 shown]
	v_fmac_f32_e32 v22, v16, v23
	v_fmaak_f32 v16, v20, v24, 0x3ef7b95e
	v_fma_f32 v20, v20, -v22, 0xa2863e55
	v_fma_f32 v16, v18, v16, -v20
	v_add_f32_e32 v16, 0xbdf8cdce, v16
	v_add_f32_e32 v12, v12, v16
.LBB152_151:
	s_or_b32 exec_lo, exec_lo, s3
                                        ; implicit-def: $vgpr18
                                        ; implicit-def: $vgpr16
.LBB152_152:
	s_andn2_saveexec_b32 s0, s0
	s_cbranch_execz .LBB152_156
; %bb.153:
	s_mov_b32 s3, exec_lo
	v_cmpx_eq_u32_e32 0, v18
	s_cbranch_execz .LBB152_155
; %bb.154:
	v_mul_f32_e32 v18, v16, v16
	s_mov_b32 s4, 0x383c2c75
	v_fmaak_f32 v20, s4, v18, 0x38e28445
	s_mov_b32 s4, 0x37d383a2
	v_fmaak_f32 v22, s4, v18, 0x39679767
	v_fmaak_f32 v20, v18, v20, 0x3a05b634
	;; [unrolled: 1-line block ×9, first 2 shown]
	v_mul_f32_e32 v18, v18, v20
	v_fmac_f32_e32 v18, v16, v22
	v_fmac_f32_e32 v18, -0.5, v16
	v_add_f32_e32 v12, v12, v18
.LBB152_155:
	s_or_b32 exec_lo, exec_lo, s3
.LBB152_156:
	s_or_b32 exec_lo, exec_lo, s0
.LBB152_157:
	s_or_b32 exec_lo, exec_lo, s2
.LBB152_158:
	s_andn2_saveexec_b32 s0, s1
	s_cbranch_execz .LBB152_160
; %bb.159:
	v_cmp_gt_f32_e64 s1, 0x800000, |v10|
	s_mov_b32 s2, 0x3e8a8991
	v_fma_f32 v20, |v10|, s2, 0xbecd26ab
	v_cndmask_b32_e64 v12, 0, 32, s1
	v_ldexp_f32 v12, |v10|, v12
	v_log_f32_e32 v12, v12
	v_mul_f32_e32 v16, 0x3f317217, v12
	v_cmp_gt_f32_e64 vcc_lo, 0x7f800000, |v12|
	v_fma_f32 v18, 0x3f317217, v12, -v16
	v_fmamk_f32 v18, v12, 0x3377d1cf, v18
	v_add_f32_e32 v16, v16, v18
	v_fma_f32 v18, |v10|, v20, 0x3f528d33
	v_cndmask_b32_e32 v12, v12, v16, vcc_lo
	v_cndmask_b32_e64 v16, 0, 0x41b17218, s1
	v_fma_f32 v18, |v10|, v18, 0xbf13c468
	v_sub_f32_e32 v12, v12, v16
	v_fma_f32 v12, |v10|, v18, -v12
.LBB152_160:
	s_or_b32 exec_lo, exec_lo, s0
	v_cmp_le_f16_e32 vcc_lo, 0, v8
	s_mov_b32 s1, exec_lo
	v_cmpx_nle_f16_e32 0, v8
	s_xor_b32 s2, exec_lo, s1
	s_cbranch_execz .LBB152_164
; %bb.161:
	v_cmp_gt_f32_e64 s0, 0x4b000000, |v10|
	v_cmp_lt_f32_e64 s1, 0x35000000, |v10|
	s_and_b32 s0, s0, s1
	s_and_saveexec_b32 s3, s0
	s_cbranch_execz .LBB152_163
; %bb.162:
	v_mul_f32_e64 v16, |v10|, 0.5
	s_mov_b32 s1, 0x3d4be544
	v_xor_b32_e32 v14, v14, v10
	v_floor_f32_e32 v18, v16
	v_cmp_neq_f32_e64 s0, 0x7f800000, v16
	v_sub_f32_e32 v18, v16, v18
	v_min_f32_e32 v18, 0x3f7fffff, v18
	v_add_f32_e32 v18, v18, v18
	v_cndmask_b32_e64 v16, 0, v18, s0
	v_cmp_gt_f32_e64 s0, |v10|, 1.0
	v_cndmask_b32_e64 v16, |v10|, v16, s0
	s_mov_b32 s0, 0x3e75aa41
	v_add_f32_e32 v18, v16, v16
	v_rndne_f32_e32 v18, v18
	v_fmac_f32_e32 v16, -0.5, v18
	v_cvt_i32_f32_e32 v18, v18
	v_mul_f32_e32 v20, v16, v16
	v_fmaak_f32 v22, s0, v20, 0xbf1f24be
	v_fmaak_f32 v23, s1, v20, 0x3e642e9d
	v_mul_f32_e32 v24, v16, v20
	v_fmaak_f32 v22, v20, v22, 0x40234736
	v_fmaak_f32 v23, v20, v23, 0xbfaad1da
	;; [unrolled: 1-line block ×4, first 2 shown]
	v_mul_f32_e32 v22, v24, v22
	v_fmaak_f32 v23, v20, v23, 0xc09de9e6
	v_and_b32_e32 v24, 1, v18
	v_lshlrev_b32_e32 v18, 30, v18
	v_fmamk_f32 v16, v16, 0x40490fdb, v22
	v_fma_f32 v20, v20, v23, 1.0
	v_cmp_eq_u32_e64 s0, 0, v24
	v_and_b32_e32 v18, 0x80000000, v18
	v_cndmask_b32_e64 v16, v20, v16, s0
	v_xor3_b32 v14, v14, v18, v16
	v_mul_f32_e32 v14, v10, v14
	v_frexp_mant_f32_e64 v16, |v14|
	v_frexp_exp_i32_f32_e32 v14, v14
	v_rcp_f32_e32 v16, v16
	v_sub_nc_u32_e32 v14, 2, v14
	v_mul_f32_e32 v16, 0x3f490fdb, v16
	v_ldexp_f32 v14, v16, v14
	v_cmp_gt_f32_e64 s0, 0x800000, v14
	v_cndmask_b32_e64 v16, 0, 32, s0
	v_ldexp_f32 v14, v14, v16
	v_log_f32_e32 v14, v14
	v_mul_f32_e32 v16, 0x3f317217, v14
	v_cmp_gt_f32_e64 s1, 0x7f800000, |v14|
	v_fma_f32 v18, 0x3f317217, v14, -v16
	v_fmamk_f32 v18, v14, 0x3377d1cf, v18
	v_add_f32_e32 v16, v16, v18
	v_floor_f32_e32 v18, v10
	v_cndmask_b32_e64 v14, v14, v16, s1
	v_cndmask_b32_e64 v16, 0, 0x41b17218, s0
	v_sub_f32_e32 v18, v10, v18
	v_sub_f32_e32 v14, v14, v16
	v_min_f32_e32 v16, 0x3f7fffff, v18
	v_sub_f32_e32 v12, v14, v12
	v_cmp_neq_f32_e64 s0, 0, v16
	v_cndmask_b32_e64 v12, 0x7f800000, v12, s0
.LBB152_163:
	s_or_b32 exec_lo, exec_lo, s3
.LBB152_164:
	s_andn2_saveexec_b32 s2, s2
; %bb.165:
	v_cmp_eq_f16_e64 s0, 1.0, v8
	v_cmp_eq_f16_e64 s1, 2.0, v8
	s_or_b32 s0, s0, s1
	v_cndmask_b32_e64 v12, v12, 0, s0
; %bb.166:
	s_or_b32 exec_lo, exec_lo, s2
	global_load_ushort v14, v21, s[14:15]
                                        ; implicit-def: $vgpr18
	s_mov_b32 s1, exec_lo
	s_waitcnt vmcnt(0)
	v_cvt_f32_f16_e32 v16, v14
	v_and_b32_e32 v20, 0x7fffffff, v16
	v_cmpx_ngt_f32_e64 0x3c800000, |v16|
	s_xor_b32 s2, exec_lo, s1
	s_cbranch_execz .LBB152_196
; %bb.167:
                                        ; implicit-def: $vgpr18
	s_mov_b32 s1, exec_lo
	v_cmpx_nlt_f32_e64 |v16|, 2.0
	s_xor_b32 s3, exec_lo, s1
	s_cbranch_execz .LBB152_177
; %bb.168:
	s_mov_b32 s1, exec_lo
                                        ; implicit-def: $vgpr18
	v_cmpx_ngt_f32_e64 0x41000000, |v16|
	s_xor_b32 s1, exec_lo, s1
	s_cbranch_execz .LBB152_174
; %bb.169:
	s_mov_b32 s4, exec_lo
                                        ; implicit-def: $vgpr18
	v_cmpx_ngt_f32_e64 0x5c800000, |v16|
	s_xor_b32 s4, exec_lo, s4
	s_cbranch_execz .LBB152_171
; %bb.170:
	v_cmp_gt_f32_e64 s5, 0x800000, |v16|
	v_cndmask_b32_e64 v18, 0, 32, s5
	v_ldexp_f32 v18, |v16|, v18
	v_log_f32_e32 v18, v18
	v_mul_f32_e32 v21, 0x3f317217, v18
	v_cmp_gt_f32_e64 s0, 0x7f800000, |v18|
	v_fma_f32 v22, 0x3f317217, v18, -v21
	v_fmamk_f32 v22, v18, 0x3377d1cf, v22
	v_add_f32_e32 v21, v21, v22
	v_cndmask_b32_e64 v18, v18, v21, s0
	v_cndmask_b32_e64 v21, 0, 0x41b17218, s5
	v_sub_f32_e32 v18, v18, v21
	v_fma_f32 v18, |v16|, v18, -|v16|
.LBB152_171:
	s_andn2_saveexec_b32 s4, s4
	s_cbranch_execz .LBB152_173
; %bb.172:
	v_cmp_gt_f32_e64 s5, 0x800000, |v16|
	v_rcp_f32_e64 v21, |v16|
	s_mov_b32 s0, 0xbad5c4e8
	v_cndmask_b32_e64 v18, 0, 32, s5
	v_ldexp_f32 v18, |v16|, v18
	v_mul_f32_e32 v22, v21, v21
	v_log_f32_e32 v18, v18
	v_fmaak_f32 v24, s0, v22, 0x3a5b3dd2
	v_fmaak_f32 v24, v22, v24, 0xba1c065c
	v_mul_f32_e32 v23, 0x3f317217, v18
	v_fmaak_f32 v24, v22, v24, 0x3a500cfd
	v_cmp_gt_f32_e64 s0, 0x7f800000, |v18|
	v_fma_f32 v25, 0x3f317217, v18, -v23
	v_fmaak_f32 v24, v22, v24, 0xbb360b61
	v_fmamk_f32 v25, v18, 0x3377d1cf, v25
	v_fmaak_f32 v22, v22, v24, 0x3daaaaab
	v_add_f32_e32 v23, v23, v25
	v_cndmask_b32_e64 v18, v18, v23, s0
	v_cndmask_b32_e64 v23, 0, 0x41b17218, s5
	v_sub_f32_e32 v23, v18, v23
	v_fmaak_f32 v18, v21, v22, 0x3ed67f1d
	v_add_f32_e64 v21, |v16|, -0.5
	v_add_f32_e32 v22, -1.0, v23
	v_fmac_f32_e32 v18, v21, v22
.LBB152_173:
	s_or_b32 exec_lo, exec_lo, s4
.LBB152_174:
	s_andn2_saveexec_b32 s4, s1
	s_cbranch_execz .LBB152_176
; %bb.175:
	v_cvt_i32_f32_e32 v18, v20
	s_mov_b32 s1, 0x3805ff67
	v_cvt_f32_i32_e32 v21, v18
	v_cmp_lt_i32_e64 s0, 2, v18
	v_sub_f32_e64 v21, |v16|, v21
	v_add_f32_e32 v22, 2.0, v21
	v_add_f32_e32 v23, 0x40400000, v21
	v_add_f32_e32 v24, 4.0, v21
	v_add_f32_e32 v25, 0x40a00000, v21
	v_cndmask_b32_e64 v22, 1.0, v22, s0
	v_cmp_lt_i32_e64 s0, 3, v18
	v_cndmask_b32_e64 v23, 1.0, v23, s0
	v_cmp_lt_i32_e64 s0, 4, v18
	v_mul_f32_e32 v22, v22, v23
	v_cndmask_b32_e64 v24, 1.0, v24, s0
	v_cmp_lt_i32_e64 s0, 5, v18
	v_add_f32_e32 v23, 0x40c00000, v21
	v_mul_f32_e32 v22, v24, v22
	v_cndmask_b32_e64 v25, 1.0, v25, s0
	v_cmp_lt_i32_e64 s0, 6, v18
	v_fmaak_f32 v24, s1, v21, 0x3af135b4
	v_mul_f32_e32 v22, v25, v22
	v_cndmask_b32_e64 v18, 1.0, v23, s0
	s_mov_b32 s0, 0x36f5d7bd
	v_mul_f32_e32 v18, v18, v22
	v_fmaak_f32 v22, s0, v21, 0x3a4beed6
	v_cmp_gt_f32_e64 s0, 0x800000, v18
	v_fmaak_f32 v22, v21, v22, 0x3c98bf54
	v_cndmask_b32_e64 v23, 0, 32, s0
	v_fmaak_f32 v22, v21, v22, 0x3e300f6e
	v_ldexp_f32 v18, v18, v23
	v_fmaak_f32 v23, v21, v24, 0x3cda40e4
	v_fmaak_f32 v22, v21, v22, 0x3f38d0c5
	v_log_f32_e32 v18, v18
	v_fmaak_f32 v23, v21, v23, 0x3e15dce6
	v_fmaak_f32 v22, v21, v22, 0x3fb22d3b
	;; [unrolled: 1-line block ×3, first 2 shown]
	v_fma_f32 v22, v21, v22, 1.0
	v_mul_f32_e32 v24, 0x3f317217, v18
	v_fmaak_f32 v23, v21, v23, 0x3e5c245a
	v_rcp_f32_e32 v22, v22
	v_cmp_gt_f32_e64 s1, 0x7f800000, |v18|
	v_fma_f32 v25, 0x3f317217, v18, -v24
	v_fmaak_f32 v23, v21, v23, 0xbd9e233f
	v_fmamk_f32 v25, v18, 0x3377d1cf, v25
	v_mul_f32_e32 v23, v21, v23
	v_add_f32_e32 v24, v24, v25
	v_mul_f32_e32 v22, v23, v22
	v_cndmask_b32_e64 v23, 0, 0x41b17218, s0
	v_cndmask_b32_e64 v18, v18, v24, s1
	v_fmac_f32_e32 v22, 0.5, v21
	v_sub_f32_e32 v18, v18, v23
	v_add_f32_e32 v18, v18, v22
.LBB152_176:
	s_or_b32 exec_lo, exec_lo, s4
.LBB152_177:
	s_andn2_saveexec_b32 s3, s3
	s_cbranch_execz .LBB152_195
; %bb.178:
                                        ; implicit-def: $vgpr18
                                        ; implicit-def: $vgpr22
                                        ; implicit-def: $vgpr21
	s_mov_b32 s1, exec_lo
	v_cmpx_ge_f32_e64 0x3f666666, |v16|
	s_xor_b32 s4, exec_lo, s1
	s_cbranch_execz .LBB152_180
; %bb.179:
	v_cmp_gt_f32_e64 s1, 0x800000, |v16|
	v_sub_f32_e64 v23, 1.0, |v16|
	v_cmp_gt_f32_e64 s0, 0x3f3b4a23, |v16|
	v_cndmask_b32_e64 v18, 0, 32, s1
	v_cndmask_b32_e64 v24, 0, 0x41b17218, s1
	v_ldexp_f32 v18, |v16|, v18
	v_log_f32_e32 v18, v18
	v_mul_f32_e32 v21, 0x3f317217, v18
	v_cmp_gt_f32_e64 s1, 0x7f800000, |v18|
	v_fma_f32 v22, 0x3f317217, v18, -v21
	v_fmamk_f32 v22, v18, 0x3377d1cf, v22
	v_add_f32_e32 v21, v21, v22
	v_add_f32_e64 v22, 0xbeec5b0c, |v16|
	v_cndmask_b32_e64 v18, v18, v21, s1
	v_cndmask_b32_e64 v21, v23, v22, s0
	;; [unrolled: 1-line block ×3, first 2 shown]
	v_cmp_gt_f32_e64 s0, 0x3e6d3309, |v16|
	v_sub_f32_e32 v18, v18, v24
	v_cndmask_b32_e64 v21, v21, |v16|, s0
	v_cndmask_b32_e64 v22, v22, 2, s0
	v_xor_b32_e32 v18, 0x80000000, v18
.LBB152_180:
	s_andn2_saveexec_b32 s1, s4
	s_cbranch_execz .LBB152_182
; %bb.181:
	v_sub_f32_e64 v18, 2.0, |v16|
	v_add_f32_e64 v21, 0xbfbb16c3, |v16|
	v_cmp_gt_f32_e64 s0, 0x3fdda512, |v16|
	v_add_f32_e64 v22, |v16|, -1.0
	v_cndmask_b32_e64 v21, v18, v21, s0
	v_cndmask_b32_e64 v18, v18, 1.0, s0
	v_cmp_gt_f32_e64 s0, 0x3f9d70a4, |v16|
	v_cvt_i32_f32_e32 v18, v18
	v_cndmask_b32_e64 v21, v21, v22, s0
	v_cndmask_b32_e64 v22, v18, 2, s0
	v_mov_b32_e32 v18, 0
.LBB152_182:
	s_or_b32 exec_lo, exec_lo, s1
	s_mov_b32 s1, exec_lo
	v_cmpx_lt_i32_e32 0, v22
	s_xor_b32 s1, exec_lo, s1
	s_cbranch_execz .LBB152_190
; %bb.183:
	s_mov_b32 s4, exec_lo
	v_cmpx_lt_i32_e32 1, v22
	s_xor_b32 s4, exec_lo, s4
	s_cbranch_execz .LBB152_187
; %bb.184:
	s_mov_b32 s5, exec_lo
	v_cmpx_eq_u32_e32 2, v22
	s_cbranch_execz .LBB152_186
; %bb.185:
	s_mov_b32 s0, 0x3b52d5db
	v_fmaak_f32 v22, s0, v21, 0x3dd572af
	s_mov_b32 s0, 0x3c5b3c5e
	v_fmaak_f32 v23, s0, v21, 0x3e6a7578
	v_fmaak_f32 v22, v21, v22, 0x3f44efdf
	;; [unrolled: 1-line block ×7, first 2 shown]
	v_fma_f32 v22, v21, v22, 1.0
	v_fmaak_f32 v23, v21, v23, 0xbd9e233f
	v_rcp_f32_e32 v22, v22
	v_mul_f32_e32 v23, v21, v23
	v_mul_f32_e32 v22, v23, v22
	v_fmac_f32_e32 v22, -0.5, v21
	v_add_f32_e32 v18, v18, v22
.LBB152_186:
	s_or_b32 exec_lo, exec_lo, s5
                                        ; implicit-def: $vgpr21
.LBB152_187:
	s_andn2_saveexec_b32 s0, s4
	s_cbranch_execz .LBB152_189
; %bb.188:
	v_mul_f32_e32 v22, v21, v21
	s_mov_b32 s4, 0xb9a3f927
	s_mov_b32 s5, 0x39afe9f7
	v_mul_f32_e32 v23, v21, v22
	v_fmaak_f32 v24, s4, v23, 0x3a66f867
	v_fmaak_f32 v25, s5, v23, 0xba0d3085
	s_mov_b32 s4, 0x39a57b6b
	v_fmaak_f32 v26, s4, v23, 0xbab7f476
	v_fmaak_f32 v24, v23, v24, 0xbb7177fe
	;; [unrolled: 1-line block ×9, first 2 shown]
	v_fmac_f32_e32 v24, v21, v25
	v_fmaak_f32 v21, v23, v26, 0x3ef7b95e
	v_fma_f32 v23, v23, -v24, 0xa2863e55
	v_fma_f32 v21, v22, v21, -v23
	v_add_f32_e32 v21, 0xbdf8cdce, v21
	v_add_f32_e32 v18, v18, v21
.LBB152_189:
	s_or_b32 exec_lo, exec_lo, s0
                                        ; implicit-def: $vgpr22
                                        ; implicit-def: $vgpr21
.LBB152_190:
	s_andn2_saveexec_b32 s1, s1
	s_cbranch_execz .LBB152_194
; %bb.191:
	s_mov_b32 s4, exec_lo
	v_cmpx_eq_u32_e32 0, v22
	s_cbranch_execz .LBB152_193
; %bb.192:
	v_mul_f32_e32 v22, v21, v21
	s_mov_b32 s0, 0x383c2c75
	v_fmaak_f32 v23, s0, v22, 0x38e28445
	s_mov_b32 s0, 0x37d383a2
	v_fmaak_f32 v24, s0, v22, 0x39679767
	v_fmaak_f32 v23, v22, v23, 0x3a05b634
	;; [unrolled: 1-line block ×9, first 2 shown]
	v_mul_f32_e32 v22, v22, v23
	v_fmac_f32_e32 v22, v21, v24
	v_fmac_f32_e32 v22, -0.5, v21
	v_add_f32_e32 v18, v18, v22
.LBB152_193:
	s_or_b32 exec_lo, exec_lo, s4
.LBB152_194:
	s_or_b32 exec_lo, exec_lo, s1
.LBB152_195:
	s_or_b32 exec_lo, exec_lo, s3
.LBB152_196:
	s_andn2_saveexec_b32 s1, s2
	s_cbranch_execz .LBB152_198
; %bb.197:
	v_cmp_gt_f32_e64 s2, 0x800000, |v16|
	s_mov_b32 s0, 0x3e8a8991
	v_fma_f32 v23, |v16|, s0, 0xbecd26ab
	v_cndmask_b32_e64 v18, 0, 32, s2
	v_ldexp_f32 v18, |v16|, v18
	v_log_f32_e32 v18, v18
	v_mul_f32_e32 v21, 0x3f317217, v18
	v_cmp_gt_f32_e64 s0, 0x7f800000, |v18|
	v_fma_f32 v22, 0x3f317217, v18, -v21
	v_fmamk_f32 v22, v18, 0x3377d1cf, v22
	v_add_f32_e32 v21, v21, v22
	v_fma_f32 v22, |v16|, v23, 0x3f528d33
	v_cndmask_b32_e64 v18, v18, v21, s0
	v_cndmask_b32_e64 v21, 0, 0x41b17218, s2
	v_fma_f32 v22, |v16|, v22, 0xbf13c468
	v_sub_f32_e32 v18, v18, v21
	v_fma_f32 v18, |v16|, v22, -v18
.LBB152_198:
	s_or_b32 exec_lo, exec_lo, s1
	v_cmp_le_f16_e64 s0, 0, v14
	s_mov_b32 s2, exec_lo
	v_cmpx_nle_f16_e32 0, v14
	s_xor_b32 s3, exec_lo, s2
	s_cbranch_execz .LBB152_202
; %bb.199:
	v_cmp_gt_f32_e64 s1, 0x4b000000, |v16|
	v_cmp_lt_f32_e64 s2, 0x35000000, |v16|
	s_and_b32 s1, s1, s2
	s_and_saveexec_b32 s4, s1
	s_cbranch_execz .LBB152_201
; %bb.200:
	v_mul_f32_e64 v21, |v16|, 0.5
	s_mov_b32 s2, 0x3d4be544
	v_xor_b32_e32 v20, v20, v16
	v_floor_f32_e32 v22, v21
	v_cmp_neq_f32_e64 s1, 0x7f800000, v21
	v_sub_f32_e32 v22, v21, v22
	v_min_f32_e32 v22, 0x3f7fffff, v22
	v_add_f32_e32 v22, v22, v22
	v_cndmask_b32_e64 v21, 0, v22, s1
	v_cmp_gt_f32_e64 s1, |v16|, 1.0
	v_cndmask_b32_e64 v21, |v16|, v21, s1
	s_mov_b32 s1, 0x3e75aa41
	v_add_f32_e32 v22, v21, v21
	v_rndne_f32_e32 v22, v22
	v_fmac_f32_e32 v21, -0.5, v22
	v_cvt_i32_f32_e32 v22, v22
	v_mul_f32_e32 v23, v21, v21
	v_fmaak_f32 v24, s1, v23, 0xbf1f24be
	v_fmaak_f32 v25, s2, v23, 0x3e642e9d
	v_mul_f32_e32 v26, v21, v23
	v_fmaak_f32 v24, v23, v24, 0x40234736
	v_fmaak_f32 v25, v23, v25, 0xbfaad1da
	;; [unrolled: 1-line block ×4, first 2 shown]
	v_mul_f32_e32 v24, v26, v24
	v_fmaak_f32 v25, v23, v25, 0xc09de9e6
	v_and_b32_e32 v26, 1, v22
	v_lshlrev_b32_e32 v22, 30, v22
	v_fmamk_f32 v21, v21, 0x40490fdb, v24
	v_fma_f32 v23, v23, v25, 1.0
	v_cmp_eq_u32_e64 s1, 0, v26
	v_and_b32_e32 v22, 0x80000000, v22
	v_cndmask_b32_e64 v21, v23, v21, s1
	v_xor3_b32 v20, v20, v22, v21
	v_mul_f32_e32 v20, v16, v20
	v_frexp_mant_f32_e64 v21, |v20|
	v_frexp_exp_i32_f32_e32 v20, v20
	v_rcp_f32_e32 v21, v21
	v_sub_nc_u32_e32 v20, 2, v20
	v_mul_f32_e32 v21, 0x3f490fdb, v21
	v_ldexp_f32 v20, v21, v20
	v_cmp_gt_f32_e64 s1, 0x800000, v20
	v_cndmask_b32_e64 v21, 0, 32, s1
	v_ldexp_f32 v20, v20, v21
	v_log_f32_e32 v20, v20
	v_mul_f32_e32 v21, 0x3f317217, v20
	v_cmp_gt_f32_e64 s2, 0x7f800000, |v20|
	v_fma_f32 v22, 0x3f317217, v20, -v21
	v_fmamk_f32 v22, v20, 0x3377d1cf, v22
	v_add_f32_e32 v21, v21, v22
	v_floor_f32_e32 v22, v16
	v_cndmask_b32_e64 v20, v20, v21, s2
	v_cndmask_b32_e64 v21, 0, 0x41b17218, s1
	v_sub_f32_e32 v22, v16, v22
	v_sub_f32_e32 v20, v20, v21
	v_min_f32_e32 v21, 0x3f7fffff, v22
	v_sub_f32_e32 v18, v20, v18
	v_cmp_neq_f32_e64 s1, 0, v21
	v_cndmask_b32_e64 v18, 0x7f800000, v18, s1
.LBB152_201:
	s_or_b32 exec_lo, exec_lo, s4
.LBB152_202:
	s_andn2_saveexec_b32 s3, s3
; %bb.203:
	v_cmp_eq_f16_e64 s1, 1.0, v14
	v_cmp_eq_f16_e64 s2, 2.0, v14
	s_or_b32 s1, s1, s2
	v_cndmask_b32_e64 v18, v18, 0, s1
; %bb.204:
	s_or_b32 exec_lo, exec_lo, s3
	global_load_ushort v19, v19, s[14:15]
                                        ; implicit-def: $vgpr21
	s_mov_b32 s2, exec_lo
	s_waitcnt vmcnt(0)
	v_cvt_f32_f16_e32 v20, v19
	v_and_b32_e32 v22, 0x7fffffff, v20
	v_cmpx_ngt_f32_e64 0x3c800000, |v20|
	s_xor_b32 s3, exec_lo, s2
	s_cbranch_execz .LBB152_234
; %bb.205:
                                        ; implicit-def: $vgpr21
	s_mov_b32 s2, exec_lo
	v_cmpx_nlt_f32_e64 |v20|, 2.0
	s_xor_b32 s4, exec_lo, s2
	s_cbranch_execz .LBB152_215
; %bb.206:
	s_mov_b32 s2, exec_lo
                                        ; implicit-def: $vgpr21
	v_cmpx_ngt_f32_e64 0x41000000, |v20|
	s_xor_b32 s2, exec_lo, s2
	s_cbranch_execz .LBB152_212
; %bb.207:
	s_mov_b32 s5, exec_lo
                                        ; implicit-def: $vgpr21
	v_cmpx_ngt_f32_e64 0x5c800000, |v20|
	s_xor_b32 s5, exec_lo, s5
	s_cbranch_execz .LBB152_209
; %bb.208:
	v_cmp_gt_f32_e64 s6, 0x800000, |v20|
	v_cndmask_b32_e64 v21, 0, 32, s6
	v_ldexp_f32 v21, |v20|, v21
	v_log_f32_e32 v21, v21
	v_mul_f32_e32 v23, 0x3f317217, v21
	v_cmp_gt_f32_e64 s1, 0x7f800000, |v21|
	v_fma_f32 v24, 0x3f317217, v21, -v23
	v_fmamk_f32 v24, v21, 0x3377d1cf, v24
	v_add_f32_e32 v23, v23, v24
	v_cndmask_b32_e64 v21, v21, v23, s1
	v_cndmask_b32_e64 v23, 0, 0x41b17218, s6
	v_sub_f32_e32 v21, v21, v23
	v_fma_f32 v21, |v20|, v21, -|v20|
.LBB152_209:
	s_andn2_saveexec_b32 s5, s5
	s_cbranch_execz .LBB152_211
; %bb.210:
	v_cmp_gt_f32_e64 s6, 0x800000, |v20|
	v_rcp_f32_e64 v23, |v20|
	s_mov_b32 s1, 0xbad5c4e8
	v_cndmask_b32_e64 v21, 0, 32, s6
	v_ldexp_f32 v21, |v20|, v21
	v_mul_f32_e32 v24, v23, v23
	v_log_f32_e32 v21, v21
	v_fmaak_f32 v26, s1, v24, 0x3a5b3dd2
	v_fmaak_f32 v26, v24, v26, 0xba1c065c
	v_mul_f32_e32 v25, 0x3f317217, v21
	v_fmaak_f32 v26, v24, v26, 0x3a500cfd
	v_cmp_gt_f32_e64 s1, 0x7f800000, |v21|
	v_fma_f32 v27, 0x3f317217, v21, -v25
	v_fmaak_f32 v26, v24, v26, 0xbb360b61
	v_fmamk_f32 v27, v21, 0x3377d1cf, v27
	v_fmaak_f32 v24, v24, v26, 0x3daaaaab
	v_add_f32_e32 v25, v25, v27
	v_cndmask_b32_e64 v21, v21, v25, s1
	v_cndmask_b32_e64 v25, 0, 0x41b17218, s6
	v_sub_f32_e32 v25, v21, v25
	v_fmaak_f32 v21, v23, v24, 0x3ed67f1d
	v_add_f32_e64 v23, |v20|, -0.5
	v_add_f32_e32 v24, -1.0, v25
	v_fmac_f32_e32 v21, v23, v24
.LBB152_211:
	s_or_b32 exec_lo, exec_lo, s5
.LBB152_212:
	s_andn2_saveexec_b32 s5, s2
	s_cbranch_execz .LBB152_214
; %bb.213:
	v_cvt_i32_f32_e32 v21, v22
	s_mov_b32 s2, 0x3805ff67
	v_cvt_f32_i32_e32 v23, v21
	v_cmp_lt_i32_e64 s1, 2, v21
	v_sub_f32_e64 v23, |v20|, v23
	v_add_f32_e32 v24, 2.0, v23
	v_add_f32_e32 v25, 0x40400000, v23
	v_add_f32_e32 v26, 4.0, v23
	v_add_f32_e32 v27, 0x40a00000, v23
	v_cndmask_b32_e64 v24, 1.0, v24, s1
	v_cmp_lt_i32_e64 s1, 3, v21
	v_cndmask_b32_e64 v25, 1.0, v25, s1
	v_cmp_lt_i32_e64 s1, 4, v21
	v_mul_f32_e32 v24, v24, v25
	v_cndmask_b32_e64 v26, 1.0, v26, s1
	v_cmp_lt_i32_e64 s1, 5, v21
	v_add_f32_e32 v25, 0x40c00000, v23
	v_mul_f32_e32 v24, v26, v24
	v_cndmask_b32_e64 v27, 1.0, v27, s1
	v_cmp_lt_i32_e64 s1, 6, v21
	v_fmaak_f32 v26, s2, v23, 0x3af135b4
	v_mul_f32_e32 v24, v27, v24
	v_cndmask_b32_e64 v21, 1.0, v25, s1
	s_mov_b32 s1, 0x36f5d7bd
	v_mul_f32_e32 v21, v21, v24
	v_fmaak_f32 v24, s1, v23, 0x3a4beed6
	v_cmp_gt_f32_e64 s1, 0x800000, v21
	v_fmaak_f32 v24, v23, v24, 0x3c98bf54
	v_cndmask_b32_e64 v25, 0, 32, s1
	v_fmaak_f32 v24, v23, v24, 0x3e300f6e
	v_ldexp_f32 v21, v21, v25
	v_fmaak_f32 v25, v23, v26, 0x3cda40e4
	v_fmaak_f32 v24, v23, v24, 0x3f38d0c5
	v_log_f32_e32 v21, v21
	v_fmaak_f32 v25, v23, v25, 0x3e15dce6
	v_fmaak_f32 v24, v23, v24, 0x3fb22d3b
	v_fmaak_f32 v25, v23, v25, 0x3ea6cc7a
	v_fma_f32 v24, v23, v24, 1.0
	v_mul_f32_e32 v26, 0x3f317217, v21
	v_fmaak_f32 v25, v23, v25, 0x3e5c245a
	v_rcp_f32_e32 v24, v24
	v_cmp_gt_f32_e64 s2, 0x7f800000, |v21|
	v_fma_f32 v27, 0x3f317217, v21, -v26
	v_fmaak_f32 v25, v23, v25, 0xbd9e233f
	v_fmamk_f32 v27, v21, 0x3377d1cf, v27
	v_mul_f32_e32 v25, v23, v25
	v_add_f32_e32 v26, v26, v27
	v_mul_f32_e32 v24, v25, v24
	v_cndmask_b32_e64 v25, 0, 0x41b17218, s1
	v_cndmask_b32_e64 v21, v21, v26, s2
	v_fmac_f32_e32 v24, 0.5, v23
	v_sub_f32_e32 v21, v21, v25
	v_add_f32_e32 v21, v21, v24
.LBB152_214:
	s_or_b32 exec_lo, exec_lo, s5
.LBB152_215:
	s_andn2_saveexec_b32 s4, s4
	s_cbranch_execz .LBB152_233
; %bb.216:
                                        ; implicit-def: $vgpr21
                                        ; implicit-def: $vgpr24
                                        ; implicit-def: $vgpr23
	s_mov_b32 s2, exec_lo
	v_cmpx_ge_f32_e64 0x3f666666, |v20|
	s_xor_b32 s5, exec_lo, s2
	s_cbranch_execz .LBB152_218
; %bb.217:
	v_cmp_gt_f32_e64 s2, 0x800000, |v20|
	v_sub_f32_e64 v25, 1.0, |v20|
	v_cmp_gt_f32_e64 s1, 0x3f3b4a23, |v20|
	v_cndmask_b32_e64 v21, 0, 32, s2
	v_cndmask_b32_e64 v26, 0, 0x41b17218, s2
	v_ldexp_f32 v21, |v20|, v21
	v_log_f32_e32 v21, v21
	v_mul_f32_e32 v23, 0x3f317217, v21
	v_cmp_gt_f32_e64 s2, 0x7f800000, |v21|
	v_fma_f32 v24, 0x3f317217, v21, -v23
	v_fmamk_f32 v24, v21, 0x3377d1cf, v24
	v_add_f32_e32 v23, v23, v24
	v_add_f32_e64 v24, 0xbeec5b0c, |v20|
	v_cndmask_b32_e64 v21, v21, v23, s2
	v_cndmask_b32_e64 v23, v25, v24, s1
	;; [unrolled: 1-line block ×3, first 2 shown]
	v_cmp_gt_f32_e64 s1, 0x3e6d3309, |v20|
	v_sub_f32_e32 v21, v21, v26
	v_cndmask_b32_e64 v23, v23, |v20|, s1
	v_cndmask_b32_e64 v24, v24, 2, s1
	v_xor_b32_e32 v21, 0x80000000, v21
.LBB152_218:
	s_andn2_saveexec_b32 s2, s5
	s_cbranch_execz .LBB152_220
; %bb.219:
	v_sub_f32_e64 v21, 2.0, |v20|
	v_add_f32_e64 v23, 0xbfbb16c3, |v20|
	v_cmp_gt_f32_e64 s1, 0x3fdda512, |v20|
	v_add_f32_e64 v24, |v20|, -1.0
	v_cndmask_b32_e64 v23, v21, v23, s1
	v_cndmask_b32_e64 v21, v21, 1.0, s1
	v_cmp_gt_f32_e64 s1, 0x3f9d70a4, |v20|
	v_cvt_i32_f32_e32 v21, v21
	v_cndmask_b32_e64 v23, v23, v24, s1
	v_cndmask_b32_e64 v24, v21, 2, s1
	v_mov_b32_e32 v21, 0
.LBB152_220:
	s_or_b32 exec_lo, exec_lo, s2
	s_mov_b32 s2, exec_lo
	v_cmpx_lt_i32_e32 0, v24
	s_xor_b32 s2, exec_lo, s2
	s_cbranch_execz .LBB152_228
; %bb.221:
	s_mov_b32 s5, exec_lo
	v_cmpx_lt_i32_e32 1, v24
	s_xor_b32 s5, exec_lo, s5
	s_cbranch_execz .LBB152_225
; %bb.222:
	s_mov_b32 s6, exec_lo
	v_cmpx_eq_u32_e32 2, v24
	s_cbranch_execz .LBB152_224
; %bb.223:
	s_mov_b32 s1, 0x3b52d5db
	v_fmaak_f32 v24, s1, v23, 0x3dd572af
	s_mov_b32 s1, 0x3c5b3c5e
	v_fmaak_f32 v25, s1, v23, 0x3e6a7578
	v_fmaak_f32 v24, v23, v24, 0x3f44efdf
	;; [unrolled: 1-line block ×7, first 2 shown]
	v_fma_f32 v24, v23, v24, 1.0
	v_fmaak_f32 v25, v23, v25, 0xbd9e233f
	v_rcp_f32_e32 v24, v24
	v_mul_f32_e32 v25, v23, v25
	v_mul_f32_e32 v24, v25, v24
	v_fmac_f32_e32 v24, -0.5, v23
	v_add_f32_e32 v21, v21, v24
.LBB152_224:
	s_or_b32 exec_lo, exec_lo, s6
                                        ; implicit-def: $vgpr23
.LBB152_225:
	s_andn2_saveexec_b32 s1, s5
	s_cbranch_execz .LBB152_227
; %bb.226:
	v_mul_f32_e32 v24, v23, v23
	s_mov_b32 s5, 0xb9a3f927
	s_mov_b32 s6, 0x39afe9f7
	v_mul_f32_e32 v25, v23, v24
	v_fmaak_f32 v26, s5, v25, 0x3a66f867
	v_fmaak_f32 v27, s6, v25, 0xba0d3085
	s_mov_b32 s5, 0x39a57b6b
	v_fmaak_f32 v28, s5, v25, 0xbab7f476
	v_fmaak_f32 v26, v25, v26, 0xbb7177fe
	;; [unrolled: 1-line block ×9, first 2 shown]
	v_fmac_f32_e32 v26, v23, v27
	v_fmaak_f32 v23, v25, v28, 0x3ef7b95e
	v_fma_f32 v25, v25, -v26, 0xa2863e55
	v_fma_f32 v23, v24, v23, -v25
	v_add_f32_e32 v23, 0xbdf8cdce, v23
	v_add_f32_e32 v21, v21, v23
.LBB152_227:
	s_or_b32 exec_lo, exec_lo, s1
                                        ; implicit-def: $vgpr24
                                        ; implicit-def: $vgpr23
.LBB152_228:
	s_andn2_saveexec_b32 s2, s2
	s_cbranch_execz .LBB152_232
; %bb.229:
	s_mov_b32 s5, exec_lo
	v_cmpx_eq_u32_e32 0, v24
	s_cbranch_execz .LBB152_231
; %bb.230:
	v_mul_f32_e32 v24, v23, v23
	s_mov_b32 s1, 0x383c2c75
	v_fmaak_f32 v25, s1, v24, 0x38e28445
	s_mov_b32 s1, 0x37d383a2
	v_fmaak_f32 v26, s1, v24, 0x39679767
	v_fmaak_f32 v25, v24, v25, 0x3a05b634
	;; [unrolled: 1-line block ×9, first 2 shown]
	v_mul_f32_e32 v24, v24, v25
	v_fmac_f32_e32 v24, v23, v26
	v_fmac_f32_e32 v24, -0.5, v23
	v_add_f32_e32 v21, v21, v24
.LBB152_231:
	s_or_b32 exec_lo, exec_lo, s5
.LBB152_232:
	s_or_b32 exec_lo, exec_lo, s2
.LBB152_233:
	s_or_b32 exec_lo, exec_lo, s4
.LBB152_234:
	s_andn2_saveexec_b32 s2, s3
	s_cbranch_execz .LBB152_236
; %bb.235:
	v_cmp_gt_f32_e64 s3, 0x800000, |v20|
	s_mov_b32 s1, 0x3e8a8991
	v_fma_f32 v25, |v20|, s1, 0xbecd26ab
	v_cndmask_b32_e64 v21, 0, 32, s3
	v_ldexp_f32 v21, |v20|, v21
	v_log_f32_e32 v21, v21
	v_mul_f32_e32 v23, 0x3f317217, v21
	v_cmp_gt_f32_e64 s1, 0x7f800000, |v21|
	v_fma_f32 v24, 0x3f317217, v21, -v23
	v_fmamk_f32 v24, v21, 0x3377d1cf, v24
	v_add_f32_e32 v23, v23, v24
	v_fma_f32 v24, |v20|, v25, 0x3f528d33
	v_cndmask_b32_e64 v21, v21, v23, s1
	v_cndmask_b32_e64 v23, 0, 0x41b17218, s3
	v_fma_f32 v24, |v20|, v24, 0xbf13c468
	v_sub_f32_e32 v21, v21, v23
	v_fma_f32 v21, |v20|, v24, -v21
.LBB152_236:
	s_or_b32 exec_lo, exec_lo, s2
	v_cmp_le_f16_e64 s1, 0, v19
	s_mov_b32 s3, exec_lo
	v_cmpx_nle_f16_e32 0, v19
	s_xor_b32 s4, exec_lo, s3
	s_cbranch_execz .LBB152_240
; %bb.237:
	v_cmp_gt_f32_e64 s2, 0x4b000000, |v20|
	v_cmp_lt_f32_e64 s3, 0x35000000, |v20|
	s_and_b32 s2, s2, s3
	s_and_saveexec_b32 s5, s2
	s_cbranch_execz .LBB152_239
; %bb.238:
	v_mul_f32_e64 v23, |v20|, 0.5
	s_mov_b32 s3, 0x3d4be544
	v_xor_b32_e32 v22, v22, v20
	v_floor_f32_e32 v24, v23
	v_cmp_neq_f32_e64 s2, 0x7f800000, v23
	v_sub_f32_e32 v24, v23, v24
	v_min_f32_e32 v24, 0x3f7fffff, v24
	v_add_f32_e32 v24, v24, v24
	v_cndmask_b32_e64 v23, 0, v24, s2
	v_cmp_gt_f32_e64 s2, |v20|, 1.0
	v_cndmask_b32_e64 v23, |v20|, v23, s2
	s_mov_b32 s2, 0x3e75aa41
	v_add_f32_e32 v24, v23, v23
	v_rndne_f32_e32 v24, v24
	v_fmac_f32_e32 v23, -0.5, v24
	v_cvt_i32_f32_e32 v24, v24
	v_mul_f32_e32 v25, v23, v23
	v_fmaak_f32 v26, s2, v25, 0xbf1f24be
	v_fmaak_f32 v27, s3, v25, 0x3e642e9d
	v_mul_f32_e32 v28, v23, v25
	v_fmaak_f32 v26, v25, v26, 0x40234736
	v_fmaak_f32 v27, v25, v27, 0xbfaad1da
	;; [unrolled: 1-line block ×4, first 2 shown]
	v_mul_f32_e32 v26, v28, v26
	v_fmaak_f32 v27, v25, v27, 0xc09de9e6
	v_and_b32_e32 v28, 1, v24
	v_lshlrev_b32_e32 v24, 30, v24
	v_fmamk_f32 v23, v23, 0x40490fdb, v26
	v_fma_f32 v25, v25, v27, 1.0
	v_cmp_eq_u32_e64 s2, 0, v28
	v_and_b32_e32 v24, 0x80000000, v24
	v_cndmask_b32_e64 v23, v25, v23, s2
	v_xor3_b32 v22, v22, v24, v23
	v_mul_f32_e32 v22, v20, v22
	v_frexp_mant_f32_e64 v23, |v22|
	v_frexp_exp_i32_f32_e32 v22, v22
	v_rcp_f32_e32 v23, v23
	v_sub_nc_u32_e32 v22, 2, v22
	v_mul_f32_e32 v23, 0x3f490fdb, v23
	v_ldexp_f32 v22, v23, v22
	v_cmp_gt_f32_e64 s2, 0x800000, v22
	v_cndmask_b32_e64 v23, 0, 32, s2
	v_ldexp_f32 v22, v22, v23
	v_log_f32_e32 v22, v22
	v_mul_f32_e32 v23, 0x3f317217, v22
	v_cmp_gt_f32_e64 s3, 0x7f800000, |v22|
	v_fma_f32 v24, 0x3f317217, v22, -v23
	v_fmamk_f32 v24, v22, 0x3377d1cf, v24
	v_add_f32_e32 v23, v23, v24
	v_floor_f32_e32 v24, v20
	v_cndmask_b32_e64 v22, v22, v23, s3
	v_cndmask_b32_e64 v23, 0, 0x41b17218, s2
	v_sub_f32_e32 v24, v20, v24
	v_sub_f32_e32 v22, v22, v23
	v_min_f32_e32 v23, 0x3f7fffff, v24
	v_sub_f32_e32 v21, v22, v21
	v_cmp_neq_f32_e64 s2, 0, v23
	v_cndmask_b32_e64 v21, 0x7f800000, v21, s2
.LBB152_239:
	s_or_b32 exec_lo, exec_lo, s5
.LBB152_240:
	s_andn2_saveexec_b32 s4, s4
; %bb.241:
	v_cmp_eq_f16_e64 s2, 1.0, v19
	v_cmp_eq_f16_e64 s3, 2.0, v19
	s_or_b32 s2, s2, s3
	v_cndmask_b32_e64 v21, v21, 0, s2
; %bb.242:
	s_or_b32 exec_lo, exec_lo, s4
	global_load_ushort v17, v17, s[14:15]
                                        ; implicit-def: $vgpr23
	s_mov_b32 s3, exec_lo
	s_waitcnt vmcnt(0)
	v_cvt_f32_f16_e32 v22, v17
	v_and_b32_e32 v24, 0x7fffffff, v22
	v_cmpx_ngt_f32_e64 0x3c800000, |v22|
	s_xor_b32 s4, exec_lo, s3
	s_cbranch_execz .LBB152_272
; %bb.243:
                                        ; implicit-def: $vgpr23
	s_mov_b32 s3, exec_lo
	v_cmpx_nlt_f32_e64 |v22|, 2.0
	s_xor_b32 s5, exec_lo, s3
	s_cbranch_execz .LBB152_253
; %bb.244:
	s_mov_b32 s3, exec_lo
                                        ; implicit-def: $vgpr23
	v_cmpx_ngt_f32_e64 0x41000000, |v22|
	s_xor_b32 s3, exec_lo, s3
	s_cbranch_execz .LBB152_250
; %bb.245:
	s_mov_b32 s6, exec_lo
                                        ; implicit-def: $vgpr23
	v_cmpx_ngt_f32_e64 0x5c800000, |v22|
	s_xor_b32 s6, exec_lo, s6
	s_cbranch_execz .LBB152_247
; %bb.246:
	v_cmp_gt_f32_e64 s7, 0x800000, |v22|
	v_cndmask_b32_e64 v23, 0, 32, s7
	v_ldexp_f32 v23, |v22|, v23
	v_log_f32_e32 v23, v23
	v_mul_f32_e32 v25, 0x3f317217, v23
	v_cmp_gt_f32_e64 s2, 0x7f800000, |v23|
	v_fma_f32 v26, 0x3f317217, v23, -v25
	v_fmamk_f32 v26, v23, 0x3377d1cf, v26
	v_add_f32_e32 v25, v25, v26
	v_cndmask_b32_e64 v23, v23, v25, s2
	v_cndmask_b32_e64 v25, 0, 0x41b17218, s7
	v_sub_f32_e32 v23, v23, v25
	v_fma_f32 v23, |v22|, v23, -|v22|
.LBB152_247:
	s_andn2_saveexec_b32 s6, s6
	s_cbranch_execz .LBB152_249
; %bb.248:
	v_cmp_gt_f32_e64 s7, 0x800000, |v22|
	v_rcp_f32_e64 v25, |v22|
	s_mov_b32 s2, 0xbad5c4e8
	v_cndmask_b32_e64 v23, 0, 32, s7
	v_ldexp_f32 v23, |v22|, v23
	v_mul_f32_e32 v26, v25, v25
	v_log_f32_e32 v23, v23
	v_fmaak_f32 v28, s2, v26, 0x3a5b3dd2
	v_fmaak_f32 v28, v26, v28, 0xba1c065c
	v_mul_f32_e32 v27, 0x3f317217, v23
	v_fmaak_f32 v28, v26, v28, 0x3a500cfd
	v_cmp_gt_f32_e64 s2, 0x7f800000, |v23|
	v_fma_f32 v29, 0x3f317217, v23, -v27
	v_fmaak_f32 v28, v26, v28, 0xbb360b61
	v_fmamk_f32 v29, v23, 0x3377d1cf, v29
	v_fmaak_f32 v26, v26, v28, 0x3daaaaab
	v_add_f32_e32 v27, v27, v29
	v_cndmask_b32_e64 v23, v23, v27, s2
	v_cndmask_b32_e64 v27, 0, 0x41b17218, s7
	v_sub_f32_e32 v27, v23, v27
	v_fmaak_f32 v23, v25, v26, 0x3ed67f1d
	v_add_f32_e64 v25, |v22|, -0.5
	v_add_f32_e32 v26, -1.0, v27
	v_fmac_f32_e32 v23, v25, v26
.LBB152_249:
	s_or_b32 exec_lo, exec_lo, s6
.LBB152_250:
	s_andn2_saveexec_b32 s6, s3
	s_cbranch_execz .LBB152_252
; %bb.251:
	v_cvt_i32_f32_e32 v23, v24
	s_mov_b32 s3, 0x3805ff67
	v_cvt_f32_i32_e32 v25, v23
	v_cmp_lt_i32_e64 s2, 2, v23
	v_sub_f32_e64 v25, |v22|, v25
	v_add_f32_e32 v26, 2.0, v25
	v_add_f32_e32 v27, 0x40400000, v25
	v_add_f32_e32 v28, 4.0, v25
	v_add_f32_e32 v29, 0x40a00000, v25
	v_cndmask_b32_e64 v26, 1.0, v26, s2
	v_cmp_lt_i32_e64 s2, 3, v23
	v_cndmask_b32_e64 v27, 1.0, v27, s2
	v_cmp_lt_i32_e64 s2, 4, v23
	v_mul_f32_e32 v26, v26, v27
	v_cndmask_b32_e64 v28, 1.0, v28, s2
	v_cmp_lt_i32_e64 s2, 5, v23
	v_add_f32_e32 v27, 0x40c00000, v25
	v_mul_f32_e32 v26, v28, v26
	v_cndmask_b32_e64 v29, 1.0, v29, s2
	v_cmp_lt_i32_e64 s2, 6, v23
	v_fmaak_f32 v28, s3, v25, 0x3af135b4
	v_mul_f32_e32 v26, v29, v26
	v_cndmask_b32_e64 v23, 1.0, v27, s2
	s_mov_b32 s2, 0x36f5d7bd
	v_mul_f32_e32 v23, v23, v26
	v_fmaak_f32 v26, s2, v25, 0x3a4beed6
	v_cmp_gt_f32_e64 s2, 0x800000, v23
	v_fmaak_f32 v26, v25, v26, 0x3c98bf54
	v_cndmask_b32_e64 v27, 0, 32, s2
	v_fmaak_f32 v26, v25, v26, 0x3e300f6e
	v_ldexp_f32 v23, v23, v27
	v_fmaak_f32 v27, v25, v28, 0x3cda40e4
	v_fmaak_f32 v26, v25, v26, 0x3f38d0c5
	v_log_f32_e32 v23, v23
	v_fmaak_f32 v27, v25, v27, 0x3e15dce6
	v_fmaak_f32 v26, v25, v26, 0x3fb22d3b
	;; [unrolled: 1-line block ×3, first 2 shown]
	v_fma_f32 v26, v25, v26, 1.0
	v_mul_f32_e32 v28, 0x3f317217, v23
	v_fmaak_f32 v27, v25, v27, 0x3e5c245a
	v_rcp_f32_e32 v26, v26
	v_cmp_gt_f32_e64 s3, 0x7f800000, |v23|
	v_fma_f32 v29, 0x3f317217, v23, -v28
	v_fmaak_f32 v27, v25, v27, 0xbd9e233f
	v_fmamk_f32 v29, v23, 0x3377d1cf, v29
	v_mul_f32_e32 v27, v25, v27
	v_add_f32_e32 v28, v28, v29
	v_mul_f32_e32 v26, v27, v26
	v_cndmask_b32_e64 v27, 0, 0x41b17218, s2
	v_cndmask_b32_e64 v23, v23, v28, s3
	v_fmac_f32_e32 v26, 0.5, v25
	v_sub_f32_e32 v23, v23, v27
	v_add_f32_e32 v23, v23, v26
.LBB152_252:
	s_or_b32 exec_lo, exec_lo, s6
.LBB152_253:
	s_andn2_saveexec_b32 s5, s5
	s_cbranch_execz .LBB152_271
; %bb.254:
                                        ; implicit-def: $vgpr23
                                        ; implicit-def: $vgpr26
                                        ; implicit-def: $vgpr25
	s_mov_b32 s3, exec_lo
	v_cmpx_ge_f32_e64 0x3f666666, |v22|
	s_xor_b32 s6, exec_lo, s3
	s_cbranch_execz .LBB152_256
; %bb.255:
	v_cmp_gt_f32_e64 s3, 0x800000, |v22|
	v_sub_f32_e64 v27, 1.0, |v22|
	v_cmp_gt_f32_e64 s2, 0x3f3b4a23, |v22|
	v_cndmask_b32_e64 v23, 0, 32, s3
	v_cndmask_b32_e64 v28, 0, 0x41b17218, s3
	v_ldexp_f32 v23, |v22|, v23
	v_log_f32_e32 v23, v23
	v_mul_f32_e32 v25, 0x3f317217, v23
	v_cmp_gt_f32_e64 s3, 0x7f800000, |v23|
	v_fma_f32 v26, 0x3f317217, v23, -v25
	v_fmamk_f32 v26, v23, 0x3377d1cf, v26
	v_add_f32_e32 v25, v25, v26
	v_add_f32_e64 v26, 0xbeec5b0c, |v22|
	v_cndmask_b32_e64 v23, v23, v25, s3
	v_cndmask_b32_e64 v25, v27, v26, s2
	;; [unrolled: 1-line block ×3, first 2 shown]
	v_cmp_gt_f32_e64 s2, 0x3e6d3309, |v22|
	v_sub_f32_e32 v23, v23, v28
	v_cndmask_b32_e64 v25, v25, |v22|, s2
	v_cndmask_b32_e64 v26, v26, 2, s2
	v_xor_b32_e32 v23, 0x80000000, v23
.LBB152_256:
	s_andn2_saveexec_b32 s3, s6
	s_cbranch_execz .LBB152_258
; %bb.257:
	v_sub_f32_e64 v23, 2.0, |v22|
	v_add_f32_e64 v25, 0xbfbb16c3, |v22|
	v_cmp_gt_f32_e64 s2, 0x3fdda512, |v22|
	v_add_f32_e64 v26, |v22|, -1.0
	v_cndmask_b32_e64 v25, v23, v25, s2
	v_cndmask_b32_e64 v23, v23, 1.0, s2
	v_cmp_gt_f32_e64 s2, 0x3f9d70a4, |v22|
	v_cvt_i32_f32_e32 v23, v23
	v_cndmask_b32_e64 v25, v25, v26, s2
	v_cndmask_b32_e64 v26, v23, 2, s2
	v_mov_b32_e32 v23, 0
.LBB152_258:
	s_or_b32 exec_lo, exec_lo, s3
	s_mov_b32 s3, exec_lo
	v_cmpx_lt_i32_e32 0, v26
	s_xor_b32 s3, exec_lo, s3
	s_cbranch_execz .LBB152_266
; %bb.259:
	s_mov_b32 s6, exec_lo
	v_cmpx_lt_i32_e32 1, v26
	s_xor_b32 s6, exec_lo, s6
	s_cbranch_execz .LBB152_263
; %bb.260:
	s_mov_b32 s7, exec_lo
	v_cmpx_eq_u32_e32 2, v26
	s_cbranch_execz .LBB152_262
; %bb.261:
	s_mov_b32 s2, 0x3b52d5db
	v_fmaak_f32 v26, s2, v25, 0x3dd572af
	s_mov_b32 s2, 0x3c5b3c5e
	v_fmaak_f32 v27, s2, v25, 0x3e6a7578
	v_fmaak_f32 v26, v25, v26, 0x3f44efdf
	;; [unrolled: 1-line block ×7, first 2 shown]
	v_fma_f32 v26, v25, v26, 1.0
	v_fmaak_f32 v27, v25, v27, 0xbd9e233f
	v_rcp_f32_e32 v26, v26
	v_mul_f32_e32 v27, v25, v27
	v_mul_f32_e32 v26, v27, v26
	v_fmac_f32_e32 v26, -0.5, v25
	v_add_f32_e32 v23, v23, v26
.LBB152_262:
	s_or_b32 exec_lo, exec_lo, s7
                                        ; implicit-def: $vgpr25
.LBB152_263:
	s_andn2_saveexec_b32 s2, s6
	s_cbranch_execz .LBB152_265
; %bb.264:
	v_mul_f32_e32 v26, v25, v25
	s_mov_b32 s6, 0xb9a3f927
	s_mov_b32 s7, 0x39afe9f7
	v_mul_f32_e32 v27, v25, v26
	v_fmaak_f32 v28, s6, v27, 0x3a66f867
	v_fmaak_f32 v29, s7, v27, 0xba0d3085
	s_mov_b32 s6, 0x39a57b6b
	v_fmaak_f32 v30, s6, v27, 0xbab7f476
	v_fmaak_f32 v28, v27, v28, 0xbb7177fe
	;; [unrolled: 1-line block ×9, first 2 shown]
	v_fmac_f32_e32 v28, v25, v29
	v_fmaak_f32 v25, v27, v30, 0x3ef7b95e
	v_fma_f32 v27, v27, -v28, 0xa2863e55
	v_fma_f32 v25, v26, v25, -v27
	v_add_f32_e32 v25, 0xbdf8cdce, v25
	v_add_f32_e32 v23, v23, v25
.LBB152_265:
	s_or_b32 exec_lo, exec_lo, s2
                                        ; implicit-def: $vgpr26
                                        ; implicit-def: $vgpr25
.LBB152_266:
	s_andn2_saveexec_b32 s3, s3
	s_cbranch_execz .LBB152_270
; %bb.267:
	s_mov_b32 s6, exec_lo
	v_cmpx_eq_u32_e32 0, v26
	s_cbranch_execz .LBB152_269
; %bb.268:
	v_mul_f32_e32 v26, v25, v25
	s_mov_b32 s2, 0x383c2c75
	v_fmaak_f32 v27, s2, v26, 0x38e28445
	s_mov_b32 s2, 0x37d383a2
	v_fmaak_f32 v28, s2, v26, 0x39679767
	v_fmaak_f32 v27, v26, v27, 0x3a05b634
	;; [unrolled: 1-line block ×9, first 2 shown]
	v_mul_f32_e32 v26, v26, v27
	v_fmac_f32_e32 v26, v25, v28
	v_fmac_f32_e32 v26, -0.5, v25
	v_add_f32_e32 v23, v23, v26
.LBB152_269:
	s_or_b32 exec_lo, exec_lo, s6
.LBB152_270:
	s_or_b32 exec_lo, exec_lo, s3
.LBB152_271:
	s_or_b32 exec_lo, exec_lo, s5
.LBB152_272:
	s_andn2_saveexec_b32 s3, s4
	s_cbranch_execz .LBB152_274
; %bb.273:
	v_cmp_gt_f32_e64 s4, 0x800000, |v22|
	s_mov_b32 s2, 0x3e8a8991
	v_fma_f32 v27, |v22|, s2, 0xbecd26ab
	v_cndmask_b32_e64 v23, 0, 32, s4
	v_ldexp_f32 v23, |v22|, v23
	v_log_f32_e32 v23, v23
	v_mul_f32_e32 v25, 0x3f317217, v23
	v_cmp_gt_f32_e64 s2, 0x7f800000, |v23|
	v_fma_f32 v26, 0x3f317217, v23, -v25
	v_fmamk_f32 v26, v23, 0x3377d1cf, v26
	v_add_f32_e32 v25, v25, v26
	v_fma_f32 v26, |v22|, v27, 0x3f528d33
	v_cndmask_b32_e64 v23, v23, v25, s2
	v_cndmask_b32_e64 v25, 0, 0x41b17218, s4
	v_fma_f32 v26, |v22|, v26, 0xbf13c468
	v_sub_f32_e32 v23, v23, v25
	v_fma_f32 v23, |v22|, v26, -v23
.LBB152_274:
	s_or_b32 exec_lo, exec_lo, s3
	v_cmp_le_f16_e64 s2, 0, v17
	s_mov_b32 s4, exec_lo
	v_cmpx_nle_f16_e32 0, v17
	s_xor_b32 s5, exec_lo, s4
	s_cbranch_execz .LBB152_278
; %bb.275:
	v_cmp_gt_f32_e64 s3, 0x4b000000, |v22|
	v_cmp_lt_f32_e64 s4, 0x35000000, |v22|
	s_and_b32 s3, s3, s4
	s_and_saveexec_b32 s6, s3
	s_cbranch_execz .LBB152_277
; %bb.276:
	v_mul_f32_e64 v25, |v22|, 0.5
	s_mov_b32 s4, 0x3d4be544
	v_xor_b32_e32 v24, v24, v22
	v_floor_f32_e32 v26, v25
	v_cmp_neq_f32_e64 s3, 0x7f800000, v25
	v_sub_f32_e32 v26, v25, v26
	v_min_f32_e32 v26, 0x3f7fffff, v26
	v_add_f32_e32 v26, v26, v26
	v_cndmask_b32_e64 v25, 0, v26, s3
	v_cmp_gt_f32_e64 s3, |v22|, 1.0
	v_cndmask_b32_e64 v25, |v22|, v25, s3
	s_mov_b32 s3, 0x3e75aa41
	v_add_f32_e32 v26, v25, v25
	v_rndne_f32_e32 v26, v26
	v_fmac_f32_e32 v25, -0.5, v26
	v_cvt_i32_f32_e32 v26, v26
	v_mul_f32_e32 v27, v25, v25
	v_fmaak_f32 v28, s3, v27, 0xbf1f24be
	v_fmaak_f32 v29, s4, v27, 0x3e642e9d
	v_mul_f32_e32 v30, v25, v27
	v_fmaak_f32 v28, v27, v28, 0x40234736
	v_fmaak_f32 v29, v27, v29, 0xbfaad1da
	;; [unrolled: 1-line block ×4, first 2 shown]
	v_mul_f32_e32 v28, v30, v28
	v_fmaak_f32 v29, v27, v29, 0xc09de9e6
	v_and_b32_e32 v30, 1, v26
	v_lshlrev_b32_e32 v26, 30, v26
	v_fmamk_f32 v25, v25, 0x40490fdb, v28
	v_fma_f32 v27, v27, v29, 1.0
	v_cmp_eq_u32_e64 s3, 0, v30
	v_and_b32_e32 v26, 0x80000000, v26
	v_cndmask_b32_e64 v25, v27, v25, s3
	v_xor3_b32 v24, v24, v26, v25
	v_mul_f32_e32 v24, v22, v24
	v_frexp_mant_f32_e64 v25, |v24|
	v_frexp_exp_i32_f32_e32 v24, v24
	v_rcp_f32_e32 v25, v25
	v_sub_nc_u32_e32 v24, 2, v24
	v_mul_f32_e32 v25, 0x3f490fdb, v25
	v_ldexp_f32 v24, v25, v24
	v_cmp_gt_f32_e64 s3, 0x800000, v24
	v_cndmask_b32_e64 v25, 0, 32, s3
	v_ldexp_f32 v24, v24, v25
	v_log_f32_e32 v24, v24
	v_mul_f32_e32 v25, 0x3f317217, v24
	v_cmp_gt_f32_e64 s4, 0x7f800000, |v24|
	v_fma_f32 v26, 0x3f317217, v24, -v25
	v_fmamk_f32 v26, v24, 0x3377d1cf, v26
	v_add_f32_e32 v25, v25, v26
	v_floor_f32_e32 v26, v22
	v_cndmask_b32_e64 v24, v24, v25, s4
	v_cndmask_b32_e64 v25, 0, 0x41b17218, s3
	v_sub_f32_e32 v26, v22, v26
	v_sub_f32_e32 v24, v24, v25
	v_min_f32_e32 v25, 0x3f7fffff, v26
	v_sub_f32_e32 v23, v24, v23
	v_cmp_neq_f32_e64 s3, 0, v25
	v_cndmask_b32_e64 v23, 0x7f800000, v23, s3
.LBB152_277:
	s_or_b32 exec_lo, exec_lo, s6
.LBB152_278:
	s_andn2_saveexec_b32 s5, s5
; %bb.279:
	v_cmp_eq_f16_e64 s3, 1.0, v17
	v_cmp_eq_f16_e64 s4, 2.0, v17
	s_or_b32 s3, s3, s4
	v_cndmask_b32_e64 v23, v23, 0, s3
; %bb.280:
	s_or_b32 exec_lo, exec_lo, s5
	global_load_ushort v15, v15, s[14:15]
                                        ; implicit-def: $vgpr25
	s_mov_b32 s4, exec_lo
	s_waitcnt vmcnt(0)
	v_cvt_f32_f16_e32 v24, v15
	v_and_b32_e32 v26, 0x7fffffff, v24
	v_cmpx_ngt_f32_e64 0x3c800000, |v24|
	s_xor_b32 s5, exec_lo, s4
	s_cbranch_execz .LBB152_310
; %bb.281:
                                        ; implicit-def: $vgpr25
	s_mov_b32 s4, exec_lo
	v_cmpx_nlt_f32_e64 |v24|, 2.0
	s_xor_b32 s6, exec_lo, s4
	s_cbranch_execz .LBB152_291
; %bb.282:
	s_mov_b32 s4, exec_lo
                                        ; implicit-def: $vgpr25
	v_cmpx_ngt_f32_e64 0x41000000, |v24|
	s_xor_b32 s4, exec_lo, s4
	s_cbranch_execz .LBB152_288
; %bb.283:
	s_mov_b32 s7, exec_lo
                                        ; implicit-def: $vgpr25
	v_cmpx_ngt_f32_e64 0x5c800000, |v24|
	s_xor_b32 s7, exec_lo, s7
	s_cbranch_execz .LBB152_285
; %bb.284:
	v_cmp_gt_f32_e64 s8, 0x800000, |v24|
	v_cndmask_b32_e64 v25, 0, 32, s8
	v_ldexp_f32 v25, |v24|, v25
	v_log_f32_e32 v25, v25
	v_mul_f32_e32 v27, 0x3f317217, v25
	v_cmp_gt_f32_e64 s3, 0x7f800000, |v25|
	v_fma_f32 v28, 0x3f317217, v25, -v27
	v_fmamk_f32 v28, v25, 0x3377d1cf, v28
	v_add_f32_e32 v27, v27, v28
	v_cndmask_b32_e64 v25, v25, v27, s3
	v_cndmask_b32_e64 v27, 0, 0x41b17218, s8
	v_sub_f32_e32 v25, v25, v27
	v_fma_f32 v25, |v24|, v25, -|v24|
.LBB152_285:
	s_andn2_saveexec_b32 s7, s7
	s_cbranch_execz .LBB152_287
; %bb.286:
	v_cmp_gt_f32_e64 s8, 0x800000, |v24|
	v_rcp_f32_e64 v27, |v24|
	s_mov_b32 s3, 0xbad5c4e8
	v_cndmask_b32_e64 v25, 0, 32, s8
	v_ldexp_f32 v25, |v24|, v25
	v_mul_f32_e32 v28, v27, v27
	v_log_f32_e32 v25, v25
	v_fmaak_f32 v30, s3, v28, 0x3a5b3dd2
	v_fmaak_f32 v30, v28, v30, 0xba1c065c
	v_mul_f32_e32 v29, 0x3f317217, v25
	v_fmaak_f32 v30, v28, v30, 0x3a500cfd
	v_cmp_gt_f32_e64 s3, 0x7f800000, |v25|
	v_fma_f32 v31, 0x3f317217, v25, -v29
	v_fmaak_f32 v30, v28, v30, 0xbb360b61
	v_fmamk_f32 v31, v25, 0x3377d1cf, v31
	v_fmaak_f32 v28, v28, v30, 0x3daaaaab
	v_add_f32_e32 v29, v29, v31
	v_cndmask_b32_e64 v25, v25, v29, s3
	v_cndmask_b32_e64 v29, 0, 0x41b17218, s8
	v_sub_f32_e32 v29, v25, v29
	v_fmaak_f32 v25, v27, v28, 0x3ed67f1d
	v_add_f32_e64 v27, |v24|, -0.5
	v_add_f32_e32 v28, -1.0, v29
	v_fmac_f32_e32 v25, v27, v28
.LBB152_287:
	s_or_b32 exec_lo, exec_lo, s7
.LBB152_288:
	s_andn2_saveexec_b32 s7, s4
	s_cbranch_execz .LBB152_290
; %bb.289:
	v_cvt_i32_f32_e32 v25, v26
	s_mov_b32 s4, 0x3805ff67
	v_cvt_f32_i32_e32 v27, v25
	v_cmp_lt_i32_e64 s3, 2, v25
	v_sub_f32_e64 v27, |v24|, v27
	v_add_f32_e32 v28, 2.0, v27
	v_add_f32_e32 v29, 0x40400000, v27
	v_add_f32_e32 v30, 4.0, v27
	v_add_f32_e32 v31, 0x40a00000, v27
	v_cndmask_b32_e64 v28, 1.0, v28, s3
	v_cmp_lt_i32_e64 s3, 3, v25
	v_cndmask_b32_e64 v29, 1.0, v29, s3
	v_cmp_lt_i32_e64 s3, 4, v25
	v_mul_f32_e32 v28, v28, v29
	v_cndmask_b32_e64 v30, 1.0, v30, s3
	v_cmp_lt_i32_e64 s3, 5, v25
	v_add_f32_e32 v29, 0x40c00000, v27
	v_mul_f32_e32 v28, v30, v28
	v_cndmask_b32_e64 v31, 1.0, v31, s3
	v_cmp_lt_i32_e64 s3, 6, v25
	v_fmaak_f32 v30, s4, v27, 0x3af135b4
	v_mul_f32_e32 v28, v31, v28
	v_cndmask_b32_e64 v25, 1.0, v29, s3
	s_mov_b32 s3, 0x36f5d7bd
	v_mul_f32_e32 v25, v25, v28
	v_fmaak_f32 v28, s3, v27, 0x3a4beed6
	v_cmp_gt_f32_e64 s3, 0x800000, v25
	v_fmaak_f32 v28, v27, v28, 0x3c98bf54
	v_cndmask_b32_e64 v29, 0, 32, s3
	v_fmaak_f32 v28, v27, v28, 0x3e300f6e
	v_ldexp_f32 v25, v25, v29
	v_fmaak_f32 v29, v27, v30, 0x3cda40e4
	v_fmaak_f32 v28, v27, v28, 0x3f38d0c5
	v_log_f32_e32 v25, v25
	v_fmaak_f32 v29, v27, v29, 0x3e15dce6
	v_fmaak_f32 v28, v27, v28, 0x3fb22d3b
	;; [unrolled: 1-line block ×3, first 2 shown]
	v_fma_f32 v28, v27, v28, 1.0
	v_mul_f32_e32 v30, 0x3f317217, v25
	v_fmaak_f32 v29, v27, v29, 0x3e5c245a
	v_rcp_f32_e32 v28, v28
	v_cmp_gt_f32_e64 s4, 0x7f800000, |v25|
	v_fma_f32 v31, 0x3f317217, v25, -v30
	v_fmaak_f32 v29, v27, v29, 0xbd9e233f
	v_fmamk_f32 v31, v25, 0x3377d1cf, v31
	v_mul_f32_e32 v29, v27, v29
	v_add_f32_e32 v30, v30, v31
	v_mul_f32_e32 v28, v29, v28
	v_cndmask_b32_e64 v29, 0, 0x41b17218, s3
	v_cndmask_b32_e64 v25, v25, v30, s4
	v_fmac_f32_e32 v28, 0.5, v27
	v_sub_f32_e32 v25, v25, v29
	v_add_f32_e32 v25, v25, v28
.LBB152_290:
	s_or_b32 exec_lo, exec_lo, s7
.LBB152_291:
	s_andn2_saveexec_b32 s6, s6
	s_cbranch_execz .LBB152_309
; %bb.292:
                                        ; implicit-def: $vgpr25
                                        ; implicit-def: $vgpr28
                                        ; implicit-def: $vgpr27
	s_mov_b32 s4, exec_lo
	v_cmpx_ge_f32_e64 0x3f666666, |v24|
	s_xor_b32 s7, exec_lo, s4
	s_cbranch_execz .LBB152_294
; %bb.293:
	v_cmp_gt_f32_e64 s4, 0x800000, |v24|
	v_sub_f32_e64 v29, 1.0, |v24|
	v_cmp_gt_f32_e64 s3, 0x3f3b4a23, |v24|
	v_cndmask_b32_e64 v25, 0, 32, s4
	v_cndmask_b32_e64 v30, 0, 0x41b17218, s4
	v_ldexp_f32 v25, |v24|, v25
	v_log_f32_e32 v25, v25
	v_mul_f32_e32 v27, 0x3f317217, v25
	v_cmp_gt_f32_e64 s4, 0x7f800000, |v25|
	v_fma_f32 v28, 0x3f317217, v25, -v27
	v_fmamk_f32 v28, v25, 0x3377d1cf, v28
	v_add_f32_e32 v27, v27, v28
	v_add_f32_e64 v28, 0xbeec5b0c, |v24|
	v_cndmask_b32_e64 v25, v25, v27, s4
	v_cndmask_b32_e64 v27, v29, v28, s3
	;; [unrolled: 1-line block ×3, first 2 shown]
	v_cmp_gt_f32_e64 s3, 0x3e6d3309, |v24|
	v_sub_f32_e32 v25, v25, v30
	v_cndmask_b32_e64 v27, v27, |v24|, s3
	v_cndmask_b32_e64 v28, v28, 2, s3
	v_xor_b32_e32 v25, 0x80000000, v25
.LBB152_294:
	s_andn2_saveexec_b32 s4, s7
	s_cbranch_execz .LBB152_296
; %bb.295:
	v_sub_f32_e64 v25, 2.0, |v24|
	v_add_f32_e64 v27, 0xbfbb16c3, |v24|
	v_cmp_gt_f32_e64 s3, 0x3fdda512, |v24|
	v_add_f32_e64 v28, |v24|, -1.0
	v_cndmask_b32_e64 v27, v25, v27, s3
	v_cndmask_b32_e64 v25, v25, 1.0, s3
	v_cmp_gt_f32_e64 s3, 0x3f9d70a4, |v24|
	v_cvt_i32_f32_e32 v25, v25
	v_cndmask_b32_e64 v27, v27, v28, s3
	v_cndmask_b32_e64 v28, v25, 2, s3
	v_mov_b32_e32 v25, 0
.LBB152_296:
	s_or_b32 exec_lo, exec_lo, s4
	s_mov_b32 s4, exec_lo
	v_cmpx_lt_i32_e32 0, v28
	s_xor_b32 s4, exec_lo, s4
	s_cbranch_execz .LBB152_304
; %bb.297:
	s_mov_b32 s7, exec_lo
	v_cmpx_lt_i32_e32 1, v28
	s_xor_b32 s7, exec_lo, s7
	s_cbranch_execz .LBB152_301
; %bb.298:
	s_mov_b32 s8, exec_lo
	v_cmpx_eq_u32_e32 2, v28
	s_cbranch_execz .LBB152_300
; %bb.299:
	s_mov_b32 s3, 0x3b52d5db
	v_fmaak_f32 v28, s3, v27, 0x3dd572af
	s_mov_b32 s3, 0x3c5b3c5e
	v_fmaak_f32 v29, s3, v27, 0x3e6a7578
	v_fmaak_f32 v28, v27, v28, 0x3f44efdf
	;; [unrolled: 1-line block ×7, first 2 shown]
	v_fma_f32 v28, v27, v28, 1.0
	v_fmaak_f32 v29, v27, v29, 0xbd9e233f
	v_rcp_f32_e32 v28, v28
	v_mul_f32_e32 v29, v27, v29
	v_mul_f32_e32 v28, v29, v28
	v_fmac_f32_e32 v28, -0.5, v27
	v_add_f32_e32 v25, v25, v28
.LBB152_300:
	s_or_b32 exec_lo, exec_lo, s8
                                        ; implicit-def: $vgpr27
.LBB152_301:
	s_andn2_saveexec_b32 s3, s7
	s_cbranch_execz .LBB152_303
; %bb.302:
	v_mul_f32_e32 v28, v27, v27
	s_mov_b32 s7, 0xb9a3f927
	s_mov_b32 s8, 0x39afe9f7
	v_mul_f32_e32 v29, v27, v28
	v_fmaak_f32 v30, s7, v29, 0x3a66f867
	v_fmaak_f32 v31, s8, v29, 0xba0d3085
	s_mov_b32 s7, 0x39a57b6b
	v_fmaak_f32 v32, s7, v29, 0xbab7f476
	v_fmaak_f32 v30, v29, v30, 0xbb7177fe
	;; [unrolled: 1-line block ×9, first 2 shown]
	v_fmac_f32_e32 v30, v27, v31
	v_fmaak_f32 v27, v29, v32, 0x3ef7b95e
	v_fma_f32 v29, v29, -v30, 0xa2863e55
	v_fma_f32 v27, v28, v27, -v29
	v_add_f32_e32 v27, 0xbdf8cdce, v27
	v_add_f32_e32 v25, v25, v27
.LBB152_303:
	s_or_b32 exec_lo, exec_lo, s3
                                        ; implicit-def: $vgpr28
                                        ; implicit-def: $vgpr27
.LBB152_304:
	s_andn2_saveexec_b32 s4, s4
	s_cbranch_execz .LBB152_308
; %bb.305:
	s_mov_b32 s7, exec_lo
	v_cmpx_eq_u32_e32 0, v28
	s_cbranch_execz .LBB152_307
; %bb.306:
	v_mul_f32_e32 v28, v27, v27
	s_mov_b32 s3, 0x383c2c75
	v_fmaak_f32 v29, s3, v28, 0x38e28445
	s_mov_b32 s3, 0x37d383a2
	v_fmaak_f32 v30, s3, v28, 0x39679767
	v_fmaak_f32 v29, v28, v29, 0x3a05b634
	;; [unrolled: 1-line block ×9, first 2 shown]
	v_mul_f32_e32 v28, v28, v29
	v_fmac_f32_e32 v28, v27, v30
	v_fmac_f32_e32 v28, -0.5, v27
	v_add_f32_e32 v25, v25, v28
.LBB152_307:
	s_or_b32 exec_lo, exec_lo, s7
.LBB152_308:
	s_or_b32 exec_lo, exec_lo, s4
.LBB152_309:
	s_or_b32 exec_lo, exec_lo, s6
.LBB152_310:
	s_andn2_saveexec_b32 s4, s5
	s_cbranch_execz .LBB152_312
; %bb.311:
	v_cmp_gt_f32_e64 s5, 0x800000, |v24|
	s_mov_b32 s3, 0x3e8a8991
	v_fma_f32 v29, |v24|, s3, 0xbecd26ab
	v_cndmask_b32_e64 v25, 0, 32, s5
	v_ldexp_f32 v25, |v24|, v25
	v_log_f32_e32 v25, v25
	v_mul_f32_e32 v27, 0x3f317217, v25
	v_cmp_gt_f32_e64 s3, 0x7f800000, |v25|
	v_fma_f32 v28, 0x3f317217, v25, -v27
	v_fmamk_f32 v28, v25, 0x3377d1cf, v28
	v_add_f32_e32 v27, v27, v28
	v_fma_f32 v28, |v24|, v29, 0x3f528d33
	v_cndmask_b32_e64 v25, v25, v27, s3
	v_cndmask_b32_e64 v27, 0, 0x41b17218, s5
	v_fma_f32 v28, |v24|, v28, 0xbf13c468
	v_sub_f32_e32 v25, v25, v27
	v_fma_f32 v25, |v24|, v28, -v25
.LBB152_312:
	s_or_b32 exec_lo, exec_lo, s4
	v_cmp_le_f16_e64 s3, 0, v15
	s_mov_b32 s5, exec_lo
	v_cmpx_nle_f16_e32 0, v15
	s_xor_b32 s6, exec_lo, s5
	s_cbranch_execz .LBB152_316
; %bb.313:
	v_cmp_gt_f32_e64 s4, 0x4b000000, |v24|
	v_cmp_lt_f32_e64 s5, 0x35000000, |v24|
	s_and_b32 s4, s4, s5
	s_and_saveexec_b32 s7, s4
	s_cbranch_execz .LBB152_315
; %bb.314:
	v_mul_f32_e64 v27, |v24|, 0.5
	s_mov_b32 s5, 0x3d4be544
	v_xor_b32_e32 v26, v26, v24
	v_floor_f32_e32 v28, v27
	v_cmp_neq_f32_e64 s4, 0x7f800000, v27
	v_sub_f32_e32 v28, v27, v28
	v_min_f32_e32 v28, 0x3f7fffff, v28
	v_add_f32_e32 v28, v28, v28
	v_cndmask_b32_e64 v27, 0, v28, s4
	v_cmp_gt_f32_e64 s4, |v24|, 1.0
	v_cndmask_b32_e64 v27, |v24|, v27, s4
	s_mov_b32 s4, 0x3e75aa41
	v_add_f32_e32 v28, v27, v27
	v_rndne_f32_e32 v28, v28
	v_fmac_f32_e32 v27, -0.5, v28
	v_cvt_i32_f32_e32 v28, v28
	v_mul_f32_e32 v29, v27, v27
	v_fmaak_f32 v30, s4, v29, 0xbf1f24be
	v_fmaak_f32 v31, s5, v29, 0x3e642e9d
	v_mul_f32_e32 v32, v27, v29
	v_fmaak_f32 v30, v29, v30, 0x40234736
	v_fmaak_f32 v31, v29, v31, 0xbfaad1da
	;; [unrolled: 1-line block ×4, first 2 shown]
	v_mul_f32_e32 v30, v32, v30
	v_fmaak_f32 v31, v29, v31, 0xc09de9e6
	v_and_b32_e32 v32, 1, v28
	v_lshlrev_b32_e32 v28, 30, v28
	v_fmamk_f32 v27, v27, 0x40490fdb, v30
	v_fma_f32 v29, v29, v31, 1.0
	v_cmp_eq_u32_e64 s4, 0, v32
	v_and_b32_e32 v28, 0x80000000, v28
	v_cndmask_b32_e64 v27, v29, v27, s4
	v_xor3_b32 v26, v26, v28, v27
	v_mul_f32_e32 v26, v24, v26
	v_frexp_mant_f32_e64 v27, |v26|
	v_frexp_exp_i32_f32_e32 v26, v26
	v_rcp_f32_e32 v27, v27
	v_sub_nc_u32_e32 v26, 2, v26
	v_mul_f32_e32 v27, 0x3f490fdb, v27
	v_ldexp_f32 v26, v27, v26
	v_cmp_gt_f32_e64 s4, 0x800000, v26
	v_cndmask_b32_e64 v27, 0, 32, s4
	v_ldexp_f32 v26, v26, v27
	v_log_f32_e32 v26, v26
	v_mul_f32_e32 v27, 0x3f317217, v26
	v_cmp_gt_f32_e64 s5, 0x7f800000, |v26|
	v_fma_f32 v28, 0x3f317217, v26, -v27
	v_fmamk_f32 v28, v26, 0x3377d1cf, v28
	v_add_f32_e32 v27, v27, v28
	v_floor_f32_e32 v28, v24
	v_cndmask_b32_e64 v26, v26, v27, s5
	v_cndmask_b32_e64 v27, 0, 0x41b17218, s4
	v_sub_f32_e32 v28, v24, v28
	v_sub_f32_e32 v26, v26, v27
	v_min_f32_e32 v27, 0x3f7fffff, v28
	v_sub_f32_e32 v25, v26, v25
	v_cmp_neq_f32_e64 s4, 0, v27
	v_cndmask_b32_e64 v25, 0x7f800000, v25, s4
.LBB152_315:
	s_or_b32 exec_lo, exec_lo, s7
.LBB152_316:
	s_andn2_saveexec_b32 s6, s6
; %bb.317:
	v_cmp_eq_f16_e64 s4, 1.0, v15
	v_cmp_eq_f16_e64 s5, 2.0, v15
	s_or_b32 s4, s4, s5
	v_cndmask_b32_e64 v25, v25, 0, s4
; %bb.318:
	s_or_b32 exec_lo, exec_lo, s6
	global_load_ushort v13, v13, s[14:15]
                                        ; implicit-def: $vgpr27
	s_mov_b32 s5, exec_lo
	s_waitcnt vmcnt(0)
	v_cvt_f32_f16_e32 v26, v13
	v_and_b32_e32 v28, 0x7fffffff, v26
	v_cmpx_ngt_f32_e64 0x3c800000, |v26|
	s_xor_b32 s6, exec_lo, s5
	s_cbranch_execz .LBB152_348
; %bb.319:
                                        ; implicit-def: $vgpr27
	s_mov_b32 s5, exec_lo
	v_cmpx_nlt_f32_e64 |v26|, 2.0
	s_xor_b32 s7, exec_lo, s5
	s_cbranch_execz .LBB152_329
; %bb.320:
	s_mov_b32 s5, exec_lo
                                        ; implicit-def: $vgpr27
	v_cmpx_ngt_f32_e64 0x41000000, |v26|
	s_xor_b32 s5, exec_lo, s5
	s_cbranch_execz .LBB152_326
; %bb.321:
	s_mov_b32 s8, exec_lo
                                        ; implicit-def: $vgpr27
	v_cmpx_ngt_f32_e64 0x5c800000, |v26|
	s_xor_b32 s8, exec_lo, s8
	s_cbranch_execz .LBB152_323
; %bb.322:
	v_cmp_gt_f32_e64 s9, 0x800000, |v26|
	v_cndmask_b32_e64 v27, 0, 32, s9
	v_ldexp_f32 v27, |v26|, v27
	v_log_f32_e32 v27, v27
	v_mul_f32_e32 v29, 0x3f317217, v27
	v_cmp_gt_f32_e64 s4, 0x7f800000, |v27|
	v_fma_f32 v30, 0x3f317217, v27, -v29
	v_fmamk_f32 v30, v27, 0x3377d1cf, v30
	v_add_f32_e32 v29, v29, v30
	v_cndmask_b32_e64 v27, v27, v29, s4
	v_cndmask_b32_e64 v29, 0, 0x41b17218, s9
	v_sub_f32_e32 v27, v27, v29
	v_fma_f32 v27, |v26|, v27, -|v26|
.LBB152_323:
	s_andn2_saveexec_b32 s8, s8
	s_cbranch_execz .LBB152_325
; %bb.324:
	v_cmp_gt_f32_e64 s9, 0x800000, |v26|
	v_rcp_f32_e64 v29, |v26|
	s_mov_b32 s4, 0xbad5c4e8
	v_cndmask_b32_e64 v27, 0, 32, s9
	v_ldexp_f32 v27, |v26|, v27
	v_mul_f32_e32 v30, v29, v29
	v_log_f32_e32 v27, v27
	v_fmaak_f32 v32, s4, v30, 0x3a5b3dd2
	v_fmaak_f32 v32, v30, v32, 0xba1c065c
	v_mul_f32_e32 v31, 0x3f317217, v27
	v_fmaak_f32 v32, v30, v32, 0x3a500cfd
	v_cmp_gt_f32_e64 s4, 0x7f800000, |v27|
	v_fma_f32 v33, 0x3f317217, v27, -v31
	v_fmaak_f32 v32, v30, v32, 0xbb360b61
	v_fmamk_f32 v33, v27, 0x3377d1cf, v33
	v_fmaak_f32 v30, v30, v32, 0x3daaaaab
	v_add_f32_e32 v31, v31, v33
	v_cndmask_b32_e64 v27, v27, v31, s4
	v_cndmask_b32_e64 v31, 0, 0x41b17218, s9
	v_sub_f32_e32 v31, v27, v31
	v_fmaak_f32 v27, v29, v30, 0x3ed67f1d
	v_add_f32_e64 v29, |v26|, -0.5
	v_add_f32_e32 v30, -1.0, v31
	v_fmac_f32_e32 v27, v29, v30
.LBB152_325:
	s_or_b32 exec_lo, exec_lo, s8
.LBB152_326:
	s_andn2_saveexec_b32 s8, s5
	s_cbranch_execz .LBB152_328
; %bb.327:
	v_cvt_i32_f32_e32 v27, v28
	s_mov_b32 s5, 0x3805ff67
	v_cvt_f32_i32_e32 v29, v27
	v_cmp_lt_i32_e64 s4, 2, v27
	v_sub_f32_e64 v29, |v26|, v29
	v_add_f32_e32 v30, 2.0, v29
	v_add_f32_e32 v31, 0x40400000, v29
	v_add_f32_e32 v32, 4.0, v29
	v_add_f32_e32 v33, 0x40a00000, v29
	v_cndmask_b32_e64 v30, 1.0, v30, s4
	v_cmp_lt_i32_e64 s4, 3, v27
	v_cndmask_b32_e64 v31, 1.0, v31, s4
	v_cmp_lt_i32_e64 s4, 4, v27
	v_mul_f32_e32 v30, v30, v31
	v_cndmask_b32_e64 v32, 1.0, v32, s4
	v_cmp_lt_i32_e64 s4, 5, v27
	v_add_f32_e32 v31, 0x40c00000, v29
	v_mul_f32_e32 v30, v32, v30
	v_cndmask_b32_e64 v33, 1.0, v33, s4
	v_cmp_lt_i32_e64 s4, 6, v27
	v_fmaak_f32 v32, s5, v29, 0x3af135b4
	v_mul_f32_e32 v30, v33, v30
	v_cndmask_b32_e64 v27, 1.0, v31, s4
	s_mov_b32 s4, 0x36f5d7bd
	v_mul_f32_e32 v27, v27, v30
	v_fmaak_f32 v30, s4, v29, 0x3a4beed6
	v_cmp_gt_f32_e64 s4, 0x800000, v27
	v_fmaak_f32 v30, v29, v30, 0x3c98bf54
	v_cndmask_b32_e64 v31, 0, 32, s4
	v_fmaak_f32 v30, v29, v30, 0x3e300f6e
	v_ldexp_f32 v27, v27, v31
	v_fmaak_f32 v31, v29, v32, 0x3cda40e4
	v_fmaak_f32 v30, v29, v30, 0x3f38d0c5
	v_log_f32_e32 v27, v27
	v_fmaak_f32 v31, v29, v31, 0x3e15dce6
	v_fmaak_f32 v30, v29, v30, 0x3fb22d3b
	v_fmaak_f32 v31, v29, v31, 0x3ea6cc7a
	v_fma_f32 v30, v29, v30, 1.0
	v_mul_f32_e32 v32, 0x3f317217, v27
	v_fmaak_f32 v31, v29, v31, 0x3e5c245a
	v_rcp_f32_e32 v30, v30
	v_cmp_gt_f32_e64 s5, 0x7f800000, |v27|
	v_fma_f32 v33, 0x3f317217, v27, -v32
	v_fmaak_f32 v31, v29, v31, 0xbd9e233f
	v_fmamk_f32 v33, v27, 0x3377d1cf, v33
	v_mul_f32_e32 v31, v29, v31
	v_add_f32_e32 v32, v32, v33
	v_mul_f32_e32 v30, v31, v30
	v_cndmask_b32_e64 v31, 0, 0x41b17218, s4
	v_cndmask_b32_e64 v27, v27, v32, s5
	v_fmac_f32_e32 v30, 0.5, v29
	v_sub_f32_e32 v27, v27, v31
	v_add_f32_e32 v27, v27, v30
.LBB152_328:
	s_or_b32 exec_lo, exec_lo, s8
.LBB152_329:
	s_andn2_saveexec_b32 s7, s7
	s_cbranch_execz .LBB152_347
; %bb.330:
                                        ; implicit-def: $vgpr27
                                        ; implicit-def: $vgpr30
                                        ; implicit-def: $vgpr29
	s_mov_b32 s5, exec_lo
	v_cmpx_ge_f32_e64 0x3f666666, |v26|
	s_xor_b32 s8, exec_lo, s5
	s_cbranch_execz .LBB152_332
; %bb.331:
	v_cmp_gt_f32_e64 s5, 0x800000, |v26|
	v_sub_f32_e64 v31, 1.0, |v26|
	v_cmp_gt_f32_e64 s4, 0x3f3b4a23, |v26|
	v_cndmask_b32_e64 v27, 0, 32, s5
	v_cndmask_b32_e64 v32, 0, 0x41b17218, s5
	v_ldexp_f32 v27, |v26|, v27
	v_log_f32_e32 v27, v27
	v_mul_f32_e32 v29, 0x3f317217, v27
	v_cmp_gt_f32_e64 s5, 0x7f800000, |v27|
	v_fma_f32 v30, 0x3f317217, v27, -v29
	v_fmamk_f32 v30, v27, 0x3377d1cf, v30
	v_add_f32_e32 v29, v29, v30
	v_add_f32_e64 v30, 0xbeec5b0c, |v26|
	v_cndmask_b32_e64 v27, v27, v29, s5
	v_cndmask_b32_e64 v29, v31, v30, s4
	;; [unrolled: 1-line block ×3, first 2 shown]
	v_cmp_gt_f32_e64 s4, 0x3e6d3309, |v26|
	v_sub_f32_e32 v27, v27, v32
	v_cndmask_b32_e64 v29, v29, |v26|, s4
	v_cndmask_b32_e64 v30, v30, 2, s4
	v_xor_b32_e32 v27, 0x80000000, v27
.LBB152_332:
	s_andn2_saveexec_b32 s5, s8
	s_cbranch_execz .LBB152_334
; %bb.333:
	v_sub_f32_e64 v27, 2.0, |v26|
	v_add_f32_e64 v29, 0xbfbb16c3, |v26|
	v_cmp_gt_f32_e64 s4, 0x3fdda512, |v26|
	v_add_f32_e64 v30, |v26|, -1.0
	v_cndmask_b32_e64 v29, v27, v29, s4
	v_cndmask_b32_e64 v27, v27, 1.0, s4
	v_cmp_gt_f32_e64 s4, 0x3f9d70a4, |v26|
	v_cvt_i32_f32_e32 v27, v27
	v_cndmask_b32_e64 v29, v29, v30, s4
	v_cndmask_b32_e64 v30, v27, 2, s4
	v_mov_b32_e32 v27, 0
.LBB152_334:
	s_or_b32 exec_lo, exec_lo, s5
	s_mov_b32 s5, exec_lo
	v_cmpx_lt_i32_e32 0, v30
	s_xor_b32 s5, exec_lo, s5
	s_cbranch_execz .LBB152_342
; %bb.335:
	s_mov_b32 s8, exec_lo
	v_cmpx_lt_i32_e32 1, v30
	s_xor_b32 s8, exec_lo, s8
	s_cbranch_execz .LBB152_339
; %bb.336:
	s_mov_b32 s9, exec_lo
	v_cmpx_eq_u32_e32 2, v30
	s_cbranch_execz .LBB152_338
; %bb.337:
	s_mov_b32 s4, 0x3b52d5db
	v_fmaak_f32 v30, s4, v29, 0x3dd572af
	s_mov_b32 s4, 0x3c5b3c5e
	v_fmaak_f32 v31, s4, v29, 0x3e6a7578
	v_fmaak_f32 v30, v29, v30, 0x3f44efdf
	;; [unrolled: 1-line block ×7, first 2 shown]
	v_fma_f32 v30, v29, v30, 1.0
	v_fmaak_f32 v31, v29, v31, 0xbd9e233f
	v_rcp_f32_e32 v30, v30
	v_mul_f32_e32 v31, v29, v31
	v_mul_f32_e32 v30, v31, v30
	v_fmac_f32_e32 v30, -0.5, v29
	v_add_f32_e32 v27, v27, v30
.LBB152_338:
	s_or_b32 exec_lo, exec_lo, s9
                                        ; implicit-def: $vgpr29
.LBB152_339:
	s_andn2_saveexec_b32 s4, s8
	s_cbranch_execz .LBB152_341
; %bb.340:
	v_mul_f32_e32 v30, v29, v29
	s_mov_b32 s8, 0xb9a3f927
	s_mov_b32 s9, 0x39afe9f7
	v_mul_f32_e32 v31, v29, v30
	v_fmaak_f32 v32, s8, v31, 0x3a66f867
	v_fmaak_f32 v33, s9, v31, 0xba0d3085
	s_mov_b32 s8, 0x39a57b6b
	v_fmaak_f32 v34, s8, v31, 0xbab7f476
	v_fmaak_f32 v32, v31, v32, 0xbb7177fe
	;; [unrolled: 1-line block ×9, first 2 shown]
	v_fmac_f32_e32 v32, v29, v33
	v_fmaak_f32 v29, v31, v34, 0x3ef7b95e
	v_fma_f32 v31, v31, -v32, 0xa2863e55
	v_fma_f32 v29, v30, v29, -v31
	v_add_f32_e32 v29, 0xbdf8cdce, v29
	v_add_f32_e32 v27, v27, v29
.LBB152_341:
	s_or_b32 exec_lo, exec_lo, s4
                                        ; implicit-def: $vgpr30
                                        ; implicit-def: $vgpr29
.LBB152_342:
	s_andn2_saveexec_b32 s5, s5
	s_cbranch_execz .LBB152_346
; %bb.343:
	s_mov_b32 s8, exec_lo
	v_cmpx_eq_u32_e32 0, v30
	s_cbranch_execz .LBB152_345
; %bb.344:
	v_mul_f32_e32 v30, v29, v29
	s_mov_b32 s4, 0x383c2c75
	v_fmaak_f32 v31, s4, v30, 0x38e28445
	s_mov_b32 s4, 0x37d383a2
	v_fmaak_f32 v32, s4, v30, 0x39679767
	v_fmaak_f32 v31, v30, v31, 0x3a05b634
	v_fmaak_f32 v32, v30, v32, 0x3a9c54a1
	v_fmaak_f32 v31, v30, v31, 0x3b3d6ec6
	v_fmaak_f32 v32, v30, v32, 0x3bf2027e
	v_fmaak_f32 v31, v30, v31, 0x3ca89915
	v_fmaak_f32 v32, v30, v32, 0x3d89f001
	v_fmaak_f32 v31, v30, v31, 0x3ea51a66
	v_fmaak_f32 v32, v30, v32, 0x3d9e233f
	v_mul_f32_e32 v30, v30, v31
	v_fmac_f32_e32 v30, v29, v32
	v_fmac_f32_e32 v30, -0.5, v29
	v_add_f32_e32 v27, v27, v30
.LBB152_345:
	s_or_b32 exec_lo, exec_lo, s8
.LBB152_346:
	s_or_b32 exec_lo, exec_lo, s5
.LBB152_347:
	s_or_b32 exec_lo, exec_lo, s7
.LBB152_348:
	s_andn2_saveexec_b32 s5, s6
	s_cbranch_execz .LBB152_350
; %bb.349:
	v_cmp_gt_f32_e64 s6, 0x800000, |v26|
	s_mov_b32 s4, 0x3e8a8991
	v_fma_f32 v31, |v26|, s4, 0xbecd26ab
	v_cndmask_b32_e64 v27, 0, 32, s6
	v_ldexp_f32 v27, |v26|, v27
	v_log_f32_e32 v27, v27
	v_mul_f32_e32 v29, 0x3f317217, v27
	v_cmp_gt_f32_e64 s4, 0x7f800000, |v27|
	v_fma_f32 v30, 0x3f317217, v27, -v29
	v_fmamk_f32 v30, v27, 0x3377d1cf, v30
	v_add_f32_e32 v29, v29, v30
	v_fma_f32 v30, |v26|, v31, 0x3f528d33
	v_cndmask_b32_e64 v27, v27, v29, s4
	v_cndmask_b32_e64 v29, 0, 0x41b17218, s6
	v_fma_f32 v30, |v26|, v30, 0xbf13c468
	v_sub_f32_e32 v27, v27, v29
	v_fma_f32 v27, |v26|, v30, -v27
.LBB152_350:
	s_or_b32 exec_lo, exec_lo, s5
	v_cmp_le_f16_e64 s4, 0, v13
	s_mov_b32 s6, exec_lo
	v_cmpx_nle_f16_e32 0, v13
	s_xor_b32 s7, exec_lo, s6
	s_cbranch_execz .LBB152_354
; %bb.351:
	v_cmp_gt_f32_e64 s5, 0x4b000000, |v26|
	v_cmp_lt_f32_e64 s6, 0x35000000, |v26|
	s_and_b32 s5, s5, s6
	s_and_saveexec_b32 s8, s5
	s_cbranch_execz .LBB152_353
; %bb.352:
	v_mul_f32_e64 v29, |v26|, 0.5
	s_mov_b32 s6, 0x3d4be544
	v_xor_b32_e32 v28, v28, v26
	v_floor_f32_e32 v30, v29
	v_cmp_neq_f32_e64 s5, 0x7f800000, v29
	v_sub_f32_e32 v30, v29, v30
	v_min_f32_e32 v30, 0x3f7fffff, v30
	v_add_f32_e32 v30, v30, v30
	v_cndmask_b32_e64 v29, 0, v30, s5
	v_cmp_gt_f32_e64 s5, |v26|, 1.0
	v_cndmask_b32_e64 v29, |v26|, v29, s5
	s_mov_b32 s5, 0x3e75aa41
	v_add_f32_e32 v30, v29, v29
	v_rndne_f32_e32 v30, v30
	v_fmac_f32_e32 v29, -0.5, v30
	v_cvt_i32_f32_e32 v30, v30
	v_mul_f32_e32 v31, v29, v29
	v_fmaak_f32 v32, s5, v31, 0xbf1f24be
	v_fmaak_f32 v33, s6, v31, 0x3e642e9d
	v_mul_f32_e32 v34, v29, v31
	v_fmaak_f32 v32, v31, v32, 0x40234736
	v_fmaak_f32 v33, v31, v33, 0xbfaad1da
	;; [unrolled: 1-line block ×4, first 2 shown]
	v_mul_f32_e32 v32, v34, v32
	v_fmaak_f32 v33, v31, v33, 0xc09de9e6
	v_and_b32_e32 v34, 1, v30
	v_lshlrev_b32_e32 v30, 30, v30
	v_fmamk_f32 v29, v29, 0x40490fdb, v32
	v_fma_f32 v31, v31, v33, 1.0
	v_cmp_eq_u32_e64 s5, 0, v34
	v_and_b32_e32 v30, 0x80000000, v30
	v_cndmask_b32_e64 v29, v31, v29, s5
	v_xor3_b32 v28, v28, v30, v29
	v_mul_f32_e32 v28, v26, v28
	v_frexp_mant_f32_e64 v29, |v28|
	v_frexp_exp_i32_f32_e32 v28, v28
	v_rcp_f32_e32 v29, v29
	v_sub_nc_u32_e32 v28, 2, v28
	v_mul_f32_e32 v29, 0x3f490fdb, v29
	v_ldexp_f32 v28, v29, v28
	v_cmp_gt_f32_e64 s5, 0x800000, v28
	v_cndmask_b32_e64 v29, 0, 32, s5
	v_ldexp_f32 v28, v28, v29
	v_log_f32_e32 v28, v28
	v_mul_f32_e32 v29, 0x3f317217, v28
	v_cmp_gt_f32_e64 s6, 0x7f800000, |v28|
	v_fma_f32 v30, 0x3f317217, v28, -v29
	v_fmamk_f32 v30, v28, 0x3377d1cf, v30
	v_add_f32_e32 v29, v29, v30
	v_floor_f32_e32 v30, v26
	v_cndmask_b32_e64 v28, v28, v29, s6
	v_cndmask_b32_e64 v29, 0, 0x41b17218, s5
	v_sub_f32_e32 v30, v26, v30
	v_sub_f32_e32 v28, v28, v29
	v_min_f32_e32 v29, 0x3f7fffff, v30
	v_sub_f32_e32 v27, v28, v27
	v_cmp_neq_f32_e64 s5, 0, v29
	v_cndmask_b32_e64 v27, 0x7f800000, v27, s5
.LBB152_353:
	s_or_b32 exec_lo, exec_lo, s8
.LBB152_354:
	s_andn2_saveexec_b32 s7, s7
; %bb.355:
	v_cmp_eq_f16_e64 s5, 1.0, v13
	v_cmp_eq_f16_e64 s6, 2.0, v13
	s_or_b32 s5, s5, s6
	v_cndmask_b32_e64 v27, v27, 0, s5
; %bb.356:
	s_or_b32 exec_lo, exec_lo, s7
	global_load_ushort v11, v11, s[14:15]
                                        ; implicit-def: $vgpr29
	s_mov_b32 s6, exec_lo
	s_waitcnt vmcnt(0)
	v_cvt_f32_f16_e32 v28, v11
	v_and_b32_e32 v30, 0x7fffffff, v28
	v_cmpx_ngt_f32_e64 0x3c800000, |v28|
	s_xor_b32 s7, exec_lo, s6
	s_cbranch_execz .LBB152_386
; %bb.357:
                                        ; implicit-def: $vgpr29
	s_mov_b32 s6, exec_lo
	v_cmpx_nlt_f32_e64 |v28|, 2.0
	s_xor_b32 s8, exec_lo, s6
	s_cbranch_execz .LBB152_367
; %bb.358:
	s_mov_b32 s6, exec_lo
                                        ; implicit-def: $vgpr29
	v_cmpx_ngt_f32_e64 0x41000000, |v28|
	s_xor_b32 s6, exec_lo, s6
	s_cbranch_execz .LBB152_364
; %bb.359:
	s_mov_b32 s9, exec_lo
                                        ; implicit-def: $vgpr29
	v_cmpx_ngt_f32_e64 0x5c800000, |v28|
	s_xor_b32 s9, exec_lo, s9
	s_cbranch_execz .LBB152_361
; %bb.360:
	v_cmp_gt_f32_e64 s10, 0x800000, |v28|
	v_cndmask_b32_e64 v29, 0, 32, s10
	v_ldexp_f32 v29, |v28|, v29
	v_log_f32_e32 v29, v29
	v_mul_f32_e32 v31, 0x3f317217, v29
	v_cmp_gt_f32_e64 s5, 0x7f800000, |v29|
	v_fma_f32 v32, 0x3f317217, v29, -v31
	v_fmamk_f32 v32, v29, 0x3377d1cf, v32
	v_add_f32_e32 v31, v31, v32
	v_cndmask_b32_e64 v29, v29, v31, s5
	v_cndmask_b32_e64 v31, 0, 0x41b17218, s10
	v_sub_f32_e32 v29, v29, v31
	v_fma_f32 v29, |v28|, v29, -|v28|
.LBB152_361:
	s_andn2_saveexec_b32 s9, s9
	s_cbranch_execz .LBB152_363
; %bb.362:
	v_cmp_gt_f32_e64 s10, 0x800000, |v28|
	v_rcp_f32_e64 v31, |v28|
	s_mov_b32 s5, 0xbad5c4e8
	v_cndmask_b32_e64 v29, 0, 32, s10
	v_ldexp_f32 v29, |v28|, v29
	v_mul_f32_e32 v32, v31, v31
	v_log_f32_e32 v29, v29
	v_fmaak_f32 v34, s5, v32, 0x3a5b3dd2
	v_fmaak_f32 v34, v32, v34, 0xba1c065c
	v_mul_f32_e32 v33, 0x3f317217, v29
	v_fmaak_f32 v34, v32, v34, 0x3a500cfd
	v_cmp_gt_f32_e64 s5, 0x7f800000, |v29|
	v_fma_f32 v35, 0x3f317217, v29, -v33
	v_fmaak_f32 v34, v32, v34, 0xbb360b61
	v_fmamk_f32 v35, v29, 0x3377d1cf, v35
	v_fmaak_f32 v32, v32, v34, 0x3daaaaab
	v_add_f32_e32 v33, v33, v35
	v_cndmask_b32_e64 v29, v29, v33, s5
	v_cndmask_b32_e64 v33, 0, 0x41b17218, s10
	v_sub_f32_e32 v33, v29, v33
	v_fmaak_f32 v29, v31, v32, 0x3ed67f1d
	v_add_f32_e64 v31, |v28|, -0.5
	v_add_f32_e32 v32, -1.0, v33
	v_fmac_f32_e32 v29, v31, v32
.LBB152_363:
	s_or_b32 exec_lo, exec_lo, s9
.LBB152_364:
	s_andn2_saveexec_b32 s9, s6
	s_cbranch_execz .LBB152_366
; %bb.365:
	v_cvt_i32_f32_e32 v29, v30
	s_mov_b32 s6, 0x3805ff67
	v_cvt_f32_i32_e32 v31, v29
	v_cmp_lt_i32_e64 s5, 2, v29
	v_sub_f32_e64 v31, |v28|, v31
	v_add_f32_e32 v32, 2.0, v31
	v_add_f32_e32 v33, 0x40400000, v31
	v_add_f32_e32 v34, 4.0, v31
	v_add_f32_e32 v35, 0x40a00000, v31
	v_cndmask_b32_e64 v32, 1.0, v32, s5
	v_cmp_lt_i32_e64 s5, 3, v29
	v_cndmask_b32_e64 v33, 1.0, v33, s5
	v_cmp_lt_i32_e64 s5, 4, v29
	v_mul_f32_e32 v32, v32, v33
	v_cndmask_b32_e64 v34, 1.0, v34, s5
	v_cmp_lt_i32_e64 s5, 5, v29
	v_add_f32_e32 v33, 0x40c00000, v31
	v_mul_f32_e32 v32, v34, v32
	v_cndmask_b32_e64 v35, 1.0, v35, s5
	v_cmp_lt_i32_e64 s5, 6, v29
	v_fmaak_f32 v34, s6, v31, 0x3af135b4
	v_mul_f32_e32 v32, v35, v32
	v_cndmask_b32_e64 v29, 1.0, v33, s5
	s_mov_b32 s5, 0x36f5d7bd
	v_mul_f32_e32 v29, v29, v32
	v_fmaak_f32 v32, s5, v31, 0x3a4beed6
	v_cmp_gt_f32_e64 s5, 0x800000, v29
	v_fmaak_f32 v32, v31, v32, 0x3c98bf54
	v_cndmask_b32_e64 v33, 0, 32, s5
	v_fmaak_f32 v32, v31, v32, 0x3e300f6e
	v_ldexp_f32 v29, v29, v33
	v_fmaak_f32 v33, v31, v34, 0x3cda40e4
	v_fmaak_f32 v32, v31, v32, 0x3f38d0c5
	v_log_f32_e32 v29, v29
	v_fmaak_f32 v33, v31, v33, 0x3e15dce6
	v_fmaak_f32 v32, v31, v32, 0x3fb22d3b
	;; [unrolled: 1-line block ×3, first 2 shown]
	v_fma_f32 v32, v31, v32, 1.0
	v_mul_f32_e32 v34, 0x3f317217, v29
	v_fmaak_f32 v33, v31, v33, 0x3e5c245a
	v_rcp_f32_e32 v32, v32
	v_cmp_gt_f32_e64 s6, 0x7f800000, |v29|
	v_fma_f32 v35, 0x3f317217, v29, -v34
	v_fmaak_f32 v33, v31, v33, 0xbd9e233f
	v_fmamk_f32 v35, v29, 0x3377d1cf, v35
	v_mul_f32_e32 v33, v31, v33
	v_add_f32_e32 v34, v34, v35
	v_mul_f32_e32 v32, v33, v32
	v_cndmask_b32_e64 v33, 0, 0x41b17218, s5
	v_cndmask_b32_e64 v29, v29, v34, s6
	v_fmac_f32_e32 v32, 0.5, v31
	v_sub_f32_e32 v29, v29, v33
	v_add_f32_e32 v29, v29, v32
.LBB152_366:
	s_or_b32 exec_lo, exec_lo, s9
.LBB152_367:
	s_andn2_saveexec_b32 s8, s8
	s_cbranch_execz .LBB152_385
; %bb.368:
                                        ; implicit-def: $vgpr29
                                        ; implicit-def: $vgpr32
                                        ; implicit-def: $vgpr31
	s_mov_b32 s6, exec_lo
	v_cmpx_ge_f32_e64 0x3f666666, |v28|
	s_xor_b32 s9, exec_lo, s6
	s_cbranch_execz .LBB152_370
; %bb.369:
	v_cmp_gt_f32_e64 s6, 0x800000, |v28|
	v_sub_f32_e64 v33, 1.0, |v28|
	v_cmp_gt_f32_e64 s5, 0x3f3b4a23, |v28|
	v_cndmask_b32_e64 v29, 0, 32, s6
	v_cndmask_b32_e64 v34, 0, 0x41b17218, s6
	v_ldexp_f32 v29, |v28|, v29
	v_log_f32_e32 v29, v29
	v_mul_f32_e32 v31, 0x3f317217, v29
	v_cmp_gt_f32_e64 s6, 0x7f800000, |v29|
	v_fma_f32 v32, 0x3f317217, v29, -v31
	v_fmamk_f32 v32, v29, 0x3377d1cf, v32
	v_add_f32_e32 v31, v31, v32
	v_add_f32_e64 v32, 0xbeec5b0c, |v28|
	v_cndmask_b32_e64 v29, v29, v31, s6
	v_cndmask_b32_e64 v31, v33, v32, s5
	;; [unrolled: 1-line block ×3, first 2 shown]
	v_cmp_gt_f32_e64 s5, 0x3e6d3309, |v28|
	v_sub_f32_e32 v29, v29, v34
	v_cndmask_b32_e64 v31, v31, |v28|, s5
	v_cndmask_b32_e64 v32, v32, 2, s5
	v_xor_b32_e32 v29, 0x80000000, v29
.LBB152_370:
	s_andn2_saveexec_b32 s6, s9
	s_cbranch_execz .LBB152_372
; %bb.371:
	v_sub_f32_e64 v29, 2.0, |v28|
	v_add_f32_e64 v31, 0xbfbb16c3, |v28|
	v_cmp_gt_f32_e64 s5, 0x3fdda512, |v28|
	v_add_f32_e64 v32, |v28|, -1.0
	v_cndmask_b32_e64 v31, v29, v31, s5
	v_cndmask_b32_e64 v29, v29, 1.0, s5
	v_cmp_gt_f32_e64 s5, 0x3f9d70a4, |v28|
	v_cvt_i32_f32_e32 v29, v29
	v_cndmask_b32_e64 v31, v31, v32, s5
	v_cndmask_b32_e64 v32, v29, 2, s5
	v_mov_b32_e32 v29, 0
.LBB152_372:
	s_or_b32 exec_lo, exec_lo, s6
	s_mov_b32 s6, exec_lo
	v_cmpx_lt_i32_e32 0, v32
	s_xor_b32 s6, exec_lo, s6
	s_cbranch_execz .LBB152_380
; %bb.373:
	s_mov_b32 s9, exec_lo
	v_cmpx_lt_i32_e32 1, v32
	s_xor_b32 s9, exec_lo, s9
	s_cbranch_execz .LBB152_377
; %bb.374:
	s_mov_b32 s10, exec_lo
	v_cmpx_eq_u32_e32 2, v32
	s_cbranch_execz .LBB152_376
; %bb.375:
	s_mov_b32 s5, 0x3b52d5db
	v_fmaak_f32 v32, s5, v31, 0x3dd572af
	s_mov_b32 s5, 0x3c5b3c5e
	v_fmaak_f32 v33, s5, v31, 0x3e6a7578
	v_fmaak_f32 v32, v31, v32, 0x3f44efdf
	v_fmaak_f32 v33, v31, v33, 0x3f7a4bb2
	v_fmaak_f32 v32, v31, v32, 0x4008392d
	v_fmaak_f32 v33, v31, v33, 0x3fba3ae7
	v_fmaak_f32 v32, v31, v32, 0x401d2ebe
	v_fmaak_f32 v33, v31, v33, 0x3f2200f4
	v_fma_f32 v32, v31, v32, 1.0
	v_fmaak_f32 v33, v31, v33, 0xbd9e233f
	v_rcp_f32_e32 v32, v32
	v_mul_f32_e32 v33, v31, v33
	v_mul_f32_e32 v32, v33, v32
	v_fmac_f32_e32 v32, -0.5, v31
	v_add_f32_e32 v29, v29, v32
.LBB152_376:
	s_or_b32 exec_lo, exec_lo, s10
                                        ; implicit-def: $vgpr31
.LBB152_377:
	s_andn2_saveexec_b32 s5, s9
	s_cbranch_execz .LBB152_379
; %bb.378:
	v_mul_f32_e32 v32, v31, v31
	s_mov_b32 s9, 0xb9a3f927
	s_mov_b32 s10, 0x39afe9f7
	v_mul_f32_e32 v33, v31, v32
	v_fmaak_f32 v34, s9, v33, 0x3a66f867
	v_fmaak_f32 v35, s10, v33, 0xba0d3085
	s_mov_b32 s9, 0x39a57b6b
	v_fmaak_f32 v36, s9, v33, 0xbab7f476
	v_fmaak_f32 v34, v33, v34, 0xbb7177fe
	;; [unrolled: 1-line block ×9, first 2 shown]
	v_fmac_f32_e32 v34, v31, v35
	v_fmaak_f32 v31, v33, v36, 0x3ef7b95e
	v_fma_f32 v33, v33, -v34, 0xa2863e55
	v_fma_f32 v31, v32, v31, -v33
	v_add_f32_e32 v31, 0xbdf8cdce, v31
	v_add_f32_e32 v29, v29, v31
.LBB152_379:
	s_or_b32 exec_lo, exec_lo, s5
                                        ; implicit-def: $vgpr32
                                        ; implicit-def: $vgpr31
.LBB152_380:
	s_andn2_saveexec_b32 s6, s6
	s_cbranch_execz .LBB152_384
; %bb.381:
	s_mov_b32 s9, exec_lo
	v_cmpx_eq_u32_e32 0, v32
	s_cbranch_execz .LBB152_383
; %bb.382:
	v_mul_f32_e32 v32, v31, v31
	s_mov_b32 s5, 0x383c2c75
	v_fmaak_f32 v33, s5, v32, 0x38e28445
	s_mov_b32 s5, 0x37d383a2
	v_fmaak_f32 v34, s5, v32, 0x39679767
	v_fmaak_f32 v33, v32, v33, 0x3a05b634
	;; [unrolled: 1-line block ×9, first 2 shown]
	v_mul_f32_e32 v32, v32, v33
	v_fmac_f32_e32 v32, v31, v34
	v_fmac_f32_e32 v32, -0.5, v31
	v_add_f32_e32 v29, v29, v32
.LBB152_383:
	s_or_b32 exec_lo, exec_lo, s9
.LBB152_384:
	s_or_b32 exec_lo, exec_lo, s6
.LBB152_385:
	s_or_b32 exec_lo, exec_lo, s8
.LBB152_386:
	s_andn2_saveexec_b32 s6, s7
	s_cbranch_execz .LBB152_388
; %bb.387:
	v_cmp_gt_f32_e64 s7, 0x800000, |v28|
	s_mov_b32 s5, 0x3e8a8991
	v_fma_f32 v33, |v28|, s5, 0xbecd26ab
	v_cndmask_b32_e64 v29, 0, 32, s7
	v_ldexp_f32 v29, |v28|, v29
	v_log_f32_e32 v29, v29
	v_mul_f32_e32 v31, 0x3f317217, v29
	v_cmp_gt_f32_e64 s5, 0x7f800000, |v29|
	v_fma_f32 v32, 0x3f317217, v29, -v31
	v_fmamk_f32 v32, v29, 0x3377d1cf, v32
	v_add_f32_e32 v31, v31, v32
	v_fma_f32 v32, |v28|, v33, 0x3f528d33
	v_cndmask_b32_e64 v29, v29, v31, s5
	v_cndmask_b32_e64 v31, 0, 0x41b17218, s7
	v_fma_f32 v32, |v28|, v32, 0xbf13c468
	v_sub_f32_e32 v29, v29, v31
	v_fma_f32 v29, |v28|, v32, -v29
.LBB152_388:
	s_or_b32 exec_lo, exec_lo, s6
	v_cmp_le_f16_e64 s5, 0, v11
	s_mov_b32 s7, exec_lo
	v_cmpx_nle_f16_e32 0, v11
	s_xor_b32 s8, exec_lo, s7
	s_cbranch_execz .LBB152_392
; %bb.389:
	v_cmp_gt_f32_e64 s6, 0x4b000000, |v28|
	v_cmp_lt_f32_e64 s7, 0x35000000, |v28|
	s_and_b32 s6, s6, s7
	s_and_saveexec_b32 s9, s6
	s_cbranch_execz .LBB152_391
; %bb.390:
	v_mul_f32_e64 v31, |v28|, 0.5
	s_mov_b32 s7, 0x3d4be544
	v_xor_b32_e32 v30, v30, v28
	v_floor_f32_e32 v32, v31
	v_cmp_neq_f32_e64 s6, 0x7f800000, v31
	v_sub_f32_e32 v32, v31, v32
	v_min_f32_e32 v32, 0x3f7fffff, v32
	v_add_f32_e32 v32, v32, v32
	v_cndmask_b32_e64 v31, 0, v32, s6
	v_cmp_gt_f32_e64 s6, |v28|, 1.0
	v_cndmask_b32_e64 v31, |v28|, v31, s6
	s_mov_b32 s6, 0x3e75aa41
	v_add_f32_e32 v32, v31, v31
	v_rndne_f32_e32 v32, v32
	v_fmac_f32_e32 v31, -0.5, v32
	v_cvt_i32_f32_e32 v32, v32
	v_mul_f32_e32 v33, v31, v31
	v_fmaak_f32 v34, s6, v33, 0xbf1f24be
	v_fmaak_f32 v35, s7, v33, 0x3e642e9d
	v_mul_f32_e32 v36, v31, v33
	v_fmaak_f32 v34, v33, v34, 0x40234736
	v_fmaak_f32 v35, v33, v35, 0xbfaad1da
	;; [unrolled: 1-line block ×4, first 2 shown]
	v_mul_f32_e32 v34, v36, v34
	v_fmaak_f32 v35, v33, v35, 0xc09de9e6
	v_and_b32_e32 v36, 1, v32
	v_lshlrev_b32_e32 v32, 30, v32
	v_fmamk_f32 v31, v31, 0x40490fdb, v34
	v_fma_f32 v33, v33, v35, 1.0
	v_cmp_eq_u32_e64 s6, 0, v36
	v_and_b32_e32 v32, 0x80000000, v32
	v_cndmask_b32_e64 v31, v33, v31, s6
	v_xor3_b32 v30, v30, v32, v31
	v_mul_f32_e32 v30, v28, v30
	v_frexp_mant_f32_e64 v31, |v30|
	v_frexp_exp_i32_f32_e32 v30, v30
	v_rcp_f32_e32 v31, v31
	v_sub_nc_u32_e32 v30, 2, v30
	v_mul_f32_e32 v31, 0x3f490fdb, v31
	v_ldexp_f32 v30, v31, v30
	v_cmp_gt_f32_e64 s6, 0x800000, v30
	v_cndmask_b32_e64 v31, 0, 32, s6
	v_ldexp_f32 v30, v30, v31
	v_log_f32_e32 v30, v30
	v_mul_f32_e32 v31, 0x3f317217, v30
	v_cmp_gt_f32_e64 s7, 0x7f800000, |v30|
	v_fma_f32 v32, 0x3f317217, v30, -v31
	v_fmamk_f32 v32, v30, 0x3377d1cf, v32
	v_add_f32_e32 v31, v31, v32
	v_floor_f32_e32 v32, v28
	v_cndmask_b32_e64 v30, v30, v31, s7
	v_cndmask_b32_e64 v31, 0, 0x41b17218, s6
	v_sub_f32_e32 v32, v28, v32
	v_sub_f32_e32 v30, v30, v31
	v_min_f32_e32 v31, 0x3f7fffff, v32
	v_sub_f32_e32 v29, v30, v29
	v_cmp_neq_f32_e64 s6, 0, v31
	v_cndmask_b32_e64 v29, 0x7f800000, v29, s6
.LBB152_391:
	s_or_b32 exec_lo, exec_lo, s9
.LBB152_392:
	s_andn2_saveexec_b32 s8, s8
; %bb.393:
	v_cmp_eq_f16_e64 s6, 1.0, v11
	v_cmp_eq_f16_e64 s7, 2.0, v11
	s_or_b32 s6, s6, s7
	v_cndmask_b32_e64 v29, v29, 0, s6
; %bb.394:
	s_or_b32 exec_lo, exec_lo, s8
	global_load_ushort v9, v9, s[14:15]
                                        ; implicit-def: $vgpr32
	s_mov_b32 s7, exec_lo
	s_waitcnt vmcnt(0)
	v_cvt_f32_f16_e32 v30, v9
	v_and_b32_e32 v31, 0x7fffffff, v30
	v_cmpx_ngt_f32_e64 0x3c800000, |v30|
	s_xor_b32 s8, exec_lo, s7
	s_cbranch_execz .LBB152_424
; %bb.395:
                                        ; implicit-def: $vgpr32
	s_mov_b32 s7, exec_lo
	v_cmpx_nlt_f32_e64 |v30|, 2.0
	s_xor_b32 s9, exec_lo, s7
	s_cbranch_execz .LBB152_405
; %bb.396:
	s_mov_b32 s7, exec_lo
                                        ; implicit-def: $vgpr32
	v_cmpx_ngt_f32_e64 0x41000000, |v30|
	s_xor_b32 s7, exec_lo, s7
	s_cbranch_execz .LBB152_402
; %bb.397:
	s_mov_b32 s10, exec_lo
                                        ; implicit-def: $vgpr32
	v_cmpx_ngt_f32_e64 0x5c800000, |v30|
	s_xor_b32 s10, exec_lo, s10
	s_cbranch_execz .LBB152_399
; %bb.398:
	v_cmp_gt_f32_e64 s11, 0x800000, |v30|
	v_cndmask_b32_e64 v32, 0, 32, s11
	v_ldexp_f32 v32, |v30|, v32
	v_log_f32_e32 v32, v32
	v_mul_f32_e32 v33, 0x3f317217, v32
	v_cmp_gt_f32_e64 s6, 0x7f800000, |v32|
	v_fma_f32 v34, 0x3f317217, v32, -v33
	v_fmamk_f32 v34, v32, 0x3377d1cf, v34
	v_add_f32_e32 v33, v33, v34
	v_cndmask_b32_e64 v32, v32, v33, s6
	v_cndmask_b32_e64 v33, 0, 0x41b17218, s11
	v_sub_f32_e32 v32, v32, v33
	v_fma_f32 v32, |v30|, v32, -|v30|
.LBB152_399:
	s_andn2_saveexec_b32 s10, s10
	s_cbranch_execz .LBB152_401
; %bb.400:
	v_cmp_gt_f32_e64 s11, 0x800000, |v30|
	v_rcp_f32_e64 v33, |v30|
	s_mov_b32 s6, 0xbad5c4e8
	v_cndmask_b32_e64 v32, 0, 32, s11
	v_ldexp_f32 v32, |v30|, v32
	v_mul_f32_e32 v34, v33, v33
	v_log_f32_e32 v32, v32
	v_fmaak_f32 v36, s6, v34, 0x3a5b3dd2
	v_fmaak_f32 v36, v34, v36, 0xba1c065c
	v_mul_f32_e32 v35, 0x3f317217, v32
	v_fmaak_f32 v36, v34, v36, 0x3a500cfd
	v_cmp_gt_f32_e64 s6, 0x7f800000, |v32|
	v_fma_f32 v37, 0x3f317217, v32, -v35
	v_fmaak_f32 v36, v34, v36, 0xbb360b61
	v_fmamk_f32 v37, v32, 0x3377d1cf, v37
	v_fmaak_f32 v34, v34, v36, 0x3daaaaab
	v_add_f32_e32 v35, v35, v37
	v_cndmask_b32_e64 v32, v32, v35, s6
	v_cndmask_b32_e64 v35, 0, 0x41b17218, s11
	v_sub_f32_e32 v35, v32, v35
	v_fmaak_f32 v32, v33, v34, 0x3ed67f1d
	v_add_f32_e64 v33, |v30|, -0.5
	v_add_f32_e32 v34, -1.0, v35
	v_fmac_f32_e32 v32, v33, v34
.LBB152_401:
	s_or_b32 exec_lo, exec_lo, s10
.LBB152_402:
	s_andn2_saveexec_b32 s10, s7
	s_cbranch_execz .LBB152_404
; %bb.403:
	v_cvt_i32_f32_e32 v32, v31
	s_mov_b32 s7, 0x3805ff67
	v_cvt_f32_i32_e32 v33, v32
	v_cmp_lt_i32_e64 s6, 2, v32
	v_sub_f32_e64 v33, |v30|, v33
	v_add_f32_e32 v34, 2.0, v33
	v_add_f32_e32 v35, 0x40400000, v33
	v_add_f32_e32 v36, 4.0, v33
	v_add_f32_e32 v37, 0x40a00000, v33
	v_cndmask_b32_e64 v34, 1.0, v34, s6
	v_cmp_lt_i32_e64 s6, 3, v32
	v_cndmask_b32_e64 v35, 1.0, v35, s6
	v_cmp_lt_i32_e64 s6, 4, v32
	v_mul_f32_e32 v34, v34, v35
	v_cndmask_b32_e64 v36, 1.0, v36, s6
	v_cmp_lt_i32_e64 s6, 5, v32
	v_add_f32_e32 v35, 0x40c00000, v33
	v_mul_f32_e32 v34, v36, v34
	v_cndmask_b32_e64 v37, 1.0, v37, s6
	v_cmp_lt_i32_e64 s6, 6, v32
	v_fmaak_f32 v36, s7, v33, 0x3af135b4
	v_mul_f32_e32 v34, v37, v34
	v_cndmask_b32_e64 v32, 1.0, v35, s6
	s_mov_b32 s6, 0x36f5d7bd
	v_mul_f32_e32 v32, v32, v34
	v_fmaak_f32 v34, s6, v33, 0x3a4beed6
	v_cmp_gt_f32_e64 s6, 0x800000, v32
	v_fmaak_f32 v34, v33, v34, 0x3c98bf54
	v_cndmask_b32_e64 v35, 0, 32, s6
	v_fmaak_f32 v34, v33, v34, 0x3e300f6e
	v_ldexp_f32 v32, v32, v35
	v_fmaak_f32 v35, v33, v36, 0x3cda40e4
	v_fmaak_f32 v34, v33, v34, 0x3f38d0c5
	v_log_f32_e32 v32, v32
	v_fmaak_f32 v35, v33, v35, 0x3e15dce6
	v_fmaak_f32 v34, v33, v34, 0x3fb22d3b
	;; [unrolled: 1-line block ×3, first 2 shown]
	v_fma_f32 v34, v33, v34, 1.0
	v_mul_f32_e32 v36, 0x3f317217, v32
	v_fmaak_f32 v35, v33, v35, 0x3e5c245a
	v_rcp_f32_e32 v34, v34
	v_cmp_gt_f32_e64 s7, 0x7f800000, |v32|
	v_fma_f32 v37, 0x3f317217, v32, -v36
	v_fmaak_f32 v35, v33, v35, 0xbd9e233f
	v_fmamk_f32 v37, v32, 0x3377d1cf, v37
	v_mul_f32_e32 v35, v33, v35
	v_add_f32_e32 v36, v36, v37
	v_mul_f32_e32 v34, v35, v34
	v_cndmask_b32_e64 v35, 0, 0x41b17218, s6
	v_cndmask_b32_e64 v32, v32, v36, s7
	v_fmac_f32_e32 v34, 0.5, v33
	v_sub_f32_e32 v32, v32, v35
	v_add_f32_e32 v32, v32, v34
.LBB152_404:
	s_or_b32 exec_lo, exec_lo, s10
.LBB152_405:
	s_andn2_saveexec_b32 s9, s9
	s_cbranch_execz .LBB152_423
; %bb.406:
                                        ; implicit-def: $vgpr32
                                        ; implicit-def: $vgpr34
                                        ; implicit-def: $vgpr33
	s_mov_b32 s7, exec_lo
	v_cmpx_ge_f32_e64 0x3f666666, |v30|
	s_xor_b32 s10, exec_lo, s7
	s_cbranch_execz .LBB152_408
; %bb.407:
	v_cmp_gt_f32_e64 s7, 0x800000, |v30|
	v_sub_f32_e64 v35, 1.0, |v30|
	v_cmp_gt_f32_e64 s6, 0x3f3b4a23, |v30|
	v_cndmask_b32_e64 v32, 0, 32, s7
	v_cndmask_b32_e64 v36, 0, 0x41b17218, s7
	v_ldexp_f32 v32, |v30|, v32
	v_log_f32_e32 v32, v32
	v_mul_f32_e32 v33, 0x3f317217, v32
	v_cmp_gt_f32_e64 s7, 0x7f800000, |v32|
	v_fma_f32 v34, 0x3f317217, v32, -v33
	v_fmamk_f32 v34, v32, 0x3377d1cf, v34
	v_add_f32_e32 v33, v33, v34
	v_add_f32_e64 v34, 0xbeec5b0c, |v30|
	v_cndmask_b32_e64 v32, v32, v33, s7
	v_cndmask_b32_e64 v33, v35, v34, s6
	;; [unrolled: 1-line block ×3, first 2 shown]
	v_cmp_gt_f32_e64 s6, 0x3e6d3309, |v30|
	v_sub_f32_e32 v32, v32, v36
	v_cndmask_b32_e64 v33, v33, |v30|, s6
	v_cndmask_b32_e64 v34, v34, 2, s6
	v_xor_b32_e32 v32, 0x80000000, v32
.LBB152_408:
	s_andn2_saveexec_b32 s7, s10
	s_cbranch_execz .LBB152_410
; %bb.409:
	v_sub_f32_e64 v32, 2.0, |v30|
	v_add_f32_e64 v33, 0xbfbb16c3, |v30|
	v_cmp_gt_f32_e64 s6, 0x3fdda512, |v30|
	v_add_f32_e64 v34, |v30|, -1.0
	v_cndmask_b32_e64 v33, v32, v33, s6
	v_cndmask_b32_e64 v32, v32, 1.0, s6
	v_cmp_gt_f32_e64 s6, 0x3f9d70a4, |v30|
	v_cvt_i32_f32_e32 v32, v32
	v_cndmask_b32_e64 v33, v33, v34, s6
	v_cndmask_b32_e64 v34, v32, 2, s6
	v_mov_b32_e32 v32, 0
.LBB152_410:
	s_or_b32 exec_lo, exec_lo, s7
	s_mov_b32 s7, exec_lo
	v_cmpx_lt_i32_e32 0, v34
	s_xor_b32 s7, exec_lo, s7
	s_cbranch_execz .LBB152_418
; %bb.411:
	s_mov_b32 s10, exec_lo
	v_cmpx_lt_i32_e32 1, v34
	s_xor_b32 s10, exec_lo, s10
	s_cbranch_execz .LBB152_415
; %bb.412:
	s_mov_b32 s11, exec_lo
	v_cmpx_eq_u32_e32 2, v34
	s_cbranch_execz .LBB152_414
; %bb.413:
	s_mov_b32 s6, 0x3b52d5db
	v_fmaak_f32 v34, s6, v33, 0x3dd572af
	s_mov_b32 s6, 0x3c5b3c5e
	v_fmaak_f32 v35, s6, v33, 0x3e6a7578
	v_fmaak_f32 v34, v33, v34, 0x3f44efdf
	;; [unrolled: 1-line block ×7, first 2 shown]
	v_fma_f32 v34, v33, v34, 1.0
	v_fmaak_f32 v35, v33, v35, 0xbd9e233f
	v_rcp_f32_e32 v34, v34
	v_mul_f32_e32 v35, v33, v35
	v_mul_f32_e32 v34, v35, v34
	v_fmac_f32_e32 v34, -0.5, v33
	v_add_f32_e32 v32, v32, v34
.LBB152_414:
	s_or_b32 exec_lo, exec_lo, s11
                                        ; implicit-def: $vgpr33
.LBB152_415:
	s_andn2_saveexec_b32 s6, s10
	s_cbranch_execz .LBB152_417
; %bb.416:
	v_mul_f32_e32 v34, v33, v33
	s_mov_b32 s10, 0xb9a3f927
	s_mov_b32 s11, 0x39afe9f7
	v_mul_f32_e32 v35, v33, v34
	v_fmaak_f32 v36, s10, v35, 0x3a66f867
	v_fmaak_f32 v37, s11, v35, 0xba0d3085
	s_mov_b32 s10, 0x39a57b6b
	v_fmaak_f32 v38, s10, v35, 0xbab7f476
	v_fmaak_f32 v36, v35, v36, 0xbb7177fe
	;; [unrolled: 1-line block ×9, first 2 shown]
	v_fmac_f32_e32 v36, v33, v37
	v_fmaak_f32 v33, v35, v38, 0x3ef7b95e
	v_fma_f32 v35, v35, -v36, 0xa2863e55
	v_fma_f32 v33, v34, v33, -v35
	v_add_f32_e32 v33, 0xbdf8cdce, v33
	v_add_f32_e32 v32, v32, v33
.LBB152_417:
	s_or_b32 exec_lo, exec_lo, s6
                                        ; implicit-def: $vgpr34
                                        ; implicit-def: $vgpr33
.LBB152_418:
	s_andn2_saveexec_b32 s7, s7
	s_cbranch_execz .LBB152_422
; %bb.419:
	s_mov_b32 s10, exec_lo
	v_cmpx_eq_u32_e32 0, v34
	s_cbranch_execz .LBB152_421
; %bb.420:
	v_mul_f32_e32 v34, v33, v33
	s_mov_b32 s6, 0x383c2c75
	v_fmaak_f32 v35, s6, v34, 0x38e28445
	s_mov_b32 s6, 0x37d383a2
	v_fmaak_f32 v36, s6, v34, 0x39679767
	v_fmaak_f32 v35, v34, v35, 0x3a05b634
	v_fmaak_f32 v36, v34, v36, 0x3a9c54a1
	v_fmaak_f32 v35, v34, v35, 0x3b3d6ec6
	v_fmaak_f32 v36, v34, v36, 0x3bf2027e
	v_fmaak_f32 v35, v34, v35, 0x3ca89915
	v_fmaak_f32 v36, v34, v36, 0x3d89f001
	v_fmaak_f32 v35, v34, v35, 0x3ea51a66
	v_fmaak_f32 v36, v34, v36, 0x3d9e233f
	v_mul_f32_e32 v34, v34, v35
	v_fmac_f32_e32 v34, v33, v36
	v_fmac_f32_e32 v34, -0.5, v33
	v_add_f32_e32 v32, v32, v34
.LBB152_421:
	s_or_b32 exec_lo, exec_lo, s10
.LBB152_422:
	s_or_b32 exec_lo, exec_lo, s7
.LBB152_423:
	s_or_b32 exec_lo, exec_lo, s9
.LBB152_424:
	s_andn2_saveexec_b32 s7, s8
	s_cbranch_execz .LBB152_426
; %bb.425:
	v_cmp_gt_f32_e64 s8, 0x800000, |v30|
	s_mov_b32 s6, 0x3e8a8991
	v_fma_f32 v35, |v30|, s6, 0xbecd26ab
	v_cndmask_b32_e64 v32, 0, 32, s8
	v_ldexp_f32 v32, |v30|, v32
	v_log_f32_e32 v32, v32
	v_mul_f32_e32 v33, 0x3f317217, v32
	v_cmp_gt_f32_e64 s6, 0x7f800000, |v32|
	v_fma_f32 v34, 0x3f317217, v32, -v33
	v_fmamk_f32 v34, v32, 0x3377d1cf, v34
	v_add_f32_e32 v33, v33, v34
	v_fma_f32 v34, |v30|, v35, 0x3f528d33
	v_cndmask_b32_e64 v32, v32, v33, s6
	v_cndmask_b32_e64 v33, 0, 0x41b17218, s8
	v_fma_f32 v34, |v30|, v34, 0xbf13c468
	v_sub_f32_e32 v32, v32, v33
	v_fma_f32 v32, |v30|, v34, -v32
.LBB152_426:
	s_or_b32 exec_lo, exec_lo, s7
	v_cmp_le_f16_e64 s6, 0, v9
	s_mov_b32 s8, exec_lo
	v_cmpx_nle_f16_e32 0, v9
	s_xor_b32 s9, exec_lo, s8
	s_cbranch_execz .LBB152_430
; %bb.427:
	v_cmp_gt_f32_e64 s7, 0x4b000000, |v30|
	v_cmp_lt_f32_e64 s8, 0x35000000, |v30|
	s_and_b32 s7, s7, s8
	s_and_saveexec_b32 s10, s7
	s_cbranch_execz .LBB152_429
; %bb.428:
	v_mul_f32_e64 v33, |v30|, 0.5
	s_mov_b32 s8, 0x3d4be544
	v_xor_b32_e32 v31, v31, v30
	v_floor_f32_e32 v34, v33
	v_cmp_neq_f32_e64 s7, 0x7f800000, v33
	v_sub_f32_e32 v34, v33, v34
	v_min_f32_e32 v34, 0x3f7fffff, v34
	v_add_f32_e32 v34, v34, v34
	v_cndmask_b32_e64 v33, 0, v34, s7
	v_cmp_gt_f32_e64 s7, |v30|, 1.0
	v_cndmask_b32_e64 v33, |v30|, v33, s7
	s_mov_b32 s7, 0x3e75aa41
	v_add_f32_e32 v34, v33, v33
	v_rndne_f32_e32 v34, v34
	v_fmac_f32_e32 v33, -0.5, v34
	v_cvt_i32_f32_e32 v34, v34
	v_mul_f32_e32 v35, v33, v33
	v_fmaak_f32 v36, s7, v35, 0xbf1f24be
	v_fmaak_f32 v37, s8, v35, 0x3e642e9d
	v_mul_f32_e32 v38, v33, v35
	v_fmaak_f32 v36, v35, v36, 0x40234736
	v_fmaak_f32 v37, v35, v37, 0xbfaad1da
	;; [unrolled: 1-line block ×4, first 2 shown]
	v_mul_f32_e32 v36, v38, v36
	v_fmaak_f32 v37, v35, v37, 0xc09de9e6
	v_and_b32_e32 v38, 1, v34
	v_lshlrev_b32_e32 v34, 30, v34
	v_fmamk_f32 v33, v33, 0x40490fdb, v36
	v_fma_f32 v35, v35, v37, 1.0
	v_cmp_eq_u32_e64 s7, 0, v38
	v_and_b32_e32 v34, 0x80000000, v34
	v_cndmask_b32_e64 v33, v35, v33, s7
	v_xor3_b32 v31, v31, v34, v33
	v_mul_f32_e32 v31, v30, v31
	v_frexp_mant_f32_e64 v33, |v31|
	v_frexp_exp_i32_f32_e32 v31, v31
	v_rcp_f32_e32 v33, v33
	v_sub_nc_u32_e32 v31, 2, v31
	v_mul_f32_e32 v33, 0x3f490fdb, v33
	v_ldexp_f32 v31, v33, v31
	v_cmp_gt_f32_e64 s7, 0x800000, v31
	v_cndmask_b32_e64 v33, 0, 32, s7
	v_ldexp_f32 v31, v31, v33
	v_log_f32_e32 v31, v31
	v_mul_f32_e32 v33, 0x3f317217, v31
	v_cmp_gt_f32_e64 s8, 0x7f800000, |v31|
	v_fma_f32 v34, 0x3f317217, v31, -v33
	v_fmamk_f32 v34, v31, 0x3377d1cf, v34
	v_add_f32_e32 v33, v33, v34
	v_floor_f32_e32 v34, v30
	v_cndmask_b32_e64 v31, v31, v33, s8
	v_cndmask_b32_e64 v33, 0, 0x41b17218, s7
	v_sub_f32_e32 v34, v30, v34
	v_sub_f32_e32 v31, v31, v33
	v_min_f32_e32 v33, 0x3f7fffff, v34
	v_sub_f32_e32 v31, v31, v32
	v_cmp_neq_f32_e64 s7, 0, v33
	v_cndmask_b32_e64 v32, 0x7f800000, v31, s7
.LBB152_429:
	s_or_b32 exec_lo, exec_lo, s10
.LBB152_430:
	s_andn2_saveexec_b32 s9, s9
; %bb.431:
	v_cmp_eq_f16_e64 s7, 1.0, v9
	v_cmp_eq_f16_e64 s8, 2.0, v9
	s_or_b32 s7, s7, s8
	v_cndmask_b32_e64 v32, v32, 0, s7
; %bb.432:
	s_or_b32 exec_lo, exec_lo, s9
	v_cmp_gt_f32_e64 s7, 0x4b000000, |v28|
	v_cmp_gt_f32_e64 s8, 0x4b000000, |v26|
	v_cvt_f16_f32_e32 v29, v29
	v_cvt_f16_f32_e32 v27, v27
	;; [unrolled: 1-line block ×3, first 2 shown]
	s_or_b32 s5, s5, s7
	s_or_b32 s4, s4, s8
	v_cndmask_b32_e64 v29, 0x7c00, v29, s5
	v_cndmask_b32_e64 v27, 0x7c00, v27, s4
	v_cmp_class_f32_e64 s4, v28, 0x264
	v_cmp_gt_f32_e64 s5, 0x4b000000, |v24|
	v_cvt_f16_f32_e32 v23, v23
	v_cvt_f16_f32_e32 v21, v21
	v_cvt_f16_f32_e32 v18, v18
	v_cndmask_b32_e64 v28, v29, 0x7c00, s4
	v_cmp_class_f32_e64 s4, v26, 0x264
	s_or_b32 s3, s3, s5
	v_cvt_f16_f32_e32 v12, v12
	v_cndmask_b32_e64 v25, 0x7c00, v25, s3
	v_cmp_u_f16_e64 s3, v13, v13
	v_cndmask_b32_e64 v26, v27, 0x7c00, s4
	v_cmp_u_f16_e64 s4, v11, v11
	v_cndmask_b32_e64 v13, v26, v13, s3
	v_cndmask_b32_e64 v11, v28, v11, s4
	v_cmp_gt_f32_e64 s4, 0x4b000000, |v22|
	v_cmp_gt_f32_e64 s3, 0x4b000000, |v20|
	s_or_b32 s2, s2, s4
	s_or_b32 s1, s1, s3
	v_cndmask_b32_e64 v23, 0x7c00, v23, s2
	v_cmp_class_f32_e64 s2, v24, 0x264
	v_cndmask_b32_e64 v21, 0x7c00, v21, s1
	v_cmp_u_f16_e64 s1, v17, v17
	v_cndmask_b32_e64 v24, v25, 0x7c00, s2
	v_cmp_class_f32_e64 s2, v22, 0x264
	v_cndmask_b32_e64 v22, v23, 0x7c00, s2
	v_cmp_u_f16_e64 s2, v15, v15
	v_cndmask_b32_e64 v17, v22, v17, s1
	v_cndmask_b32_e64 v15, v24, v15, s2
	v_cmp_gt_f32_e64 s1, 0x4b000000, |v16|
	v_cmp_class_f32_e64 s2, v20, 0x264
	s_or_b32 s0, s0, s1
	v_cndmask_b32_e64 v20, v21, 0x7c00, s2
	v_cmp_gt_f32_e64 s2, 0x4b000000, |v10|
	v_cndmask_b32_e64 v18, 0x7c00, v18, s0
	v_cmp_gt_f32_e64 s0, 0x4b000000, |v30|
	v_cvt_f16_f32_e32 v21, v32
	v_cmp_class_f32_e64 s1, v16, 0x264
	s_or_b32 vcc_lo, vcc_lo, s2
	v_cndmask_b32_e32 v12, 0x7c00, v12, vcc_lo
	s_or_b32 vcc_lo, s6, s0
	v_cndmask_b32_e64 v16, v18, 0x7c00, s1
	v_cndmask_b32_e32 v18, 0x7c00, v21, vcc_lo
	v_cmp_class_f32_e64 s0, v10, 0x264
	v_cmp_u_f16_e32 vcc_lo, v14, v14
	v_cndmask_b32_e64 v10, v12, 0x7c00, s0
	v_cndmask_b32_e32 v12, v16, v14, vcc_lo
	v_cmp_u_f16_e32 vcc_lo, v8, v8
	v_cmp_class_f32_e64 s0, v30, 0x264
	v_cndmask_b32_e32 v8, v10, v8, vcc_lo
	v_cmp_u_f16_e32 vcc_lo, v19, v19
	v_cndmask_b32_e64 v14, v18, 0x7c00, s0
	v_cndmask_b32_e32 v10, v20, v19, vcc_lo
	v_cmp_u_f16_e32 vcc_lo, v9, v9
	v_cndmask_b32_e32 v9, v14, v9, vcc_lo
	global_store_short v0, v8, s[12:13]
	global_store_short v1, v12, s[12:13]
	;; [unrolled: 1-line block ×8, first 2 shown]
	s_endpgm
.LBB152_433:
	v_mov_b32_e32 v0, 0
	v_mov_b32_e32 v2, 0
	s_branch .LBB152_439
.LBB152_434:
	v_mov_b32_e32 v0, 0
	v_mov_b32_e32 v2, 0
	s_branch .LBB152_493
.LBB152_435:
	v_mov_b32_e32 v0, 0
	v_mov_b32_e32 v2, 0
	;; [unrolled: 1-line block ×3, first 2 shown]
	s_mov_b32 s31, 0
.LBB152_436:
	s_and_b32 s33, s33, 3
	s_cmp_eq_u32 s33, 0
	s_cbranch_scc1 .LBB152_439
; %bb.437:
	s_lshl_b32 s0, s31, 3
	s_mul_i32 s20, s31, 12
	s_add_u32 s0, s2, s0
	s_addc_u32 s1, s3, 0
	s_add_u32 s0, s0, 0xc4
	s_addc_u32 s1, s1, 0
	;; [unrolled: 2-line block ×3, first 2 shown]
	.p2align	6
.LBB152_438:                            ; =>This Inner Loop Header: Depth=1
	s_clause 0x1
	s_load_dwordx2 s[34:35], s[20:21], 0x4
	s_load_dword s31, s[20:21], 0xc
	s_load_dwordx2 s[36:37], s[0:1], 0x0
	s_add_u32 s20, s20, 12
	s_addc_u32 s21, s21, 0
	s_add_u32 s0, s0, 8
	s_addc_u32 s1, s1, 0
	s_add_i32 s33, s33, -1
	s_cmp_lg_u32 s33, 0
	s_waitcnt lgkmcnt(0)
	v_mul_hi_u32 v3, s35, v1
	v_add_nc_u32_e32 v3, v1, v3
	v_lshrrev_b32_e32 v4, s31, v3
	v_mul_lo_u32 v3, v4, s34
	v_sub_nc_u32_e32 v3, v1, v3
	v_mad_u64_u32 v[0:1], null, v3, s36, v[0:1]
	v_mad_u64_u32 v[2:3], null, v3, s37, v[2:3]
	v_mov_b32_e32 v1, v4
	s_cbranch_scc1 .LBB152_438
.LBB152_439:
	s_cbranch_execnz .LBB152_442
.LBB152_440:
	s_waitcnt lgkmcnt(0)
	v_mul_hi_u32 v0, s13, v7
	s_andn2_b32 vcc_lo, exec_lo, s26
	v_add_nc_u32_e32 v0, v7, v0
	v_lshrrev_b32_e32 v1, s14, v0
	v_mul_lo_u32 v0, v1, s12
	v_sub_nc_u32_e32 v2, v7, v0
	v_mul_lo_u32 v0, v2, s8
	v_mul_lo_u32 v2, v2, s9
	s_cbranch_vccnz .LBB152_442
; %bb.441:
	v_mul_hi_u32 v3, s16, v1
	v_add_nc_u32_e32 v3, v1, v3
	v_lshrrev_b32_e32 v3, s17, v3
	v_mul_lo_u32 v3, v3, s15
	v_sub_nc_u32_e32 v3, v1, v3
	v_mad_u64_u32 v[0:1], null, v3, s10, v[0:1]
	v_mad_u64_u32 v[2:3], null, v3, s11, v[2:3]
.LBB152_442:
	s_waitcnt lgkmcnt(0)
	global_load_ushort v1, v2, s[6:7]
	s_mov_b32 s1, exec_lo
                                        ; implicit-def: $vgpr4
	s_waitcnt vmcnt(0)
	v_cvt_f32_f16_e32 v2, v1
	v_and_b32_e32 v3, 0x7fffffff, v2
	v_cmpx_ngt_f32_e64 0x3c800000, |v2|
	s_xor_b32 s1, exec_lo, s1
	s_cbranch_execz .LBB152_472
; %bb.443:
	s_mov_b32 s20, exec_lo
                                        ; implicit-def: $vgpr4
	v_cmpx_nlt_f32_e64 |v2|, 2.0
	s_xor_b32 s20, exec_lo, s20
	s_cbranch_execz .LBB152_453
; %bb.444:
	v_cmp_ngt_f32_e64 s0, 0x41000000, |v2|
                                        ; implicit-def: $vgpr4
	s_and_saveexec_b32 s21, s0
	s_xor_b32 s0, exec_lo, s21
	s_cbranch_execz .LBB152_450
; %bb.445:
	v_cmp_ngt_f32_e64 s21, 0x5c800000, |v2|
                                        ; implicit-def: $vgpr4
	s_and_saveexec_b32 s31, s21
	s_xor_b32 s21, exec_lo, s31
	s_cbranch_execz .LBB152_447
; %bb.446:
	v_cmp_gt_f32_e64 s31, 0x800000, |v2|
	v_cndmask_b32_e64 v4, 0, 32, s31
	v_ldexp_f32 v4, |v2|, v4
	v_log_f32_e32 v4, v4
	v_mul_f32_e32 v5, 0x3f317217, v4
	v_cmp_gt_f32_e64 vcc_lo, 0x7f800000, |v4|
	v_fma_f32 v6, 0x3f317217, v4, -v5
	v_fmamk_f32 v6, v4, 0x3377d1cf, v6
	v_add_f32_e32 v5, v5, v6
	v_cndmask_b32_e32 v4, v4, v5, vcc_lo
	v_cndmask_b32_e64 v5, 0, 0x41b17218, s31
	v_sub_f32_e32 v4, v4, v5
	v_fma_f32 v4, |v2|, v4, -|v2|
.LBB152_447:
	s_andn2_saveexec_b32 s21, s21
	s_cbranch_execz .LBB152_449
; %bb.448:
	v_cmp_gt_f32_e64 s31, 0x800000, |v2|
	v_rcp_f32_e64 v5, |v2|
	s_mov_b32 s33, 0xbad5c4e8
	v_cndmask_b32_e64 v4, 0, 32, s31
	v_ldexp_f32 v4, |v2|, v4
	v_mul_f32_e32 v6, v5, v5
	v_log_f32_e32 v4, v4
	v_fmaak_f32 v9, s33, v6, 0x3a5b3dd2
	v_fmaak_f32 v9, v6, v9, 0xba1c065c
	v_mul_f32_e32 v8, 0x3f317217, v4
	v_fmaak_f32 v9, v6, v9, 0x3a500cfd
	v_cmp_gt_f32_e64 vcc_lo, 0x7f800000, |v4|
	v_fma_f32 v10, 0x3f317217, v4, -v8
	v_fmaak_f32 v9, v6, v9, 0xbb360b61
	v_fmamk_f32 v10, v4, 0x3377d1cf, v10
	v_fmaak_f32 v6, v6, v9, 0x3daaaaab
	v_add_f32_e32 v8, v8, v10
	v_cndmask_b32_e32 v4, v4, v8, vcc_lo
	v_cndmask_b32_e64 v8, 0, 0x41b17218, s31
	v_sub_f32_e32 v8, v4, v8
	v_fmaak_f32 v4, v5, v6, 0x3ed67f1d
	v_add_f32_e64 v5, |v2|, -0.5
	v_add_f32_e32 v6, -1.0, v8
	v_fmac_f32_e32 v4, v5, v6
.LBB152_449:
	s_or_b32 exec_lo, exec_lo, s21
.LBB152_450:
	s_andn2_saveexec_b32 s21, s0
	s_cbranch_execz .LBB152_452
; %bb.451:
	v_cvt_i32_f32_e32 v4, v3
	s_mov_b32 s0, 0x36f5d7bd
	s_mov_b32 s31, 0x3805ff67
	v_cvt_f32_i32_e32 v5, v4
	v_cmp_lt_i32_e32 vcc_lo, 2, v4
	v_sub_f32_e64 v5, |v2|, v5
	v_add_f32_e32 v6, 2.0, v5
	v_add_f32_e32 v8, 0x40400000, v5
	v_add_f32_e32 v9, 4.0, v5
	v_add_f32_e32 v10, 0x40a00000, v5
	v_cndmask_b32_e32 v6, 1.0, v6, vcc_lo
	v_cmp_lt_i32_e32 vcc_lo, 3, v4
	v_cndmask_b32_e32 v8, 1.0, v8, vcc_lo
	v_cmp_lt_i32_e32 vcc_lo, 4, v4
	v_mul_f32_e32 v6, v6, v8
	v_cndmask_b32_e32 v9, 1.0, v9, vcc_lo
	v_cmp_lt_i32_e32 vcc_lo, 5, v4
	v_add_f32_e32 v8, 0x40c00000, v5
	v_mul_f32_e32 v6, v9, v6
	v_cndmask_b32_e32 v10, 1.0, v10, vcc_lo
	v_cmp_lt_i32_e32 vcc_lo, 6, v4
	v_fmaak_f32 v9, s31, v5, 0x3af135b4
	v_mul_f32_e32 v6, v10, v6
	v_cndmask_b32_e32 v4, 1.0, v8, vcc_lo
	v_mul_f32_e32 v4, v4, v6
	v_fmaak_f32 v6, s0, v5, 0x3a4beed6
	v_cmp_gt_f32_e32 vcc_lo, 0x800000, v4
	v_fmaak_f32 v6, v5, v6, 0x3c98bf54
	v_cndmask_b32_e64 v8, 0, 32, vcc_lo
	v_fmaak_f32 v6, v5, v6, 0x3e300f6e
	v_ldexp_f32 v4, v4, v8
	v_fmaak_f32 v8, v5, v9, 0x3cda40e4
	v_fmaak_f32 v6, v5, v6, 0x3f38d0c5
	v_log_f32_e32 v4, v4
	v_fmaak_f32 v8, v5, v8, 0x3e15dce6
	v_fmaak_f32 v6, v5, v6, 0x3fb22d3b
	v_fmaak_f32 v8, v5, v8, 0x3ea6cc7a
	v_fma_f32 v6, v5, v6, 1.0
	v_mul_f32_e32 v9, 0x3f317217, v4
	v_fmaak_f32 v8, v5, v8, 0x3e5c245a
	v_rcp_f32_e32 v6, v6
	v_cmp_gt_f32_e64 s0, 0x7f800000, |v4|
	v_fma_f32 v10, 0x3f317217, v4, -v9
	v_fmaak_f32 v8, v5, v8, 0xbd9e233f
	v_fmamk_f32 v10, v4, 0x3377d1cf, v10
	v_mul_f32_e32 v8, v5, v8
	v_add_f32_e32 v9, v9, v10
	v_mul_f32_e32 v6, v8, v6
	v_cndmask_b32_e64 v8, 0, 0x41b17218, vcc_lo
	v_cndmask_b32_e64 v4, v4, v9, s0
	v_fmac_f32_e32 v6, 0.5, v5
	v_sub_f32_e32 v4, v4, v8
	v_add_f32_e32 v4, v4, v6
.LBB152_452:
	s_or_b32 exec_lo, exec_lo, s21
.LBB152_453:
	s_andn2_saveexec_b32 s20, s20
	s_cbranch_execz .LBB152_471
; %bb.454:
	s_mov_b32 s21, exec_lo
                                        ; implicit-def: $vgpr4
                                        ; implicit-def: $vgpr6
                                        ; implicit-def: $vgpr5
	v_cmpx_ge_f32_e64 0x3f666666, |v2|
	s_xor_b32 s21, exec_lo, s21
	s_cbranch_execz .LBB152_456
; %bb.455:
	v_cmp_gt_f32_e64 s0, 0x800000, |v2|
	v_sub_f32_e64 v8, 1.0, |v2|
	v_cmp_gt_f32_e64 vcc_lo, 0x3f3b4a23, |v2|
	v_cndmask_b32_e64 v4, 0, 32, s0
	v_cndmask_b32_e64 v9, 0, 0x41b17218, s0
	v_ldexp_f32 v4, |v2|, v4
	v_log_f32_e32 v4, v4
	v_mul_f32_e32 v5, 0x3f317217, v4
	v_cmp_gt_f32_e64 s0, 0x7f800000, |v4|
	v_fma_f32 v6, 0x3f317217, v4, -v5
	v_fmamk_f32 v6, v4, 0x3377d1cf, v6
	v_add_f32_e32 v5, v5, v6
	v_add_f32_e64 v6, 0xbeec5b0c, |v2|
	v_cndmask_b32_e64 v4, v4, v5, s0
	v_cndmask_b32_e32 v5, v8, v6, vcc_lo
	v_cndmask_b32_e64 v6, 0, 1, vcc_lo
	v_cmp_gt_f32_e64 s0, 0x3e6d3309, |v2|
	v_sub_f32_e32 v4, v4, v9
	v_cndmask_b32_e64 v5, v5, |v2|, s0
	v_cndmask_b32_e64 v6, v6, 2, s0
	v_xor_b32_e32 v4, 0x80000000, v4
.LBB152_456:
	s_andn2_saveexec_b32 s0, s21
	s_cbranch_execz .LBB152_458
; %bb.457:
	v_sub_f32_e64 v4, 2.0, |v2|
	v_add_f32_e64 v5, 0xbfbb16c3, |v2|
	v_cmp_gt_f32_e64 vcc_lo, 0x3fdda512, |v2|
	v_add_f32_e64 v6, |v2|, -1.0
	v_cndmask_b32_e32 v5, v4, v5, vcc_lo
	v_cndmask_b32_e64 v4, v4, 1.0, vcc_lo
	v_cmp_gt_f32_e64 vcc_lo, 0x3f9d70a4, |v2|
	v_cvt_i32_f32_e32 v4, v4
	v_cndmask_b32_e32 v5, v5, v6, vcc_lo
	v_cndmask_b32_e64 v6, v4, 2, vcc_lo
	v_mov_b32_e32 v4, 0
.LBB152_458:
	s_or_b32 exec_lo, exec_lo, s0
	s_mov_b32 s0, exec_lo
	v_cmpx_lt_i32_e32 0, v6
	s_xor_b32 s0, exec_lo, s0
	s_cbranch_execz .LBB152_466
; %bb.459:
	s_mov_b32 s21, exec_lo
	v_cmpx_lt_i32_e32 1, v6
	s_xor_b32 s21, exec_lo, s21
	s_cbranch_execz .LBB152_463
; %bb.460:
	s_mov_b32 s31, exec_lo
	v_cmpx_eq_u32_e32 2, v6
	s_cbranch_execz .LBB152_462
; %bb.461:
	s_mov_b32 s33, 0x3b52d5db
	v_fmaak_f32 v6, s33, v5, 0x3dd572af
	s_mov_b32 s33, 0x3c5b3c5e
	v_fmaak_f32 v8, s33, v5, 0x3e6a7578
	v_fmaak_f32 v6, v5, v6, 0x3f44efdf
	;; [unrolled: 1-line block ×7, first 2 shown]
	v_fma_f32 v6, v5, v6, 1.0
	v_fmaak_f32 v8, v5, v8, 0xbd9e233f
	v_rcp_f32_e32 v6, v6
	v_mul_f32_e32 v8, v5, v8
	v_mul_f32_e32 v6, v8, v6
	v_fmac_f32_e32 v6, -0.5, v5
	v_add_f32_e32 v4, v4, v6
.LBB152_462:
	s_or_b32 exec_lo, exec_lo, s31
                                        ; implicit-def: $vgpr5
.LBB152_463:
	s_andn2_saveexec_b32 s21, s21
	s_cbranch_execz .LBB152_465
; %bb.464:
	v_mul_f32_e32 v6, v5, v5
	s_mov_b32 s31, 0xb9a3f927
	s_mov_b32 s33, 0x39afe9f7
	v_mul_f32_e32 v8, v5, v6
	v_fmaak_f32 v9, s31, v8, 0x3a66f867
	v_fmaak_f32 v10, s33, v8, 0xba0d3085
	s_mov_b32 s31, 0x39a57b6b
	v_fmaak_f32 v11, s31, v8, 0xbab7f476
	v_fmaak_f32 v9, v8, v9, 0xbb7177fe
	;; [unrolled: 1-line block ×9, first 2 shown]
	v_fmac_f32_e32 v9, v5, v10
	v_fmaak_f32 v5, v8, v11, 0x3ef7b95e
	v_fma_f32 v8, v8, -v9, 0xa2863e55
	v_fma_f32 v5, v6, v5, -v8
	v_add_f32_e32 v5, 0xbdf8cdce, v5
	v_add_f32_e32 v4, v4, v5
.LBB152_465:
	s_or_b32 exec_lo, exec_lo, s21
                                        ; implicit-def: $vgpr6
                                        ; implicit-def: $vgpr5
.LBB152_466:
	s_andn2_saveexec_b32 s0, s0
	s_cbranch_execz .LBB152_470
; %bb.467:
	s_mov_b32 s21, exec_lo
	v_cmpx_eq_u32_e32 0, v6
	s_cbranch_execz .LBB152_469
; %bb.468:
	v_mul_f32_e32 v6, v5, v5
	s_mov_b32 s31, 0x383c2c75
	v_fmaak_f32 v8, s31, v6, 0x38e28445
	s_mov_b32 s31, 0x37d383a2
	v_fmaak_f32 v9, s31, v6, 0x39679767
	v_fmaak_f32 v8, v6, v8, 0x3a05b634
	;; [unrolled: 1-line block ×9, first 2 shown]
	v_mul_f32_e32 v6, v6, v8
	v_fmac_f32_e32 v6, v5, v9
	v_fmac_f32_e32 v6, -0.5, v5
	v_add_f32_e32 v4, v4, v6
.LBB152_469:
	s_or_b32 exec_lo, exec_lo, s21
.LBB152_470:
	s_or_b32 exec_lo, exec_lo, s0
.LBB152_471:
	s_or_b32 exec_lo, exec_lo, s20
.LBB152_472:
	s_andn2_saveexec_b32 s0, s1
	s_cbranch_execz .LBB152_474
; %bb.473:
	v_cmp_gt_f32_e64 s1, 0x800000, |v2|
	s_mov_b32 s20, 0x3e8a8991
	v_fma_f32 v8, |v2|, s20, 0xbecd26ab
	v_cndmask_b32_e64 v4, 0, 32, s1
	v_ldexp_f32 v4, |v2|, v4
	v_log_f32_e32 v4, v4
	v_mul_f32_e32 v5, 0x3f317217, v4
	v_cmp_gt_f32_e64 vcc_lo, 0x7f800000, |v4|
	v_fma_f32 v6, 0x3f317217, v4, -v5
	v_fmamk_f32 v6, v4, 0x3377d1cf, v6
	v_add_f32_e32 v5, v5, v6
	v_fma_f32 v6, |v2|, v8, 0x3f528d33
	v_cndmask_b32_e32 v4, v4, v5, vcc_lo
	v_cndmask_b32_e64 v5, 0, 0x41b17218, s1
	v_fma_f32 v6, |v2|, v6, 0xbf13c468
	v_sub_f32_e32 v4, v4, v5
	v_fma_f32 v4, |v2|, v6, -v4
.LBB152_474:
	s_or_b32 exec_lo, exec_lo, s0
	v_cmp_le_f16_e32 vcc_lo, 0, v1
	s_mov_b32 s1, exec_lo
	v_cmpx_nle_f16_e32 0, v1
	s_xor_b32 s20, exec_lo, s1
	s_cbranch_execz .LBB152_478
; %bb.475:
	v_cmp_gt_f32_e64 s0, 0x4b000000, |v2|
	v_cmp_lt_f32_e64 s1, 0x35000000, |v2|
	s_and_b32 s0, s0, s1
	s_and_saveexec_b32 s21, s0
	s_cbranch_execz .LBB152_477
; %bb.476:
	v_mul_f32_e64 v5, |v2|, 0.5
	s_mov_b32 s1, 0x3d4be544
	v_xor_b32_e32 v3, v3, v2
	v_floor_f32_e32 v6, v5
	v_cmp_neq_f32_e64 s0, 0x7f800000, v5
	v_sub_f32_e32 v6, v5, v6
	v_min_f32_e32 v6, 0x3f7fffff, v6
	v_add_f32_e32 v6, v6, v6
	v_cndmask_b32_e64 v5, 0, v6, s0
	v_cmp_gt_f32_e64 s0, |v2|, 1.0
	v_cndmask_b32_e64 v5, |v2|, v5, s0
	s_mov_b32 s0, 0x3e75aa41
	v_add_f32_e32 v6, v5, v5
	v_rndne_f32_e32 v6, v6
	v_fmac_f32_e32 v5, -0.5, v6
	v_cvt_i32_f32_e32 v6, v6
	v_mul_f32_e32 v8, v5, v5
	v_fmaak_f32 v9, s0, v8, 0xbf1f24be
	v_fmaak_f32 v10, s1, v8, 0x3e642e9d
	v_mul_f32_e32 v11, v5, v8
	v_fmaak_f32 v9, v8, v9, 0x40234736
	v_fmaak_f32 v10, v8, v10, 0xbfaad1da
	;; [unrolled: 1-line block ×4, first 2 shown]
	v_mul_f32_e32 v9, v11, v9
	v_fmaak_f32 v10, v8, v10, 0xc09de9e6
	v_and_b32_e32 v11, 1, v6
	v_lshlrev_b32_e32 v6, 30, v6
	v_fmamk_f32 v5, v5, 0x40490fdb, v9
	v_fma_f32 v8, v8, v10, 1.0
	v_cmp_eq_u32_e64 s0, 0, v11
	v_and_b32_e32 v6, 0x80000000, v6
	v_cndmask_b32_e64 v5, v8, v5, s0
	v_xor3_b32 v3, v3, v6, v5
	v_mul_f32_e32 v3, v2, v3
	v_frexp_mant_f32_e64 v5, |v3|
	v_frexp_exp_i32_f32_e32 v3, v3
	v_rcp_f32_e32 v5, v5
	v_sub_nc_u32_e32 v3, 2, v3
	v_mul_f32_e32 v5, 0x3f490fdb, v5
	v_ldexp_f32 v3, v5, v3
	v_cmp_gt_f32_e64 s0, 0x800000, v3
	v_cndmask_b32_e64 v5, 0, 32, s0
	v_ldexp_f32 v3, v3, v5
	v_log_f32_e32 v3, v3
	v_mul_f32_e32 v5, 0x3f317217, v3
	v_cmp_gt_f32_e64 s1, 0x7f800000, |v3|
	v_fma_f32 v6, 0x3f317217, v3, -v5
	v_fmamk_f32 v6, v3, 0x3377d1cf, v6
	v_add_f32_e32 v5, v5, v6
	v_floor_f32_e32 v6, v2
	v_cndmask_b32_e64 v3, v3, v5, s1
	v_cndmask_b32_e64 v5, 0, 0x41b17218, s0
	v_sub_f32_e32 v6, v2, v6
	v_sub_f32_e32 v3, v3, v5
	v_min_f32_e32 v5, 0x3f7fffff, v6
	v_sub_f32_e32 v3, v3, v4
	v_cmp_neq_f32_e64 s0, 0, v5
	v_cndmask_b32_e64 v4, 0x7f800000, v3, s0
.LBB152_477:
	s_or_b32 exec_lo, exec_lo, s21
.LBB152_478:
	s_andn2_saveexec_b32 s20, s20
; %bb.479:
	v_cmp_eq_f16_e64 s0, 1.0, v1
	v_cmp_eq_f16_e64 s1, 2.0, v1
	s_or_b32 s0, s0, s1
	v_cndmask_b32_e64 v4, v4, 0, s0
; %bb.480:
	s_or_b32 exec_lo, exec_lo, s20
	v_cmp_gt_f32_e64 s0, 0x4b000000, |v2|
	v_cvt_f16_f32_e32 v3, v4
	v_add_nc_u32_e32 v7, 0x80, v7
	s_or_b32 vcc_lo, vcc_lo, s0
	v_cmp_class_f32_e64 s0, v2, 0x264
	v_cndmask_b32_e32 v3, 0x7c00, v3, vcc_lo
	v_cmp_u_f16_e32 vcc_lo, v1, v1
	v_cndmask_b32_e64 v2, v3, 0x7c00, s0
	v_cndmask_b32_e32 v1, v2, v1, vcc_lo
	global_store_short v0, v1, s[4:5]
	s_or_b32 exec_lo, exec_lo, s30
	s_mov_b32 s30, exec_lo
	v_cmpx_gt_i32_e64 s27, v7
	s_cbranch_execnz .LBB152_15
.LBB152_481:
	s_or_b32 exec_lo, exec_lo, s30
	s_mov_b32 s30, exec_lo
	v_cmpx_gt_i32_e64 s27, v7
	s_cbranch_execz .LBB152_535
.LBB152_482:
	s_andn2_b32 vcc_lo, exec_lo, s24
	s_cbranch_vccnz .LBB152_487
; %bb.483:
	s_andn2_b32 vcc_lo, exec_lo, s29
	s_cbranch_vccnz .LBB152_488
; %bb.484:
	s_add_i32 s33, s28, 1
	s_cmp_eq_u32 s23, 2
	s_cbranch_scc1 .LBB152_543
; %bb.485:
	v_mov_b32_e32 v2, 0
	v_mov_b32_e32 v0, 0
	;; [unrolled: 1-line block ×3, first 2 shown]
	s_and_b32 s31, s33, 28
	s_mov_b32 s34, 0
	s_mov_b64 s[0:1], s[2:3]
	s_mov_b64 s[20:21], s[18:19]
.LBB152_486:                            ; =>This Inner Loop Header: Depth=1
	s_clause 0x1
	s_load_dwordx8 s[36:43], s[0:1], 0x4
	s_load_dwordx4 s[52:55], s[0:1], 0x24
	s_load_dwordx8 s[44:51], s[20:21], 0x0
	s_add_u32 s0, s0, 48
	s_addc_u32 s1, s1, 0
	s_add_i32 s34, s34, 4
	s_add_u32 s20, s20, 32
	s_addc_u32 s21, s21, 0
	s_cmp_eq_u32 s31, s34
	s_waitcnt lgkmcnt(0)
	v_mul_hi_u32 v3, s37, v1
	v_add_nc_u32_e32 v3, v1, v3
	v_lshrrev_b32_e32 v3, s38, v3
	v_mul_hi_u32 v4, s40, v3
	v_mul_lo_u32 v6, v3, s36
	v_add_nc_u32_e32 v4, v3, v4
	v_sub_nc_u32_e32 v1, v1, v6
	v_lshrrev_b32_e32 v4, s41, v4
	v_mul_lo_u32 v6, v1, s44
	v_mul_lo_u32 v9, v1, s45
	v_mul_hi_u32 v5, s43, v4
	v_add_nc_u32_e32 v5, v4, v5
	v_lshrrev_b32_e32 v5, s52, v5
	v_mul_hi_u32 v8, s54, v5
	v_mul_lo_u32 v10, v5, s42
	v_add_nc_u32_e32 v1, v5, v8
	v_mul_lo_u32 v8, v4, s39
	v_sub_nc_u32_e32 v4, v4, v10
	v_lshrrev_b32_e32 v1, s55, v1
	v_mul_lo_u32 v10, v4, s48
	v_mul_lo_u32 v4, v4, s49
	v_sub_nc_u32_e32 v3, v3, v8
	v_mul_lo_u32 v11, v1, s53
	v_mul_lo_u32 v8, v3, s46
	;; [unrolled: 1-line block ×3, first 2 shown]
	v_sub_nc_u32_e32 v5, v5, v11
	v_add3_u32 v0, v6, v0, v8
	v_mul_lo_u32 v11, v5, s50
	v_mul_lo_u32 v5, v5, s51
	v_add3_u32 v2, v9, v2, v3
	v_add3_u32 v0, v10, v0, v11
	;; [unrolled: 1-line block ×3, first 2 shown]
	s_cbranch_scc0 .LBB152_486
	s_branch .LBB152_544
.LBB152_487:
                                        ; implicit-def: $vgpr0
                                        ; implicit-def: $vgpr2
	s_branch .LBB152_548
.LBB152_488:
	v_mov_b32_e32 v0, 0
	v_mov_b32_e32 v2, 0
	s_branch .LBB152_547
.LBB152_489:
	v_mov_b32_e32 v0, 0
	v_mov_b32_e32 v2, 0
	;; [unrolled: 1-line block ×3, first 2 shown]
	s_mov_b32 s31, 0
.LBB152_490:
	s_and_b32 s33, s33, 3
	s_cmp_eq_u32 s33, 0
	s_cbranch_scc1 .LBB152_493
; %bb.491:
	s_lshl_b32 s0, s31, 3
	s_mul_i32 s20, s31, 12
	s_add_u32 s0, s2, s0
	s_addc_u32 s1, s3, 0
	s_add_u32 s0, s0, 0xc4
	s_addc_u32 s1, s1, 0
	s_add_u32 s20, s2, s20
	s_addc_u32 s21, s3, 0
	.p2align	6
.LBB152_492:                            ; =>This Inner Loop Header: Depth=1
	s_clause 0x1
	s_load_dwordx2 s[34:35], s[20:21], 0x4
	s_load_dword s31, s[20:21], 0xc
	s_load_dwordx2 s[36:37], s[0:1], 0x0
	s_add_u32 s20, s20, 12
	s_addc_u32 s21, s21, 0
	s_add_u32 s0, s0, 8
	s_addc_u32 s1, s1, 0
	s_add_i32 s33, s33, -1
	s_cmp_lg_u32 s33, 0
	s_waitcnt lgkmcnt(0)
	v_mul_hi_u32 v3, s35, v1
	v_add_nc_u32_e32 v3, v1, v3
	v_lshrrev_b32_e32 v4, s31, v3
	v_mul_lo_u32 v3, v4, s34
	v_sub_nc_u32_e32 v3, v1, v3
	v_mad_u64_u32 v[0:1], null, v3, s36, v[0:1]
	v_mad_u64_u32 v[2:3], null, v3, s37, v[2:3]
	v_mov_b32_e32 v1, v4
	s_cbranch_scc1 .LBB152_492
.LBB152_493:
	s_cbranch_execnz .LBB152_496
.LBB152_494:
	s_waitcnt lgkmcnt(0)
	v_mul_hi_u32 v0, s13, v7
	s_andn2_b32 vcc_lo, exec_lo, s26
	v_add_nc_u32_e32 v0, v7, v0
	v_lshrrev_b32_e32 v1, s14, v0
	v_mul_lo_u32 v0, v1, s12
	v_sub_nc_u32_e32 v2, v7, v0
	v_mul_lo_u32 v0, v2, s8
	v_mul_lo_u32 v2, v2, s9
	s_cbranch_vccnz .LBB152_496
; %bb.495:
	v_mul_hi_u32 v3, s16, v1
	v_add_nc_u32_e32 v3, v1, v3
	v_lshrrev_b32_e32 v3, s17, v3
	v_mul_lo_u32 v3, v3, s15
	v_sub_nc_u32_e32 v3, v1, v3
	v_mad_u64_u32 v[0:1], null, v3, s10, v[0:1]
	v_mad_u64_u32 v[2:3], null, v3, s11, v[2:3]
.LBB152_496:
	s_waitcnt lgkmcnt(0)
	global_load_ushort v1, v2, s[6:7]
	s_mov_b32 s1, exec_lo
                                        ; implicit-def: $vgpr4
	s_waitcnt vmcnt(0)
	v_cvt_f32_f16_e32 v2, v1
	v_and_b32_e32 v3, 0x7fffffff, v2
	v_cmpx_ngt_f32_e64 0x3c800000, |v2|
	s_xor_b32 s1, exec_lo, s1
	s_cbranch_execz .LBB152_526
; %bb.497:
	s_mov_b32 s20, exec_lo
                                        ; implicit-def: $vgpr4
	v_cmpx_nlt_f32_e64 |v2|, 2.0
	s_xor_b32 s20, exec_lo, s20
	s_cbranch_execz .LBB152_507
; %bb.498:
	v_cmp_ngt_f32_e64 s0, 0x41000000, |v2|
                                        ; implicit-def: $vgpr4
	s_and_saveexec_b32 s21, s0
	s_xor_b32 s0, exec_lo, s21
	s_cbranch_execz .LBB152_504
; %bb.499:
	v_cmp_ngt_f32_e64 s21, 0x5c800000, |v2|
                                        ; implicit-def: $vgpr4
	s_and_saveexec_b32 s31, s21
	s_xor_b32 s21, exec_lo, s31
	s_cbranch_execz .LBB152_501
; %bb.500:
	v_cmp_gt_f32_e64 s31, 0x800000, |v2|
	v_cndmask_b32_e64 v4, 0, 32, s31
	v_ldexp_f32 v4, |v2|, v4
	v_log_f32_e32 v4, v4
	v_mul_f32_e32 v5, 0x3f317217, v4
	v_cmp_gt_f32_e64 vcc_lo, 0x7f800000, |v4|
	v_fma_f32 v6, 0x3f317217, v4, -v5
	v_fmamk_f32 v6, v4, 0x3377d1cf, v6
	v_add_f32_e32 v5, v5, v6
	v_cndmask_b32_e32 v4, v4, v5, vcc_lo
	v_cndmask_b32_e64 v5, 0, 0x41b17218, s31
	v_sub_f32_e32 v4, v4, v5
	v_fma_f32 v4, |v2|, v4, -|v2|
.LBB152_501:
	s_andn2_saveexec_b32 s21, s21
	s_cbranch_execz .LBB152_503
; %bb.502:
	v_cmp_gt_f32_e64 s31, 0x800000, |v2|
	v_rcp_f32_e64 v5, |v2|
	s_mov_b32 s33, 0xbad5c4e8
	v_cndmask_b32_e64 v4, 0, 32, s31
	v_ldexp_f32 v4, |v2|, v4
	v_mul_f32_e32 v6, v5, v5
	v_log_f32_e32 v4, v4
	v_fmaak_f32 v9, s33, v6, 0x3a5b3dd2
	v_fmaak_f32 v9, v6, v9, 0xba1c065c
	v_mul_f32_e32 v8, 0x3f317217, v4
	v_fmaak_f32 v9, v6, v9, 0x3a500cfd
	v_cmp_gt_f32_e64 vcc_lo, 0x7f800000, |v4|
	v_fma_f32 v10, 0x3f317217, v4, -v8
	v_fmaak_f32 v9, v6, v9, 0xbb360b61
	v_fmamk_f32 v10, v4, 0x3377d1cf, v10
	v_fmaak_f32 v6, v6, v9, 0x3daaaaab
	v_add_f32_e32 v8, v8, v10
	v_cndmask_b32_e32 v4, v4, v8, vcc_lo
	v_cndmask_b32_e64 v8, 0, 0x41b17218, s31
	v_sub_f32_e32 v8, v4, v8
	v_fmaak_f32 v4, v5, v6, 0x3ed67f1d
	v_add_f32_e64 v5, |v2|, -0.5
	v_add_f32_e32 v6, -1.0, v8
	v_fmac_f32_e32 v4, v5, v6
.LBB152_503:
	s_or_b32 exec_lo, exec_lo, s21
.LBB152_504:
	s_andn2_saveexec_b32 s21, s0
	s_cbranch_execz .LBB152_506
; %bb.505:
	v_cvt_i32_f32_e32 v4, v3
	s_mov_b32 s0, 0x36f5d7bd
	s_mov_b32 s31, 0x3805ff67
	v_cvt_f32_i32_e32 v5, v4
	v_cmp_lt_i32_e32 vcc_lo, 2, v4
	v_sub_f32_e64 v5, |v2|, v5
	v_add_f32_e32 v6, 2.0, v5
	v_add_f32_e32 v8, 0x40400000, v5
	v_add_f32_e32 v9, 4.0, v5
	v_add_f32_e32 v10, 0x40a00000, v5
	v_cndmask_b32_e32 v6, 1.0, v6, vcc_lo
	v_cmp_lt_i32_e32 vcc_lo, 3, v4
	v_cndmask_b32_e32 v8, 1.0, v8, vcc_lo
	v_cmp_lt_i32_e32 vcc_lo, 4, v4
	v_mul_f32_e32 v6, v6, v8
	v_cndmask_b32_e32 v9, 1.0, v9, vcc_lo
	v_cmp_lt_i32_e32 vcc_lo, 5, v4
	v_add_f32_e32 v8, 0x40c00000, v5
	v_mul_f32_e32 v6, v9, v6
	v_cndmask_b32_e32 v10, 1.0, v10, vcc_lo
	v_cmp_lt_i32_e32 vcc_lo, 6, v4
	v_fmaak_f32 v9, s31, v5, 0x3af135b4
	v_mul_f32_e32 v6, v10, v6
	v_cndmask_b32_e32 v4, 1.0, v8, vcc_lo
	v_mul_f32_e32 v4, v4, v6
	v_fmaak_f32 v6, s0, v5, 0x3a4beed6
	v_cmp_gt_f32_e32 vcc_lo, 0x800000, v4
	v_fmaak_f32 v6, v5, v6, 0x3c98bf54
	v_cndmask_b32_e64 v8, 0, 32, vcc_lo
	v_fmaak_f32 v6, v5, v6, 0x3e300f6e
	v_ldexp_f32 v4, v4, v8
	v_fmaak_f32 v8, v5, v9, 0x3cda40e4
	v_fmaak_f32 v6, v5, v6, 0x3f38d0c5
	v_log_f32_e32 v4, v4
	v_fmaak_f32 v8, v5, v8, 0x3e15dce6
	v_fmaak_f32 v6, v5, v6, 0x3fb22d3b
	;; [unrolled: 1-line block ×3, first 2 shown]
	v_fma_f32 v6, v5, v6, 1.0
	v_mul_f32_e32 v9, 0x3f317217, v4
	v_fmaak_f32 v8, v5, v8, 0x3e5c245a
	v_rcp_f32_e32 v6, v6
	v_cmp_gt_f32_e64 s0, 0x7f800000, |v4|
	v_fma_f32 v10, 0x3f317217, v4, -v9
	v_fmaak_f32 v8, v5, v8, 0xbd9e233f
	v_fmamk_f32 v10, v4, 0x3377d1cf, v10
	v_mul_f32_e32 v8, v5, v8
	v_add_f32_e32 v9, v9, v10
	v_mul_f32_e32 v6, v8, v6
	v_cndmask_b32_e64 v8, 0, 0x41b17218, vcc_lo
	v_cndmask_b32_e64 v4, v4, v9, s0
	v_fmac_f32_e32 v6, 0.5, v5
	v_sub_f32_e32 v4, v4, v8
	v_add_f32_e32 v4, v4, v6
.LBB152_506:
	s_or_b32 exec_lo, exec_lo, s21
.LBB152_507:
	s_andn2_saveexec_b32 s20, s20
	s_cbranch_execz .LBB152_525
; %bb.508:
	s_mov_b32 s21, exec_lo
                                        ; implicit-def: $vgpr4
                                        ; implicit-def: $vgpr6
                                        ; implicit-def: $vgpr5
	v_cmpx_ge_f32_e64 0x3f666666, |v2|
	s_xor_b32 s21, exec_lo, s21
	s_cbranch_execz .LBB152_510
; %bb.509:
	v_cmp_gt_f32_e64 s0, 0x800000, |v2|
	v_sub_f32_e64 v8, 1.0, |v2|
	v_cmp_gt_f32_e64 vcc_lo, 0x3f3b4a23, |v2|
	v_cndmask_b32_e64 v4, 0, 32, s0
	v_cndmask_b32_e64 v9, 0, 0x41b17218, s0
	v_ldexp_f32 v4, |v2|, v4
	v_log_f32_e32 v4, v4
	v_mul_f32_e32 v5, 0x3f317217, v4
	v_cmp_gt_f32_e64 s0, 0x7f800000, |v4|
	v_fma_f32 v6, 0x3f317217, v4, -v5
	v_fmamk_f32 v6, v4, 0x3377d1cf, v6
	v_add_f32_e32 v5, v5, v6
	v_add_f32_e64 v6, 0xbeec5b0c, |v2|
	v_cndmask_b32_e64 v4, v4, v5, s0
	v_cndmask_b32_e32 v5, v8, v6, vcc_lo
	v_cndmask_b32_e64 v6, 0, 1, vcc_lo
	v_cmp_gt_f32_e64 s0, 0x3e6d3309, |v2|
	v_sub_f32_e32 v4, v4, v9
	v_cndmask_b32_e64 v5, v5, |v2|, s0
	v_cndmask_b32_e64 v6, v6, 2, s0
	v_xor_b32_e32 v4, 0x80000000, v4
.LBB152_510:
	s_andn2_saveexec_b32 s0, s21
	s_cbranch_execz .LBB152_512
; %bb.511:
	v_sub_f32_e64 v4, 2.0, |v2|
	v_add_f32_e64 v5, 0xbfbb16c3, |v2|
	v_cmp_gt_f32_e64 vcc_lo, 0x3fdda512, |v2|
	v_add_f32_e64 v6, |v2|, -1.0
	v_cndmask_b32_e32 v5, v4, v5, vcc_lo
	v_cndmask_b32_e64 v4, v4, 1.0, vcc_lo
	v_cmp_gt_f32_e64 vcc_lo, 0x3f9d70a4, |v2|
	v_cvt_i32_f32_e32 v4, v4
	v_cndmask_b32_e32 v5, v5, v6, vcc_lo
	v_cndmask_b32_e64 v6, v4, 2, vcc_lo
	v_mov_b32_e32 v4, 0
.LBB152_512:
	s_or_b32 exec_lo, exec_lo, s0
	s_mov_b32 s0, exec_lo
	v_cmpx_lt_i32_e32 0, v6
	s_xor_b32 s0, exec_lo, s0
	s_cbranch_execz .LBB152_520
; %bb.513:
	s_mov_b32 s21, exec_lo
	v_cmpx_lt_i32_e32 1, v6
	s_xor_b32 s21, exec_lo, s21
	s_cbranch_execz .LBB152_517
; %bb.514:
	s_mov_b32 s31, exec_lo
	v_cmpx_eq_u32_e32 2, v6
	s_cbranch_execz .LBB152_516
; %bb.515:
	s_mov_b32 s33, 0x3b52d5db
	v_fmaak_f32 v6, s33, v5, 0x3dd572af
	s_mov_b32 s33, 0x3c5b3c5e
	v_fmaak_f32 v8, s33, v5, 0x3e6a7578
	v_fmaak_f32 v6, v5, v6, 0x3f44efdf
	;; [unrolled: 1-line block ×7, first 2 shown]
	v_fma_f32 v6, v5, v6, 1.0
	v_fmaak_f32 v8, v5, v8, 0xbd9e233f
	v_rcp_f32_e32 v6, v6
	v_mul_f32_e32 v8, v5, v8
	v_mul_f32_e32 v6, v8, v6
	v_fmac_f32_e32 v6, -0.5, v5
	v_add_f32_e32 v4, v4, v6
.LBB152_516:
	s_or_b32 exec_lo, exec_lo, s31
                                        ; implicit-def: $vgpr5
.LBB152_517:
	s_andn2_saveexec_b32 s21, s21
	s_cbranch_execz .LBB152_519
; %bb.518:
	v_mul_f32_e32 v6, v5, v5
	s_mov_b32 s31, 0xb9a3f927
	s_mov_b32 s33, 0x39afe9f7
	v_mul_f32_e32 v8, v5, v6
	v_fmaak_f32 v9, s31, v8, 0x3a66f867
	v_fmaak_f32 v10, s33, v8, 0xba0d3085
	s_mov_b32 s31, 0x39a57b6b
	v_fmaak_f32 v11, s31, v8, 0xbab7f476
	v_fmaak_f32 v9, v8, v9, 0xbb7177fe
	;; [unrolled: 1-line block ×9, first 2 shown]
	v_fmac_f32_e32 v9, v5, v10
	v_fmaak_f32 v5, v8, v11, 0x3ef7b95e
	v_fma_f32 v8, v8, -v9, 0xa2863e55
	v_fma_f32 v5, v6, v5, -v8
	v_add_f32_e32 v5, 0xbdf8cdce, v5
	v_add_f32_e32 v4, v4, v5
.LBB152_519:
	s_or_b32 exec_lo, exec_lo, s21
                                        ; implicit-def: $vgpr6
                                        ; implicit-def: $vgpr5
.LBB152_520:
	s_andn2_saveexec_b32 s0, s0
	s_cbranch_execz .LBB152_524
; %bb.521:
	s_mov_b32 s21, exec_lo
	v_cmpx_eq_u32_e32 0, v6
	s_cbranch_execz .LBB152_523
; %bb.522:
	v_mul_f32_e32 v6, v5, v5
	s_mov_b32 s31, 0x383c2c75
	v_fmaak_f32 v8, s31, v6, 0x38e28445
	s_mov_b32 s31, 0x37d383a2
	v_fmaak_f32 v9, s31, v6, 0x39679767
	v_fmaak_f32 v8, v6, v8, 0x3a05b634
	;; [unrolled: 1-line block ×9, first 2 shown]
	v_mul_f32_e32 v6, v6, v8
	v_fmac_f32_e32 v6, v5, v9
	v_fmac_f32_e32 v6, -0.5, v5
	v_add_f32_e32 v4, v4, v6
.LBB152_523:
	s_or_b32 exec_lo, exec_lo, s21
.LBB152_524:
	s_or_b32 exec_lo, exec_lo, s0
.LBB152_525:
	s_or_b32 exec_lo, exec_lo, s20
.LBB152_526:
	s_andn2_saveexec_b32 s0, s1
	s_cbranch_execz .LBB152_528
; %bb.527:
	v_cmp_gt_f32_e64 s1, 0x800000, |v2|
	s_mov_b32 s20, 0x3e8a8991
	v_fma_f32 v8, |v2|, s20, 0xbecd26ab
	v_cndmask_b32_e64 v4, 0, 32, s1
	v_ldexp_f32 v4, |v2|, v4
	v_log_f32_e32 v4, v4
	v_mul_f32_e32 v5, 0x3f317217, v4
	v_cmp_gt_f32_e64 vcc_lo, 0x7f800000, |v4|
	v_fma_f32 v6, 0x3f317217, v4, -v5
	v_fmamk_f32 v6, v4, 0x3377d1cf, v6
	v_add_f32_e32 v5, v5, v6
	v_fma_f32 v6, |v2|, v8, 0x3f528d33
	v_cndmask_b32_e32 v4, v4, v5, vcc_lo
	v_cndmask_b32_e64 v5, 0, 0x41b17218, s1
	v_fma_f32 v6, |v2|, v6, 0xbf13c468
	v_sub_f32_e32 v4, v4, v5
	v_fma_f32 v4, |v2|, v6, -v4
.LBB152_528:
	s_or_b32 exec_lo, exec_lo, s0
	v_cmp_le_f16_e32 vcc_lo, 0, v1
	s_mov_b32 s1, exec_lo
	v_cmpx_nle_f16_e32 0, v1
	s_xor_b32 s20, exec_lo, s1
	s_cbranch_execz .LBB152_532
; %bb.529:
	v_cmp_gt_f32_e64 s0, 0x4b000000, |v2|
	v_cmp_lt_f32_e64 s1, 0x35000000, |v2|
	s_and_b32 s0, s0, s1
	s_and_saveexec_b32 s21, s0
	s_cbranch_execz .LBB152_531
; %bb.530:
	v_mul_f32_e64 v5, |v2|, 0.5
	s_mov_b32 s1, 0x3d4be544
	v_xor_b32_e32 v3, v3, v2
	v_floor_f32_e32 v6, v5
	v_cmp_neq_f32_e64 s0, 0x7f800000, v5
	v_sub_f32_e32 v6, v5, v6
	v_min_f32_e32 v6, 0x3f7fffff, v6
	v_add_f32_e32 v6, v6, v6
	v_cndmask_b32_e64 v5, 0, v6, s0
	v_cmp_gt_f32_e64 s0, |v2|, 1.0
	v_cndmask_b32_e64 v5, |v2|, v5, s0
	s_mov_b32 s0, 0x3e75aa41
	v_add_f32_e32 v6, v5, v5
	v_rndne_f32_e32 v6, v6
	v_fmac_f32_e32 v5, -0.5, v6
	v_cvt_i32_f32_e32 v6, v6
	v_mul_f32_e32 v8, v5, v5
	v_fmaak_f32 v9, s0, v8, 0xbf1f24be
	v_fmaak_f32 v10, s1, v8, 0x3e642e9d
	v_mul_f32_e32 v11, v5, v8
	v_fmaak_f32 v9, v8, v9, 0x40234736
	v_fmaak_f32 v10, v8, v10, 0xbfaad1da
	;; [unrolled: 1-line block ×4, first 2 shown]
	v_mul_f32_e32 v9, v11, v9
	v_fmaak_f32 v10, v8, v10, 0xc09de9e6
	v_and_b32_e32 v11, 1, v6
	v_lshlrev_b32_e32 v6, 30, v6
	v_fmamk_f32 v5, v5, 0x40490fdb, v9
	v_fma_f32 v8, v8, v10, 1.0
	v_cmp_eq_u32_e64 s0, 0, v11
	v_and_b32_e32 v6, 0x80000000, v6
	v_cndmask_b32_e64 v5, v8, v5, s0
	v_xor3_b32 v3, v3, v6, v5
	v_mul_f32_e32 v3, v2, v3
	v_frexp_mant_f32_e64 v5, |v3|
	v_frexp_exp_i32_f32_e32 v3, v3
	v_rcp_f32_e32 v5, v5
	v_sub_nc_u32_e32 v3, 2, v3
	v_mul_f32_e32 v5, 0x3f490fdb, v5
	v_ldexp_f32 v3, v5, v3
	v_cmp_gt_f32_e64 s0, 0x800000, v3
	v_cndmask_b32_e64 v5, 0, 32, s0
	v_ldexp_f32 v3, v3, v5
	v_log_f32_e32 v3, v3
	v_mul_f32_e32 v5, 0x3f317217, v3
	v_cmp_gt_f32_e64 s1, 0x7f800000, |v3|
	v_fma_f32 v6, 0x3f317217, v3, -v5
	v_fmamk_f32 v6, v3, 0x3377d1cf, v6
	v_add_f32_e32 v5, v5, v6
	v_floor_f32_e32 v6, v2
	v_cndmask_b32_e64 v3, v3, v5, s1
	v_cndmask_b32_e64 v5, 0, 0x41b17218, s0
	v_sub_f32_e32 v6, v2, v6
	v_sub_f32_e32 v3, v3, v5
	v_min_f32_e32 v5, 0x3f7fffff, v6
	v_sub_f32_e32 v3, v3, v4
	v_cmp_neq_f32_e64 s0, 0, v5
	v_cndmask_b32_e64 v4, 0x7f800000, v3, s0
.LBB152_531:
	s_or_b32 exec_lo, exec_lo, s21
.LBB152_532:
	s_andn2_saveexec_b32 s20, s20
; %bb.533:
	v_cmp_eq_f16_e64 s0, 1.0, v1
	v_cmp_eq_f16_e64 s1, 2.0, v1
	s_or_b32 s0, s0, s1
	v_cndmask_b32_e64 v4, v4, 0, s0
; %bb.534:
	s_or_b32 exec_lo, exec_lo, s20
	v_cmp_gt_f32_e64 s0, 0x4b000000, |v2|
	v_cvt_f16_f32_e32 v3, v4
	v_add_nc_u32_e32 v7, 0x80, v7
	s_or_b32 vcc_lo, vcc_lo, s0
	v_cmp_class_f32_e64 s0, v2, 0x264
	v_cndmask_b32_e32 v3, 0x7c00, v3, vcc_lo
	v_cmp_u_f16_e32 vcc_lo, v1, v1
	v_cndmask_b32_e64 v2, v3, 0x7c00, s0
	v_cndmask_b32_e32 v1, v2, v1, vcc_lo
	global_store_short v0, v1, s[4:5]
	s_or_b32 exec_lo, exec_lo, s30
	s_mov_b32 s30, exec_lo
	v_cmpx_gt_i32_e64 s27, v7
	s_cbranch_execnz .LBB152_482
.LBB152_535:
	s_or_b32 exec_lo, exec_lo, s30
	s_mov_b32 s30, exec_lo
	v_cmpx_gt_i32_e64 s27, v7
	s_cbranch_execz .LBB152_589
.LBB152_536:
	s_andn2_b32 vcc_lo, exec_lo, s24
	s_cbranch_vccnz .LBB152_541
; %bb.537:
	s_andn2_b32 vcc_lo, exec_lo, s29
	s_cbranch_vccnz .LBB152_542
; %bb.538:
	s_add_i32 s33, s28, 1
	s_cmp_eq_u32 s23, 2
	s_cbranch_scc1 .LBB152_597
; %bb.539:
	v_mov_b32_e32 v2, 0
	v_mov_b32_e32 v0, 0
	;; [unrolled: 1-line block ×3, first 2 shown]
	s_and_b32 s31, s33, 28
	s_mov_b32 s34, 0
	s_mov_b64 s[0:1], s[2:3]
	s_mov_b64 s[20:21], s[18:19]
.LBB152_540:                            ; =>This Inner Loop Header: Depth=1
	s_clause 0x1
	s_load_dwordx8 s[36:43], s[0:1], 0x4
	s_load_dwordx4 s[52:55], s[0:1], 0x24
	s_load_dwordx8 s[44:51], s[20:21], 0x0
	s_add_u32 s0, s0, 48
	s_addc_u32 s1, s1, 0
	s_add_i32 s34, s34, 4
	s_add_u32 s20, s20, 32
	s_addc_u32 s21, s21, 0
	s_cmp_eq_u32 s31, s34
	s_waitcnt lgkmcnt(0)
	v_mul_hi_u32 v3, s37, v1
	v_add_nc_u32_e32 v3, v1, v3
	v_lshrrev_b32_e32 v3, s38, v3
	v_mul_hi_u32 v4, s40, v3
	v_mul_lo_u32 v6, v3, s36
	v_add_nc_u32_e32 v4, v3, v4
	v_sub_nc_u32_e32 v1, v1, v6
	v_lshrrev_b32_e32 v4, s41, v4
	v_mul_lo_u32 v6, v1, s44
	v_mul_lo_u32 v9, v1, s45
	v_mul_hi_u32 v5, s43, v4
	v_add_nc_u32_e32 v5, v4, v5
	v_lshrrev_b32_e32 v5, s52, v5
	v_mul_hi_u32 v8, s54, v5
	v_mul_lo_u32 v10, v5, s42
	v_add_nc_u32_e32 v1, v5, v8
	v_mul_lo_u32 v8, v4, s39
	v_sub_nc_u32_e32 v4, v4, v10
	v_lshrrev_b32_e32 v1, s55, v1
	v_mul_lo_u32 v10, v4, s48
	v_mul_lo_u32 v4, v4, s49
	v_sub_nc_u32_e32 v3, v3, v8
	v_mul_lo_u32 v11, v1, s53
	v_mul_lo_u32 v8, v3, s46
	;; [unrolled: 1-line block ×3, first 2 shown]
	v_sub_nc_u32_e32 v5, v5, v11
	v_add3_u32 v0, v6, v0, v8
	v_mul_lo_u32 v11, v5, s50
	v_mul_lo_u32 v5, v5, s51
	v_add3_u32 v2, v9, v2, v3
	v_add3_u32 v0, v10, v0, v11
	;; [unrolled: 1-line block ×3, first 2 shown]
	s_cbranch_scc0 .LBB152_540
	s_branch .LBB152_598
.LBB152_541:
                                        ; implicit-def: $vgpr0
                                        ; implicit-def: $vgpr2
	s_branch .LBB152_602
.LBB152_542:
	v_mov_b32_e32 v0, 0
	v_mov_b32_e32 v2, 0
	s_branch .LBB152_601
.LBB152_543:
	v_mov_b32_e32 v0, 0
	v_mov_b32_e32 v2, 0
	v_mov_b32_e32 v1, v7
	s_mov_b32 s31, 0
.LBB152_544:
	s_and_b32 s33, s33, 3
	s_cmp_eq_u32 s33, 0
	s_cbranch_scc1 .LBB152_547
; %bb.545:
	s_lshl_b32 s0, s31, 3
	s_mul_i32 s20, s31, 12
	s_add_u32 s0, s2, s0
	s_addc_u32 s1, s3, 0
	s_add_u32 s0, s0, 0xc4
	s_addc_u32 s1, s1, 0
	;; [unrolled: 2-line block ×3, first 2 shown]
	.p2align	6
.LBB152_546:                            ; =>This Inner Loop Header: Depth=1
	s_clause 0x1
	s_load_dwordx2 s[34:35], s[20:21], 0x4
	s_load_dword s31, s[20:21], 0xc
	s_load_dwordx2 s[36:37], s[0:1], 0x0
	s_add_u32 s20, s20, 12
	s_addc_u32 s21, s21, 0
	s_add_u32 s0, s0, 8
	s_addc_u32 s1, s1, 0
	s_add_i32 s33, s33, -1
	s_cmp_lg_u32 s33, 0
	s_waitcnt lgkmcnt(0)
	v_mul_hi_u32 v3, s35, v1
	v_add_nc_u32_e32 v3, v1, v3
	v_lshrrev_b32_e32 v4, s31, v3
	v_mul_lo_u32 v3, v4, s34
	v_sub_nc_u32_e32 v3, v1, v3
	v_mad_u64_u32 v[0:1], null, v3, s36, v[0:1]
	v_mad_u64_u32 v[2:3], null, v3, s37, v[2:3]
	v_mov_b32_e32 v1, v4
	s_cbranch_scc1 .LBB152_546
.LBB152_547:
	s_cbranch_execnz .LBB152_550
.LBB152_548:
	s_waitcnt lgkmcnt(0)
	v_mul_hi_u32 v0, s13, v7
	s_andn2_b32 vcc_lo, exec_lo, s26
	v_add_nc_u32_e32 v0, v7, v0
	v_lshrrev_b32_e32 v1, s14, v0
	v_mul_lo_u32 v0, v1, s12
	v_sub_nc_u32_e32 v2, v7, v0
	v_mul_lo_u32 v0, v2, s8
	v_mul_lo_u32 v2, v2, s9
	s_cbranch_vccnz .LBB152_550
; %bb.549:
	v_mul_hi_u32 v3, s16, v1
	v_add_nc_u32_e32 v3, v1, v3
	v_lshrrev_b32_e32 v3, s17, v3
	v_mul_lo_u32 v3, v3, s15
	v_sub_nc_u32_e32 v3, v1, v3
	v_mad_u64_u32 v[0:1], null, v3, s10, v[0:1]
	v_mad_u64_u32 v[2:3], null, v3, s11, v[2:3]
.LBB152_550:
	s_waitcnt lgkmcnt(0)
	global_load_ushort v1, v2, s[6:7]
	s_mov_b32 s1, exec_lo
                                        ; implicit-def: $vgpr4
	s_waitcnt vmcnt(0)
	v_cvt_f32_f16_e32 v2, v1
	v_and_b32_e32 v3, 0x7fffffff, v2
	v_cmpx_ngt_f32_e64 0x3c800000, |v2|
	s_xor_b32 s1, exec_lo, s1
	s_cbranch_execz .LBB152_580
; %bb.551:
	s_mov_b32 s20, exec_lo
                                        ; implicit-def: $vgpr4
	v_cmpx_nlt_f32_e64 |v2|, 2.0
	s_xor_b32 s20, exec_lo, s20
	s_cbranch_execz .LBB152_561
; %bb.552:
	v_cmp_ngt_f32_e64 s0, 0x41000000, |v2|
                                        ; implicit-def: $vgpr4
	s_and_saveexec_b32 s21, s0
	s_xor_b32 s0, exec_lo, s21
	s_cbranch_execz .LBB152_558
; %bb.553:
	v_cmp_ngt_f32_e64 s21, 0x5c800000, |v2|
                                        ; implicit-def: $vgpr4
	s_and_saveexec_b32 s31, s21
	s_xor_b32 s21, exec_lo, s31
	s_cbranch_execz .LBB152_555
; %bb.554:
	v_cmp_gt_f32_e64 s31, 0x800000, |v2|
	v_cndmask_b32_e64 v4, 0, 32, s31
	v_ldexp_f32 v4, |v2|, v4
	v_log_f32_e32 v4, v4
	v_mul_f32_e32 v5, 0x3f317217, v4
	v_cmp_gt_f32_e64 vcc_lo, 0x7f800000, |v4|
	v_fma_f32 v6, 0x3f317217, v4, -v5
	v_fmamk_f32 v6, v4, 0x3377d1cf, v6
	v_add_f32_e32 v5, v5, v6
	v_cndmask_b32_e32 v4, v4, v5, vcc_lo
	v_cndmask_b32_e64 v5, 0, 0x41b17218, s31
	v_sub_f32_e32 v4, v4, v5
	v_fma_f32 v4, |v2|, v4, -|v2|
.LBB152_555:
	s_andn2_saveexec_b32 s21, s21
	s_cbranch_execz .LBB152_557
; %bb.556:
	v_cmp_gt_f32_e64 s31, 0x800000, |v2|
	v_rcp_f32_e64 v5, |v2|
	s_mov_b32 s33, 0xbad5c4e8
	v_cndmask_b32_e64 v4, 0, 32, s31
	v_ldexp_f32 v4, |v2|, v4
	v_mul_f32_e32 v6, v5, v5
	v_log_f32_e32 v4, v4
	v_fmaak_f32 v9, s33, v6, 0x3a5b3dd2
	v_fmaak_f32 v9, v6, v9, 0xba1c065c
	v_mul_f32_e32 v8, 0x3f317217, v4
	v_fmaak_f32 v9, v6, v9, 0x3a500cfd
	v_cmp_gt_f32_e64 vcc_lo, 0x7f800000, |v4|
	v_fma_f32 v10, 0x3f317217, v4, -v8
	v_fmaak_f32 v9, v6, v9, 0xbb360b61
	v_fmamk_f32 v10, v4, 0x3377d1cf, v10
	v_fmaak_f32 v6, v6, v9, 0x3daaaaab
	v_add_f32_e32 v8, v8, v10
	v_cndmask_b32_e32 v4, v4, v8, vcc_lo
	v_cndmask_b32_e64 v8, 0, 0x41b17218, s31
	v_sub_f32_e32 v8, v4, v8
	v_fmaak_f32 v4, v5, v6, 0x3ed67f1d
	v_add_f32_e64 v5, |v2|, -0.5
	v_add_f32_e32 v6, -1.0, v8
	v_fmac_f32_e32 v4, v5, v6
.LBB152_557:
	s_or_b32 exec_lo, exec_lo, s21
.LBB152_558:
	s_andn2_saveexec_b32 s21, s0
	s_cbranch_execz .LBB152_560
; %bb.559:
	v_cvt_i32_f32_e32 v4, v3
	s_mov_b32 s0, 0x36f5d7bd
	s_mov_b32 s31, 0x3805ff67
	v_cvt_f32_i32_e32 v5, v4
	v_cmp_lt_i32_e32 vcc_lo, 2, v4
	v_sub_f32_e64 v5, |v2|, v5
	v_add_f32_e32 v6, 2.0, v5
	v_add_f32_e32 v8, 0x40400000, v5
	v_add_f32_e32 v9, 4.0, v5
	v_add_f32_e32 v10, 0x40a00000, v5
	v_cndmask_b32_e32 v6, 1.0, v6, vcc_lo
	v_cmp_lt_i32_e32 vcc_lo, 3, v4
	v_cndmask_b32_e32 v8, 1.0, v8, vcc_lo
	v_cmp_lt_i32_e32 vcc_lo, 4, v4
	v_mul_f32_e32 v6, v6, v8
	v_cndmask_b32_e32 v9, 1.0, v9, vcc_lo
	v_cmp_lt_i32_e32 vcc_lo, 5, v4
	v_add_f32_e32 v8, 0x40c00000, v5
	v_mul_f32_e32 v6, v9, v6
	v_cndmask_b32_e32 v10, 1.0, v10, vcc_lo
	v_cmp_lt_i32_e32 vcc_lo, 6, v4
	v_fmaak_f32 v9, s31, v5, 0x3af135b4
	v_mul_f32_e32 v6, v10, v6
	v_cndmask_b32_e32 v4, 1.0, v8, vcc_lo
	v_mul_f32_e32 v4, v4, v6
	v_fmaak_f32 v6, s0, v5, 0x3a4beed6
	v_cmp_gt_f32_e32 vcc_lo, 0x800000, v4
	v_fmaak_f32 v6, v5, v6, 0x3c98bf54
	v_cndmask_b32_e64 v8, 0, 32, vcc_lo
	v_fmaak_f32 v6, v5, v6, 0x3e300f6e
	v_ldexp_f32 v4, v4, v8
	v_fmaak_f32 v8, v5, v9, 0x3cda40e4
	v_fmaak_f32 v6, v5, v6, 0x3f38d0c5
	v_log_f32_e32 v4, v4
	v_fmaak_f32 v8, v5, v8, 0x3e15dce6
	v_fmaak_f32 v6, v5, v6, 0x3fb22d3b
	;; [unrolled: 1-line block ×3, first 2 shown]
	v_fma_f32 v6, v5, v6, 1.0
	v_mul_f32_e32 v9, 0x3f317217, v4
	v_fmaak_f32 v8, v5, v8, 0x3e5c245a
	v_rcp_f32_e32 v6, v6
	v_cmp_gt_f32_e64 s0, 0x7f800000, |v4|
	v_fma_f32 v10, 0x3f317217, v4, -v9
	v_fmaak_f32 v8, v5, v8, 0xbd9e233f
	v_fmamk_f32 v10, v4, 0x3377d1cf, v10
	v_mul_f32_e32 v8, v5, v8
	v_add_f32_e32 v9, v9, v10
	v_mul_f32_e32 v6, v8, v6
	v_cndmask_b32_e64 v8, 0, 0x41b17218, vcc_lo
	v_cndmask_b32_e64 v4, v4, v9, s0
	v_fmac_f32_e32 v6, 0.5, v5
	v_sub_f32_e32 v4, v4, v8
	v_add_f32_e32 v4, v4, v6
.LBB152_560:
	s_or_b32 exec_lo, exec_lo, s21
.LBB152_561:
	s_andn2_saveexec_b32 s20, s20
	s_cbranch_execz .LBB152_579
; %bb.562:
	s_mov_b32 s21, exec_lo
                                        ; implicit-def: $vgpr4
                                        ; implicit-def: $vgpr6
                                        ; implicit-def: $vgpr5
	v_cmpx_ge_f32_e64 0x3f666666, |v2|
	s_xor_b32 s21, exec_lo, s21
	s_cbranch_execz .LBB152_564
; %bb.563:
	v_cmp_gt_f32_e64 s0, 0x800000, |v2|
	v_sub_f32_e64 v8, 1.0, |v2|
	v_cmp_gt_f32_e64 vcc_lo, 0x3f3b4a23, |v2|
	v_cndmask_b32_e64 v4, 0, 32, s0
	v_cndmask_b32_e64 v9, 0, 0x41b17218, s0
	v_ldexp_f32 v4, |v2|, v4
	v_log_f32_e32 v4, v4
	v_mul_f32_e32 v5, 0x3f317217, v4
	v_cmp_gt_f32_e64 s0, 0x7f800000, |v4|
	v_fma_f32 v6, 0x3f317217, v4, -v5
	v_fmamk_f32 v6, v4, 0x3377d1cf, v6
	v_add_f32_e32 v5, v5, v6
	v_add_f32_e64 v6, 0xbeec5b0c, |v2|
	v_cndmask_b32_e64 v4, v4, v5, s0
	v_cndmask_b32_e32 v5, v8, v6, vcc_lo
	v_cndmask_b32_e64 v6, 0, 1, vcc_lo
	v_cmp_gt_f32_e64 s0, 0x3e6d3309, |v2|
	v_sub_f32_e32 v4, v4, v9
	v_cndmask_b32_e64 v5, v5, |v2|, s0
	v_cndmask_b32_e64 v6, v6, 2, s0
	v_xor_b32_e32 v4, 0x80000000, v4
.LBB152_564:
	s_andn2_saveexec_b32 s0, s21
	s_cbranch_execz .LBB152_566
; %bb.565:
	v_sub_f32_e64 v4, 2.0, |v2|
	v_add_f32_e64 v5, 0xbfbb16c3, |v2|
	v_cmp_gt_f32_e64 vcc_lo, 0x3fdda512, |v2|
	v_add_f32_e64 v6, |v2|, -1.0
	v_cndmask_b32_e32 v5, v4, v5, vcc_lo
	v_cndmask_b32_e64 v4, v4, 1.0, vcc_lo
	v_cmp_gt_f32_e64 vcc_lo, 0x3f9d70a4, |v2|
	v_cvt_i32_f32_e32 v4, v4
	v_cndmask_b32_e32 v5, v5, v6, vcc_lo
	v_cndmask_b32_e64 v6, v4, 2, vcc_lo
	v_mov_b32_e32 v4, 0
.LBB152_566:
	s_or_b32 exec_lo, exec_lo, s0
	s_mov_b32 s0, exec_lo
	v_cmpx_lt_i32_e32 0, v6
	s_xor_b32 s0, exec_lo, s0
	s_cbranch_execz .LBB152_574
; %bb.567:
	s_mov_b32 s21, exec_lo
	v_cmpx_lt_i32_e32 1, v6
	s_xor_b32 s21, exec_lo, s21
	s_cbranch_execz .LBB152_571
; %bb.568:
	s_mov_b32 s31, exec_lo
	v_cmpx_eq_u32_e32 2, v6
	s_cbranch_execz .LBB152_570
; %bb.569:
	s_mov_b32 s33, 0x3b52d5db
	v_fmaak_f32 v6, s33, v5, 0x3dd572af
	s_mov_b32 s33, 0x3c5b3c5e
	v_fmaak_f32 v8, s33, v5, 0x3e6a7578
	v_fmaak_f32 v6, v5, v6, 0x3f44efdf
	;; [unrolled: 1-line block ×7, first 2 shown]
	v_fma_f32 v6, v5, v6, 1.0
	v_fmaak_f32 v8, v5, v8, 0xbd9e233f
	v_rcp_f32_e32 v6, v6
	v_mul_f32_e32 v8, v5, v8
	v_mul_f32_e32 v6, v8, v6
	v_fmac_f32_e32 v6, -0.5, v5
	v_add_f32_e32 v4, v4, v6
.LBB152_570:
	s_or_b32 exec_lo, exec_lo, s31
                                        ; implicit-def: $vgpr5
.LBB152_571:
	s_andn2_saveexec_b32 s21, s21
	s_cbranch_execz .LBB152_573
; %bb.572:
	v_mul_f32_e32 v6, v5, v5
	s_mov_b32 s31, 0xb9a3f927
	s_mov_b32 s33, 0x39afe9f7
	v_mul_f32_e32 v8, v5, v6
	v_fmaak_f32 v9, s31, v8, 0x3a66f867
	v_fmaak_f32 v10, s33, v8, 0xba0d3085
	s_mov_b32 s31, 0x39a57b6b
	v_fmaak_f32 v11, s31, v8, 0xbab7f476
	v_fmaak_f32 v9, v8, v9, 0xbb7177fe
	;; [unrolled: 1-line block ×9, first 2 shown]
	v_fmac_f32_e32 v9, v5, v10
	v_fmaak_f32 v5, v8, v11, 0x3ef7b95e
	v_fma_f32 v8, v8, -v9, 0xa2863e55
	v_fma_f32 v5, v6, v5, -v8
	v_add_f32_e32 v5, 0xbdf8cdce, v5
	v_add_f32_e32 v4, v4, v5
.LBB152_573:
	s_or_b32 exec_lo, exec_lo, s21
                                        ; implicit-def: $vgpr6
                                        ; implicit-def: $vgpr5
.LBB152_574:
	s_andn2_saveexec_b32 s0, s0
	s_cbranch_execz .LBB152_578
; %bb.575:
	s_mov_b32 s21, exec_lo
	v_cmpx_eq_u32_e32 0, v6
	s_cbranch_execz .LBB152_577
; %bb.576:
	v_mul_f32_e32 v6, v5, v5
	s_mov_b32 s31, 0x383c2c75
	v_fmaak_f32 v8, s31, v6, 0x38e28445
	s_mov_b32 s31, 0x37d383a2
	v_fmaak_f32 v9, s31, v6, 0x39679767
	v_fmaak_f32 v8, v6, v8, 0x3a05b634
	;; [unrolled: 1-line block ×9, first 2 shown]
	v_mul_f32_e32 v6, v6, v8
	v_fmac_f32_e32 v6, v5, v9
	v_fmac_f32_e32 v6, -0.5, v5
	v_add_f32_e32 v4, v4, v6
.LBB152_577:
	s_or_b32 exec_lo, exec_lo, s21
.LBB152_578:
	s_or_b32 exec_lo, exec_lo, s0
.LBB152_579:
	s_or_b32 exec_lo, exec_lo, s20
.LBB152_580:
	s_andn2_saveexec_b32 s0, s1
	s_cbranch_execz .LBB152_582
; %bb.581:
	v_cmp_gt_f32_e64 s1, 0x800000, |v2|
	s_mov_b32 s20, 0x3e8a8991
	v_fma_f32 v8, |v2|, s20, 0xbecd26ab
	v_cndmask_b32_e64 v4, 0, 32, s1
	v_ldexp_f32 v4, |v2|, v4
	v_log_f32_e32 v4, v4
	v_mul_f32_e32 v5, 0x3f317217, v4
	v_cmp_gt_f32_e64 vcc_lo, 0x7f800000, |v4|
	v_fma_f32 v6, 0x3f317217, v4, -v5
	v_fmamk_f32 v6, v4, 0x3377d1cf, v6
	v_add_f32_e32 v5, v5, v6
	v_fma_f32 v6, |v2|, v8, 0x3f528d33
	v_cndmask_b32_e32 v4, v4, v5, vcc_lo
	v_cndmask_b32_e64 v5, 0, 0x41b17218, s1
	v_fma_f32 v6, |v2|, v6, 0xbf13c468
	v_sub_f32_e32 v4, v4, v5
	v_fma_f32 v4, |v2|, v6, -v4
.LBB152_582:
	s_or_b32 exec_lo, exec_lo, s0
	v_cmp_le_f16_e32 vcc_lo, 0, v1
	s_mov_b32 s1, exec_lo
	v_cmpx_nle_f16_e32 0, v1
	s_xor_b32 s20, exec_lo, s1
	s_cbranch_execz .LBB152_586
; %bb.583:
	v_cmp_gt_f32_e64 s0, 0x4b000000, |v2|
	v_cmp_lt_f32_e64 s1, 0x35000000, |v2|
	s_and_b32 s0, s0, s1
	s_and_saveexec_b32 s21, s0
	s_cbranch_execz .LBB152_585
; %bb.584:
	v_mul_f32_e64 v5, |v2|, 0.5
	s_mov_b32 s1, 0x3d4be544
	v_xor_b32_e32 v3, v3, v2
	v_floor_f32_e32 v6, v5
	v_cmp_neq_f32_e64 s0, 0x7f800000, v5
	v_sub_f32_e32 v6, v5, v6
	v_min_f32_e32 v6, 0x3f7fffff, v6
	v_add_f32_e32 v6, v6, v6
	v_cndmask_b32_e64 v5, 0, v6, s0
	v_cmp_gt_f32_e64 s0, |v2|, 1.0
	v_cndmask_b32_e64 v5, |v2|, v5, s0
	s_mov_b32 s0, 0x3e75aa41
	v_add_f32_e32 v6, v5, v5
	v_rndne_f32_e32 v6, v6
	v_fmac_f32_e32 v5, -0.5, v6
	v_cvt_i32_f32_e32 v6, v6
	v_mul_f32_e32 v8, v5, v5
	v_fmaak_f32 v9, s0, v8, 0xbf1f24be
	v_fmaak_f32 v10, s1, v8, 0x3e642e9d
	v_mul_f32_e32 v11, v5, v8
	v_fmaak_f32 v9, v8, v9, 0x40234736
	v_fmaak_f32 v10, v8, v10, 0xbfaad1da
	;; [unrolled: 1-line block ×4, first 2 shown]
	v_mul_f32_e32 v9, v11, v9
	v_fmaak_f32 v10, v8, v10, 0xc09de9e6
	v_and_b32_e32 v11, 1, v6
	v_lshlrev_b32_e32 v6, 30, v6
	v_fmamk_f32 v5, v5, 0x40490fdb, v9
	v_fma_f32 v8, v8, v10, 1.0
	v_cmp_eq_u32_e64 s0, 0, v11
	v_and_b32_e32 v6, 0x80000000, v6
	v_cndmask_b32_e64 v5, v8, v5, s0
	v_xor3_b32 v3, v3, v6, v5
	v_mul_f32_e32 v3, v2, v3
	v_frexp_mant_f32_e64 v5, |v3|
	v_frexp_exp_i32_f32_e32 v3, v3
	v_rcp_f32_e32 v5, v5
	v_sub_nc_u32_e32 v3, 2, v3
	v_mul_f32_e32 v5, 0x3f490fdb, v5
	v_ldexp_f32 v3, v5, v3
	v_cmp_gt_f32_e64 s0, 0x800000, v3
	v_cndmask_b32_e64 v5, 0, 32, s0
	v_ldexp_f32 v3, v3, v5
	v_log_f32_e32 v3, v3
	v_mul_f32_e32 v5, 0x3f317217, v3
	v_cmp_gt_f32_e64 s1, 0x7f800000, |v3|
	v_fma_f32 v6, 0x3f317217, v3, -v5
	v_fmamk_f32 v6, v3, 0x3377d1cf, v6
	v_add_f32_e32 v5, v5, v6
	v_floor_f32_e32 v6, v2
	v_cndmask_b32_e64 v3, v3, v5, s1
	v_cndmask_b32_e64 v5, 0, 0x41b17218, s0
	v_sub_f32_e32 v6, v2, v6
	v_sub_f32_e32 v3, v3, v5
	v_min_f32_e32 v5, 0x3f7fffff, v6
	v_sub_f32_e32 v3, v3, v4
	v_cmp_neq_f32_e64 s0, 0, v5
	v_cndmask_b32_e64 v4, 0x7f800000, v3, s0
.LBB152_585:
	s_or_b32 exec_lo, exec_lo, s21
.LBB152_586:
	s_andn2_saveexec_b32 s20, s20
; %bb.587:
	v_cmp_eq_f16_e64 s0, 1.0, v1
	v_cmp_eq_f16_e64 s1, 2.0, v1
	s_or_b32 s0, s0, s1
	v_cndmask_b32_e64 v4, v4, 0, s0
; %bb.588:
	s_or_b32 exec_lo, exec_lo, s20
	v_cmp_gt_f32_e64 s0, 0x4b000000, |v2|
	v_cvt_f16_f32_e32 v3, v4
	v_add_nc_u32_e32 v7, 0x80, v7
	s_or_b32 vcc_lo, vcc_lo, s0
	v_cmp_class_f32_e64 s0, v2, 0x264
	v_cndmask_b32_e32 v3, 0x7c00, v3, vcc_lo
	v_cmp_u_f16_e32 vcc_lo, v1, v1
	v_cndmask_b32_e64 v2, v3, 0x7c00, s0
	v_cndmask_b32_e32 v1, v2, v1, vcc_lo
	global_store_short v0, v1, s[4:5]
	s_or_b32 exec_lo, exec_lo, s30
	s_mov_b32 s30, exec_lo
	v_cmpx_gt_i32_e64 s27, v7
	s_cbranch_execnz .LBB152_536
.LBB152_589:
	s_or_b32 exec_lo, exec_lo, s30
	s_mov_b32 s30, exec_lo
	v_cmpx_gt_i32_e64 s27, v7
	s_cbranch_execz .LBB152_643
.LBB152_590:
	s_andn2_b32 vcc_lo, exec_lo, s24
	s_cbranch_vccnz .LBB152_595
; %bb.591:
	s_andn2_b32 vcc_lo, exec_lo, s29
	s_cbranch_vccnz .LBB152_596
; %bb.592:
	s_add_i32 s33, s28, 1
	s_cmp_eq_u32 s23, 2
	s_cbranch_scc1 .LBB152_651
; %bb.593:
	v_mov_b32_e32 v2, 0
	v_mov_b32_e32 v0, 0
	v_mov_b32_e32 v1, v7
	s_and_b32 s31, s33, 28
	s_mov_b32 s34, 0
	s_mov_b64 s[0:1], s[2:3]
	s_mov_b64 s[20:21], s[18:19]
.LBB152_594:                            ; =>This Inner Loop Header: Depth=1
	s_clause 0x1
	s_load_dwordx8 s[36:43], s[0:1], 0x4
	s_load_dwordx4 s[52:55], s[0:1], 0x24
	s_load_dwordx8 s[44:51], s[20:21], 0x0
	s_add_u32 s0, s0, 48
	s_addc_u32 s1, s1, 0
	s_add_i32 s34, s34, 4
	s_add_u32 s20, s20, 32
	s_addc_u32 s21, s21, 0
	s_cmp_eq_u32 s31, s34
	s_waitcnt lgkmcnt(0)
	v_mul_hi_u32 v3, s37, v1
	v_add_nc_u32_e32 v3, v1, v3
	v_lshrrev_b32_e32 v3, s38, v3
	v_mul_hi_u32 v4, s40, v3
	v_mul_lo_u32 v6, v3, s36
	v_add_nc_u32_e32 v4, v3, v4
	v_sub_nc_u32_e32 v1, v1, v6
	v_lshrrev_b32_e32 v4, s41, v4
	v_mul_lo_u32 v6, v1, s44
	v_mul_lo_u32 v9, v1, s45
	v_mul_hi_u32 v5, s43, v4
	v_add_nc_u32_e32 v5, v4, v5
	v_lshrrev_b32_e32 v5, s52, v5
	v_mul_hi_u32 v8, s54, v5
	v_mul_lo_u32 v10, v5, s42
	v_add_nc_u32_e32 v1, v5, v8
	v_mul_lo_u32 v8, v4, s39
	v_sub_nc_u32_e32 v4, v4, v10
	v_lshrrev_b32_e32 v1, s55, v1
	v_mul_lo_u32 v10, v4, s48
	v_mul_lo_u32 v4, v4, s49
	v_sub_nc_u32_e32 v3, v3, v8
	v_mul_lo_u32 v11, v1, s53
	v_mul_lo_u32 v8, v3, s46
	;; [unrolled: 1-line block ×3, first 2 shown]
	v_sub_nc_u32_e32 v5, v5, v11
	v_add3_u32 v0, v6, v0, v8
	v_mul_lo_u32 v11, v5, s50
	v_mul_lo_u32 v5, v5, s51
	v_add3_u32 v2, v9, v2, v3
	v_add3_u32 v0, v10, v0, v11
	;; [unrolled: 1-line block ×3, first 2 shown]
	s_cbranch_scc0 .LBB152_594
	s_branch .LBB152_652
.LBB152_595:
                                        ; implicit-def: $vgpr0
                                        ; implicit-def: $vgpr2
	s_branch .LBB152_656
.LBB152_596:
	v_mov_b32_e32 v0, 0
	v_mov_b32_e32 v2, 0
	s_branch .LBB152_655
.LBB152_597:
	v_mov_b32_e32 v0, 0
	v_mov_b32_e32 v2, 0
	;; [unrolled: 1-line block ×3, first 2 shown]
	s_mov_b32 s31, 0
.LBB152_598:
	s_and_b32 s33, s33, 3
	s_cmp_eq_u32 s33, 0
	s_cbranch_scc1 .LBB152_601
; %bb.599:
	s_lshl_b32 s0, s31, 3
	s_mul_i32 s20, s31, 12
	s_add_u32 s0, s2, s0
	s_addc_u32 s1, s3, 0
	s_add_u32 s0, s0, 0xc4
	s_addc_u32 s1, s1, 0
	;; [unrolled: 2-line block ×3, first 2 shown]
	.p2align	6
.LBB152_600:                            ; =>This Inner Loop Header: Depth=1
	s_clause 0x1
	s_load_dwordx2 s[34:35], s[20:21], 0x4
	s_load_dword s31, s[20:21], 0xc
	s_load_dwordx2 s[36:37], s[0:1], 0x0
	s_add_u32 s20, s20, 12
	s_addc_u32 s21, s21, 0
	s_add_u32 s0, s0, 8
	s_addc_u32 s1, s1, 0
	s_add_i32 s33, s33, -1
	s_cmp_lg_u32 s33, 0
	s_waitcnt lgkmcnt(0)
	v_mul_hi_u32 v3, s35, v1
	v_add_nc_u32_e32 v3, v1, v3
	v_lshrrev_b32_e32 v4, s31, v3
	v_mul_lo_u32 v3, v4, s34
	v_sub_nc_u32_e32 v3, v1, v3
	v_mad_u64_u32 v[0:1], null, v3, s36, v[0:1]
	v_mad_u64_u32 v[2:3], null, v3, s37, v[2:3]
	v_mov_b32_e32 v1, v4
	s_cbranch_scc1 .LBB152_600
.LBB152_601:
	s_cbranch_execnz .LBB152_604
.LBB152_602:
	s_waitcnt lgkmcnt(0)
	v_mul_hi_u32 v0, s13, v7
	s_andn2_b32 vcc_lo, exec_lo, s26
	v_add_nc_u32_e32 v0, v7, v0
	v_lshrrev_b32_e32 v1, s14, v0
	v_mul_lo_u32 v0, v1, s12
	v_sub_nc_u32_e32 v2, v7, v0
	v_mul_lo_u32 v0, v2, s8
	v_mul_lo_u32 v2, v2, s9
	s_cbranch_vccnz .LBB152_604
; %bb.603:
	v_mul_hi_u32 v3, s16, v1
	v_add_nc_u32_e32 v3, v1, v3
	v_lshrrev_b32_e32 v3, s17, v3
	v_mul_lo_u32 v3, v3, s15
	v_sub_nc_u32_e32 v3, v1, v3
	v_mad_u64_u32 v[0:1], null, v3, s10, v[0:1]
	v_mad_u64_u32 v[2:3], null, v3, s11, v[2:3]
.LBB152_604:
	s_waitcnt lgkmcnt(0)
	global_load_ushort v1, v2, s[6:7]
	s_mov_b32 s1, exec_lo
                                        ; implicit-def: $vgpr4
	s_waitcnt vmcnt(0)
	v_cvt_f32_f16_e32 v2, v1
	v_and_b32_e32 v3, 0x7fffffff, v2
	v_cmpx_ngt_f32_e64 0x3c800000, |v2|
	s_xor_b32 s1, exec_lo, s1
	s_cbranch_execz .LBB152_634
; %bb.605:
	s_mov_b32 s20, exec_lo
                                        ; implicit-def: $vgpr4
	v_cmpx_nlt_f32_e64 |v2|, 2.0
	s_xor_b32 s20, exec_lo, s20
	s_cbranch_execz .LBB152_615
; %bb.606:
	v_cmp_ngt_f32_e64 s0, 0x41000000, |v2|
                                        ; implicit-def: $vgpr4
	s_and_saveexec_b32 s21, s0
	s_xor_b32 s0, exec_lo, s21
	s_cbranch_execz .LBB152_612
; %bb.607:
	v_cmp_ngt_f32_e64 s21, 0x5c800000, |v2|
                                        ; implicit-def: $vgpr4
	s_and_saveexec_b32 s31, s21
	s_xor_b32 s21, exec_lo, s31
	s_cbranch_execz .LBB152_609
; %bb.608:
	v_cmp_gt_f32_e64 s31, 0x800000, |v2|
	v_cndmask_b32_e64 v4, 0, 32, s31
	v_ldexp_f32 v4, |v2|, v4
	v_log_f32_e32 v4, v4
	v_mul_f32_e32 v5, 0x3f317217, v4
	v_cmp_gt_f32_e64 vcc_lo, 0x7f800000, |v4|
	v_fma_f32 v6, 0x3f317217, v4, -v5
	v_fmamk_f32 v6, v4, 0x3377d1cf, v6
	v_add_f32_e32 v5, v5, v6
	v_cndmask_b32_e32 v4, v4, v5, vcc_lo
	v_cndmask_b32_e64 v5, 0, 0x41b17218, s31
	v_sub_f32_e32 v4, v4, v5
	v_fma_f32 v4, |v2|, v4, -|v2|
.LBB152_609:
	s_andn2_saveexec_b32 s21, s21
	s_cbranch_execz .LBB152_611
; %bb.610:
	v_cmp_gt_f32_e64 s31, 0x800000, |v2|
	v_rcp_f32_e64 v5, |v2|
	s_mov_b32 s33, 0xbad5c4e8
	v_cndmask_b32_e64 v4, 0, 32, s31
	v_ldexp_f32 v4, |v2|, v4
	v_mul_f32_e32 v6, v5, v5
	v_log_f32_e32 v4, v4
	v_fmaak_f32 v9, s33, v6, 0x3a5b3dd2
	v_fmaak_f32 v9, v6, v9, 0xba1c065c
	v_mul_f32_e32 v8, 0x3f317217, v4
	v_fmaak_f32 v9, v6, v9, 0x3a500cfd
	v_cmp_gt_f32_e64 vcc_lo, 0x7f800000, |v4|
	v_fma_f32 v10, 0x3f317217, v4, -v8
	v_fmaak_f32 v9, v6, v9, 0xbb360b61
	v_fmamk_f32 v10, v4, 0x3377d1cf, v10
	v_fmaak_f32 v6, v6, v9, 0x3daaaaab
	v_add_f32_e32 v8, v8, v10
	v_cndmask_b32_e32 v4, v4, v8, vcc_lo
	v_cndmask_b32_e64 v8, 0, 0x41b17218, s31
	v_sub_f32_e32 v8, v4, v8
	v_fmaak_f32 v4, v5, v6, 0x3ed67f1d
	v_add_f32_e64 v5, |v2|, -0.5
	v_add_f32_e32 v6, -1.0, v8
	v_fmac_f32_e32 v4, v5, v6
.LBB152_611:
	s_or_b32 exec_lo, exec_lo, s21
.LBB152_612:
	s_andn2_saveexec_b32 s21, s0
	s_cbranch_execz .LBB152_614
; %bb.613:
	v_cvt_i32_f32_e32 v4, v3
	s_mov_b32 s0, 0x36f5d7bd
	s_mov_b32 s31, 0x3805ff67
	v_cvt_f32_i32_e32 v5, v4
	v_cmp_lt_i32_e32 vcc_lo, 2, v4
	v_sub_f32_e64 v5, |v2|, v5
	v_add_f32_e32 v6, 2.0, v5
	v_add_f32_e32 v8, 0x40400000, v5
	v_add_f32_e32 v9, 4.0, v5
	v_add_f32_e32 v10, 0x40a00000, v5
	v_cndmask_b32_e32 v6, 1.0, v6, vcc_lo
	v_cmp_lt_i32_e32 vcc_lo, 3, v4
	v_cndmask_b32_e32 v8, 1.0, v8, vcc_lo
	v_cmp_lt_i32_e32 vcc_lo, 4, v4
	v_mul_f32_e32 v6, v6, v8
	v_cndmask_b32_e32 v9, 1.0, v9, vcc_lo
	v_cmp_lt_i32_e32 vcc_lo, 5, v4
	v_add_f32_e32 v8, 0x40c00000, v5
	v_mul_f32_e32 v6, v9, v6
	v_cndmask_b32_e32 v10, 1.0, v10, vcc_lo
	v_cmp_lt_i32_e32 vcc_lo, 6, v4
	v_fmaak_f32 v9, s31, v5, 0x3af135b4
	v_mul_f32_e32 v6, v10, v6
	v_cndmask_b32_e32 v4, 1.0, v8, vcc_lo
	v_mul_f32_e32 v4, v4, v6
	v_fmaak_f32 v6, s0, v5, 0x3a4beed6
	v_cmp_gt_f32_e32 vcc_lo, 0x800000, v4
	v_fmaak_f32 v6, v5, v6, 0x3c98bf54
	v_cndmask_b32_e64 v8, 0, 32, vcc_lo
	v_fmaak_f32 v6, v5, v6, 0x3e300f6e
	v_ldexp_f32 v4, v4, v8
	v_fmaak_f32 v8, v5, v9, 0x3cda40e4
	v_fmaak_f32 v6, v5, v6, 0x3f38d0c5
	v_log_f32_e32 v4, v4
	v_fmaak_f32 v8, v5, v8, 0x3e15dce6
	v_fmaak_f32 v6, v5, v6, 0x3fb22d3b
	;; [unrolled: 1-line block ×3, first 2 shown]
	v_fma_f32 v6, v5, v6, 1.0
	v_mul_f32_e32 v9, 0x3f317217, v4
	v_fmaak_f32 v8, v5, v8, 0x3e5c245a
	v_rcp_f32_e32 v6, v6
	v_cmp_gt_f32_e64 s0, 0x7f800000, |v4|
	v_fma_f32 v10, 0x3f317217, v4, -v9
	v_fmaak_f32 v8, v5, v8, 0xbd9e233f
	v_fmamk_f32 v10, v4, 0x3377d1cf, v10
	v_mul_f32_e32 v8, v5, v8
	v_add_f32_e32 v9, v9, v10
	v_mul_f32_e32 v6, v8, v6
	v_cndmask_b32_e64 v8, 0, 0x41b17218, vcc_lo
	v_cndmask_b32_e64 v4, v4, v9, s0
	v_fmac_f32_e32 v6, 0.5, v5
	v_sub_f32_e32 v4, v4, v8
	v_add_f32_e32 v4, v4, v6
.LBB152_614:
	s_or_b32 exec_lo, exec_lo, s21
.LBB152_615:
	s_andn2_saveexec_b32 s20, s20
	s_cbranch_execz .LBB152_633
; %bb.616:
	s_mov_b32 s21, exec_lo
                                        ; implicit-def: $vgpr4
                                        ; implicit-def: $vgpr6
                                        ; implicit-def: $vgpr5
	v_cmpx_ge_f32_e64 0x3f666666, |v2|
	s_xor_b32 s21, exec_lo, s21
	s_cbranch_execz .LBB152_618
; %bb.617:
	v_cmp_gt_f32_e64 s0, 0x800000, |v2|
	v_sub_f32_e64 v8, 1.0, |v2|
	v_cmp_gt_f32_e64 vcc_lo, 0x3f3b4a23, |v2|
	v_cndmask_b32_e64 v4, 0, 32, s0
	v_cndmask_b32_e64 v9, 0, 0x41b17218, s0
	v_ldexp_f32 v4, |v2|, v4
	v_log_f32_e32 v4, v4
	v_mul_f32_e32 v5, 0x3f317217, v4
	v_cmp_gt_f32_e64 s0, 0x7f800000, |v4|
	v_fma_f32 v6, 0x3f317217, v4, -v5
	v_fmamk_f32 v6, v4, 0x3377d1cf, v6
	v_add_f32_e32 v5, v5, v6
	v_add_f32_e64 v6, 0xbeec5b0c, |v2|
	v_cndmask_b32_e64 v4, v4, v5, s0
	v_cndmask_b32_e32 v5, v8, v6, vcc_lo
	v_cndmask_b32_e64 v6, 0, 1, vcc_lo
	v_cmp_gt_f32_e64 s0, 0x3e6d3309, |v2|
	v_sub_f32_e32 v4, v4, v9
	v_cndmask_b32_e64 v5, v5, |v2|, s0
	v_cndmask_b32_e64 v6, v6, 2, s0
	v_xor_b32_e32 v4, 0x80000000, v4
.LBB152_618:
	s_andn2_saveexec_b32 s0, s21
	s_cbranch_execz .LBB152_620
; %bb.619:
	v_sub_f32_e64 v4, 2.0, |v2|
	v_add_f32_e64 v5, 0xbfbb16c3, |v2|
	v_cmp_gt_f32_e64 vcc_lo, 0x3fdda512, |v2|
	v_add_f32_e64 v6, |v2|, -1.0
	v_cndmask_b32_e32 v5, v4, v5, vcc_lo
	v_cndmask_b32_e64 v4, v4, 1.0, vcc_lo
	v_cmp_gt_f32_e64 vcc_lo, 0x3f9d70a4, |v2|
	v_cvt_i32_f32_e32 v4, v4
	v_cndmask_b32_e32 v5, v5, v6, vcc_lo
	v_cndmask_b32_e64 v6, v4, 2, vcc_lo
	v_mov_b32_e32 v4, 0
.LBB152_620:
	s_or_b32 exec_lo, exec_lo, s0
	s_mov_b32 s0, exec_lo
	v_cmpx_lt_i32_e32 0, v6
	s_xor_b32 s0, exec_lo, s0
	s_cbranch_execz .LBB152_628
; %bb.621:
	s_mov_b32 s21, exec_lo
	v_cmpx_lt_i32_e32 1, v6
	s_xor_b32 s21, exec_lo, s21
	s_cbranch_execz .LBB152_625
; %bb.622:
	s_mov_b32 s31, exec_lo
	v_cmpx_eq_u32_e32 2, v6
	s_cbranch_execz .LBB152_624
; %bb.623:
	s_mov_b32 s33, 0x3b52d5db
	v_fmaak_f32 v6, s33, v5, 0x3dd572af
	s_mov_b32 s33, 0x3c5b3c5e
	v_fmaak_f32 v8, s33, v5, 0x3e6a7578
	v_fmaak_f32 v6, v5, v6, 0x3f44efdf
	;; [unrolled: 1-line block ×7, first 2 shown]
	v_fma_f32 v6, v5, v6, 1.0
	v_fmaak_f32 v8, v5, v8, 0xbd9e233f
	v_rcp_f32_e32 v6, v6
	v_mul_f32_e32 v8, v5, v8
	v_mul_f32_e32 v6, v8, v6
	v_fmac_f32_e32 v6, -0.5, v5
	v_add_f32_e32 v4, v4, v6
.LBB152_624:
	s_or_b32 exec_lo, exec_lo, s31
                                        ; implicit-def: $vgpr5
.LBB152_625:
	s_andn2_saveexec_b32 s21, s21
	s_cbranch_execz .LBB152_627
; %bb.626:
	v_mul_f32_e32 v6, v5, v5
	s_mov_b32 s31, 0xb9a3f927
	s_mov_b32 s33, 0x39afe9f7
	v_mul_f32_e32 v8, v5, v6
	v_fmaak_f32 v9, s31, v8, 0x3a66f867
	v_fmaak_f32 v10, s33, v8, 0xba0d3085
	s_mov_b32 s31, 0x39a57b6b
	v_fmaak_f32 v11, s31, v8, 0xbab7f476
	v_fmaak_f32 v9, v8, v9, 0xbb7177fe
	;; [unrolled: 1-line block ×9, first 2 shown]
	v_fmac_f32_e32 v9, v5, v10
	v_fmaak_f32 v5, v8, v11, 0x3ef7b95e
	v_fma_f32 v8, v8, -v9, 0xa2863e55
	v_fma_f32 v5, v6, v5, -v8
	v_add_f32_e32 v5, 0xbdf8cdce, v5
	v_add_f32_e32 v4, v4, v5
.LBB152_627:
	s_or_b32 exec_lo, exec_lo, s21
                                        ; implicit-def: $vgpr6
                                        ; implicit-def: $vgpr5
.LBB152_628:
	s_andn2_saveexec_b32 s0, s0
	s_cbranch_execz .LBB152_632
; %bb.629:
	s_mov_b32 s21, exec_lo
	v_cmpx_eq_u32_e32 0, v6
	s_cbranch_execz .LBB152_631
; %bb.630:
	v_mul_f32_e32 v6, v5, v5
	s_mov_b32 s31, 0x383c2c75
	v_fmaak_f32 v8, s31, v6, 0x38e28445
	s_mov_b32 s31, 0x37d383a2
	v_fmaak_f32 v9, s31, v6, 0x39679767
	v_fmaak_f32 v8, v6, v8, 0x3a05b634
	;; [unrolled: 1-line block ×9, first 2 shown]
	v_mul_f32_e32 v6, v6, v8
	v_fmac_f32_e32 v6, v5, v9
	v_fmac_f32_e32 v6, -0.5, v5
	v_add_f32_e32 v4, v4, v6
.LBB152_631:
	s_or_b32 exec_lo, exec_lo, s21
.LBB152_632:
	s_or_b32 exec_lo, exec_lo, s0
.LBB152_633:
	s_or_b32 exec_lo, exec_lo, s20
.LBB152_634:
	s_andn2_saveexec_b32 s0, s1
	s_cbranch_execz .LBB152_636
; %bb.635:
	v_cmp_gt_f32_e64 s1, 0x800000, |v2|
	s_mov_b32 s20, 0x3e8a8991
	v_fma_f32 v8, |v2|, s20, 0xbecd26ab
	v_cndmask_b32_e64 v4, 0, 32, s1
	v_ldexp_f32 v4, |v2|, v4
	v_log_f32_e32 v4, v4
	v_mul_f32_e32 v5, 0x3f317217, v4
	v_cmp_gt_f32_e64 vcc_lo, 0x7f800000, |v4|
	v_fma_f32 v6, 0x3f317217, v4, -v5
	v_fmamk_f32 v6, v4, 0x3377d1cf, v6
	v_add_f32_e32 v5, v5, v6
	v_fma_f32 v6, |v2|, v8, 0x3f528d33
	v_cndmask_b32_e32 v4, v4, v5, vcc_lo
	v_cndmask_b32_e64 v5, 0, 0x41b17218, s1
	v_fma_f32 v6, |v2|, v6, 0xbf13c468
	v_sub_f32_e32 v4, v4, v5
	v_fma_f32 v4, |v2|, v6, -v4
.LBB152_636:
	s_or_b32 exec_lo, exec_lo, s0
	v_cmp_le_f16_e32 vcc_lo, 0, v1
	s_mov_b32 s1, exec_lo
	v_cmpx_nle_f16_e32 0, v1
	s_xor_b32 s20, exec_lo, s1
	s_cbranch_execz .LBB152_640
; %bb.637:
	v_cmp_gt_f32_e64 s0, 0x4b000000, |v2|
	v_cmp_lt_f32_e64 s1, 0x35000000, |v2|
	s_and_b32 s0, s0, s1
	s_and_saveexec_b32 s21, s0
	s_cbranch_execz .LBB152_639
; %bb.638:
	v_mul_f32_e64 v5, |v2|, 0.5
	s_mov_b32 s1, 0x3d4be544
	v_xor_b32_e32 v3, v3, v2
	v_floor_f32_e32 v6, v5
	v_cmp_neq_f32_e64 s0, 0x7f800000, v5
	v_sub_f32_e32 v6, v5, v6
	v_min_f32_e32 v6, 0x3f7fffff, v6
	v_add_f32_e32 v6, v6, v6
	v_cndmask_b32_e64 v5, 0, v6, s0
	v_cmp_gt_f32_e64 s0, |v2|, 1.0
	v_cndmask_b32_e64 v5, |v2|, v5, s0
	s_mov_b32 s0, 0x3e75aa41
	v_add_f32_e32 v6, v5, v5
	v_rndne_f32_e32 v6, v6
	v_fmac_f32_e32 v5, -0.5, v6
	v_cvt_i32_f32_e32 v6, v6
	v_mul_f32_e32 v8, v5, v5
	v_fmaak_f32 v9, s0, v8, 0xbf1f24be
	v_fmaak_f32 v10, s1, v8, 0x3e642e9d
	v_mul_f32_e32 v11, v5, v8
	v_fmaak_f32 v9, v8, v9, 0x40234736
	v_fmaak_f32 v10, v8, v10, 0xbfaad1da
	;; [unrolled: 1-line block ×4, first 2 shown]
	v_mul_f32_e32 v9, v11, v9
	v_fmaak_f32 v10, v8, v10, 0xc09de9e6
	v_and_b32_e32 v11, 1, v6
	v_lshlrev_b32_e32 v6, 30, v6
	v_fmamk_f32 v5, v5, 0x40490fdb, v9
	v_fma_f32 v8, v8, v10, 1.0
	v_cmp_eq_u32_e64 s0, 0, v11
	v_and_b32_e32 v6, 0x80000000, v6
	v_cndmask_b32_e64 v5, v8, v5, s0
	v_xor3_b32 v3, v3, v6, v5
	v_mul_f32_e32 v3, v2, v3
	v_frexp_mant_f32_e64 v5, |v3|
	v_frexp_exp_i32_f32_e32 v3, v3
	v_rcp_f32_e32 v5, v5
	v_sub_nc_u32_e32 v3, 2, v3
	v_mul_f32_e32 v5, 0x3f490fdb, v5
	v_ldexp_f32 v3, v5, v3
	v_cmp_gt_f32_e64 s0, 0x800000, v3
	v_cndmask_b32_e64 v5, 0, 32, s0
	v_ldexp_f32 v3, v3, v5
	v_log_f32_e32 v3, v3
	v_mul_f32_e32 v5, 0x3f317217, v3
	v_cmp_gt_f32_e64 s1, 0x7f800000, |v3|
	v_fma_f32 v6, 0x3f317217, v3, -v5
	v_fmamk_f32 v6, v3, 0x3377d1cf, v6
	v_add_f32_e32 v5, v5, v6
	v_floor_f32_e32 v6, v2
	v_cndmask_b32_e64 v3, v3, v5, s1
	v_cndmask_b32_e64 v5, 0, 0x41b17218, s0
	v_sub_f32_e32 v6, v2, v6
	v_sub_f32_e32 v3, v3, v5
	v_min_f32_e32 v5, 0x3f7fffff, v6
	v_sub_f32_e32 v3, v3, v4
	v_cmp_neq_f32_e64 s0, 0, v5
	v_cndmask_b32_e64 v4, 0x7f800000, v3, s0
.LBB152_639:
	s_or_b32 exec_lo, exec_lo, s21
.LBB152_640:
	s_andn2_saveexec_b32 s20, s20
; %bb.641:
	v_cmp_eq_f16_e64 s0, 1.0, v1
	v_cmp_eq_f16_e64 s1, 2.0, v1
	s_or_b32 s0, s0, s1
	v_cndmask_b32_e64 v4, v4, 0, s0
; %bb.642:
	s_or_b32 exec_lo, exec_lo, s20
	v_cmp_gt_f32_e64 s0, 0x4b000000, |v2|
	v_cvt_f16_f32_e32 v3, v4
	v_add_nc_u32_e32 v7, 0x80, v7
	s_or_b32 vcc_lo, vcc_lo, s0
	v_cmp_class_f32_e64 s0, v2, 0x264
	v_cndmask_b32_e32 v3, 0x7c00, v3, vcc_lo
	v_cmp_u_f16_e32 vcc_lo, v1, v1
	v_cndmask_b32_e64 v2, v3, 0x7c00, s0
	v_cndmask_b32_e32 v1, v2, v1, vcc_lo
	global_store_short v0, v1, s[4:5]
	s_or_b32 exec_lo, exec_lo, s30
	s_mov_b32 s30, exec_lo
	v_cmpx_gt_i32_e64 s27, v7
	s_cbranch_execnz .LBB152_590
.LBB152_643:
	s_or_b32 exec_lo, exec_lo, s30
	s_mov_b32 s30, exec_lo
	v_cmpx_gt_i32_e64 s27, v7
	s_cbranch_execz .LBB152_697
.LBB152_644:
	s_andn2_b32 vcc_lo, exec_lo, s24
	s_cbranch_vccnz .LBB152_649
; %bb.645:
	s_andn2_b32 vcc_lo, exec_lo, s29
	s_cbranch_vccnz .LBB152_650
; %bb.646:
	s_add_i32 s33, s28, 1
	s_cmp_eq_u32 s23, 2
	s_cbranch_scc1 .LBB152_705
; %bb.647:
	v_mov_b32_e32 v2, 0
	v_mov_b32_e32 v0, 0
	;; [unrolled: 1-line block ×3, first 2 shown]
	s_and_b32 s31, s33, 28
	s_mov_b32 s34, 0
	s_mov_b64 s[0:1], s[2:3]
	s_mov_b64 s[20:21], s[18:19]
.LBB152_648:                            ; =>This Inner Loop Header: Depth=1
	s_clause 0x1
	s_load_dwordx8 s[36:43], s[0:1], 0x4
	s_load_dwordx4 s[52:55], s[0:1], 0x24
	s_load_dwordx8 s[44:51], s[20:21], 0x0
	s_add_u32 s0, s0, 48
	s_addc_u32 s1, s1, 0
	s_add_i32 s34, s34, 4
	s_add_u32 s20, s20, 32
	s_addc_u32 s21, s21, 0
	s_cmp_eq_u32 s31, s34
	s_waitcnt lgkmcnt(0)
	v_mul_hi_u32 v3, s37, v1
	v_add_nc_u32_e32 v3, v1, v3
	v_lshrrev_b32_e32 v3, s38, v3
	v_mul_hi_u32 v4, s40, v3
	v_mul_lo_u32 v6, v3, s36
	v_add_nc_u32_e32 v4, v3, v4
	v_sub_nc_u32_e32 v1, v1, v6
	v_lshrrev_b32_e32 v4, s41, v4
	v_mul_lo_u32 v6, v1, s44
	v_mul_lo_u32 v9, v1, s45
	v_mul_hi_u32 v5, s43, v4
	v_add_nc_u32_e32 v5, v4, v5
	v_lshrrev_b32_e32 v5, s52, v5
	v_mul_hi_u32 v8, s54, v5
	v_mul_lo_u32 v10, v5, s42
	v_add_nc_u32_e32 v1, v5, v8
	v_mul_lo_u32 v8, v4, s39
	v_sub_nc_u32_e32 v4, v4, v10
	v_lshrrev_b32_e32 v1, s55, v1
	v_mul_lo_u32 v10, v4, s48
	v_mul_lo_u32 v4, v4, s49
	v_sub_nc_u32_e32 v3, v3, v8
	v_mul_lo_u32 v11, v1, s53
	v_mul_lo_u32 v8, v3, s46
	;; [unrolled: 1-line block ×3, first 2 shown]
	v_sub_nc_u32_e32 v5, v5, v11
	v_add3_u32 v0, v6, v0, v8
	v_mul_lo_u32 v11, v5, s50
	v_mul_lo_u32 v5, v5, s51
	v_add3_u32 v2, v9, v2, v3
	v_add3_u32 v0, v10, v0, v11
	;; [unrolled: 1-line block ×3, first 2 shown]
	s_cbranch_scc0 .LBB152_648
	s_branch .LBB152_706
.LBB152_649:
                                        ; implicit-def: $vgpr0
                                        ; implicit-def: $vgpr2
	s_branch .LBB152_710
.LBB152_650:
	v_mov_b32_e32 v0, 0
	v_mov_b32_e32 v2, 0
	s_branch .LBB152_709
.LBB152_651:
	v_mov_b32_e32 v0, 0
	v_mov_b32_e32 v2, 0
	;; [unrolled: 1-line block ×3, first 2 shown]
	s_mov_b32 s31, 0
.LBB152_652:
	s_and_b32 s33, s33, 3
	s_cmp_eq_u32 s33, 0
	s_cbranch_scc1 .LBB152_655
; %bb.653:
	s_lshl_b32 s0, s31, 3
	s_mul_i32 s20, s31, 12
	s_add_u32 s0, s2, s0
	s_addc_u32 s1, s3, 0
	s_add_u32 s0, s0, 0xc4
	s_addc_u32 s1, s1, 0
	;; [unrolled: 2-line block ×3, first 2 shown]
	.p2align	6
.LBB152_654:                            ; =>This Inner Loop Header: Depth=1
	s_clause 0x1
	s_load_dwordx2 s[34:35], s[20:21], 0x4
	s_load_dword s31, s[20:21], 0xc
	s_load_dwordx2 s[36:37], s[0:1], 0x0
	s_add_u32 s20, s20, 12
	s_addc_u32 s21, s21, 0
	s_add_u32 s0, s0, 8
	s_addc_u32 s1, s1, 0
	s_add_i32 s33, s33, -1
	s_cmp_lg_u32 s33, 0
	s_waitcnt lgkmcnt(0)
	v_mul_hi_u32 v3, s35, v1
	v_add_nc_u32_e32 v3, v1, v3
	v_lshrrev_b32_e32 v4, s31, v3
	v_mul_lo_u32 v3, v4, s34
	v_sub_nc_u32_e32 v3, v1, v3
	v_mad_u64_u32 v[0:1], null, v3, s36, v[0:1]
	v_mad_u64_u32 v[2:3], null, v3, s37, v[2:3]
	v_mov_b32_e32 v1, v4
	s_cbranch_scc1 .LBB152_654
.LBB152_655:
	s_cbranch_execnz .LBB152_658
.LBB152_656:
	s_waitcnt lgkmcnt(0)
	v_mul_hi_u32 v0, s13, v7
	s_andn2_b32 vcc_lo, exec_lo, s26
	v_add_nc_u32_e32 v0, v7, v0
	v_lshrrev_b32_e32 v1, s14, v0
	v_mul_lo_u32 v0, v1, s12
	v_sub_nc_u32_e32 v2, v7, v0
	v_mul_lo_u32 v0, v2, s8
	v_mul_lo_u32 v2, v2, s9
	s_cbranch_vccnz .LBB152_658
; %bb.657:
	v_mul_hi_u32 v3, s16, v1
	v_add_nc_u32_e32 v3, v1, v3
	v_lshrrev_b32_e32 v3, s17, v3
	v_mul_lo_u32 v3, v3, s15
	v_sub_nc_u32_e32 v3, v1, v3
	v_mad_u64_u32 v[0:1], null, v3, s10, v[0:1]
	v_mad_u64_u32 v[2:3], null, v3, s11, v[2:3]
.LBB152_658:
	s_waitcnt lgkmcnt(0)
	global_load_ushort v1, v2, s[6:7]
	s_mov_b32 s1, exec_lo
                                        ; implicit-def: $vgpr4
	s_waitcnt vmcnt(0)
	v_cvt_f32_f16_e32 v2, v1
	v_and_b32_e32 v3, 0x7fffffff, v2
	v_cmpx_ngt_f32_e64 0x3c800000, |v2|
	s_xor_b32 s1, exec_lo, s1
	s_cbranch_execz .LBB152_688
; %bb.659:
	s_mov_b32 s20, exec_lo
                                        ; implicit-def: $vgpr4
	v_cmpx_nlt_f32_e64 |v2|, 2.0
	s_xor_b32 s20, exec_lo, s20
	s_cbranch_execz .LBB152_669
; %bb.660:
	v_cmp_ngt_f32_e64 s0, 0x41000000, |v2|
                                        ; implicit-def: $vgpr4
	s_and_saveexec_b32 s21, s0
	s_xor_b32 s0, exec_lo, s21
	s_cbranch_execz .LBB152_666
; %bb.661:
	v_cmp_ngt_f32_e64 s21, 0x5c800000, |v2|
                                        ; implicit-def: $vgpr4
	s_and_saveexec_b32 s31, s21
	s_xor_b32 s21, exec_lo, s31
	s_cbranch_execz .LBB152_663
; %bb.662:
	v_cmp_gt_f32_e64 s31, 0x800000, |v2|
	v_cndmask_b32_e64 v4, 0, 32, s31
	v_ldexp_f32 v4, |v2|, v4
	v_log_f32_e32 v4, v4
	v_mul_f32_e32 v5, 0x3f317217, v4
	v_cmp_gt_f32_e64 vcc_lo, 0x7f800000, |v4|
	v_fma_f32 v6, 0x3f317217, v4, -v5
	v_fmamk_f32 v6, v4, 0x3377d1cf, v6
	v_add_f32_e32 v5, v5, v6
	v_cndmask_b32_e32 v4, v4, v5, vcc_lo
	v_cndmask_b32_e64 v5, 0, 0x41b17218, s31
	v_sub_f32_e32 v4, v4, v5
	v_fma_f32 v4, |v2|, v4, -|v2|
.LBB152_663:
	s_andn2_saveexec_b32 s21, s21
	s_cbranch_execz .LBB152_665
; %bb.664:
	v_cmp_gt_f32_e64 s31, 0x800000, |v2|
	v_rcp_f32_e64 v5, |v2|
	s_mov_b32 s33, 0xbad5c4e8
	v_cndmask_b32_e64 v4, 0, 32, s31
	v_ldexp_f32 v4, |v2|, v4
	v_mul_f32_e32 v6, v5, v5
	v_log_f32_e32 v4, v4
	v_fmaak_f32 v9, s33, v6, 0x3a5b3dd2
	v_fmaak_f32 v9, v6, v9, 0xba1c065c
	v_mul_f32_e32 v8, 0x3f317217, v4
	v_fmaak_f32 v9, v6, v9, 0x3a500cfd
	v_cmp_gt_f32_e64 vcc_lo, 0x7f800000, |v4|
	v_fma_f32 v10, 0x3f317217, v4, -v8
	v_fmaak_f32 v9, v6, v9, 0xbb360b61
	v_fmamk_f32 v10, v4, 0x3377d1cf, v10
	v_fmaak_f32 v6, v6, v9, 0x3daaaaab
	v_add_f32_e32 v8, v8, v10
	v_cndmask_b32_e32 v4, v4, v8, vcc_lo
	v_cndmask_b32_e64 v8, 0, 0x41b17218, s31
	v_sub_f32_e32 v8, v4, v8
	v_fmaak_f32 v4, v5, v6, 0x3ed67f1d
	v_add_f32_e64 v5, |v2|, -0.5
	v_add_f32_e32 v6, -1.0, v8
	v_fmac_f32_e32 v4, v5, v6
.LBB152_665:
	s_or_b32 exec_lo, exec_lo, s21
.LBB152_666:
	s_andn2_saveexec_b32 s21, s0
	s_cbranch_execz .LBB152_668
; %bb.667:
	v_cvt_i32_f32_e32 v4, v3
	s_mov_b32 s0, 0x36f5d7bd
	s_mov_b32 s31, 0x3805ff67
	v_cvt_f32_i32_e32 v5, v4
	v_cmp_lt_i32_e32 vcc_lo, 2, v4
	v_sub_f32_e64 v5, |v2|, v5
	v_add_f32_e32 v6, 2.0, v5
	v_add_f32_e32 v8, 0x40400000, v5
	v_add_f32_e32 v9, 4.0, v5
	v_add_f32_e32 v10, 0x40a00000, v5
	v_cndmask_b32_e32 v6, 1.0, v6, vcc_lo
	v_cmp_lt_i32_e32 vcc_lo, 3, v4
	v_cndmask_b32_e32 v8, 1.0, v8, vcc_lo
	v_cmp_lt_i32_e32 vcc_lo, 4, v4
	v_mul_f32_e32 v6, v6, v8
	v_cndmask_b32_e32 v9, 1.0, v9, vcc_lo
	v_cmp_lt_i32_e32 vcc_lo, 5, v4
	v_add_f32_e32 v8, 0x40c00000, v5
	v_mul_f32_e32 v6, v9, v6
	v_cndmask_b32_e32 v10, 1.0, v10, vcc_lo
	v_cmp_lt_i32_e32 vcc_lo, 6, v4
	v_fmaak_f32 v9, s31, v5, 0x3af135b4
	v_mul_f32_e32 v6, v10, v6
	v_cndmask_b32_e32 v4, 1.0, v8, vcc_lo
	v_mul_f32_e32 v4, v4, v6
	v_fmaak_f32 v6, s0, v5, 0x3a4beed6
	v_cmp_gt_f32_e32 vcc_lo, 0x800000, v4
	v_fmaak_f32 v6, v5, v6, 0x3c98bf54
	v_cndmask_b32_e64 v8, 0, 32, vcc_lo
	v_fmaak_f32 v6, v5, v6, 0x3e300f6e
	v_ldexp_f32 v4, v4, v8
	v_fmaak_f32 v8, v5, v9, 0x3cda40e4
	v_fmaak_f32 v6, v5, v6, 0x3f38d0c5
	v_log_f32_e32 v4, v4
	v_fmaak_f32 v8, v5, v8, 0x3e15dce6
	v_fmaak_f32 v6, v5, v6, 0x3fb22d3b
	;; [unrolled: 1-line block ×3, first 2 shown]
	v_fma_f32 v6, v5, v6, 1.0
	v_mul_f32_e32 v9, 0x3f317217, v4
	v_fmaak_f32 v8, v5, v8, 0x3e5c245a
	v_rcp_f32_e32 v6, v6
	v_cmp_gt_f32_e64 s0, 0x7f800000, |v4|
	v_fma_f32 v10, 0x3f317217, v4, -v9
	v_fmaak_f32 v8, v5, v8, 0xbd9e233f
	v_fmamk_f32 v10, v4, 0x3377d1cf, v10
	v_mul_f32_e32 v8, v5, v8
	v_add_f32_e32 v9, v9, v10
	v_mul_f32_e32 v6, v8, v6
	v_cndmask_b32_e64 v8, 0, 0x41b17218, vcc_lo
	v_cndmask_b32_e64 v4, v4, v9, s0
	v_fmac_f32_e32 v6, 0.5, v5
	v_sub_f32_e32 v4, v4, v8
	v_add_f32_e32 v4, v4, v6
.LBB152_668:
	s_or_b32 exec_lo, exec_lo, s21
.LBB152_669:
	s_andn2_saveexec_b32 s20, s20
	s_cbranch_execz .LBB152_687
; %bb.670:
	s_mov_b32 s21, exec_lo
                                        ; implicit-def: $vgpr4
                                        ; implicit-def: $vgpr6
                                        ; implicit-def: $vgpr5
	v_cmpx_ge_f32_e64 0x3f666666, |v2|
	s_xor_b32 s21, exec_lo, s21
	s_cbranch_execz .LBB152_672
; %bb.671:
	v_cmp_gt_f32_e64 s0, 0x800000, |v2|
	v_sub_f32_e64 v8, 1.0, |v2|
	v_cmp_gt_f32_e64 vcc_lo, 0x3f3b4a23, |v2|
	v_cndmask_b32_e64 v4, 0, 32, s0
	v_cndmask_b32_e64 v9, 0, 0x41b17218, s0
	v_ldexp_f32 v4, |v2|, v4
	v_log_f32_e32 v4, v4
	v_mul_f32_e32 v5, 0x3f317217, v4
	v_cmp_gt_f32_e64 s0, 0x7f800000, |v4|
	v_fma_f32 v6, 0x3f317217, v4, -v5
	v_fmamk_f32 v6, v4, 0x3377d1cf, v6
	v_add_f32_e32 v5, v5, v6
	v_add_f32_e64 v6, 0xbeec5b0c, |v2|
	v_cndmask_b32_e64 v4, v4, v5, s0
	v_cndmask_b32_e32 v5, v8, v6, vcc_lo
	v_cndmask_b32_e64 v6, 0, 1, vcc_lo
	v_cmp_gt_f32_e64 s0, 0x3e6d3309, |v2|
	v_sub_f32_e32 v4, v4, v9
	v_cndmask_b32_e64 v5, v5, |v2|, s0
	v_cndmask_b32_e64 v6, v6, 2, s0
	v_xor_b32_e32 v4, 0x80000000, v4
.LBB152_672:
	s_andn2_saveexec_b32 s0, s21
	s_cbranch_execz .LBB152_674
; %bb.673:
	v_sub_f32_e64 v4, 2.0, |v2|
	v_add_f32_e64 v5, 0xbfbb16c3, |v2|
	v_cmp_gt_f32_e64 vcc_lo, 0x3fdda512, |v2|
	v_add_f32_e64 v6, |v2|, -1.0
	v_cndmask_b32_e32 v5, v4, v5, vcc_lo
	v_cndmask_b32_e64 v4, v4, 1.0, vcc_lo
	v_cmp_gt_f32_e64 vcc_lo, 0x3f9d70a4, |v2|
	v_cvt_i32_f32_e32 v4, v4
	v_cndmask_b32_e32 v5, v5, v6, vcc_lo
	v_cndmask_b32_e64 v6, v4, 2, vcc_lo
	v_mov_b32_e32 v4, 0
.LBB152_674:
	s_or_b32 exec_lo, exec_lo, s0
	s_mov_b32 s0, exec_lo
	v_cmpx_lt_i32_e32 0, v6
	s_xor_b32 s0, exec_lo, s0
	s_cbranch_execz .LBB152_682
; %bb.675:
	s_mov_b32 s21, exec_lo
	v_cmpx_lt_i32_e32 1, v6
	s_xor_b32 s21, exec_lo, s21
	s_cbranch_execz .LBB152_679
; %bb.676:
	s_mov_b32 s31, exec_lo
	v_cmpx_eq_u32_e32 2, v6
	s_cbranch_execz .LBB152_678
; %bb.677:
	s_mov_b32 s33, 0x3b52d5db
	v_fmaak_f32 v6, s33, v5, 0x3dd572af
	s_mov_b32 s33, 0x3c5b3c5e
	v_fmaak_f32 v8, s33, v5, 0x3e6a7578
	v_fmaak_f32 v6, v5, v6, 0x3f44efdf
	v_fmaak_f32 v8, v5, v8, 0x3f7a4bb2
	v_fmaak_f32 v6, v5, v6, 0x4008392d
	v_fmaak_f32 v8, v5, v8, 0x3fba3ae7
	v_fmaak_f32 v6, v5, v6, 0x401d2ebe
	v_fmaak_f32 v8, v5, v8, 0x3f2200f4
	v_fma_f32 v6, v5, v6, 1.0
	v_fmaak_f32 v8, v5, v8, 0xbd9e233f
	v_rcp_f32_e32 v6, v6
	v_mul_f32_e32 v8, v5, v8
	v_mul_f32_e32 v6, v8, v6
	v_fmac_f32_e32 v6, -0.5, v5
	v_add_f32_e32 v4, v4, v6
.LBB152_678:
	s_or_b32 exec_lo, exec_lo, s31
                                        ; implicit-def: $vgpr5
.LBB152_679:
	s_andn2_saveexec_b32 s21, s21
	s_cbranch_execz .LBB152_681
; %bb.680:
	v_mul_f32_e32 v6, v5, v5
	s_mov_b32 s31, 0xb9a3f927
	s_mov_b32 s33, 0x39afe9f7
	v_mul_f32_e32 v8, v5, v6
	v_fmaak_f32 v9, s31, v8, 0x3a66f867
	v_fmaak_f32 v10, s33, v8, 0xba0d3085
	s_mov_b32 s31, 0x39a57b6b
	v_fmaak_f32 v11, s31, v8, 0xbab7f476
	v_fmaak_f32 v9, v8, v9, 0xbb7177fe
	;; [unrolled: 1-line block ×9, first 2 shown]
	v_fmac_f32_e32 v9, v5, v10
	v_fmaak_f32 v5, v8, v11, 0x3ef7b95e
	v_fma_f32 v8, v8, -v9, 0xa2863e55
	v_fma_f32 v5, v6, v5, -v8
	v_add_f32_e32 v5, 0xbdf8cdce, v5
	v_add_f32_e32 v4, v4, v5
.LBB152_681:
	s_or_b32 exec_lo, exec_lo, s21
                                        ; implicit-def: $vgpr6
                                        ; implicit-def: $vgpr5
.LBB152_682:
	s_andn2_saveexec_b32 s0, s0
	s_cbranch_execz .LBB152_686
; %bb.683:
	s_mov_b32 s21, exec_lo
	v_cmpx_eq_u32_e32 0, v6
	s_cbranch_execz .LBB152_685
; %bb.684:
	v_mul_f32_e32 v6, v5, v5
	s_mov_b32 s31, 0x383c2c75
	v_fmaak_f32 v8, s31, v6, 0x38e28445
	s_mov_b32 s31, 0x37d383a2
	v_fmaak_f32 v9, s31, v6, 0x39679767
	v_fmaak_f32 v8, v6, v8, 0x3a05b634
	;; [unrolled: 1-line block ×9, first 2 shown]
	v_mul_f32_e32 v6, v6, v8
	v_fmac_f32_e32 v6, v5, v9
	v_fmac_f32_e32 v6, -0.5, v5
	v_add_f32_e32 v4, v4, v6
.LBB152_685:
	s_or_b32 exec_lo, exec_lo, s21
.LBB152_686:
	s_or_b32 exec_lo, exec_lo, s0
.LBB152_687:
	s_or_b32 exec_lo, exec_lo, s20
.LBB152_688:
	s_andn2_saveexec_b32 s0, s1
	s_cbranch_execz .LBB152_690
; %bb.689:
	v_cmp_gt_f32_e64 s1, 0x800000, |v2|
	s_mov_b32 s20, 0x3e8a8991
	v_fma_f32 v8, |v2|, s20, 0xbecd26ab
	v_cndmask_b32_e64 v4, 0, 32, s1
	v_ldexp_f32 v4, |v2|, v4
	v_log_f32_e32 v4, v4
	v_mul_f32_e32 v5, 0x3f317217, v4
	v_cmp_gt_f32_e64 vcc_lo, 0x7f800000, |v4|
	v_fma_f32 v6, 0x3f317217, v4, -v5
	v_fmamk_f32 v6, v4, 0x3377d1cf, v6
	v_add_f32_e32 v5, v5, v6
	v_fma_f32 v6, |v2|, v8, 0x3f528d33
	v_cndmask_b32_e32 v4, v4, v5, vcc_lo
	v_cndmask_b32_e64 v5, 0, 0x41b17218, s1
	v_fma_f32 v6, |v2|, v6, 0xbf13c468
	v_sub_f32_e32 v4, v4, v5
	v_fma_f32 v4, |v2|, v6, -v4
.LBB152_690:
	s_or_b32 exec_lo, exec_lo, s0
	v_cmp_le_f16_e32 vcc_lo, 0, v1
	s_mov_b32 s1, exec_lo
	v_cmpx_nle_f16_e32 0, v1
	s_xor_b32 s20, exec_lo, s1
	s_cbranch_execz .LBB152_694
; %bb.691:
	v_cmp_gt_f32_e64 s0, 0x4b000000, |v2|
	v_cmp_lt_f32_e64 s1, 0x35000000, |v2|
	s_and_b32 s0, s0, s1
	s_and_saveexec_b32 s21, s0
	s_cbranch_execz .LBB152_693
; %bb.692:
	v_mul_f32_e64 v5, |v2|, 0.5
	s_mov_b32 s1, 0x3d4be544
	v_xor_b32_e32 v3, v3, v2
	v_floor_f32_e32 v6, v5
	v_cmp_neq_f32_e64 s0, 0x7f800000, v5
	v_sub_f32_e32 v6, v5, v6
	v_min_f32_e32 v6, 0x3f7fffff, v6
	v_add_f32_e32 v6, v6, v6
	v_cndmask_b32_e64 v5, 0, v6, s0
	v_cmp_gt_f32_e64 s0, |v2|, 1.0
	v_cndmask_b32_e64 v5, |v2|, v5, s0
	s_mov_b32 s0, 0x3e75aa41
	v_add_f32_e32 v6, v5, v5
	v_rndne_f32_e32 v6, v6
	v_fmac_f32_e32 v5, -0.5, v6
	v_cvt_i32_f32_e32 v6, v6
	v_mul_f32_e32 v8, v5, v5
	v_fmaak_f32 v9, s0, v8, 0xbf1f24be
	v_fmaak_f32 v10, s1, v8, 0x3e642e9d
	v_mul_f32_e32 v11, v5, v8
	v_fmaak_f32 v9, v8, v9, 0x40234736
	v_fmaak_f32 v10, v8, v10, 0xbfaad1da
	;; [unrolled: 1-line block ×4, first 2 shown]
	v_mul_f32_e32 v9, v11, v9
	v_fmaak_f32 v10, v8, v10, 0xc09de9e6
	v_and_b32_e32 v11, 1, v6
	v_lshlrev_b32_e32 v6, 30, v6
	v_fmamk_f32 v5, v5, 0x40490fdb, v9
	v_fma_f32 v8, v8, v10, 1.0
	v_cmp_eq_u32_e64 s0, 0, v11
	v_and_b32_e32 v6, 0x80000000, v6
	v_cndmask_b32_e64 v5, v8, v5, s0
	v_xor3_b32 v3, v3, v6, v5
	v_mul_f32_e32 v3, v2, v3
	v_frexp_mant_f32_e64 v5, |v3|
	v_frexp_exp_i32_f32_e32 v3, v3
	v_rcp_f32_e32 v5, v5
	v_sub_nc_u32_e32 v3, 2, v3
	v_mul_f32_e32 v5, 0x3f490fdb, v5
	v_ldexp_f32 v3, v5, v3
	v_cmp_gt_f32_e64 s0, 0x800000, v3
	v_cndmask_b32_e64 v5, 0, 32, s0
	v_ldexp_f32 v3, v3, v5
	v_log_f32_e32 v3, v3
	v_mul_f32_e32 v5, 0x3f317217, v3
	v_cmp_gt_f32_e64 s1, 0x7f800000, |v3|
	v_fma_f32 v6, 0x3f317217, v3, -v5
	v_fmamk_f32 v6, v3, 0x3377d1cf, v6
	v_add_f32_e32 v5, v5, v6
	v_floor_f32_e32 v6, v2
	v_cndmask_b32_e64 v3, v3, v5, s1
	v_cndmask_b32_e64 v5, 0, 0x41b17218, s0
	v_sub_f32_e32 v6, v2, v6
	v_sub_f32_e32 v3, v3, v5
	v_min_f32_e32 v5, 0x3f7fffff, v6
	v_sub_f32_e32 v3, v3, v4
	v_cmp_neq_f32_e64 s0, 0, v5
	v_cndmask_b32_e64 v4, 0x7f800000, v3, s0
.LBB152_693:
	s_or_b32 exec_lo, exec_lo, s21
.LBB152_694:
	s_andn2_saveexec_b32 s20, s20
; %bb.695:
	v_cmp_eq_f16_e64 s0, 1.0, v1
	v_cmp_eq_f16_e64 s1, 2.0, v1
	s_or_b32 s0, s0, s1
	v_cndmask_b32_e64 v4, v4, 0, s0
; %bb.696:
	s_or_b32 exec_lo, exec_lo, s20
	v_cmp_gt_f32_e64 s0, 0x4b000000, |v2|
	v_cvt_f16_f32_e32 v3, v4
	v_add_nc_u32_e32 v7, 0x80, v7
	s_or_b32 vcc_lo, vcc_lo, s0
	v_cmp_class_f32_e64 s0, v2, 0x264
	v_cndmask_b32_e32 v3, 0x7c00, v3, vcc_lo
	v_cmp_u_f16_e32 vcc_lo, v1, v1
	v_cndmask_b32_e64 v2, v3, 0x7c00, s0
	v_cndmask_b32_e32 v1, v2, v1, vcc_lo
	global_store_short v0, v1, s[4:5]
	s_or_b32 exec_lo, exec_lo, s30
	s_mov_b32 s30, exec_lo
	v_cmpx_gt_i32_e64 s27, v7
	s_cbranch_execnz .LBB152_644
.LBB152_697:
	s_or_b32 exec_lo, exec_lo, s30
	s_mov_b32 s30, exec_lo
	v_cmpx_gt_i32_e64 s27, v7
	s_cbranch_execz .LBB152_751
.LBB152_698:
	s_andn2_b32 vcc_lo, exec_lo, s24
	s_cbranch_vccnz .LBB152_703
; %bb.699:
	s_andn2_b32 vcc_lo, exec_lo, s29
	s_cbranch_vccnz .LBB152_704
; %bb.700:
	s_add_i32 s33, s28, 1
	s_cmp_eq_u32 s23, 2
	s_cbranch_scc1 .LBB152_754
; %bb.701:
	v_mov_b32_e32 v2, 0
	v_mov_b32_e32 v0, 0
	;; [unrolled: 1-line block ×3, first 2 shown]
	s_and_b32 s31, s33, 28
	s_mov_b32 s34, 0
	s_mov_b64 s[0:1], s[2:3]
	s_mov_b64 s[20:21], s[18:19]
.LBB152_702:                            ; =>This Inner Loop Header: Depth=1
	s_clause 0x1
	s_load_dwordx8 s[36:43], s[0:1], 0x4
	s_load_dwordx4 s[52:55], s[0:1], 0x24
	s_load_dwordx8 s[44:51], s[20:21], 0x0
	s_add_u32 s0, s0, 48
	s_addc_u32 s1, s1, 0
	s_add_i32 s34, s34, 4
	s_add_u32 s20, s20, 32
	s_addc_u32 s21, s21, 0
	s_cmp_eq_u32 s31, s34
	s_waitcnt lgkmcnt(0)
	v_mul_hi_u32 v3, s37, v1
	v_add_nc_u32_e32 v3, v1, v3
	v_lshrrev_b32_e32 v3, s38, v3
	v_mul_hi_u32 v4, s40, v3
	v_mul_lo_u32 v6, v3, s36
	v_add_nc_u32_e32 v4, v3, v4
	v_sub_nc_u32_e32 v1, v1, v6
	v_lshrrev_b32_e32 v4, s41, v4
	v_mul_lo_u32 v6, v1, s44
	v_mul_lo_u32 v9, v1, s45
	v_mul_hi_u32 v5, s43, v4
	v_add_nc_u32_e32 v5, v4, v5
	v_lshrrev_b32_e32 v5, s52, v5
	v_mul_hi_u32 v8, s54, v5
	v_mul_lo_u32 v10, v5, s42
	v_add_nc_u32_e32 v1, v5, v8
	v_mul_lo_u32 v8, v4, s39
	v_sub_nc_u32_e32 v4, v4, v10
	v_lshrrev_b32_e32 v1, s55, v1
	v_mul_lo_u32 v10, v4, s48
	v_mul_lo_u32 v4, v4, s49
	v_sub_nc_u32_e32 v3, v3, v8
	v_mul_lo_u32 v11, v1, s53
	v_mul_lo_u32 v8, v3, s46
	;; [unrolled: 1-line block ×3, first 2 shown]
	v_sub_nc_u32_e32 v5, v5, v11
	v_add3_u32 v0, v6, v0, v8
	v_mul_lo_u32 v11, v5, s50
	v_mul_lo_u32 v5, v5, s51
	v_add3_u32 v2, v9, v2, v3
	v_add3_u32 v0, v10, v0, v11
	;; [unrolled: 1-line block ×3, first 2 shown]
	s_cbranch_scc0 .LBB152_702
	s_branch .LBB152_755
.LBB152_703:
                                        ; implicit-def: $vgpr0
                                        ; implicit-def: $vgpr2
	s_branch .LBB152_759
.LBB152_704:
	v_mov_b32_e32 v0, 0
	v_mov_b32_e32 v2, 0
	s_branch .LBB152_758
.LBB152_705:
	v_mov_b32_e32 v0, 0
	v_mov_b32_e32 v2, 0
	;; [unrolled: 1-line block ×3, first 2 shown]
	s_mov_b32 s31, 0
.LBB152_706:
	s_and_b32 s33, s33, 3
	s_cmp_eq_u32 s33, 0
	s_cbranch_scc1 .LBB152_709
; %bb.707:
	s_lshl_b32 s0, s31, 3
	s_mul_i32 s20, s31, 12
	s_add_u32 s0, s2, s0
	s_addc_u32 s1, s3, 0
	s_add_u32 s0, s0, 0xc4
	s_addc_u32 s1, s1, 0
	;; [unrolled: 2-line block ×3, first 2 shown]
	.p2align	6
.LBB152_708:                            ; =>This Inner Loop Header: Depth=1
	s_clause 0x1
	s_load_dwordx2 s[34:35], s[20:21], 0x4
	s_load_dword s31, s[20:21], 0xc
	s_load_dwordx2 s[36:37], s[0:1], 0x0
	s_add_u32 s20, s20, 12
	s_addc_u32 s21, s21, 0
	s_add_u32 s0, s0, 8
	s_addc_u32 s1, s1, 0
	s_add_i32 s33, s33, -1
	s_cmp_lg_u32 s33, 0
	s_waitcnt lgkmcnt(0)
	v_mul_hi_u32 v3, s35, v1
	v_add_nc_u32_e32 v3, v1, v3
	v_lshrrev_b32_e32 v4, s31, v3
	v_mul_lo_u32 v3, v4, s34
	v_sub_nc_u32_e32 v3, v1, v3
	v_mad_u64_u32 v[0:1], null, v3, s36, v[0:1]
	v_mad_u64_u32 v[2:3], null, v3, s37, v[2:3]
	v_mov_b32_e32 v1, v4
	s_cbranch_scc1 .LBB152_708
.LBB152_709:
	s_cbranch_execnz .LBB152_712
.LBB152_710:
	s_waitcnt lgkmcnt(0)
	v_mul_hi_u32 v0, s13, v7
	s_andn2_b32 vcc_lo, exec_lo, s26
	v_add_nc_u32_e32 v0, v7, v0
	v_lshrrev_b32_e32 v1, s14, v0
	v_mul_lo_u32 v0, v1, s12
	v_sub_nc_u32_e32 v2, v7, v0
	v_mul_lo_u32 v0, v2, s8
	v_mul_lo_u32 v2, v2, s9
	s_cbranch_vccnz .LBB152_712
; %bb.711:
	v_mul_hi_u32 v3, s16, v1
	v_add_nc_u32_e32 v3, v1, v3
	v_lshrrev_b32_e32 v3, s17, v3
	v_mul_lo_u32 v3, v3, s15
	v_sub_nc_u32_e32 v3, v1, v3
	v_mad_u64_u32 v[0:1], null, v3, s10, v[0:1]
	v_mad_u64_u32 v[2:3], null, v3, s11, v[2:3]
.LBB152_712:
	s_waitcnt lgkmcnt(0)
	global_load_ushort v1, v2, s[6:7]
	s_mov_b32 s1, exec_lo
                                        ; implicit-def: $vgpr4
	s_waitcnt vmcnt(0)
	v_cvt_f32_f16_e32 v2, v1
	v_and_b32_e32 v3, 0x7fffffff, v2
	v_cmpx_ngt_f32_e64 0x3c800000, |v2|
	s_xor_b32 s1, exec_lo, s1
	s_cbranch_execz .LBB152_742
; %bb.713:
	s_mov_b32 s20, exec_lo
                                        ; implicit-def: $vgpr4
	v_cmpx_nlt_f32_e64 |v2|, 2.0
	s_xor_b32 s20, exec_lo, s20
	s_cbranch_execz .LBB152_723
; %bb.714:
	v_cmp_ngt_f32_e64 s0, 0x41000000, |v2|
                                        ; implicit-def: $vgpr4
	s_and_saveexec_b32 s21, s0
	s_xor_b32 s0, exec_lo, s21
	s_cbranch_execz .LBB152_720
; %bb.715:
	v_cmp_ngt_f32_e64 s21, 0x5c800000, |v2|
                                        ; implicit-def: $vgpr4
	s_and_saveexec_b32 s31, s21
	s_xor_b32 s21, exec_lo, s31
	s_cbranch_execz .LBB152_717
; %bb.716:
	v_cmp_gt_f32_e64 s31, 0x800000, |v2|
	v_cndmask_b32_e64 v4, 0, 32, s31
	v_ldexp_f32 v4, |v2|, v4
	v_log_f32_e32 v4, v4
	v_mul_f32_e32 v5, 0x3f317217, v4
	v_cmp_gt_f32_e64 vcc_lo, 0x7f800000, |v4|
	v_fma_f32 v6, 0x3f317217, v4, -v5
	v_fmamk_f32 v6, v4, 0x3377d1cf, v6
	v_add_f32_e32 v5, v5, v6
	v_cndmask_b32_e32 v4, v4, v5, vcc_lo
	v_cndmask_b32_e64 v5, 0, 0x41b17218, s31
	v_sub_f32_e32 v4, v4, v5
	v_fma_f32 v4, |v2|, v4, -|v2|
.LBB152_717:
	s_andn2_saveexec_b32 s21, s21
	s_cbranch_execz .LBB152_719
; %bb.718:
	v_cmp_gt_f32_e64 s31, 0x800000, |v2|
	v_rcp_f32_e64 v5, |v2|
	s_mov_b32 s33, 0xbad5c4e8
	v_cndmask_b32_e64 v4, 0, 32, s31
	v_ldexp_f32 v4, |v2|, v4
	v_mul_f32_e32 v6, v5, v5
	v_log_f32_e32 v4, v4
	v_fmaak_f32 v9, s33, v6, 0x3a5b3dd2
	v_fmaak_f32 v9, v6, v9, 0xba1c065c
	v_mul_f32_e32 v8, 0x3f317217, v4
	v_fmaak_f32 v9, v6, v9, 0x3a500cfd
	v_cmp_gt_f32_e64 vcc_lo, 0x7f800000, |v4|
	v_fma_f32 v10, 0x3f317217, v4, -v8
	v_fmaak_f32 v9, v6, v9, 0xbb360b61
	v_fmamk_f32 v10, v4, 0x3377d1cf, v10
	v_fmaak_f32 v6, v6, v9, 0x3daaaaab
	v_add_f32_e32 v8, v8, v10
	v_cndmask_b32_e32 v4, v4, v8, vcc_lo
	v_cndmask_b32_e64 v8, 0, 0x41b17218, s31
	v_sub_f32_e32 v8, v4, v8
	v_fmaak_f32 v4, v5, v6, 0x3ed67f1d
	v_add_f32_e64 v5, |v2|, -0.5
	v_add_f32_e32 v6, -1.0, v8
	v_fmac_f32_e32 v4, v5, v6
.LBB152_719:
	s_or_b32 exec_lo, exec_lo, s21
.LBB152_720:
	s_andn2_saveexec_b32 s21, s0
	s_cbranch_execz .LBB152_722
; %bb.721:
	v_cvt_i32_f32_e32 v4, v3
	s_mov_b32 s0, 0x36f5d7bd
	s_mov_b32 s31, 0x3805ff67
	v_cvt_f32_i32_e32 v5, v4
	v_cmp_lt_i32_e32 vcc_lo, 2, v4
	v_sub_f32_e64 v5, |v2|, v5
	v_add_f32_e32 v6, 2.0, v5
	v_add_f32_e32 v8, 0x40400000, v5
	v_add_f32_e32 v9, 4.0, v5
	v_add_f32_e32 v10, 0x40a00000, v5
	v_cndmask_b32_e32 v6, 1.0, v6, vcc_lo
	v_cmp_lt_i32_e32 vcc_lo, 3, v4
	v_cndmask_b32_e32 v8, 1.0, v8, vcc_lo
	v_cmp_lt_i32_e32 vcc_lo, 4, v4
	v_mul_f32_e32 v6, v6, v8
	v_cndmask_b32_e32 v9, 1.0, v9, vcc_lo
	v_cmp_lt_i32_e32 vcc_lo, 5, v4
	v_add_f32_e32 v8, 0x40c00000, v5
	v_mul_f32_e32 v6, v9, v6
	v_cndmask_b32_e32 v10, 1.0, v10, vcc_lo
	v_cmp_lt_i32_e32 vcc_lo, 6, v4
	v_fmaak_f32 v9, s31, v5, 0x3af135b4
	v_mul_f32_e32 v6, v10, v6
	v_cndmask_b32_e32 v4, 1.0, v8, vcc_lo
	v_mul_f32_e32 v4, v4, v6
	v_fmaak_f32 v6, s0, v5, 0x3a4beed6
	v_cmp_gt_f32_e32 vcc_lo, 0x800000, v4
	v_fmaak_f32 v6, v5, v6, 0x3c98bf54
	v_cndmask_b32_e64 v8, 0, 32, vcc_lo
	v_fmaak_f32 v6, v5, v6, 0x3e300f6e
	v_ldexp_f32 v4, v4, v8
	v_fmaak_f32 v8, v5, v9, 0x3cda40e4
	v_fmaak_f32 v6, v5, v6, 0x3f38d0c5
	v_log_f32_e32 v4, v4
	v_fmaak_f32 v8, v5, v8, 0x3e15dce6
	v_fmaak_f32 v6, v5, v6, 0x3fb22d3b
	v_fmaak_f32 v8, v5, v8, 0x3ea6cc7a
	v_fma_f32 v6, v5, v6, 1.0
	v_mul_f32_e32 v9, 0x3f317217, v4
	v_fmaak_f32 v8, v5, v8, 0x3e5c245a
	v_rcp_f32_e32 v6, v6
	v_cmp_gt_f32_e64 s0, 0x7f800000, |v4|
	v_fma_f32 v10, 0x3f317217, v4, -v9
	v_fmaak_f32 v8, v5, v8, 0xbd9e233f
	v_fmamk_f32 v10, v4, 0x3377d1cf, v10
	v_mul_f32_e32 v8, v5, v8
	v_add_f32_e32 v9, v9, v10
	v_mul_f32_e32 v6, v8, v6
	v_cndmask_b32_e64 v8, 0, 0x41b17218, vcc_lo
	v_cndmask_b32_e64 v4, v4, v9, s0
	v_fmac_f32_e32 v6, 0.5, v5
	v_sub_f32_e32 v4, v4, v8
	v_add_f32_e32 v4, v4, v6
.LBB152_722:
	s_or_b32 exec_lo, exec_lo, s21
.LBB152_723:
	s_andn2_saveexec_b32 s20, s20
	s_cbranch_execz .LBB152_741
; %bb.724:
	s_mov_b32 s21, exec_lo
                                        ; implicit-def: $vgpr4
                                        ; implicit-def: $vgpr6
                                        ; implicit-def: $vgpr5
	v_cmpx_ge_f32_e64 0x3f666666, |v2|
	s_xor_b32 s21, exec_lo, s21
	s_cbranch_execz .LBB152_726
; %bb.725:
	v_cmp_gt_f32_e64 s0, 0x800000, |v2|
	v_sub_f32_e64 v8, 1.0, |v2|
	v_cmp_gt_f32_e64 vcc_lo, 0x3f3b4a23, |v2|
	v_cndmask_b32_e64 v4, 0, 32, s0
	v_cndmask_b32_e64 v9, 0, 0x41b17218, s0
	v_ldexp_f32 v4, |v2|, v4
	v_log_f32_e32 v4, v4
	v_mul_f32_e32 v5, 0x3f317217, v4
	v_cmp_gt_f32_e64 s0, 0x7f800000, |v4|
	v_fma_f32 v6, 0x3f317217, v4, -v5
	v_fmamk_f32 v6, v4, 0x3377d1cf, v6
	v_add_f32_e32 v5, v5, v6
	v_add_f32_e64 v6, 0xbeec5b0c, |v2|
	v_cndmask_b32_e64 v4, v4, v5, s0
	v_cndmask_b32_e32 v5, v8, v6, vcc_lo
	v_cndmask_b32_e64 v6, 0, 1, vcc_lo
	v_cmp_gt_f32_e64 s0, 0x3e6d3309, |v2|
	v_sub_f32_e32 v4, v4, v9
	v_cndmask_b32_e64 v5, v5, |v2|, s0
	v_cndmask_b32_e64 v6, v6, 2, s0
	v_xor_b32_e32 v4, 0x80000000, v4
.LBB152_726:
	s_andn2_saveexec_b32 s0, s21
	s_cbranch_execz .LBB152_728
; %bb.727:
	v_sub_f32_e64 v4, 2.0, |v2|
	v_add_f32_e64 v5, 0xbfbb16c3, |v2|
	v_cmp_gt_f32_e64 vcc_lo, 0x3fdda512, |v2|
	v_add_f32_e64 v6, |v2|, -1.0
	v_cndmask_b32_e32 v5, v4, v5, vcc_lo
	v_cndmask_b32_e64 v4, v4, 1.0, vcc_lo
	v_cmp_gt_f32_e64 vcc_lo, 0x3f9d70a4, |v2|
	v_cvt_i32_f32_e32 v4, v4
	v_cndmask_b32_e32 v5, v5, v6, vcc_lo
	v_cndmask_b32_e64 v6, v4, 2, vcc_lo
	v_mov_b32_e32 v4, 0
.LBB152_728:
	s_or_b32 exec_lo, exec_lo, s0
	s_mov_b32 s0, exec_lo
	v_cmpx_lt_i32_e32 0, v6
	s_xor_b32 s0, exec_lo, s0
	s_cbranch_execz .LBB152_736
; %bb.729:
	s_mov_b32 s21, exec_lo
	v_cmpx_lt_i32_e32 1, v6
	s_xor_b32 s21, exec_lo, s21
	s_cbranch_execz .LBB152_733
; %bb.730:
	s_mov_b32 s31, exec_lo
	v_cmpx_eq_u32_e32 2, v6
	s_cbranch_execz .LBB152_732
; %bb.731:
	s_mov_b32 s33, 0x3b52d5db
	v_fmaak_f32 v6, s33, v5, 0x3dd572af
	s_mov_b32 s33, 0x3c5b3c5e
	v_fmaak_f32 v8, s33, v5, 0x3e6a7578
	v_fmaak_f32 v6, v5, v6, 0x3f44efdf
	;; [unrolled: 1-line block ×7, first 2 shown]
	v_fma_f32 v6, v5, v6, 1.0
	v_fmaak_f32 v8, v5, v8, 0xbd9e233f
	v_rcp_f32_e32 v6, v6
	v_mul_f32_e32 v8, v5, v8
	v_mul_f32_e32 v6, v8, v6
	v_fmac_f32_e32 v6, -0.5, v5
	v_add_f32_e32 v4, v4, v6
.LBB152_732:
	s_or_b32 exec_lo, exec_lo, s31
                                        ; implicit-def: $vgpr5
.LBB152_733:
	s_andn2_saveexec_b32 s21, s21
	s_cbranch_execz .LBB152_735
; %bb.734:
	v_mul_f32_e32 v6, v5, v5
	s_mov_b32 s31, 0xb9a3f927
	s_mov_b32 s33, 0x39afe9f7
	v_mul_f32_e32 v8, v5, v6
	v_fmaak_f32 v9, s31, v8, 0x3a66f867
	v_fmaak_f32 v10, s33, v8, 0xba0d3085
	s_mov_b32 s31, 0x39a57b6b
	v_fmaak_f32 v11, s31, v8, 0xbab7f476
	v_fmaak_f32 v9, v8, v9, 0xbb7177fe
	v_fmaak_f32 v10, v8, v10, 0x3b141699
	v_fmaak_f32 v11, v8, v11, 0x3bc7e707
	v_fmaak_f32 v9, v8, v9, 0x3c93373d
	v_fmaak_f32 v10, v8, v10, 0xbc28fcfe
	v_fmaak_f32 v11, v8, v11, 0xbd064d47
	v_fmaak_f32 v9, v8, v9, 0xbe17213c
	v_fmaak_f32 v10, v8, v10, 0x3d845a15
	v_fmac_f32_e32 v9, v5, v10
	v_fmaak_f32 v5, v8, v11, 0x3ef7b95e
	v_fma_f32 v8, v8, -v9, 0xa2863e55
	v_fma_f32 v5, v6, v5, -v8
	v_add_f32_e32 v5, 0xbdf8cdce, v5
	v_add_f32_e32 v4, v4, v5
.LBB152_735:
	s_or_b32 exec_lo, exec_lo, s21
                                        ; implicit-def: $vgpr6
                                        ; implicit-def: $vgpr5
.LBB152_736:
	s_andn2_saveexec_b32 s0, s0
	s_cbranch_execz .LBB152_740
; %bb.737:
	s_mov_b32 s21, exec_lo
	v_cmpx_eq_u32_e32 0, v6
	s_cbranch_execz .LBB152_739
; %bb.738:
	v_mul_f32_e32 v6, v5, v5
	s_mov_b32 s31, 0x383c2c75
	v_fmaak_f32 v8, s31, v6, 0x38e28445
	s_mov_b32 s31, 0x37d383a2
	v_fmaak_f32 v9, s31, v6, 0x39679767
	v_fmaak_f32 v8, v6, v8, 0x3a05b634
	;; [unrolled: 1-line block ×9, first 2 shown]
	v_mul_f32_e32 v6, v6, v8
	v_fmac_f32_e32 v6, v5, v9
	v_fmac_f32_e32 v6, -0.5, v5
	v_add_f32_e32 v4, v4, v6
.LBB152_739:
	s_or_b32 exec_lo, exec_lo, s21
.LBB152_740:
	s_or_b32 exec_lo, exec_lo, s0
.LBB152_741:
	s_or_b32 exec_lo, exec_lo, s20
.LBB152_742:
	s_andn2_saveexec_b32 s0, s1
	s_cbranch_execz .LBB152_744
; %bb.743:
	v_cmp_gt_f32_e64 s1, 0x800000, |v2|
	s_mov_b32 s20, 0x3e8a8991
	v_fma_f32 v8, |v2|, s20, 0xbecd26ab
	v_cndmask_b32_e64 v4, 0, 32, s1
	v_ldexp_f32 v4, |v2|, v4
	v_log_f32_e32 v4, v4
	v_mul_f32_e32 v5, 0x3f317217, v4
	v_cmp_gt_f32_e64 vcc_lo, 0x7f800000, |v4|
	v_fma_f32 v6, 0x3f317217, v4, -v5
	v_fmamk_f32 v6, v4, 0x3377d1cf, v6
	v_add_f32_e32 v5, v5, v6
	v_fma_f32 v6, |v2|, v8, 0x3f528d33
	v_cndmask_b32_e32 v4, v4, v5, vcc_lo
	v_cndmask_b32_e64 v5, 0, 0x41b17218, s1
	v_fma_f32 v6, |v2|, v6, 0xbf13c468
	v_sub_f32_e32 v4, v4, v5
	v_fma_f32 v4, |v2|, v6, -v4
.LBB152_744:
	s_or_b32 exec_lo, exec_lo, s0
	v_cmp_le_f16_e32 vcc_lo, 0, v1
	s_mov_b32 s1, exec_lo
	v_cmpx_nle_f16_e32 0, v1
	s_xor_b32 s20, exec_lo, s1
	s_cbranch_execz .LBB152_748
; %bb.745:
	v_cmp_gt_f32_e64 s0, 0x4b000000, |v2|
	v_cmp_lt_f32_e64 s1, 0x35000000, |v2|
	s_and_b32 s0, s0, s1
	s_and_saveexec_b32 s21, s0
	s_cbranch_execz .LBB152_747
; %bb.746:
	v_mul_f32_e64 v5, |v2|, 0.5
	s_mov_b32 s1, 0x3d4be544
	v_xor_b32_e32 v3, v3, v2
	v_floor_f32_e32 v6, v5
	v_cmp_neq_f32_e64 s0, 0x7f800000, v5
	v_sub_f32_e32 v6, v5, v6
	v_min_f32_e32 v6, 0x3f7fffff, v6
	v_add_f32_e32 v6, v6, v6
	v_cndmask_b32_e64 v5, 0, v6, s0
	v_cmp_gt_f32_e64 s0, |v2|, 1.0
	v_cndmask_b32_e64 v5, |v2|, v5, s0
	s_mov_b32 s0, 0x3e75aa41
	v_add_f32_e32 v6, v5, v5
	v_rndne_f32_e32 v6, v6
	v_fmac_f32_e32 v5, -0.5, v6
	v_cvt_i32_f32_e32 v6, v6
	v_mul_f32_e32 v8, v5, v5
	v_fmaak_f32 v9, s0, v8, 0xbf1f24be
	v_fmaak_f32 v10, s1, v8, 0x3e642e9d
	v_mul_f32_e32 v11, v5, v8
	v_fmaak_f32 v9, v8, v9, 0x40234736
	v_fmaak_f32 v10, v8, v10, 0xbfaad1da
	;; [unrolled: 1-line block ×4, first 2 shown]
	v_mul_f32_e32 v9, v11, v9
	v_fmaak_f32 v10, v8, v10, 0xc09de9e6
	v_and_b32_e32 v11, 1, v6
	v_lshlrev_b32_e32 v6, 30, v6
	v_fmamk_f32 v5, v5, 0x40490fdb, v9
	v_fma_f32 v8, v8, v10, 1.0
	v_cmp_eq_u32_e64 s0, 0, v11
	v_and_b32_e32 v6, 0x80000000, v6
	v_cndmask_b32_e64 v5, v8, v5, s0
	v_xor3_b32 v3, v3, v6, v5
	v_mul_f32_e32 v3, v2, v3
	v_frexp_mant_f32_e64 v5, |v3|
	v_frexp_exp_i32_f32_e32 v3, v3
	v_rcp_f32_e32 v5, v5
	v_sub_nc_u32_e32 v3, 2, v3
	v_mul_f32_e32 v5, 0x3f490fdb, v5
	v_ldexp_f32 v3, v5, v3
	v_cmp_gt_f32_e64 s0, 0x800000, v3
	v_cndmask_b32_e64 v5, 0, 32, s0
	v_ldexp_f32 v3, v3, v5
	v_log_f32_e32 v3, v3
	v_mul_f32_e32 v5, 0x3f317217, v3
	v_cmp_gt_f32_e64 s1, 0x7f800000, |v3|
	v_fma_f32 v6, 0x3f317217, v3, -v5
	v_fmamk_f32 v6, v3, 0x3377d1cf, v6
	v_add_f32_e32 v5, v5, v6
	v_floor_f32_e32 v6, v2
	v_cndmask_b32_e64 v3, v3, v5, s1
	v_cndmask_b32_e64 v5, 0, 0x41b17218, s0
	v_sub_f32_e32 v6, v2, v6
	v_sub_f32_e32 v3, v3, v5
	v_min_f32_e32 v5, 0x3f7fffff, v6
	v_sub_f32_e32 v3, v3, v4
	v_cmp_neq_f32_e64 s0, 0, v5
	v_cndmask_b32_e64 v4, 0x7f800000, v3, s0
.LBB152_747:
	s_or_b32 exec_lo, exec_lo, s21
.LBB152_748:
	s_andn2_saveexec_b32 s20, s20
; %bb.749:
	v_cmp_eq_f16_e64 s0, 1.0, v1
	v_cmp_eq_f16_e64 s1, 2.0, v1
	s_or_b32 s0, s0, s1
	v_cndmask_b32_e64 v4, v4, 0, s0
; %bb.750:
	s_or_b32 exec_lo, exec_lo, s20
	v_cmp_gt_f32_e64 s0, 0x4b000000, |v2|
	v_cvt_f16_f32_e32 v3, v4
	v_add_nc_u32_e32 v7, 0x80, v7
	s_or_b32 vcc_lo, vcc_lo, s0
	v_cmp_class_f32_e64 s0, v2, 0x264
	v_cndmask_b32_e32 v3, 0x7c00, v3, vcc_lo
	v_cmp_u_f16_e32 vcc_lo, v1, v1
	v_cndmask_b32_e64 v2, v3, 0x7c00, s0
	v_cndmask_b32_e32 v1, v2, v1, vcc_lo
	global_store_short v0, v1, s[4:5]
	s_or_b32 exec_lo, exec_lo, s30
	s_mov_b32 s30, exec_lo
	v_cmpx_gt_i32_e64 s27, v7
	s_cbranch_execnz .LBB152_698
.LBB152_751:
	s_or_b32 exec_lo, exec_lo, s30
	s_mov_b32 s20, exec_lo
	v_cmpx_gt_i32_e64 s27, v7
	s_cbranch_execnz .LBB152_800
.LBB152_752:
	s_or_b32 exec_lo, exec_lo, s20
                                        ; implicit-def: $vgpr25
                                        ; implicit-def: $vgpr7
	s_andn2_saveexec_b32 s0, s25
	s_cbranch_execnz .LBB152_8
.LBB152_753:
	s_endpgm
.LBB152_754:
	v_mov_b32_e32 v0, 0
	v_mov_b32_e32 v2, 0
	;; [unrolled: 1-line block ×3, first 2 shown]
	s_mov_b32 s31, 0
.LBB152_755:
	s_and_b32 s33, s33, 3
	s_cmp_eq_u32 s33, 0
	s_cbranch_scc1 .LBB152_758
; %bb.756:
	s_lshl_b32 s0, s31, 3
	s_mul_i32 s20, s31, 12
	s_add_u32 s0, s2, s0
	s_addc_u32 s1, s3, 0
	s_add_u32 s0, s0, 0xc4
	s_addc_u32 s1, s1, 0
	s_add_u32 s20, s2, s20
	s_addc_u32 s21, s3, 0
	.p2align	6
.LBB152_757:                            ; =>This Inner Loop Header: Depth=1
	s_clause 0x1
	s_load_dwordx2 s[34:35], s[20:21], 0x4
	s_load_dword s31, s[20:21], 0xc
	s_load_dwordx2 s[36:37], s[0:1], 0x0
	s_add_u32 s20, s20, 12
	s_addc_u32 s21, s21, 0
	s_add_u32 s0, s0, 8
	s_addc_u32 s1, s1, 0
	s_add_i32 s33, s33, -1
	s_cmp_lg_u32 s33, 0
	s_waitcnt lgkmcnt(0)
	v_mul_hi_u32 v3, s35, v1
	v_add_nc_u32_e32 v3, v1, v3
	v_lshrrev_b32_e32 v4, s31, v3
	v_mul_lo_u32 v3, v4, s34
	v_sub_nc_u32_e32 v3, v1, v3
	v_mad_u64_u32 v[0:1], null, v3, s36, v[0:1]
	v_mad_u64_u32 v[2:3], null, v3, s37, v[2:3]
	v_mov_b32_e32 v1, v4
	s_cbranch_scc1 .LBB152_757
.LBB152_758:
	s_cbranch_execnz .LBB152_761
.LBB152_759:
	s_waitcnt lgkmcnt(0)
	v_mul_hi_u32 v0, s13, v7
	s_andn2_b32 vcc_lo, exec_lo, s26
	v_add_nc_u32_e32 v0, v7, v0
	v_lshrrev_b32_e32 v1, s14, v0
	v_mul_lo_u32 v0, v1, s12
	v_sub_nc_u32_e32 v2, v7, v0
	v_mul_lo_u32 v0, v2, s8
	v_mul_lo_u32 v2, v2, s9
	s_cbranch_vccnz .LBB152_761
; %bb.760:
	v_mul_hi_u32 v3, s16, v1
	v_add_nc_u32_e32 v3, v1, v3
	v_lshrrev_b32_e32 v3, s17, v3
	v_mul_lo_u32 v3, v3, s15
	v_sub_nc_u32_e32 v3, v1, v3
	v_mad_u64_u32 v[0:1], null, v3, s10, v[0:1]
	v_mad_u64_u32 v[2:3], null, v3, s11, v[2:3]
.LBB152_761:
	s_waitcnt lgkmcnt(0)
	global_load_ushort v1, v2, s[6:7]
	s_mov_b32 s1, exec_lo
                                        ; implicit-def: $vgpr4
	s_waitcnt vmcnt(0)
	v_cvt_f32_f16_e32 v2, v1
	v_and_b32_e32 v3, 0x7fffffff, v2
	v_cmpx_ngt_f32_e64 0x3c800000, |v2|
	s_xor_b32 s1, exec_lo, s1
	s_cbranch_execz .LBB152_791
; %bb.762:
	s_mov_b32 s20, exec_lo
                                        ; implicit-def: $vgpr4
	v_cmpx_nlt_f32_e64 |v2|, 2.0
	s_xor_b32 s20, exec_lo, s20
	s_cbranch_execz .LBB152_772
; %bb.763:
	v_cmp_ngt_f32_e64 s0, 0x41000000, |v2|
                                        ; implicit-def: $vgpr4
	s_and_saveexec_b32 s21, s0
	s_xor_b32 s0, exec_lo, s21
	s_cbranch_execz .LBB152_769
; %bb.764:
	v_cmp_ngt_f32_e64 s21, 0x5c800000, |v2|
                                        ; implicit-def: $vgpr4
	s_and_saveexec_b32 s31, s21
	s_xor_b32 s21, exec_lo, s31
	s_cbranch_execz .LBB152_766
; %bb.765:
	v_cmp_gt_f32_e64 s31, 0x800000, |v2|
	v_cndmask_b32_e64 v4, 0, 32, s31
	v_ldexp_f32 v4, |v2|, v4
	v_log_f32_e32 v4, v4
	v_mul_f32_e32 v5, 0x3f317217, v4
	v_cmp_gt_f32_e64 vcc_lo, 0x7f800000, |v4|
	v_fma_f32 v6, 0x3f317217, v4, -v5
	v_fmamk_f32 v6, v4, 0x3377d1cf, v6
	v_add_f32_e32 v5, v5, v6
	v_cndmask_b32_e32 v4, v4, v5, vcc_lo
	v_cndmask_b32_e64 v5, 0, 0x41b17218, s31
	v_sub_f32_e32 v4, v4, v5
	v_fma_f32 v4, |v2|, v4, -|v2|
.LBB152_766:
	s_andn2_saveexec_b32 s21, s21
	s_cbranch_execz .LBB152_768
; %bb.767:
	v_cmp_gt_f32_e64 s31, 0x800000, |v2|
	v_rcp_f32_e64 v5, |v2|
	s_mov_b32 s33, 0xbad5c4e8
	v_cndmask_b32_e64 v4, 0, 32, s31
	v_ldexp_f32 v4, |v2|, v4
	v_mul_f32_e32 v6, v5, v5
	v_log_f32_e32 v4, v4
	v_fmaak_f32 v9, s33, v6, 0x3a5b3dd2
	v_fmaak_f32 v9, v6, v9, 0xba1c065c
	v_mul_f32_e32 v8, 0x3f317217, v4
	v_fmaak_f32 v9, v6, v9, 0x3a500cfd
	v_cmp_gt_f32_e64 vcc_lo, 0x7f800000, |v4|
	v_fma_f32 v10, 0x3f317217, v4, -v8
	v_fmaak_f32 v9, v6, v9, 0xbb360b61
	v_fmamk_f32 v10, v4, 0x3377d1cf, v10
	v_fmaak_f32 v6, v6, v9, 0x3daaaaab
	v_add_f32_e32 v8, v8, v10
	v_cndmask_b32_e32 v4, v4, v8, vcc_lo
	v_cndmask_b32_e64 v8, 0, 0x41b17218, s31
	v_sub_f32_e32 v8, v4, v8
	v_fmaak_f32 v4, v5, v6, 0x3ed67f1d
	v_add_f32_e64 v5, |v2|, -0.5
	v_add_f32_e32 v6, -1.0, v8
	v_fmac_f32_e32 v4, v5, v6
.LBB152_768:
	s_or_b32 exec_lo, exec_lo, s21
.LBB152_769:
	s_andn2_saveexec_b32 s21, s0
	s_cbranch_execz .LBB152_771
; %bb.770:
	v_cvt_i32_f32_e32 v4, v3
	s_mov_b32 s0, 0x36f5d7bd
	s_mov_b32 s31, 0x3805ff67
	v_cvt_f32_i32_e32 v5, v4
	v_cmp_lt_i32_e32 vcc_lo, 2, v4
	v_sub_f32_e64 v5, |v2|, v5
	v_add_f32_e32 v6, 2.0, v5
	v_add_f32_e32 v8, 0x40400000, v5
	v_add_f32_e32 v9, 4.0, v5
	v_add_f32_e32 v10, 0x40a00000, v5
	v_cndmask_b32_e32 v6, 1.0, v6, vcc_lo
	v_cmp_lt_i32_e32 vcc_lo, 3, v4
	v_cndmask_b32_e32 v8, 1.0, v8, vcc_lo
	v_cmp_lt_i32_e32 vcc_lo, 4, v4
	v_mul_f32_e32 v6, v6, v8
	v_cndmask_b32_e32 v9, 1.0, v9, vcc_lo
	v_cmp_lt_i32_e32 vcc_lo, 5, v4
	v_add_f32_e32 v8, 0x40c00000, v5
	v_mul_f32_e32 v6, v9, v6
	v_cndmask_b32_e32 v10, 1.0, v10, vcc_lo
	v_cmp_lt_i32_e32 vcc_lo, 6, v4
	v_fmaak_f32 v9, s31, v5, 0x3af135b4
	v_mul_f32_e32 v6, v10, v6
	v_cndmask_b32_e32 v4, 1.0, v8, vcc_lo
	v_mul_f32_e32 v4, v4, v6
	v_fmaak_f32 v6, s0, v5, 0x3a4beed6
	v_cmp_gt_f32_e32 vcc_lo, 0x800000, v4
	v_fmaak_f32 v6, v5, v6, 0x3c98bf54
	v_cndmask_b32_e64 v8, 0, 32, vcc_lo
	v_fmaak_f32 v6, v5, v6, 0x3e300f6e
	v_ldexp_f32 v4, v4, v8
	v_fmaak_f32 v8, v5, v9, 0x3cda40e4
	v_fmaak_f32 v6, v5, v6, 0x3f38d0c5
	v_log_f32_e32 v4, v4
	v_fmaak_f32 v8, v5, v8, 0x3e15dce6
	v_fmaak_f32 v6, v5, v6, 0x3fb22d3b
	;; [unrolled: 1-line block ×3, first 2 shown]
	v_fma_f32 v6, v5, v6, 1.0
	v_mul_f32_e32 v9, 0x3f317217, v4
	v_fmaak_f32 v8, v5, v8, 0x3e5c245a
	v_rcp_f32_e32 v6, v6
	v_cmp_gt_f32_e64 s0, 0x7f800000, |v4|
	v_fma_f32 v10, 0x3f317217, v4, -v9
	v_fmaak_f32 v8, v5, v8, 0xbd9e233f
	v_fmamk_f32 v10, v4, 0x3377d1cf, v10
	v_mul_f32_e32 v8, v5, v8
	v_add_f32_e32 v9, v9, v10
	v_mul_f32_e32 v6, v8, v6
	v_cndmask_b32_e64 v8, 0, 0x41b17218, vcc_lo
	v_cndmask_b32_e64 v4, v4, v9, s0
	v_fmac_f32_e32 v6, 0.5, v5
	v_sub_f32_e32 v4, v4, v8
	v_add_f32_e32 v4, v4, v6
.LBB152_771:
	s_or_b32 exec_lo, exec_lo, s21
.LBB152_772:
	s_andn2_saveexec_b32 s20, s20
	s_cbranch_execz .LBB152_790
; %bb.773:
	s_mov_b32 s21, exec_lo
                                        ; implicit-def: $vgpr4
                                        ; implicit-def: $vgpr6
                                        ; implicit-def: $vgpr5
	v_cmpx_ge_f32_e64 0x3f666666, |v2|
	s_xor_b32 s21, exec_lo, s21
	s_cbranch_execz .LBB152_775
; %bb.774:
	v_cmp_gt_f32_e64 s0, 0x800000, |v2|
	v_sub_f32_e64 v8, 1.0, |v2|
	v_cmp_gt_f32_e64 vcc_lo, 0x3f3b4a23, |v2|
	v_cndmask_b32_e64 v4, 0, 32, s0
	v_cndmask_b32_e64 v9, 0, 0x41b17218, s0
	v_ldexp_f32 v4, |v2|, v4
	v_log_f32_e32 v4, v4
	v_mul_f32_e32 v5, 0x3f317217, v4
	v_cmp_gt_f32_e64 s0, 0x7f800000, |v4|
	v_fma_f32 v6, 0x3f317217, v4, -v5
	v_fmamk_f32 v6, v4, 0x3377d1cf, v6
	v_add_f32_e32 v5, v5, v6
	v_add_f32_e64 v6, 0xbeec5b0c, |v2|
	v_cndmask_b32_e64 v4, v4, v5, s0
	v_cndmask_b32_e32 v5, v8, v6, vcc_lo
	v_cndmask_b32_e64 v6, 0, 1, vcc_lo
	v_cmp_gt_f32_e64 s0, 0x3e6d3309, |v2|
	v_sub_f32_e32 v4, v4, v9
	v_cndmask_b32_e64 v5, v5, |v2|, s0
	v_cndmask_b32_e64 v6, v6, 2, s0
	v_xor_b32_e32 v4, 0x80000000, v4
.LBB152_775:
	s_andn2_saveexec_b32 s0, s21
	s_cbranch_execz .LBB152_777
; %bb.776:
	v_sub_f32_e64 v4, 2.0, |v2|
	v_add_f32_e64 v5, 0xbfbb16c3, |v2|
	v_cmp_gt_f32_e64 vcc_lo, 0x3fdda512, |v2|
	v_add_f32_e64 v6, |v2|, -1.0
	v_cndmask_b32_e32 v5, v4, v5, vcc_lo
	v_cndmask_b32_e64 v4, v4, 1.0, vcc_lo
	v_cmp_gt_f32_e64 vcc_lo, 0x3f9d70a4, |v2|
	v_cvt_i32_f32_e32 v4, v4
	v_cndmask_b32_e32 v5, v5, v6, vcc_lo
	v_cndmask_b32_e64 v6, v4, 2, vcc_lo
	v_mov_b32_e32 v4, 0
.LBB152_777:
	s_or_b32 exec_lo, exec_lo, s0
	s_mov_b32 s0, exec_lo
	v_cmpx_lt_i32_e32 0, v6
	s_xor_b32 s0, exec_lo, s0
	s_cbranch_execz .LBB152_785
; %bb.778:
	s_mov_b32 s21, exec_lo
	v_cmpx_lt_i32_e32 1, v6
	s_xor_b32 s21, exec_lo, s21
	s_cbranch_execz .LBB152_782
; %bb.779:
	s_mov_b32 s31, exec_lo
	v_cmpx_eq_u32_e32 2, v6
	s_cbranch_execz .LBB152_781
; %bb.780:
	s_mov_b32 s33, 0x3b52d5db
	v_fmaak_f32 v6, s33, v5, 0x3dd572af
	s_mov_b32 s33, 0x3c5b3c5e
	v_fmaak_f32 v8, s33, v5, 0x3e6a7578
	v_fmaak_f32 v6, v5, v6, 0x3f44efdf
	;; [unrolled: 1-line block ×7, first 2 shown]
	v_fma_f32 v6, v5, v6, 1.0
	v_fmaak_f32 v8, v5, v8, 0xbd9e233f
	v_rcp_f32_e32 v6, v6
	v_mul_f32_e32 v8, v5, v8
	v_mul_f32_e32 v6, v8, v6
	v_fmac_f32_e32 v6, -0.5, v5
	v_add_f32_e32 v4, v4, v6
.LBB152_781:
	s_or_b32 exec_lo, exec_lo, s31
                                        ; implicit-def: $vgpr5
.LBB152_782:
	s_andn2_saveexec_b32 s21, s21
	s_cbranch_execz .LBB152_784
; %bb.783:
	v_mul_f32_e32 v6, v5, v5
	s_mov_b32 s31, 0xb9a3f927
	s_mov_b32 s33, 0x39afe9f7
	v_mul_f32_e32 v8, v5, v6
	v_fmaak_f32 v9, s31, v8, 0x3a66f867
	v_fmaak_f32 v10, s33, v8, 0xba0d3085
	s_mov_b32 s31, 0x39a57b6b
	v_fmaak_f32 v11, s31, v8, 0xbab7f476
	v_fmaak_f32 v9, v8, v9, 0xbb7177fe
	;; [unrolled: 1-line block ×9, first 2 shown]
	v_fmac_f32_e32 v9, v5, v10
	v_fmaak_f32 v5, v8, v11, 0x3ef7b95e
	v_fma_f32 v8, v8, -v9, 0xa2863e55
	v_fma_f32 v5, v6, v5, -v8
	v_add_f32_e32 v5, 0xbdf8cdce, v5
	v_add_f32_e32 v4, v4, v5
.LBB152_784:
	s_or_b32 exec_lo, exec_lo, s21
                                        ; implicit-def: $vgpr6
                                        ; implicit-def: $vgpr5
.LBB152_785:
	s_andn2_saveexec_b32 s0, s0
	s_cbranch_execz .LBB152_789
; %bb.786:
	s_mov_b32 s21, exec_lo
	v_cmpx_eq_u32_e32 0, v6
	s_cbranch_execz .LBB152_788
; %bb.787:
	v_mul_f32_e32 v6, v5, v5
	s_mov_b32 s31, 0x383c2c75
	v_fmaak_f32 v8, s31, v6, 0x38e28445
	s_mov_b32 s31, 0x37d383a2
	v_fmaak_f32 v9, s31, v6, 0x39679767
	v_fmaak_f32 v8, v6, v8, 0x3a05b634
	;; [unrolled: 1-line block ×9, first 2 shown]
	v_mul_f32_e32 v6, v6, v8
	v_fmac_f32_e32 v6, v5, v9
	v_fmac_f32_e32 v6, -0.5, v5
	v_add_f32_e32 v4, v4, v6
.LBB152_788:
	s_or_b32 exec_lo, exec_lo, s21
.LBB152_789:
	s_or_b32 exec_lo, exec_lo, s0
.LBB152_790:
	s_or_b32 exec_lo, exec_lo, s20
.LBB152_791:
	s_andn2_saveexec_b32 s0, s1
	s_cbranch_execz .LBB152_793
; %bb.792:
	v_cmp_gt_f32_e64 s1, 0x800000, |v2|
	s_mov_b32 s20, 0x3e8a8991
	v_fma_f32 v8, |v2|, s20, 0xbecd26ab
	v_cndmask_b32_e64 v4, 0, 32, s1
	v_ldexp_f32 v4, |v2|, v4
	v_log_f32_e32 v4, v4
	v_mul_f32_e32 v5, 0x3f317217, v4
	v_cmp_gt_f32_e64 vcc_lo, 0x7f800000, |v4|
	v_fma_f32 v6, 0x3f317217, v4, -v5
	v_fmamk_f32 v6, v4, 0x3377d1cf, v6
	v_add_f32_e32 v5, v5, v6
	v_fma_f32 v6, |v2|, v8, 0x3f528d33
	v_cndmask_b32_e32 v4, v4, v5, vcc_lo
	v_cndmask_b32_e64 v5, 0, 0x41b17218, s1
	v_fma_f32 v6, |v2|, v6, 0xbf13c468
	v_sub_f32_e32 v4, v4, v5
	v_fma_f32 v4, |v2|, v6, -v4
.LBB152_793:
	s_or_b32 exec_lo, exec_lo, s0
	v_cmp_le_f16_e32 vcc_lo, 0, v1
	s_mov_b32 s1, exec_lo
	v_cmpx_nle_f16_e32 0, v1
	s_xor_b32 s20, exec_lo, s1
	s_cbranch_execz .LBB152_797
; %bb.794:
	v_cmp_gt_f32_e64 s0, 0x4b000000, |v2|
	v_cmp_lt_f32_e64 s1, 0x35000000, |v2|
	s_and_b32 s0, s0, s1
	s_and_saveexec_b32 s21, s0
	s_cbranch_execz .LBB152_796
; %bb.795:
	v_mul_f32_e64 v5, |v2|, 0.5
	s_mov_b32 s1, 0x3d4be544
	v_xor_b32_e32 v3, v3, v2
	v_floor_f32_e32 v6, v5
	v_cmp_neq_f32_e64 s0, 0x7f800000, v5
	v_sub_f32_e32 v6, v5, v6
	v_min_f32_e32 v6, 0x3f7fffff, v6
	v_add_f32_e32 v6, v6, v6
	v_cndmask_b32_e64 v5, 0, v6, s0
	v_cmp_gt_f32_e64 s0, |v2|, 1.0
	v_cndmask_b32_e64 v5, |v2|, v5, s0
	s_mov_b32 s0, 0x3e75aa41
	v_add_f32_e32 v6, v5, v5
	v_rndne_f32_e32 v6, v6
	v_fmac_f32_e32 v5, -0.5, v6
	v_cvt_i32_f32_e32 v6, v6
	v_mul_f32_e32 v8, v5, v5
	v_fmaak_f32 v9, s0, v8, 0xbf1f24be
	v_fmaak_f32 v10, s1, v8, 0x3e642e9d
	v_mul_f32_e32 v11, v5, v8
	v_fmaak_f32 v9, v8, v9, 0x40234736
	v_fmaak_f32 v10, v8, v10, 0xbfaad1da
	v_fmaak_f32 v9, v8, v9, 0xc0a55e0e
	v_fmaak_f32 v10, v8, v10, 0x4081e0d3
	v_mul_f32_e32 v9, v11, v9
	v_fmaak_f32 v10, v8, v10, 0xc09de9e6
	v_and_b32_e32 v11, 1, v6
	v_lshlrev_b32_e32 v6, 30, v6
	v_fmamk_f32 v5, v5, 0x40490fdb, v9
	v_fma_f32 v8, v8, v10, 1.0
	v_cmp_eq_u32_e64 s0, 0, v11
	v_and_b32_e32 v6, 0x80000000, v6
	v_cndmask_b32_e64 v5, v8, v5, s0
	v_xor3_b32 v3, v3, v6, v5
	v_mul_f32_e32 v3, v2, v3
	v_frexp_mant_f32_e64 v5, |v3|
	v_frexp_exp_i32_f32_e32 v3, v3
	v_rcp_f32_e32 v5, v5
	v_sub_nc_u32_e32 v3, 2, v3
	v_mul_f32_e32 v5, 0x3f490fdb, v5
	v_ldexp_f32 v3, v5, v3
	v_cmp_gt_f32_e64 s0, 0x800000, v3
	v_cndmask_b32_e64 v5, 0, 32, s0
	v_ldexp_f32 v3, v3, v5
	v_log_f32_e32 v3, v3
	v_mul_f32_e32 v5, 0x3f317217, v3
	v_cmp_gt_f32_e64 s1, 0x7f800000, |v3|
	v_fma_f32 v6, 0x3f317217, v3, -v5
	v_fmamk_f32 v6, v3, 0x3377d1cf, v6
	v_add_f32_e32 v5, v5, v6
	v_floor_f32_e32 v6, v2
	v_cndmask_b32_e64 v3, v3, v5, s1
	v_cndmask_b32_e64 v5, 0, 0x41b17218, s0
	v_sub_f32_e32 v6, v2, v6
	v_sub_f32_e32 v3, v3, v5
	v_min_f32_e32 v5, 0x3f7fffff, v6
	v_sub_f32_e32 v3, v3, v4
	v_cmp_neq_f32_e64 s0, 0, v5
	v_cndmask_b32_e64 v4, 0x7f800000, v3, s0
.LBB152_796:
	s_or_b32 exec_lo, exec_lo, s21
.LBB152_797:
	s_andn2_saveexec_b32 s20, s20
; %bb.798:
	v_cmp_eq_f16_e64 s0, 1.0, v1
	v_cmp_eq_f16_e64 s1, 2.0, v1
	s_or_b32 s0, s0, s1
	v_cndmask_b32_e64 v4, v4, 0, s0
; %bb.799:
	s_or_b32 exec_lo, exec_lo, s20
	v_cmp_gt_f32_e64 s0, 0x4b000000, |v2|
	v_cvt_f16_f32_e32 v3, v4
	v_add_nc_u32_e32 v7, 0x80, v7
	s_or_b32 vcc_lo, vcc_lo, s0
	v_cmp_class_f32_e64 s0, v2, 0x264
	v_cndmask_b32_e32 v3, 0x7c00, v3, vcc_lo
	v_cmp_u_f16_e32 vcc_lo, v1, v1
	v_cndmask_b32_e64 v2, v3, 0x7c00, s0
	v_cndmask_b32_e32 v1, v2, v1, vcc_lo
	global_store_short v0, v1, s[4:5]
	s_or_b32 exec_lo, exec_lo, s30
	s_mov_b32 s20, exec_lo
	v_cmpx_gt_i32_e64 s27, v7
	s_cbranch_execz .LBB152_752
.LBB152_800:
	s_andn2_b32 vcc_lo, exec_lo, s24
	s_cbranch_vccnz .LBB152_805
; %bb.801:
	s_andn2_b32 vcc_lo, exec_lo, s29
	s_cbranch_vccnz .LBB152_806
; %bb.802:
	s_add_i32 s28, s28, 1
	s_cmp_eq_u32 s23, 2
	s_cbranch_scc1 .LBB152_807
; %bb.803:
	v_mov_b32_e32 v2, 0
	v_mov_b32_e32 v0, 0
	;; [unrolled: 1-line block ×3, first 2 shown]
	s_and_b32 s21, s28, 28
	s_mov_b32 s27, 0
	s_mov_b64 s[0:1], s[2:3]
.LBB152_804:                            ; =>This Inner Loop Header: Depth=1
	s_clause 0x1
	s_load_dwordx8 s[36:43], s[0:1], 0x4
	s_load_dwordx4 s[52:55], s[0:1], 0x24
	s_load_dwordx8 s[44:51], s[18:19], 0x0
	s_add_u32 s0, s0, 48
	s_addc_u32 s1, s1, 0
	s_add_i32 s27, s27, 4
	s_add_u32 s18, s18, 32
	s_addc_u32 s19, s19, 0
	s_cmp_eq_u32 s21, s27
	s_waitcnt lgkmcnt(0)
	v_mul_hi_u32 v3, s37, v1
	v_add_nc_u32_e32 v3, v1, v3
	v_lshrrev_b32_e32 v3, s38, v3
	v_mul_hi_u32 v4, s40, v3
	v_mul_lo_u32 v6, v3, s36
	v_add_nc_u32_e32 v4, v3, v4
	v_sub_nc_u32_e32 v1, v1, v6
	v_lshrrev_b32_e32 v4, s41, v4
	v_mul_lo_u32 v6, v1, s44
	v_mul_lo_u32 v9, v1, s45
	v_mul_hi_u32 v5, s43, v4
	v_add_nc_u32_e32 v5, v4, v5
	v_lshrrev_b32_e32 v5, s52, v5
	v_mul_hi_u32 v8, s54, v5
	v_mul_lo_u32 v10, v5, s42
	v_add_nc_u32_e32 v1, v5, v8
	v_mul_lo_u32 v8, v4, s39
	v_sub_nc_u32_e32 v4, v4, v10
	v_lshrrev_b32_e32 v1, s55, v1
	v_mul_lo_u32 v10, v4, s48
	v_mul_lo_u32 v4, v4, s49
	v_sub_nc_u32_e32 v3, v3, v8
	v_mul_lo_u32 v11, v1, s53
	v_mul_lo_u32 v8, v3, s46
	;; [unrolled: 1-line block ×3, first 2 shown]
	v_sub_nc_u32_e32 v5, v5, v11
	v_add3_u32 v0, v6, v0, v8
	v_mul_lo_u32 v11, v5, s50
	v_mul_lo_u32 v5, v5, s51
	v_add3_u32 v2, v9, v2, v3
	v_add3_u32 v0, v10, v0, v11
	;; [unrolled: 1-line block ×3, first 2 shown]
	s_cbranch_scc0 .LBB152_804
	s_branch .LBB152_808
.LBB152_805:
                                        ; implicit-def: $vgpr0
                                        ; implicit-def: $vgpr2
	s_branch .LBB152_812
.LBB152_806:
	v_mov_b32_e32 v0, 0
	v_mov_b32_e32 v2, 0
	s_branch .LBB152_811
.LBB152_807:
	v_mov_b32_e32 v0, 0
	v_mov_b32_e32 v2, 0
	;; [unrolled: 1-line block ×3, first 2 shown]
	s_mov_b32 s21, 0
.LBB152_808:
	s_and_b32 s27, s28, 3
	s_cmp_eq_u32 s27, 0
	s_cbranch_scc1 .LBB152_811
; %bb.809:
	s_lshl_b32 s0, s21, 3
	s_mul_i32 s18, s21, 12
	s_add_u32 s0, s2, s0
	s_addc_u32 s1, s3, 0
	s_add_u32 s0, s0, 0xc4
	s_addc_u32 s1, s1, 0
	;; [unrolled: 2-line block ×3, first 2 shown]
	.p2align	6
.LBB152_810:                            ; =>This Inner Loop Header: Depth=1
	s_clause 0x1
	s_load_dwordx2 s[28:29], s[18:19], 0x4
	s_load_dword s21, s[18:19], 0xc
	s_load_dwordx2 s[30:31], s[0:1], 0x0
	s_add_u32 s18, s18, 12
	s_addc_u32 s19, s19, 0
	s_add_u32 s0, s0, 8
	s_addc_u32 s1, s1, 0
	s_add_i32 s27, s27, -1
	s_cmp_lg_u32 s27, 0
	s_waitcnt lgkmcnt(0)
	v_mul_hi_u32 v3, s29, v1
	v_add_nc_u32_e32 v3, v1, v3
	v_lshrrev_b32_e32 v4, s21, v3
	v_mul_lo_u32 v3, v4, s28
	v_sub_nc_u32_e32 v3, v1, v3
	v_mad_u64_u32 v[0:1], null, v3, s30, v[0:1]
	v_mad_u64_u32 v[2:3], null, v3, s31, v[2:3]
	v_mov_b32_e32 v1, v4
	s_cbranch_scc1 .LBB152_810
.LBB152_811:
	s_cbranch_execnz .LBB152_814
.LBB152_812:
	s_waitcnt lgkmcnt(0)
	v_mul_hi_u32 v0, s13, v7
	s_andn2_b32 vcc_lo, exec_lo, s26
	v_add_nc_u32_e32 v0, v7, v0
	v_lshrrev_b32_e32 v1, s14, v0
	v_mul_lo_u32 v0, v1, s12
	v_sub_nc_u32_e32 v2, v7, v0
	v_mul_lo_u32 v0, v2, s8
	v_mul_lo_u32 v2, v2, s9
	s_cbranch_vccnz .LBB152_814
; %bb.813:
	v_mul_hi_u32 v3, s16, v1
	v_add_nc_u32_e32 v3, v1, v3
	v_lshrrev_b32_e32 v3, s17, v3
	v_mul_lo_u32 v3, v3, s15
	v_sub_nc_u32_e32 v3, v1, v3
	v_mad_u64_u32 v[0:1], null, v3, s10, v[0:1]
	v_mad_u64_u32 v[2:3], null, v3, s11, v[2:3]
.LBB152_814:
	s_waitcnt lgkmcnt(0)
	global_load_ushort v1, v2, s[6:7]
	s_mov_b32 s1, exec_lo
                                        ; implicit-def: $vgpr4
	s_waitcnt vmcnt(0)
	v_cvt_f32_f16_e32 v2, v1
	v_and_b32_e32 v3, 0x7fffffff, v2
	v_cmpx_ngt_f32_e64 0x3c800000, |v2|
	s_xor_b32 s1, exec_lo, s1
	s_cbranch_execz .LBB152_844
; %bb.815:
	s_mov_b32 s6, exec_lo
                                        ; implicit-def: $vgpr4
	v_cmpx_nlt_f32_e64 |v2|, 2.0
	s_xor_b32 s6, exec_lo, s6
	s_cbranch_execz .LBB152_825
; %bb.816:
	v_cmp_ngt_f32_e64 s0, 0x41000000, |v2|
                                        ; implicit-def: $vgpr4
	s_and_saveexec_b32 s7, s0
	s_xor_b32 s0, exec_lo, s7
	s_cbranch_execz .LBB152_822
; %bb.817:
	v_cmp_ngt_f32_e64 s7, 0x5c800000, |v2|
                                        ; implicit-def: $vgpr4
	s_and_saveexec_b32 s8, s7
	s_xor_b32 s7, exec_lo, s8
	s_cbranch_execz .LBB152_819
; %bb.818:
	v_cmp_gt_f32_e64 s8, 0x800000, |v2|
	v_cndmask_b32_e64 v4, 0, 32, s8
	v_ldexp_f32 v4, |v2|, v4
	v_log_f32_e32 v4, v4
	v_mul_f32_e32 v5, 0x3f317217, v4
	v_cmp_gt_f32_e64 vcc_lo, 0x7f800000, |v4|
	v_fma_f32 v6, 0x3f317217, v4, -v5
	v_fmamk_f32 v6, v4, 0x3377d1cf, v6
	v_add_f32_e32 v5, v5, v6
	v_cndmask_b32_e32 v4, v4, v5, vcc_lo
	v_cndmask_b32_e64 v5, 0, 0x41b17218, s8
	v_sub_f32_e32 v4, v4, v5
	v_fma_f32 v4, |v2|, v4, -|v2|
.LBB152_819:
	s_andn2_saveexec_b32 s7, s7
	s_cbranch_execz .LBB152_821
; %bb.820:
	v_cmp_gt_f32_e64 s8, 0x800000, |v2|
	v_rcp_f32_e64 v5, |v2|
	s_mov_b32 s9, 0xbad5c4e8
	v_cndmask_b32_e64 v4, 0, 32, s8
	v_ldexp_f32 v4, |v2|, v4
	v_mul_f32_e32 v6, v5, v5
	v_log_f32_e32 v4, v4
	v_fmaak_f32 v8, s9, v6, 0x3a5b3dd2
	v_fmaak_f32 v8, v6, v8, 0xba1c065c
	v_mul_f32_e32 v7, 0x3f317217, v4
	v_fmaak_f32 v8, v6, v8, 0x3a500cfd
	v_cmp_gt_f32_e64 vcc_lo, 0x7f800000, |v4|
	v_fma_f32 v9, 0x3f317217, v4, -v7
	v_fmaak_f32 v8, v6, v8, 0xbb360b61
	v_fmamk_f32 v9, v4, 0x3377d1cf, v9
	v_fmaak_f32 v6, v6, v8, 0x3daaaaab
	v_add_f32_e32 v7, v7, v9
	v_cndmask_b32_e32 v4, v4, v7, vcc_lo
	v_cndmask_b32_e64 v7, 0, 0x41b17218, s8
	v_sub_f32_e32 v7, v4, v7
	v_fmaak_f32 v4, v5, v6, 0x3ed67f1d
	v_add_f32_e64 v5, |v2|, -0.5
	v_add_f32_e32 v6, -1.0, v7
	v_fmac_f32_e32 v4, v5, v6
.LBB152_821:
	s_or_b32 exec_lo, exec_lo, s7
.LBB152_822:
	s_andn2_saveexec_b32 s7, s0
	s_cbranch_execz .LBB152_824
; %bb.823:
	v_cvt_i32_f32_e32 v4, v3
	s_mov_b32 s0, 0x36f5d7bd
	s_mov_b32 s8, 0x3805ff67
	v_cvt_f32_i32_e32 v5, v4
	v_cmp_lt_i32_e32 vcc_lo, 2, v4
	v_sub_f32_e64 v5, |v2|, v5
	v_add_f32_e32 v6, 2.0, v5
	v_add_f32_e32 v7, 0x40400000, v5
	v_add_f32_e32 v8, 4.0, v5
	v_add_f32_e32 v9, 0x40a00000, v5
	v_cndmask_b32_e32 v6, 1.0, v6, vcc_lo
	v_cmp_lt_i32_e32 vcc_lo, 3, v4
	v_cndmask_b32_e32 v7, 1.0, v7, vcc_lo
	v_cmp_lt_i32_e32 vcc_lo, 4, v4
	v_mul_f32_e32 v6, v6, v7
	v_cndmask_b32_e32 v8, 1.0, v8, vcc_lo
	v_cmp_lt_i32_e32 vcc_lo, 5, v4
	v_add_f32_e32 v7, 0x40c00000, v5
	v_mul_f32_e32 v6, v8, v6
	v_cndmask_b32_e32 v9, 1.0, v9, vcc_lo
	v_cmp_lt_i32_e32 vcc_lo, 6, v4
	v_fmaak_f32 v8, s8, v5, 0x3af135b4
	v_mul_f32_e32 v6, v9, v6
	v_cndmask_b32_e32 v4, 1.0, v7, vcc_lo
	v_mul_f32_e32 v4, v4, v6
	v_fmaak_f32 v6, s0, v5, 0x3a4beed6
	v_cmp_gt_f32_e32 vcc_lo, 0x800000, v4
	v_fmaak_f32 v6, v5, v6, 0x3c98bf54
	v_cndmask_b32_e64 v7, 0, 32, vcc_lo
	v_fmaak_f32 v6, v5, v6, 0x3e300f6e
	v_ldexp_f32 v4, v4, v7
	v_fmaak_f32 v7, v5, v8, 0x3cda40e4
	v_fmaak_f32 v6, v5, v6, 0x3f38d0c5
	v_log_f32_e32 v4, v4
	v_fmaak_f32 v7, v5, v7, 0x3e15dce6
	v_fmaak_f32 v6, v5, v6, 0x3fb22d3b
	;; [unrolled: 1-line block ×3, first 2 shown]
	v_fma_f32 v6, v5, v6, 1.0
	v_mul_f32_e32 v8, 0x3f317217, v4
	v_fmaak_f32 v7, v5, v7, 0x3e5c245a
	v_rcp_f32_e32 v6, v6
	v_cmp_gt_f32_e64 s0, 0x7f800000, |v4|
	v_fma_f32 v9, 0x3f317217, v4, -v8
	v_fmaak_f32 v7, v5, v7, 0xbd9e233f
	v_fmamk_f32 v9, v4, 0x3377d1cf, v9
	v_mul_f32_e32 v7, v5, v7
	v_add_f32_e32 v8, v8, v9
	v_mul_f32_e32 v6, v7, v6
	v_cndmask_b32_e64 v7, 0, 0x41b17218, vcc_lo
	v_cndmask_b32_e64 v4, v4, v8, s0
	v_fmac_f32_e32 v6, 0.5, v5
	v_sub_f32_e32 v4, v4, v7
	v_add_f32_e32 v4, v4, v6
.LBB152_824:
	s_or_b32 exec_lo, exec_lo, s7
.LBB152_825:
	s_andn2_saveexec_b32 s6, s6
	s_cbranch_execz .LBB152_843
; %bb.826:
	s_mov_b32 s7, exec_lo
                                        ; implicit-def: $vgpr4
                                        ; implicit-def: $vgpr6
                                        ; implicit-def: $vgpr5
	v_cmpx_ge_f32_e64 0x3f666666, |v2|
	s_xor_b32 s7, exec_lo, s7
	s_cbranch_execz .LBB152_828
; %bb.827:
	v_cmp_gt_f32_e64 s0, 0x800000, |v2|
	v_sub_f32_e64 v7, 1.0, |v2|
	v_cmp_gt_f32_e64 vcc_lo, 0x3f3b4a23, |v2|
	v_cndmask_b32_e64 v4, 0, 32, s0
	v_cndmask_b32_e64 v8, 0, 0x41b17218, s0
	v_ldexp_f32 v4, |v2|, v4
	v_log_f32_e32 v4, v4
	v_mul_f32_e32 v5, 0x3f317217, v4
	v_cmp_gt_f32_e64 s0, 0x7f800000, |v4|
	v_fma_f32 v6, 0x3f317217, v4, -v5
	v_fmamk_f32 v6, v4, 0x3377d1cf, v6
	v_add_f32_e32 v5, v5, v6
	v_add_f32_e64 v6, 0xbeec5b0c, |v2|
	v_cndmask_b32_e64 v4, v4, v5, s0
	v_cndmask_b32_e32 v5, v7, v6, vcc_lo
	v_cndmask_b32_e64 v6, 0, 1, vcc_lo
	v_cmp_gt_f32_e64 s0, 0x3e6d3309, |v2|
	v_sub_f32_e32 v4, v4, v8
	v_cndmask_b32_e64 v5, v5, |v2|, s0
	v_cndmask_b32_e64 v6, v6, 2, s0
	v_xor_b32_e32 v4, 0x80000000, v4
.LBB152_828:
	s_andn2_saveexec_b32 s0, s7
	s_cbranch_execz .LBB152_830
; %bb.829:
	v_sub_f32_e64 v4, 2.0, |v2|
	v_add_f32_e64 v5, 0xbfbb16c3, |v2|
	v_cmp_gt_f32_e64 vcc_lo, 0x3fdda512, |v2|
	v_add_f32_e64 v6, |v2|, -1.0
	v_cndmask_b32_e32 v5, v4, v5, vcc_lo
	v_cndmask_b32_e64 v4, v4, 1.0, vcc_lo
	v_cmp_gt_f32_e64 vcc_lo, 0x3f9d70a4, |v2|
	v_cvt_i32_f32_e32 v4, v4
	v_cndmask_b32_e32 v5, v5, v6, vcc_lo
	v_cndmask_b32_e64 v6, v4, 2, vcc_lo
	v_mov_b32_e32 v4, 0
.LBB152_830:
	s_or_b32 exec_lo, exec_lo, s0
	s_mov_b32 s0, exec_lo
	v_cmpx_lt_i32_e32 0, v6
	s_xor_b32 s0, exec_lo, s0
	s_cbranch_execz .LBB152_838
; %bb.831:
	s_mov_b32 s7, exec_lo
	v_cmpx_lt_i32_e32 1, v6
	s_xor_b32 s7, exec_lo, s7
	s_cbranch_execz .LBB152_835
; %bb.832:
	s_mov_b32 s8, exec_lo
	v_cmpx_eq_u32_e32 2, v6
	s_cbranch_execz .LBB152_834
; %bb.833:
	s_mov_b32 s9, 0x3b52d5db
	v_fmaak_f32 v6, s9, v5, 0x3dd572af
	s_mov_b32 s9, 0x3c5b3c5e
	v_fmaak_f32 v7, s9, v5, 0x3e6a7578
	v_fmaak_f32 v6, v5, v6, 0x3f44efdf
	;; [unrolled: 1-line block ×7, first 2 shown]
	v_fma_f32 v6, v5, v6, 1.0
	v_fmaak_f32 v7, v5, v7, 0xbd9e233f
	v_rcp_f32_e32 v6, v6
	v_mul_f32_e32 v7, v5, v7
	v_mul_f32_e32 v6, v7, v6
	v_fmac_f32_e32 v6, -0.5, v5
	v_add_f32_e32 v4, v4, v6
.LBB152_834:
	s_or_b32 exec_lo, exec_lo, s8
                                        ; implicit-def: $vgpr5
.LBB152_835:
	s_andn2_saveexec_b32 s7, s7
	s_cbranch_execz .LBB152_837
; %bb.836:
	v_mul_f32_e32 v6, v5, v5
	s_mov_b32 s8, 0xb9a3f927
	s_mov_b32 s9, 0x39afe9f7
	v_mul_f32_e32 v7, v5, v6
	v_fmaak_f32 v8, s8, v7, 0x3a66f867
	v_fmaak_f32 v9, s9, v7, 0xba0d3085
	s_mov_b32 s8, 0x39a57b6b
	v_fmaak_f32 v10, s8, v7, 0xbab7f476
	v_fmaak_f32 v8, v7, v8, 0xbb7177fe
	;; [unrolled: 1-line block ×9, first 2 shown]
	v_fmac_f32_e32 v8, v5, v9
	v_fmaak_f32 v5, v7, v10, 0x3ef7b95e
	v_fma_f32 v7, v7, -v8, 0xa2863e55
	v_fma_f32 v5, v6, v5, -v7
	v_add_f32_e32 v5, 0xbdf8cdce, v5
	v_add_f32_e32 v4, v4, v5
.LBB152_837:
	s_or_b32 exec_lo, exec_lo, s7
                                        ; implicit-def: $vgpr6
                                        ; implicit-def: $vgpr5
.LBB152_838:
	s_andn2_saveexec_b32 s0, s0
	s_cbranch_execz .LBB152_842
; %bb.839:
	s_mov_b32 s7, exec_lo
	v_cmpx_eq_u32_e32 0, v6
	s_cbranch_execz .LBB152_841
; %bb.840:
	v_mul_f32_e32 v6, v5, v5
	s_mov_b32 s8, 0x383c2c75
	v_fmaak_f32 v7, s8, v6, 0x38e28445
	s_mov_b32 s8, 0x37d383a2
	v_fmaak_f32 v8, s8, v6, 0x39679767
	v_fmaak_f32 v7, v6, v7, 0x3a05b634
	;; [unrolled: 1-line block ×9, first 2 shown]
	v_mul_f32_e32 v6, v6, v7
	v_fmac_f32_e32 v6, v5, v8
	v_fmac_f32_e32 v6, -0.5, v5
	v_add_f32_e32 v4, v4, v6
.LBB152_841:
	s_or_b32 exec_lo, exec_lo, s7
.LBB152_842:
	s_or_b32 exec_lo, exec_lo, s0
.LBB152_843:
	s_or_b32 exec_lo, exec_lo, s6
.LBB152_844:
	s_andn2_saveexec_b32 s0, s1
	s_cbranch_execz .LBB152_846
; %bb.845:
	v_cmp_gt_f32_e64 s1, 0x800000, |v2|
	s_mov_b32 s6, 0x3e8a8991
	v_fma_f32 v7, |v2|, s6, 0xbecd26ab
	v_cndmask_b32_e64 v4, 0, 32, s1
	v_ldexp_f32 v4, |v2|, v4
	v_log_f32_e32 v4, v4
	v_mul_f32_e32 v5, 0x3f317217, v4
	v_cmp_gt_f32_e64 vcc_lo, 0x7f800000, |v4|
	v_fma_f32 v6, 0x3f317217, v4, -v5
	v_fmamk_f32 v6, v4, 0x3377d1cf, v6
	v_add_f32_e32 v5, v5, v6
	v_fma_f32 v6, |v2|, v7, 0x3f528d33
	v_cndmask_b32_e32 v4, v4, v5, vcc_lo
	v_cndmask_b32_e64 v5, 0, 0x41b17218, s1
	v_fma_f32 v6, |v2|, v6, 0xbf13c468
	v_sub_f32_e32 v4, v4, v5
	v_fma_f32 v4, |v2|, v6, -v4
.LBB152_846:
	s_or_b32 exec_lo, exec_lo, s0
	v_cmp_le_f16_e32 vcc_lo, 0, v1
	s_mov_b32 s1, exec_lo
	v_cmpx_nle_f16_e32 0, v1
	s_xor_b32 s6, exec_lo, s1
	s_cbranch_execz .LBB152_850
; %bb.847:
	v_cmp_gt_f32_e64 s0, 0x4b000000, |v2|
	v_cmp_lt_f32_e64 s1, 0x35000000, |v2|
	s_and_b32 s0, s0, s1
	s_and_saveexec_b32 s7, s0
	s_cbranch_execz .LBB152_849
; %bb.848:
	v_mul_f32_e64 v5, |v2|, 0.5
	s_mov_b32 s1, 0x3d4be544
	v_xor_b32_e32 v3, v3, v2
	v_floor_f32_e32 v6, v5
	v_cmp_neq_f32_e64 s0, 0x7f800000, v5
	v_sub_f32_e32 v6, v5, v6
	v_min_f32_e32 v6, 0x3f7fffff, v6
	v_add_f32_e32 v6, v6, v6
	v_cndmask_b32_e64 v5, 0, v6, s0
	v_cmp_gt_f32_e64 s0, |v2|, 1.0
	v_cndmask_b32_e64 v5, |v2|, v5, s0
	s_mov_b32 s0, 0x3e75aa41
	v_add_f32_e32 v6, v5, v5
	v_rndne_f32_e32 v6, v6
	v_fmac_f32_e32 v5, -0.5, v6
	v_cvt_i32_f32_e32 v6, v6
	v_mul_f32_e32 v7, v5, v5
	v_fmaak_f32 v8, s0, v7, 0xbf1f24be
	v_fmaak_f32 v9, s1, v7, 0x3e642e9d
	v_mul_f32_e32 v10, v5, v7
	v_fmaak_f32 v8, v7, v8, 0x40234736
	v_fmaak_f32 v9, v7, v9, 0xbfaad1da
	;; [unrolled: 1-line block ×4, first 2 shown]
	v_mul_f32_e32 v8, v10, v8
	v_fmaak_f32 v9, v7, v9, 0xc09de9e6
	v_and_b32_e32 v10, 1, v6
	v_lshlrev_b32_e32 v6, 30, v6
	v_fmamk_f32 v5, v5, 0x40490fdb, v8
	v_fma_f32 v7, v7, v9, 1.0
	v_cmp_eq_u32_e64 s0, 0, v10
	v_and_b32_e32 v6, 0x80000000, v6
	v_cndmask_b32_e64 v5, v7, v5, s0
	v_xor3_b32 v3, v3, v6, v5
	v_mul_f32_e32 v3, v2, v3
	v_frexp_mant_f32_e64 v5, |v3|
	v_frexp_exp_i32_f32_e32 v3, v3
	v_rcp_f32_e32 v5, v5
	v_sub_nc_u32_e32 v3, 2, v3
	v_mul_f32_e32 v5, 0x3f490fdb, v5
	v_ldexp_f32 v3, v5, v3
	v_cmp_gt_f32_e64 s0, 0x800000, v3
	v_cndmask_b32_e64 v5, 0, 32, s0
	v_ldexp_f32 v3, v3, v5
	v_log_f32_e32 v3, v3
	v_mul_f32_e32 v5, 0x3f317217, v3
	v_cmp_gt_f32_e64 s1, 0x7f800000, |v3|
	v_fma_f32 v6, 0x3f317217, v3, -v5
	v_fmamk_f32 v6, v3, 0x3377d1cf, v6
	v_add_f32_e32 v5, v5, v6
	v_floor_f32_e32 v6, v2
	v_cndmask_b32_e64 v3, v3, v5, s1
	v_cndmask_b32_e64 v5, 0, 0x41b17218, s0
	v_sub_f32_e32 v6, v2, v6
	v_sub_f32_e32 v3, v3, v5
	v_min_f32_e32 v5, 0x3f7fffff, v6
	v_sub_f32_e32 v3, v3, v4
	v_cmp_neq_f32_e64 s0, 0, v5
	v_cndmask_b32_e64 v4, 0x7f800000, v3, s0
.LBB152_849:
	s_or_b32 exec_lo, exec_lo, s7
.LBB152_850:
	s_andn2_saveexec_b32 s6, s6
; %bb.851:
	v_cmp_eq_f16_e64 s0, 1.0, v1
	v_cmp_eq_f16_e64 s1, 2.0, v1
	s_or_b32 s0, s0, s1
	v_cndmask_b32_e64 v4, v4, 0, s0
; %bb.852:
	s_or_b32 exec_lo, exec_lo, s6
	v_cmp_gt_f32_e64 s0, 0x4b000000, |v2|
	v_cvt_f16_f32_e32 v3, v4
	s_or_b32 vcc_lo, vcc_lo, s0
	v_cmp_class_f32_e64 s0, v2, 0x264
	v_cndmask_b32_e32 v3, 0x7c00, v3, vcc_lo
	v_cmp_u_f16_e32 vcc_lo, v1, v1
	v_cndmask_b32_e64 v2, v3, 0x7c00, s0
	v_cndmask_b32_e32 v1, v2, v1, vcc_lo
	global_store_short v0, v1, s[4:5]
	s_or_b32 exec_lo, exec_lo, s20
                                        ; implicit-def: $vgpr25
                                        ; implicit-def: $vgpr7
	s_andn2_saveexec_b32 s0, s25
	s_cbranch_execz .LBB152_753
	s_branch .LBB152_8
	.section	.rodata,"a",@progbits
	.p2align	6, 0x0
	.amdhsa_kernel _ZN2at6native32elementwise_kernel_manual_unrollILi128ELi8EZNS0_22gpu_kernel_impl_nocastIZZZNS0_18lgamma_kernel_cudaERNS_18TensorIteratorBaseEENKUlvE_clEvENKUlvE1_clEvEUlN3c104HalfEE_EEvS4_RKT_EUlibE_EEviT1_
		.amdhsa_group_segment_fixed_size 0
		.amdhsa_private_segment_fixed_size 0
		.amdhsa_kernarg_size 360
		.amdhsa_user_sgpr_count 6
		.amdhsa_user_sgpr_private_segment_buffer 1
		.amdhsa_user_sgpr_dispatch_ptr 0
		.amdhsa_user_sgpr_queue_ptr 0
		.amdhsa_user_sgpr_kernarg_segment_ptr 1
		.amdhsa_user_sgpr_dispatch_id 0
		.amdhsa_user_sgpr_flat_scratch_init 0
		.amdhsa_user_sgpr_private_segment_size 0
		.amdhsa_wavefront_size32 1
		.amdhsa_uses_dynamic_stack 0
		.amdhsa_system_sgpr_private_segment_wavefront_offset 0
		.amdhsa_system_sgpr_workgroup_id_x 1
		.amdhsa_system_sgpr_workgroup_id_y 0
		.amdhsa_system_sgpr_workgroup_id_z 0
		.amdhsa_system_sgpr_workgroup_info 0
		.amdhsa_system_vgpr_workitem_id 0
		.amdhsa_next_free_vgpr 39
		.amdhsa_next_free_sgpr 56
		.amdhsa_reserve_vcc 1
		.amdhsa_reserve_flat_scratch 0
		.amdhsa_float_round_mode_32 0
		.amdhsa_float_round_mode_16_64 0
		.amdhsa_float_denorm_mode_32 3
		.amdhsa_float_denorm_mode_16_64 3
		.amdhsa_dx10_clamp 1
		.amdhsa_ieee_mode 1
		.amdhsa_fp16_overflow 0
		.amdhsa_workgroup_processor_mode 1
		.amdhsa_memory_ordered 1
		.amdhsa_forward_progress 1
		.amdhsa_shared_vgpr_count 0
		.amdhsa_exception_fp_ieee_invalid_op 0
		.amdhsa_exception_fp_denorm_src 0
		.amdhsa_exception_fp_ieee_div_zero 0
		.amdhsa_exception_fp_ieee_overflow 0
		.amdhsa_exception_fp_ieee_underflow 0
		.amdhsa_exception_fp_ieee_inexact 0
		.amdhsa_exception_int_div_zero 0
	.end_amdhsa_kernel
	.section	.text._ZN2at6native32elementwise_kernel_manual_unrollILi128ELi8EZNS0_22gpu_kernel_impl_nocastIZZZNS0_18lgamma_kernel_cudaERNS_18TensorIteratorBaseEENKUlvE_clEvENKUlvE1_clEvEUlN3c104HalfEE_EEvS4_RKT_EUlibE_EEviT1_,"axG",@progbits,_ZN2at6native32elementwise_kernel_manual_unrollILi128ELi8EZNS0_22gpu_kernel_impl_nocastIZZZNS0_18lgamma_kernel_cudaERNS_18TensorIteratorBaseEENKUlvE_clEvENKUlvE1_clEvEUlN3c104HalfEE_EEvS4_RKT_EUlibE_EEviT1_,comdat
.Lfunc_end152:
	.size	_ZN2at6native32elementwise_kernel_manual_unrollILi128ELi8EZNS0_22gpu_kernel_impl_nocastIZZZNS0_18lgamma_kernel_cudaERNS_18TensorIteratorBaseEENKUlvE_clEvENKUlvE1_clEvEUlN3c104HalfEE_EEvS4_RKT_EUlibE_EEviT1_, .Lfunc_end152-_ZN2at6native32elementwise_kernel_manual_unrollILi128ELi8EZNS0_22gpu_kernel_impl_nocastIZZZNS0_18lgamma_kernel_cudaERNS_18TensorIteratorBaseEENKUlvE_clEvENKUlvE1_clEvEUlN3c104HalfEE_EEvS4_RKT_EUlibE_EEviT1_
                                        ; -- End function
	.set _ZN2at6native32elementwise_kernel_manual_unrollILi128ELi8EZNS0_22gpu_kernel_impl_nocastIZZZNS0_18lgamma_kernel_cudaERNS_18TensorIteratorBaseEENKUlvE_clEvENKUlvE1_clEvEUlN3c104HalfEE_EEvS4_RKT_EUlibE_EEviT1_.num_vgpr, 39
	.set _ZN2at6native32elementwise_kernel_manual_unrollILi128ELi8EZNS0_22gpu_kernel_impl_nocastIZZZNS0_18lgamma_kernel_cudaERNS_18TensorIteratorBaseEENKUlvE_clEvENKUlvE1_clEvEUlN3c104HalfEE_EEvS4_RKT_EUlibE_EEviT1_.num_agpr, 0
	.set _ZN2at6native32elementwise_kernel_manual_unrollILi128ELi8EZNS0_22gpu_kernel_impl_nocastIZZZNS0_18lgamma_kernel_cudaERNS_18TensorIteratorBaseEENKUlvE_clEvENKUlvE1_clEvEUlN3c104HalfEE_EEvS4_RKT_EUlibE_EEviT1_.numbered_sgpr, 56
	.set _ZN2at6native32elementwise_kernel_manual_unrollILi128ELi8EZNS0_22gpu_kernel_impl_nocastIZZZNS0_18lgamma_kernel_cudaERNS_18TensorIteratorBaseEENKUlvE_clEvENKUlvE1_clEvEUlN3c104HalfEE_EEvS4_RKT_EUlibE_EEviT1_.num_named_barrier, 0
	.set _ZN2at6native32elementwise_kernel_manual_unrollILi128ELi8EZNS0_22gpu_kernel_impl_nocastIZZZNS0_18lgamma_kernel_cudaERNS_18TensorIteratorBaseEENKUlvE_clEvENKUlvE1_clEvEUlN3c104HalfEE_EEvS4_RKT_EUlibE_EEviT1_.private_seg_size, 0
	.set _ZN2at6native32elementwise_kernel_manual_unrollILi128ELi8EZNS0_22gpu_kernel_impl_nocastIZZZNS0_18lgamma_kernel_cudaERNS_18TensorIteratorBaseEENKUlvE_clEvENKUlvE1_clEvEUlN3c104HalfEE_EEvS4_RKT_EUlibE_EEviT1_.uses_vcc, 1
	.set _ZN2at6native32elementwise_kernel_manual_unrollILi128ELi8EZNS0_22gpu_kernel_impl_nocastIZZZNS0_18lgamma_kernel_cudaERNS_18TensorIteratorBaseEENKUlvE_clEvENKUlvE1_clEvEUlN3c104HalfEE_EEvS4_RKT_EUlibE_EEviT1_.uses_flat_scratch, 0
	.set _ZN2at6native32elementwise_kernel_manual_unrollILi128ELi8EZNS0_22gpu_kernel_impl_nocastIZZZNS0_18lgamma_kernel_cudaERNS_18TensorIteratorBaseEENKUlvE_clEvENKUlvE1_clEvEUlN3c104HalfEE_EEvS4_RKT_EUlibE_EEviT1_.has_dyn_sized_stack, 0
	.set _ZN2at6native32elementwise_kernel_manual_unrollILi128ELi8EZNS0_22gpu_kernel_impl_nocastIZZZNS0_18lgamma_kernel_cudaERNS_18TensorIteratorBaseEENKUlvE_clEvENKUlvE1_clEvEUlN3c104HalfEE_EEvS4_RKT_EUlibE_EEviT1_.has_recursion, 0
	.set _ZN2at6native32elementwise_kernel_manual_unrollILi128ELi8EZNS0_22gpu_kernel_impl_nocastIZZZNS0_18lgamma_kernel_cudaERNS_18TensorIteratorBaseEENKUlvE_clEvENKUlvE1_clEvEUlN3c104HalfEE_EEvS4_RKT_EUlibE_EEviT1_.has_indirect_call, 0
	.section	.AMDGPU.csdata,"",@progbits
; Kernel info:
; codeLenInByte = 48976
; TotalNumSgprs: 58
; NumVgprs: 39
; ScratchSize: 0
; MemoryBound: 0
; FloatMode: 240
; IeeeMode: 1
; LDSByteSize: 0 bytes/workgroup (compile time only)
; SGPRBlocks: 0
; VGPRBlocks: 4
; NumSGPRsForWavesPerEU: 58
; NumVGPRsForWavesPerEU: 39
; Occupancy: 16
; WaveLimiterHint : 1
; COMPUTE_PGM_RSRC2:SCRATCH_EN: 0
; COMPUTE_PGM_RSRC2:USER_SGPR: 6
; COMPUTE_PGM_RSRC2:TRAP_HANDLER: 0
; COMPUTE_PGM_RSRC2:TGID_X_EN: 1
; COMPUTE_PGM_RSRC2:TGID_Y_EN: 0
; COMPUTE_PGM_RSRC2:TGID_Z_EN: 0
; COMPUTE_PGM_RSRC2:TIDIG_COMP_CNT: 0
	.section	.text._ZN2at6native32elementwise_kernel_manual_unrollILi128ELi4EZNS0_15gpu_kernel_implIZZZNS0_18lgamma_kernel_cudaERNS_18TensorIteratorBaseEENKUlvE_clEvENKUlvE1_clEvEUlN3c104HalfEE_EEvS4_RKT_EUlibE_EEviT1_,"axG",@progbits,_ZN2at6native32elementwise_kernel_manual_unrollILi128ELi4EZNS0_15gpu_kernel_implIZZZNS0_18lgamma_kernel_cudaERNS_18TensorIteratorBaseEENKUlvE_clEvENKUlvE1_clEvEUlN3c104HalfEE_EEvS4_RKT_EUlibE_EEviT1_,comdat
	.globl	_ZN2at6native32elementwise_kernel_manual_unrollILi128ELi4EZNS0_15gpu_kernel_implIZZZNS0_18lgamma_kernel_cudaERNS_18TensorIteratorBaseEENKUlvE_clEvENKUlvE1_clEvEUlN3c104HalfEE_EEvS4_RKT_EUlibE_EEviT1_ ; -- Begin function _ZN2at6native32elementwise_kernel_manual_unrollILi128ELi4EZNS0_15gpu_kernel_implIZZZNS0_18lgamma_kernel_cudaERNS_18TensorIteratorBaseEENKUlvE_clEvENKUlvE1_clEvEUlN3c104HalfEE_EEvS4_RKT_EUlibE_EEviT1_
	.p2align	8
	.type	_ZN2at6native32elementwise_kernel_manual_unrollILi128ELi4EZNS0_15gpu_kernel_implIZZZNS0_18lgamma_kernel_cudaERNS_18TensorIteratorBaseEENKUlvE_clEvENKUlvE1_clEvEUlN3c104HalfEE_EEvS4_RKT_EUlibE_EEviT1_,@function
_ZN2at6native32elementwise_kernel_manual_unrollILi128ELi4EZNS0_15gpu_kernel_implIZZZNS0_18lgamma_kernel_cudaERNS_18TensorIteratorBaseEENKUlvE_clEvENKUlvE1_clEvEUlN3c104HalfEE_EEvS4_RKT_EUlibE_EEviT1_: ; @_ZN2at6native32elementwise_kernel_manual_unrollILi128ELi4EZNS0_15gpu_kernel_implIZZZNS0_18lgamma_kernel_cudaERNS_18TensorIteratorBaseEENKUlvE_clEvENKUlvE1_clEvEUlN3c104HalfEE_EEvS4_RKT_EUlibE_EEviT1_
; %bb.0:
	v_mov_b32_e32 v1, 0
	s_clause 0x2
	s_load_dword s7, s[4:5], 0x0
	s_load_dwordx2 s[12:13], s[4:5], 0x18
	s_load_dwordx4 s[8:11], s[4:5], 0x8
	v_lshl_or_b32 v2, s6, 9, v0
	s_mov_b32 s2, 0
	s_mov_b32 s6, 0
	global_load_ushort v1, v1, s[4:5] offset:33
	v_or_b32_e32 v0, 0x180, v2
	s_waitcnt vmcnt(0)
	v_readfirstlane_b32 s5, v1
	s_and_b32 s0, 0xffff, s5
	s_lshr_b32 s3, s0, 8
	s_mov_b32 s0, exec_lo
	s_waitcnt lgkmcnt(0)
	v_cmpx_le_i32_e64 s7, v0
	s_xor_b32 s4, exec_lo, s0
	s_cbranch_execz .LBB153_1183
; %bb.1:
	s_mov_b32 s1, -1
	s_mov_b32 s16, 0
	s_mov_b32 s14, 0
	s_mov_b32 s15, exec_lo
	v_cmpx_gt_i32_e64 s7, v2
	s_cbranch_execz .LBB153_290
; %bb.2:
	v_mul_lo_u32 v0, v2, s13
	s_and_b32 s0, 0xffff, s3
	s_cmp_lt_i32 s0, 11
	v_ashrrev_i32_e32 v1, 31, v0
	v_add_co_u32 v0, vcc_lo, s10, v0
	v_add_co_ci_u32_e64 v1, null, s11, v1, vcc_lo
	s_cbranch_scc1 .LBB153_9
; %bb.3:
	s_cmp_gt_i32 s0, 25
	s_cbranch_scc0 .LBB153_56
; %bb.4:
	s_cmp_gt_i32 s0, 28
	s_cbranch_scc0 .LBB153_59
	;; [unrolled: 3-line block ×4, first 2 shown]
; %bb.7:
	s_cmp_eq_u32 s0, 46
	s_cbranch_scc0 .LBB153_65
; %bb.8:
	global_load_dword v3, v[0:1], off
	s_waitcnt vmcnt(0)
	v_lshlrev_b32_e32 v3, 16, v3
	v_cvt_f16_f32_e32 v3, v3
	s_branch .LBB153_67
.LBB153_9:
	s_mov_b32 s1, 0
                                        ; implicit-def: $vgpr3
	s_cbranch_execnz .LBB153_240
.LBB153_10:
	s_andn2_b32 vcc_lo, exec_lo, s1
	s_cbranch_vccnz .LBB153_287
.LBB153_11:
	s_waitcnt vmcnt(0)
	v_cvt_f32_f16_e32 v0, v3
	s_mov_b32 s1, exec_lo
                                        ; implicit-def: $vgpr4
	v_and_b32_e32 v1, 0x7fffffff, v0
	v_cmpx_ngt_f32_e64 0x3c800000, |v0|
	s_xor_b32 s1, exec_lo, s1
	s_cbranch_execz .LBB153_41
; %bb.12:
	s_mov_b32 s6, exec_lo
                                        ; implicit-def: $vgpr4
	v_cmpx_nlt_f32_e64 |v0|, 2.0
	s_xor_b32 s6, exec_lo, s6
	s_cbranch_execz .LBB153_22
; %bb.13:
	v_cmp_ngt_f32_e64 s0, 0x41000000, |v0|
                                        ; implicit-def: $vgpr4
	s_and_saveexec_b32 s17, s0
	s_xor_b32 s0, exec_lo, s17
	s_cbranch_execz .LBB153_19
; %bb.14:
	v_cmp_ngt_f32_e64 s17, 0x5c800000, |v0|
                                        ; implicit-def: $vgpr4
	s_and_saveexec_b32 s18, s17
	s_xor_b32 s17, exec_lo, s18
	s_cbranch_execz .LBB153_16
; %bb.15:
	v_cmp_gt_f32_e64 s18, 0x800000, |v0|
	v_cndmask_b32_e64 v4, 0, 32, s18
	v_ldexp_f32 v4, |v0|, v4
	v_log_f32_e32 v4, v4
	v_mul_f32_e32 v5, 0x3f317217, v4
	v_cmp_gt_f32_e64 vcc_lo, 0x7f800000, |v4|
	v_fma_f32 v6, 0x3f317217, v4, -v5
	v_fmamk_f32 v6, v4, 0x3377d1cf, v6
	v_add_f32_e32 v5, v5, v6
	v_cndmask_b32_e32 v4, v4, v5, vcc_lo
	v_cndmask_b32_e64 v5, 0, 0x41b17218, s18
	v_sub_f32_e32 v4, v4, v5
	v_fma_f32 v4, |v0|, v4, -|v0|
.LBB153_16:
	s_andn2_saveexec_b32 s17, s17
	s_cbranch_execz .LBB153_18
; %bb.17:
	v_cmp_gt_f32_e64 s18, 0x800000, |v0|
	v_rcp_f32_e64 v5, |v0|
	s_mov_b32 s19, 0xbad5c4e8
	v_cndmask_b32_e64 v4, 0, 32, s18
	v_ldexp_f32 v4, |v0|, v4
	v_mul_f32_e32 v6, v5, v5
	v_log_f32_e32 v4, v4
	v_fmaak_f32 v8, s19, v6, 0x3a5b3dd2
	v_fmaak_f32 v8, v6, v8, 0xba1c065c
	v_mul_f32_e32 v7, 0x3f317217, v4
	v_fmaak_f32 v8, v6, v8, 0x3a500cfd
	v_cmp_gt_f32_e64 vcc_lo, 0x7f800000, |v4|
	v_fma_f32 v9, 0x3f317217, v4, -v7
	v_fmaak_f32 v8, v6, v8, 0xbb360b61
	v_fmamk_f32 v9, v4, 0x3377d1cf, v9
	v_fmaak_f32 v6, v6, v8, 0x3daaaaab
	v_add_f32_e32 v7, v7, v9
	v_cndmask_b32_e32 v4, v4, v7, vcc_lo
	v_cndmask_b32_e64 v7, 0, 0x41b17218, s18
	v_sub_f32_e32 v7, v4, v7
	v_fmaak_f32 v4, v5, v6, 0x3ed67f1d
	v_add_f32_e64 v5, |v0|, -0.5
	v_add_f32_e32 v6, -1.0, v7
	v_fmac_f32_e32 v4, v5, v6
.LBB153_18:
	s_or_b32 exec_lo, exec_lo, s17
.LBB153_19:
	s_andn2_saveexec_b32 s17, s0
	s_cbranch_execz .LBB153_21
; %bb.20:
	v_cvt_i32_f32_e32 v4, v1
	s_mov_b32 s0, 0x36f5d7bd
	s_mov_b32 s18, 0x3805ff67
	v_cvt_f32_i32_e32 v5, v4
	v_cmp_lt_i32_e32 vcc_lo, 2, v4
	v_sub_f32_e64 v5, |v0|, v5
	v_add_f32_e32 v6, 2.0, v5
	v_add_f32_e32 v7, 0x40400000, v5
	v_add_f32_e32 v8, 4.0, v5
	v_add_f32_e32 v9, 0x40a00000, v5
	v_cndmask_b32_e32 v6, 1.0, v6, vcc_lo
	v_cmp_lt_i32_e32 vcc_lo, 3, v4
	v_cndmask_b32_e32 v7, 1.0, v7, vcc_lo
	v_cmp_lt_i32_e32 vcc_lo, 4, v4
	v_mul_f32_e32 v6, v6, v7
	v_cndmask_b32_e32 v8, 1.0, v8, vcc_lo
	v_cmp_lt_i32_e32 vcc_lo, 5, v4
	v_add_f32_e32 v7, 0x40c00000, v5
	v_mul_f32_e32 v6, v8, v6
	v_cndmask_b32_e32 v9, 1.0, v9, vcc_lo
	v_cmp_lt_i32_e32 vcc_lo, 6, v4
	v_fmaak_f32 v8, s18, v5, 0x3af135b4
	v_mul_f32_e32 v6, v9, v6
	v_cndmask_b32_e32 v4, 1.0, v7, vcc_lo
	v_mul_f32_e32 v4, v4, v6
	v_fmaak_f32 v6, s0, v5, 0x3a4beed6
	v_cmp_gt_f32_e32 vcc_lo, 0x800000, v4
	v_fmaak_f32 v6, v5, v6, 0x3c98bf54
	v_cndmask_b32_e64 v7, 0, 32, vcc_lo
	v_fmaak_f32 v6, v5, v6, 0x3e300f6e
	v_ldexp_f32 v4, v4, v7
	v_fmaak_f32 v7, v5, v8, 0x3cda40e4
	v_fmaak_f32 v6, v5, v6, 0x3f38d0c5
	v_log_f32_e32 v4, v4
	v_fmaak_f32 v7, v5, v7, 0x3e15dce6
	v_fmaak_f32 v6, v5, v6, 0x3fb22d3b
	;; [unrolled: 1-line block ×3, first 2 shown]
	v_fma_f32 v6, v5, v6, 1.0
	v_mul_f32_e32 v8, 0x3f317217, v4
	v_fmaak_f32 v7, v5, v7, 0x3e5c245a
	v_rcp_f32_e32 v6, v6
	v_cmp_gt_f32_e64 s0, 0x7f800000, |v4|
	v_fma_f32 v9, 0x3f317217, v4, -v8
	v_fmaak_f32 v7, v5, v7, 0xbd9e233f
	v_fmamk_f32 v9, v4, 0x3377d1cf, v9
	v_mul_f32_e32 v7, v5, v7
	v_add_f32_e32 v8, v8, v9
	v_mul_f32_e32 v6, v7, v6
	v_cndmask_b32_e64 v7, 0, 0x41b17218, vcc_lo
	v_cndmask_b32_e64 v4, v4, v8, s0
	v_fmac_f32_e32 v6, 0.5, v5
	v_sub_f32_e32 v4, v4, v7
	v_add_f32_e32 v4, v4, v6
.LBB153_21:
	s_or_b32 exec_lo, exec_lo, s17
.LBB153_22:
	s_andn2_saveexec_b32 s6, s6
	s_cbranch_execz .LBB153_40
; %bb.23:
	s_mov_b32 s17, exec_lo
                                        ; implicit-def: $vgpr4
                                        ; implicit-def: $vgpr6
                                        ; implicit-def: $vgpr5
	v_cmpx_ge_f32_e64 0x3f666666, |v0|
	s_xor_b32 s17, exec_lo, s17
	s_cbranch_execz .LBB153_25
; %bb.24:
	v_cmp_gt_f32_e64 s0, 0x800000, |v0|
	v_sub_f32_e64 v7, 1.0, |v0|
	v_cmp_gt_f32_e64 vcc_lo, 0x3f3b4a23, |v0|
	v_cndmask_b32_e64 v4, 0, 32, s0
	v_cndmask_b32_e64 v8, 0, 0x41b17218, s0
	v_ldexp_f32 v4, |v0|, v4
	v_log_f32_e32 v4, v4
	v_mul_f32_e32 v5, 0x3f317217, v4
	v_cmp_gt_f32_e64 s0, 0x7f800000, |v4|
	v_fma_f32 v6, 0x3f317217, v4, -v5
	v_fmamk_f32 v6, v4, 0x3377d1cf, v6
	v_add_f32_e32 v5, v5, v6
	v_add_f32_e64 v6, 0xbeec5b0c, |v0|
	v_cndmask_b32_e64 v4, v4, v5, s0
	v_cndmask_b32_e32 v5, v7, v6, vcc_lo
	v_cndmask_b32_e64 v6, 0, 1, vcc_lo
	v_cmp_gt_f32_e64 s0, 0x3e6d3309, |v0|
	v_sub_f32_e32 v4, v4, v8
	v_cndmask_b32_e64 v5, v5, |v0|, s0
	v_cndmask_b32_e64 v6, v6, 2, s0
	v_xor_b32_e32 v4, 0x80000000, v4
.LBB153_25:
	s_andn2_saveexec_b32 s0, s17
	s_cbranch_execz .LBB153_27
; %bb.26:
	v_sub_f32_e64 v4, 2.0, |v0|
	v_add_f32_e64 v5, 0xbfbb16c3, |v0|
	v_cmp_gt_f32_e64 vcc_lo, 0x3fdda512, |v0|
	v_add_f32_e64 v6, |v0|, -1.0
	v_cndmask_b32_e32 v5, v4, v5, vcc_lo
	v_cndmask_b32_e64 v4, v4, 1.0, vcc_lo
	v_cmp_gt_f32_e64 vcc_lo, 0x3f9d70a4, |v0|
	v_cvt_i32_f32_e32 v4, v4
	v_cndmask_b32_e32 v5, v5, v6, vcc_lo
	v_cndmask_b32_e64 v6, v4, 2, vcc_lo
	v_mov_b32_e32 v4, 0
.LBB153_27:
	s_or_b32 exec_lo, exec_lo, s0
	s_mov_b32 s0, exec_lo
	v_cmpx_lt_i32_e32 0, v6
	s_xor_b32 s0, exec_lo, s0
	s_cbranch_execz .LBB153_35
; %bb.28:
	s_mov_b32 s17, exec_lo
	v_cmpx_lt_i32_e32 1, v6
	s_xor_b32 s17, exec_lo, s17
	s_cbranch_execz .LBB153_32
; %bb.29:
	s_mov_b32 s18, exec_lo
	v_cmpx_eq_u32_e32 2, v6
	s_cbranch_execz .LBB153_31
; %bb.30:
	s_mov_b32 s19, 0x3b52d5db
	v_fmaak_f32 v6, s19, v5, 0x3dd572af
	s_mov_b32 s19, 0x3c5b3c5e
	v_fmaak_f32 v7, s19, v5, 0x3e6a7578
	v_fmaak_f32 v6, v5, v6, 0x3f44efdf
	;; [unrolled: 1-line block ×7, first 2 shown]
	v_fma_f32 v6, v5, v6, 1.0
	v_fmaak_f32 v7, v5, v7, 0xbd9e233f
	v_rcp_f32_e32 v6, v6
	v_mul_f32_e32 v7, v5, v7
	v_mul_f32_e32 v6, v7, v6
	v_fmac_f32_e32 v6, -0.5, v5
	v_add_f32_e32 v4, v4, v6
.LBB153_31:
	s_or_b32 exec_lo, exec_lo, s18
                                        ; implicit-def: $vgpr5
.LBB153_32:
	s_andn2_saveexec_b32 s17, s17
	s_cbranch_execz .LBB153_34
; %bb.33:
	v_mul_f32_e32 v6, v5, v5
	s_mov_b32 s18, 0xb9a3f927
	s_mov_b32 s19, 0x39afe9f7
	v_mul_f32_e32 v7, v5, v6
	v_fmaak_f32 v8, s18, v7, 0x3a66f867
	v_fmaak_f32 v9, s19, v7, 0xba0d3085
	s_mov_b32 s18, 0x39a57b6b
	v_fmaak_f32 v10, s18, v7, 0xbab7f476
	v_fmaak_f32 v8, v7, v8, 0xbb7177fe
	;; [unrolled: 1-line block ×9, first 2 shown]
	v_fmac_f32_e32 v8, v5, v9
	v_fmaak_f32 v5, v7, v10, 0x3ef7b95e
	v_fma_f32 v7, v7, -v8, 0xa2863e55
	v_fma_f32 v5, v6, v5, -v7
	v_add_f32_e32 v5, 0xbdf8cdce, v5
	v_add_f32_e32 v4, v4, v5
.LBB153_34:
	s_or_b32 exec_lo, exec_lo, s17
                                        ; implicit-def: $vgpr6
                                        ; implicit-def: $vgpr5
.LBB153_35:
	s_andn2_saveexec_b32 s0, s0
	s_cbranch_execz .LBB153_39
; %bb.36:
	s_mov_b32 s17, exec_lo
	v_cmpx_eq_u32_e32 0, v6
	s_cbranch_execz .LBB153_38
; %bb.37:
	v_mul_f32_e32 v6, v5, v5
	s_mov_b32 s18, 0x383c2c75
	v_fmaak_f32 v7, s18, v6, 0x38e28445
	s_mov_b32 s18, 0x37d383a2
	v_fmaak_f32 v8, s18, v6, 0x39679767
	v_fmaak_f32 v7, v6, v7, 0x3a05b634
	;; [unrolled: 1-line block ×9, first 2 shown]
	v_mul_f32_e32 v6, v6, v7
	v_fmac_f32_e32 v6, v5, v8
	v_fmac_f32_e32 v6, -0.5, v5
	v_add_f32_e32 v4, v4, v6
.LBB153_38:
	s_or_b32 exec_lo, exec_lo, s17
.LBB153_39:
	s_or_b32 exec_lo, exec_lo, s0
.LBB153_40:
	s_or_b32 exec_lo, exec_lo, s6
.LBB153_41:
	s_andn2_saveexec_b32 s0, s1
	s_cbranch_execz .LBB153_43
; %bb.42:
	v_cmp_gt_f32_e64 s1, 0x800000, |v0|
	s_mov_b32 s6, 0x3e8a8991
	v_fma_f32 v7, |v0|, s6, 0xbecd26ab
	v_cndmask_b32_e64 v4, 0, 32, s1
	v_ldexp_f32 v4, |v0|, v4
	v_log_f32_e32 v4, v4
	v_mul_f32_e32 v5, 0x3f317217, v4
	v_cmp_gt_f32_e64 vcc_lo, 0x7f800000, |v4|
	v_fma_f32 v6, 0x3f317217, v4, -v5
	v_fmamk_f32 v6, v4, 0x3377d1cf, v6
	v_add_f32_e32 v5, v5, v6
	v_fma_f32 v6, |v0|, v7, 0x3f528d33
	v_cndmask_b32_e32 v4, v4, v5, vcc_lo
	v_cndmask_b32_e64 v5, 0, 0x41b17218, s1
	v_fma_f32 v6, |v0|, v6, 0xbf13c468
	v_sub_f32_e32 v4, v4, v5
	v_fma_f32 v4, |v0|, v6, -v4
.LBB153_43:
	s_or_b32 exec_lo, exec_lo, s0
	v_cmp_le_f16_e32 vcc_lo, 0, v3
	s_mov_b32 s1, exec_lo
	v_cmpx_nle_f16_e32 0, v3
	s_xor_b32 s6, exec_lo, s1
	s_cbranch_execz .LBB153_47
; %bb.44:
	v_cmp_gt_f32_e64 s0, 0x4b000000, |v0|
	v_cmp_lt_f32_e64 s1, 0x35000000, |v0|
	s_and_b32 s0, s0, s1
	s_and_saveexec_b32 s17, s0
	s_cbranch_execz .LBB153_46
; %bb.45:
	v_mul_f32_e64 v5, |v0|, 0.5
	s_mov_b32 s1, 0x3d4be544
	v_xor_b32_e32 v1, v1, v0
	v_floor_f32_e32 v6, v5
	v_cmp_neq_f32_e64 s0, 0x7f800000, v5
	v_sub_f32_e32 v6, v5, v6
	v_min_f32_e32 v6, 0x3f7fffff, v6
	v_add_f32_e32 v6, v6, v6
	v_cndmask_b32_e64 v5, 0, v6, s0
	v_cmp_gt_f32_e64 s0, |v0|, 1.0
	v_cndmask_b32_e64 v5, |v0|, v5, s0
	s_mov_b32 s0, 0x3e75aa41
	v_add_f32_e32 v6, v5, v5
	v_rndne_f32_e32 v6, v6
	v_fmac_f32_e32 v5, -0.5, v6
	v_cvt_i32_f32_e32 v6, v6
	v_mul_f32_e32 v7, v5, v5
	v_fmaak_f32 v8, s0, v7, 0xbf1f24be
	v_fmaak_f32 v9, s1, v7, 0x3e642e9d
	v_mul_f32_e32 v10, v5, v7
	v_fmaak_f32 v8, v7, v8, 0x40234736
	v_fmaak_f32 v9, v7, v9, 0xbfaad1da
	;; [unrolled: 1-line block ×4, first 2 shown]
	v_mul_f32_e32 v8, v10, v8
	v_fmaak_f32 v9, v7, v9, 0xc09de9e6
	v_and_b32_e32 v10, 1, v6
	v_lshlrev_b32_e32 v6, 30, v6
	v_fmamk_f32 v5, v5, 0x40490fdb, v8
	v_fma_f32 v7, v7, v9, 1.0
	v_cmp_eq_u32_e64 s0, 0, v10
	v_and_b32_e32 v6, 0x80000000, v6
	v_cndmask_b32_e64 v5, v7, v5, s0
	v_xor3_b32 v1, v1, v6, v5
	v_mul_f32_e32 v1, v0, v1
	v_frexp_mant_f32_e64 v5, |v1|
	v_frexp_exp_i32_f32_e32 v1, v1
	v_rcp_f32_e32 v5, v5
	v_sub_nc_u32_e32 v1, 2, v1
	v_mul_f32_e32 v5, 0x3f490fdb, v5
	v_ldexp_f32 v1, v5, v1
	v_cmp_gt_f32_e64 s0, 0x800000, v1
	v_cndmask_b32_e64 v5, 0, 32, s0
	v_ldexp_f32 v1, v1, v5
	v_log_f32_e32 v1, v1
	v_mul_f32_e32 v5, 0x3f317217, v1
	v_cmp_gt_f32_e64 s1, 0x7f800000, |v1|
	v_fma_f32 v6, 0x3f317217, v1, -v5
	v_fmamk_f32 v6, v1, 0x3377d1cf, v6
	v_add_f32_e32 v5, v5, v6
	v_floor_f32_e32 v6, v0
	v_cndmask_b32_e64 v1, v1, v5, s1
	v_cndmask_b32_e64 v5, 0, 0x41b17218, s0
	v_sub_f32_e32 v6, v0, v6
	v_sub_f32_e32 v1, v1, v5
	v_min_f32_e32 v5, 0x3f7fffff, v6
	v_sub_f32_e32 v1, v1, v4
	v_cmp_neq_f32_e64 s0, 0, v5
	v_cndmask_b32_e64 v4, 0x7f800000, v1, s0
.LBB153_46:
	s_or_b32 exec_lo, exec_lo, s17
.LBB153_47:
	s_andn2_saveexec_b32 s6, s6
; %bb.48:
	v_cmp_eq_f16_e64 s0, 1.0, v3
	v_cmp_eq_f16_e64 s1, 2.0, v3
	s_or_b32 s0, s0, s1
	v_cndmask_b32_e64 v4, v4, 0, s0
; %bb.49:
	s_or_b32 exec_lo, exec_lo, s6
	v_cvt_f16_f32_e32 v1, v4
	v_mul_lo_u32 v4, v2, s12
	v_cmp_gt_f32_e64 s0, 0x4b000000, |v0|
	s_and_b32 s1, s5, 0xff
	s_or_b32 vcc_lo, vcc_lo, s0
	v_cmp_class_f32_e64 s0, v0, 0x264
	v_cndmask_b32_e32 v1, 0x7c00, v1, vcc_lo
	v_ashrrev_i32_e32 v5, 31, v4
	v_add_co_u32 v0, vcc_lo, s8, v4
	s_cmp_lt_i32 s1, 11
	v_cndmask_b32_e64 v6, v1, 0x7c00, s0
	v_add_co_ci_u32_e64 v1, null, s9, v5, vcc_lo
	v_cmp_u_f16_e32 vcc_lo, v3, v3
	v_cndmask_b32_e32 v3, v6, v3, vcc_lo
	s_cbranch_scc1 .LBB153_57
; %bb.50:
	s_and_b32 s6, 0xffff, s1
	s_cmp_gt_i32 s6, 25
	s_cbranch_scc0 .LBB153_60
; %bb.51:
	s_cmp_gt_i32 s6, 28
	s_cbranch_scc0 .LBB153_62
; %bb.52:
	;; [unrolled: 3-line block ×4, first 2 shown]
	s_mov_b32 s18, 0
	s_mov_b32 s0, -1
	s_cmp_eq_u32 s6, 46
	s_mov_b32 s17, 0
	s_cbranch_scc0 .LBB153_71
; %bb.55:
	v_cvt_f32_f16_e32 v4, v3
	v_cmp_o_f16_e32 vcc_lo, v3, v3
	s_mov_b32 s17, -1
	s_mov_b32 s0, 0
	v_bfe_u32 v5, v4, 16, 1
	v_add3_u32 v4, v4, v5, 0x7fff
	v_mov_b32_e32 v5, 0x7fc0
	v_cndmask_b32_sdwa v4, v5, v4, vcc_lo dst_sel:DWORD dst_unused:UNUSED_PAD src0_sel:DWORD src1_sel:WORD_1
	global_store_dword v[0:1], v4, off
	s_branch .LBB153_71
.LBB153_56:
	s_mov_b32 s1, 0
                                        ; implicit-def: $vgpr3
	s_cbranch_execnz .LBB153_205
	s_branch .LBB153_239
.LBB153_57:
	s_mov_b32 s0, 0
	s_mov_b32 s17, 0
	s_cbranch_execnz .LBB153_140
.LBB153_58:
	s_andn2_b32 vcc_lo, exec_lo, s17
	s_cbranch_vccnz .LBB153_288
	s_branch .LBB153_178
.LBB153_59:
	s_mov_b32 s6, -1
	s_mov_b32 s1, 0
                                        ; implicit-def: $vgpr3
	s_branch .LBB153_186
.LBB153_60:
	s_mov_b32 s18, -1
	s_mov_b32 s0, 0
	s_mov_b32 s17, 0
	s_branch .LBB153_98
.LBB153_61:
	s_mov_b32 s6, -1
	s_mov_b32 s1, 0
                                        ; implicit-def: $vgpr3
	s_branch .LBB153_181
.LBB153_62:
	s_mov_b32 s18, -1
	s_mov_b32 s0, 0
	s_mov_b32 s17, 0
	s_branch .LBB153_81
.LBB153_63:
	s_mov_b32 s6, -1
	s_branch .LBB153_66
.LBB153_64:
	s_mov_b32 s18, -1
	s_mov_b32 s0, 0
	s_mov_b32 s17, 0
	s_branch .LBB153_77
.LBB153_65:
	s_mov_b32 s14, -1
.LBB153_66:
	s_mov_b32 s1, 0
                                        ; implicit-def: $vgpr3
.LBB153_67:
	s_and_b32 vcc_lo, exec_lo, s6
	s_cbranch_vccz .LBB153_180
; %bb.68:
	s_cmp_eq_u32 s0, 44
	s_cbranch_scc0 .LBB153_179
; %bb.69:
	global_load_ubyte v3, v[0:1], off
	s_mov_b32 s14, 0
	s_mov_b32 s1, -1
	s_waitcnt vmcnt(0)
	v_lshlrev_b32_e32 v4, 23, v3
	v_cmp_ne_u32_e32 vcc_lo, 0xff, v3
	v_cvt_f16_f32_e32 v4, v4
	v_cndmask_b32_e32 v4, 0x7e00, v4, vcc_lo
	v_cmp_ne_u32_e32 vcc_lo, 0, v3
	v_cndmask_b32_e32 v3, 0, v4, vcc_lo
	s_branch .LBB153_180
.LBB153_70:
	s_mov_b32 s18, -1
	s_mov_b32 s0, 0
	s_mov_b32 s17, 0
.LBB153_71:
	s_and_b32 vcc_lo, exec_lo, s18
	s_cbranch_vccz .LBB153_76
; %bb.72:
	s_cmp_eq_u32 s6, 44
	s_mov_b32 s0, -1
	s_cbranch_scc0 .LBB153_76
; %bb.73:
	v_cvt_f32_f16_e32 v4, v3
	v_mov_b32_e32 v5, 0xff
	s_mov_b32 s17, exec_lo
	v_bfe_u32 v6, v4, 23, 8
	v_cmpx_ne_u32_e32 0xff, v6
	s_cbranch_execz .LBB153_75
; %bb.74:
	v_and_b32_e32 v5, 0x400000, v4
	v_and_or_b32 v6, 0x3fffff, v4, v6
	v_lshrrev_b32_e32 v4, 23, v4
	v_cmp_ne_u32_e32 vcc_lo, 0, v5
	v_cmp_ne_u32_e64 s0, 0, v6
	s_and_b32 s0, vcc_lo, s0
	v_cndmask_b32_e64 v5, 0, 1, s0
	v_add_nc_u32_e32 v5, v4, v5
.LBB153_75:
	s_or_b32 exec_lo, exec_lo, s17
	s_mov_b32 s17, -1
	s_mov_b32 s0, 0
	global_store_byte v[0:1], v5, off
.LBB153_76:
	s_mov_b32 s18, 0
.LBB153_77:
	s_and_b32 vcc_lo, exec_lo, s18
	s_cbranch_vccz .LBB153_80
; %bb.78:
	s_cmp_eq_u32 s6, 29
	s_mov_b32 s0, -1
	s_cbranch_scc0 .LBB153_80
; %bb.79:
	v_cvt_f32_f16_e32 v4, v3
	v_mov_b32_e32 v5, 0
	s_mov_b32 s17, -1
	s_mov_b32 s0, 0
	s_mov_b32 s18, 0
	v_cvt_u32_f32_e32 v4, v4
	global_store_dwordx2 v[0:1], v[4:5], off
	s_branch .LBB153_81
.LBB153_80:
	s_mov_b32 s18, 0
.LBB153_81:
	s_and_b32 vcc_lo, exec_lo, s18
	s_cbranch_vccz .LBB153_97
; %bb.82:
	s_cmp_lt_i32 s6, 27
	s_mov_b32 s17, -1
	s_cbranch_scc1 .LBB153_88
; %bb.83:
	s_cmp_gt_i32 s6, 27
	s_cbranch_scc0 .LBB153_85
; %bb.84:
	v_cvt_f32_f16_e32 v4, v3
	s_mov_b32 s17, 0
	v_cvt_u32_f32_e32 v4, v4
	global_store_dword v[0:1], v4, off
.LBB153_85:
	s_andn2_b32 vcc_lo, exec_lo, s17
	s_cbranch_vccnz .LBB153_87
; %bb.86:
	v_cvt_u16_f16_e32 v4, v3
	global_store_short v[0:1], v4, off
.LBB153_87:
	s_mov_b32 s17, 0
.LBB153_88:
	s_andn2_b32 vcc_lo, exec_lo, s17
	s_cbranch_vccnz .LBB153_96
; %bb.89:
	v_cvt_f32_f16_e32 v4, v3
	v_mov_b32_e32 v6, 0x80
	s_mov_b32 s17, exec_lo
	v_and_b32_e32 v5, 0x7fffffff, v4
	v_cmpx_gt_u32_e32 0x43800000, v5
	s_cbranch_execz .LBB153_95
; %bb.90:
	v_cmp_lt_u32_e32 vcc_lo, 0x3bffffff, v5
	s_mov_b32 s18, 0
                                        ; implicit-def: $vgpr5
	s_and_saveexec_b32 s19, vcc_lo
	s_xor_b32 s19, exec_lo, s19
	s_cbranch_execz .LBB153_355
; %bb.91:
	v_bfe_u32 v5, v4, 20, 1
	s_mov_b32 s18, exec_lo
	v_add3_u32 v5, v4, v5, 0x487ffff
	v_lshrrev_b32_e32 v5, 20, v5
	s_andn2_saveexec_b32 s19, s19
	s_cbranch_execnz .LBB153_356
.LBB153_92:
	s_or_b32 exec_lo, exec_lo, s19
	v_mov_b32_e32 v6, 0
	s_and_saveexec_b32 s19, s18
.LBB153_93:
	v_lshrrev_b32_e32 v4, 24, v4
	v_and_or_b32 v6, 0x80, v4, v5
.LBB153_94:
	s_or_b32 exec_lo, exec_lo, s19
.LBB153_95:
	s_or_b32 exec_lo, exec_lo, s17
	global_store_byte v[0:1], v6, off
.LBB153_96:
	s_mov_b32 s17, -1
.LBB153_97:
	s_mov_b32 s18, 0
.LBB153_98:
	s_and_b32 vcc_lo, exec_lo, s18
	s_cbranch_vccz .LBB153_139
; %bb.99:
	s_cmp_gt_i32 s6, 22
	s_mov_b32 s18, -1
	s_cbranch_scc0 .LBB153_131
; %bb.100:
	s_cmp_lt_i32 s6, 24
	s_mov_b32 s17, -1
	s_cbranch_scc1 .LBB153_120
; %bb.101:
	s_cmp_gt_i32 s6, 24
	s_cbranch_scc0 .LBB153_109
; %bb.102:
	v_cvt_f32_f16_e32 v4, v3
	v_mov_b32_e32 v6, 0x80
	s_mov_b32 s17, exec_lo
	v_and_b32_e32 v5, 0x7fffffff, v4
	v_cmpx_gt_u32_e32 0x47800000, v5
	s_cbranch_execz .LBB153_108
; %bb.103:
	v_cmp_lt_u32_e32 vcc_lo, 0x37ffffff, v5
	s_mov_b32 s18, 0
                                        ; implicit-def: $vgpr5
	s_and_saveexec_b32 s19, vcc_lo
	s_xor_b32 s19, exec_lo, s19
	s_cbranch_execz .LBB153_359
; %bb.104:
	v_bfe_u32 v5, v4, 21, 1
	s_mov_b32 s18, exec_lo
	v_add3_u32 v5, v4, v5, 0x88fffff
	v_lshrrev_b32_e32 v5, 21, v5
	s_andn2_saveexec_b32 s19, s19
	s_cbranch_execnz .LBB153_360
.LBB153_105:
	s_or_b32 exec_lo, exec_lo, s19
	v_mov_b32_e32 v6, 0
	s_and_saveexec_b32 s19, s18
.LBB153_106:
	v_lshrrev_b32_e32 v4, 24, v4
	v_and_or_b32 v6, 0x80, v4, v5
.LBB153_107:
	s_or_b32 exec_lo, exec_lo, s19
.LBB153_108:
	s_or_b32 exec_lo, exec_lo, s17
	s_mov_b32 s17, 0
	global_store_byte v[0:1], v6, off
.LBB153_109:
	s_and_b32 vcc_lo, exec_lo, s17
	s_cbranch_vccz .LBB153_119
; %bb.110:
	v_cvt_f32_f16_e32 v4, v3
	s_mov_b32 s17, exec_lo
                                        ; implicit-def: $vgpr5
	v_and_b32_e32 v6, 0x7fffffff, v4
	v_cmpx_gt_u32_e32 0x43f00000, v6
	s_xor_b32 s17, exec_lo, s17
	s_cbranch_execz .LBB153_116
; %bb.111:
	s_mov_b32 s18, exec_lo
                                        ; implicit-def: $vgpr5
	v_cmpx_lt_u32_e32 0x3c7fffff, v6
	s_xor_b32 s18, exec_lo, s18
; %bb.112:
	v_bfe_u32 v5, v4, 20, 1
	v_add3_u32 v5, v4, v5, 0x407ffff
	v_and_b32_e32 v6, 0xff00000, v5
	v_lshrrev_b32_e32 v5, 20, v5
	v_cmp_ne_u32_e32 vcc_lo, 0x7f00000, v6
	v_cndmask_b32_e32 v5, 0x7e, v5, vcc_lo
; %bb.113:
	s_andn2_saveexec_b32 s18, s18
; %bb.114:
	v_add_f32_e64 v5, 0x46800000, |v4|
; %bb.115:
	s_or_b32 exec_lo, exec_lo, s18
                                        ; implicit-def: $vgpr6
.LBB153_116:
	s_andn2_saveexec_b32 s17, s17
; %bb.117:
	v_mov_b32_e32 v5, 0x7f
	v_cmp_lt_u32_e32 vcc_lo, 0x7f800000, v6
	v_cndmask_b32_e32 v5, 0x7e, v5, vcc_lo
; %bb.118:
	s_or_b32 exec_lo, exec_lo, s17
	v_lshrrev_b32_e32 v4, 24, v4
	v_and_or_b32 v4, 0x80, v4, v5
	global_store_byte v[0:1], v4, off
.LBB153_119:
	s_mov_b32 s17, 0
.LBB153_120:
	s_andn2_b32 vcc_lo, exec_lo, s17
	s_cbranch_vccnz .LBB153_130
; %bb.121:
	v_cvt_f32_f16_e32 v4, v3
	s_mov_b32 s17, exec_lo
                                        ; implicit-def: $vgpr5
	v_and_b32_e32 v6, 0x7fffffff, v4
	v_cmpx_gt_u32_e32 0x47800000, v6
	s_xor_b32 s17, exec_lo, s17
	s_cbranch_execz .LBB153_127
; %bb.122:
	s_mov_b32 s18, exec_lo
                                        ; implicit-def: $vgpr5
	v_cmpx_lt_u32_e32 0x387fffff, v6
	s_xor_b32 s18, exec_lo, s18
; %bb.123:
	v_bfe_u32 v5, v4, 21, 1
	v_add3_u32 v5, v4, v5, 0x80fffff
	v_lshrrev_b32_e32 v5, 21, v5
; %bb.124:
	s_andn2_saveexec_b32 s18, s18
; %bb.125:
	v_add_f32_e64 v5, 0x43000000, |v4|
; %bb.126:
	s_or_b32 exec_lo, exec_lo, s18
                                        ; implicit-def: $vgpr6
.LBB153_127:
	s_andn2_saveexec_b32 s17, s17
; %bb.128:
	v_mov_b32_e32 v5, 0x7f
	v_cmp_lt_u32_e32 vcc_lo, 0x7f800000, v6
	v_cndmask_b32_e32 v5, 0x7c, v5, vcc_lo
; %bb.129:
	s_or_b32 exec_lo, exec_lo, s17
	v_lshrrev_b32_e32 v4, 24, v4
	v_and_or_b32 v4, 0x80, v4, v5
	global_store_byte v[0:1], v4, off
.LBB153_130:
	s_mov_b32 s18, 0
	s_mov_b32 s17, -1
.LBB153_131:
	s_andn2_b32 vcc_lo, exec_lo, s18
	s_cbranch_vccnz .LBB153_139
; %bb.132:
	s_cmp_gt_i32 s6, 14
	s_mov_b32 s18, -1
	s_cbranch_scc0 .LBB153_136
; %bb.133:
	s_cmp_eq_u32 s6, 15
	s_mov_b32 s0, -1
	s_cbranch_scc0 .LBB153_135
; %bb.134:
	v_cvt_f32_f16_e32 v4, v3
	v_cmp_o_f16_e32 vcc_lo, v3, v3
	s_mov_b32 s17, -1
	s_mov_b32 s0, 0
	v_bfe_u32 v5, v4, 16, 1
	v_add3_u32 v4, v4, v5, 0x7fff
	v_mov_b32_e32 v5, 0x7fc0
	v_cndmask_b32_sdwa v4, v5, v4, vcc_lo dst_sel:DWORD dst_unused:UNUSED_PAD src0_sel:DWORD src1_sel:WORD_1
	global_store_short v[0:1], v4, off
.LBB153_135:
	s_mov_b32 s18, 0
.LBB153_136:
	s_and_b32 vcc_lo, exec_lo, s18
	s_cbranch_vccz .LBB153_139
; %bb.137:
	s_cmp_eq_u32 s6, 11
	s_mov_b32 s0, -1
	s_cbranch_scc0 .LBB153_139
; %bb.138:
	v_cmp_neq_f16_e32 vcc_lo, 0, v3
	s_mov_b32 s0, 0
	s_mov_b32 s17, -1
	v_cndmask_b32_e64 v4, 0, 1, vcc_lo
	global_store_byte v[0:1], v4, off
.LBB153_139:
	s_branch .LBB153_58
.LBB153_140:
	s_and_b32 s1, 0xffff, s1
	s_mov_b32 s6, -1
	s_cmp_lt_i32 s1, 5
	s_cbranch_scc1 .LBB153_161
; %bb.141:
	s_cmp_lt_i32 s1, 8
	s_cbranch_scc1 .LBB153_151
; %bb.142:
	s_cmp_lt_i32 s1, 9
	s_cbranch_scc1 .LBB153_148
; %bb.143:
	s_cmp_gt_i32 s1, 9
	s_cbranch_scc0 .LBB153_145
; %bb.144:
	v_cvt_f32_f16_e32 v4, v3
	v_mov_b32_e32 v6, 0
	s_mov_b32 s6, 0
	v_cvt_f64_f32_e32 v[4:5], v4
	v_mov_b32_e32 v7, v6
	global_store_dwordx4 v[0:1], v[4:7], off
.LBB153_145:
	s_andn2_b32 vcc_lo, exec_lo, s6
	s_cbranch_vccnz .LBB153_147
; %bb.146:
	v_cvt_f32_f16_e32 v4, v3
	v_mov_b32_e32 v5, 0
	global_store_dwordx2 v[0:1], v[4:5], off
.LBB153_147:
	s_mov_b32 s6, 0
.LBB153_148:
	s_andn2_b32 vcc_lo, exec_lo, s6
	s_cbranch_vccnz .LBB153_150
; %bb.149:
	v_and_b32_e32 v4, 0xffff, v3
	global_store_dword v[0:1], v4, off
.LBB153_150:
	s_mov_b32 s6, 0
.LBB153_151:
	s_andn2_b32 vcc_lo, exec_lo, s6
	s_cbranch_vccnz .LBB153_160
; %bb.152:
	s_cmp_lt_i32 s1, 6
	s_mov_b32 s6, -1
	s_cbranch_scc1 .LBB153_158
; %bb.153:
	s_cmp_gt_i32 s1, 6
	s_cbranch_scc0 .LBB153_155
; %bb.154:
	v_cvt_f32_f16_e32 v4, v3
	s_mov_b32 s6, 0
	v_cvt_f64_f32_e32 v[4:5], v4
	global_store_dwordx2 v[0:1], v[4:5], off
.LBB153_155:
	s_andn2_b32 vcc_lo, exec_lo, s6
	s_cbranch_vccnz .LBB153_157
; %bb.156:
	v_cvt_f32_f16_e32 v4, v3
	global_store_dword v[0:1], v4, off
.LBB153_157:
	s_mov_b32 s6, 0
.LBB153_158:
	s_andn2_b32 vcc_lo, exec_lo, s6
	s_cbranch_vccnz .LBB153_160
; %bb.159:
	global_store_short v[0:1], v3, off
.LBB153_160:
	s_mov_b32 s6, 0
.LBB153_161:
	s_andn2_b32 vcc_lo, exec_lo, s6
	s_cbranch_vccnz .LBB153_177
; %bb.162:
	s_cmp_lt_i32 s1, 2
	s_mov_b32 s6, -1
	s_cbranch_scc1 .LBB153_172
; %bb.163:
	s_cmp_lt_i32 s1, 3
	s_cbranch_scc1 .LBB153_169
; %bb.164:
	s_cmp_gt_i32 s1, 3
	s_cbranch_scc0 .LBB153_166
; %bb.165:
	v_cvt_f32_f16_e32 v4, v3
	s_mov_b32 s6, 0
	v_cvt_i32_f32_e32 v4, v4
	v_ashrrev_i32_e32 v5, 31, v4
	global_store_dwordx2 v[0:1], v[4:5], off
.LBB153_166:
	s_andn2_b32 vcc_lo, exec_lo, s6
	s_cbranch_vccnz .LBB153_168
; %bb.167:
	v_cvt_f32_f16_e32 v4, v3
	v_cvt_i32_f32_e32 v4, v4
	global_store_dword v[0:1], v4, off
.LBB153_168:
	s_mov_b32 s6, 0
.LBB153_169:
	s_andn2_b32 vcc_lo, exec_lo, s6
	s_cbranch_vccnz .LBB153_171
; %bb.170:
	v_cvt_i16_f16_e32 v4, v3
	global_store_short v[0:1], v4, off
.LBB153_171:
	s_mov_b32 s6, 0
.LBB153_172:
	s_andn2_b32 vcc_lo, exec_lo, s6
	s_cbranch_vccnz .LBB153_177
; %bb.173:
	s_cmp_gt_i32 s1, 0
	s_mov_b32 s1, -1
	s_cbranch_scc0 .LBB153_175
; %bb.174:
	v_cvt_i16_f16_e32 v4, v3
	s_mov_b32 s1, 0
	global_store_byte v[0:1], v4, off
.LBB153_175:
	s_andn2_b32 vcc_lo, exec_lo, s1
	s_cbranch_vccnz .LBB153_177
; %bb.176:
	v_cvt_f32_f16_e32 v3, v3
	v_cvt_i32_f32_e32 v3, v3
	global_store_byte v[0:1], v3, off
.LBB153_177:
.LBB153_178:
	v_add_nc_u32_e32 v2, 0x80, v2
	s_mov_b32 s1, -1
	s_branch .LBB153_289
.LBB153_179:
	s_mov_b32 s14, -1
                                        ; implicit-def: $vgpr3
.LBB153_180:
	s_mov_b32 s6, 0
.LBB153_181:
	s_and_b32 vcc_lo, exec_lo, s6
	s_cbranch_vccz .LBB153_185
; %bb.182:
	s_cmp_eq_u32 s0, 29
	s_cbranch_scc0 .LBB153_184
; %bb.183:
	global_load_dwordx2 v[3:4], v[0:1], off
	s_mov_b32 s1, -1
	s_mov_b32 s14, 0
	s_mov_b32 s6, 0
	s_waitcnt vmcnt(0)
	v_ffbh_u32_e32 v5, v4
	v_min_u32_e32 v5, 32, v5
	v_lshlrev_b64 v[3:4], v5, v[3:4]
	v_min_u32_e32 v3, 1, v3
	v_or_b32_e32 v3, v4, v3
	v_sub_nc_u32_e32 v4, 32, v5
	v_cvt_f32_u32_e32 v3, v3
	v_ldexp_f32 v3, v3, v4
	v_cvt_f16_f32_e32 v3, v3
	s_branch .LBB153_186
.LBB153_184:
	s_mov_b32 s14, -1
                                        ; implicit-def: $vgpr3
.LBB153_185:
	s_mov_b32 s6, 0
.LBB153_186:
	s_and_b32 vcc_lo, exec_lo, s6
	s_cbranch_vccz .LBB153_204
; %bb.187:
	s_cmp_lt_i32 s0, 27
	s_cbranch_scc1 .LBB153_190
; %bb.188:
	s_cmp_gt_i32 s0, 27
	s_cbranch_scc0 .LBB153_191
; %bb.189:
	global_load_dword v3, v[0:1], off
	s_mov_b32 s1, 0
	s_waitcnt vmcnt(0)
	v_cvt_f32_u32_e32 v3, v3
	v_cvt_f16_f32_e32 v3, v3
	s_branch .LBB153_192
.LBB153_190:
	s_mov_b32 s1, -1
                                        ; implicit-def: $vgpr3
	s_branch .LBB153_195
.LBB153_191:
	s_mov_b32 s1, -1
                                        ; implicit-def: $vgpr3
.LBB153_192:
	s_andn2_b32 vcc_lo, exec_lo, s1
	s_cbranch_vccnz .LBB153_194
; %bb.193:
	global_load_ushort v3, v[0:1], off
	s_waitcnt vmcnt(0)
	v_cvt_f16_u16_e32 v3, v3
.LBB153_194:
	s_mov_b32 s1, 0
.LBB153_195:
	s_andn2_b32 vcc_lo, exec_lo, s1
	s_cbranch_vccnz .LBB153_203
; %bb.196:
	global_load_ubyte v4, v[0:1], off
	s_mov_b32 s1, 0
	s_mov_b32 s6, exec_lo
	s_waitcnt vmcnt(0)
	v_cmpx_lt_i16_e32 0x7f, v4
	s_xor_b32 s6, exec_lo, s6
	s_cbranch_execz .LBB153_216
; %bb.197:
	s_mov_b32 s1, -1
	s_mov_b32 s17, exec_lo
	v_cmpx_eq_u16_e32 0x80, v4
; %bb.198:
	s_xor_b32 s1, exec_lo, -1
; %bb.199:
	s_or_b32 exec_lo, exec_lo, s17
	s_and_b32 s1, s1, exec_lo
	s_or_saveexec_b32 s6, s6
	v_mov_b32_e32 v3, 0x7e00
	s_xor_b32 exec_lo, exec_lo, s6
	s_cbranch_execnz .LBB153_217
.LBB153_200:
	s_or_b32 exec_lo, exec_lo, s6
	s_and_saveexec_b32 s6, s1
	s_cbranch_execz .LBB153_202
.LBB153_201:
	v_and_b32_e32 v3, 0xffff, v4
	v_lshlrev_b32_e32 v4, 24, v4
	v_and_b32_e32 v5, 7, v3
	v_bfe_u32 v8, v3, 3, 4
	v_and_b32_e32 v4, 0x80000000, v4
	v_ffbh_u32_e32 v6, v5
	v_cmp_eq_u32_e32 vcc_lo, 0, v8
	v_min_u32_e32 v6, 32, v6
	v_subrev_nc_u32_e32 v7, 28, v6
	v_sub_nc_u32_e32 v6, 29, v6
	v_lshlrev_b32_e32 v3, v7, v3
	v_cndmask_b32_e32 v6, v8, v6, vcc_lo
	v_and_b32_e32 v3, 7, v3
	v_cndmask_b32_e32 v3, v5, v3, vcc_lo
	v_lshl_add_u32 v5, v6, 23, 0x3b800000
	v_lshlrev_b32_e32 v3, 20, v3
	v_or3_b32 v3, v4, v5, v3
	v_cvt_f16_f32_e32 v3, v3
.LBB153_202:
	s_or_b32 exec_lo, exec_lo, s6
.LBB153_203:
	s_mov_b32 s1, -1
.LBB153_204:
	s_branch .LBB153_239
.LBB153_205:
	s_cmp_gt_i32 s0, 22
	s_cbranch_scc0 .LBB153_215
; %bb.206:
	s_cmp_lt_i32 s0, 24
	s_cbranch_scc1 .LBB153_218
; %bb.207:
	s_cmp_gt_i32 s0, 24
	s_cbranch_scc0 .LBB153_219
; %bb.208:
	global_load_ubyte v4, v[0:1], off
	s_mov_b32 s1, 0
	s_mov_b32 s6, exec_lo
	s_waitcnt vmcnt(0)
	v_cmpx_lt_i16_e32 0x7f, v4
	s_xor_b32 s6, exec_lo, s6
	s_cbranch_execz .LBB153_231
; %bb.209:
	s_mov_b32 s1, -1
	s_mov_b32 s17, exec_lo
	v_cmpx_eq_u16_e32 0x80, v4
; %bb.210:
	s_xor_b32 s1, exec_lo, -1
; %bb.211:
	s_or_b32 exec_lo, exec_lo, s17
	s_and_b32 s1, s1, exec_lo
	s_or_saveexec_b32 s6, s6
	v_mov_b32_e32 v3, 0x7e00
	s_xor_b32 exec_lo, exec_lo, s6
	s_cbranch_execnz .LBB153_232
.LBB153_212:
	s_or_b32 exec_lo, exec_lo, s6
	s_and_saveexec_b32 s6, s1
	s_cbranch_execz .LBB153_214
.LBB153_213:
	v_and_b32_e32 v3, 0xffff, v4
	v_lshlrev_b32_e32 v4, 24, v4
	v_and_b32_e32 v5, 3, v3
	v_bfe_u32 v8, v3, 2, 5
	v_and_b32_e32 v4, 0x80000000, v4
	v_ffbh_u32_e32 v6, v5
	v_cmp_eq_u32_e32 vcc_lo, 0, v8
	v_min_u32_e32 v6, 32, v6
	v_subrev_nc_u32_e32 v7, 29, v6
	v_sub_nc_u32_e32 v6, 30, v6
	v_lshlrev_b32_e32 v3, v7, v3
	v_cndmask_b32_e32 v6, v8, v6, vcc_lo
	v_and_b32_e32 v3, 3, v3
	v_cndmask_b32_e32 v3, v5, v3, vcc_lo
	v_lshl_add_u32 v5, v6, 23, 0x37800000
	v_lshlrev_b32_e32 v3, 21, v3
	v_or3_b32 v3, v4, v5, v3
	v_cvt_f16_f32_e32 v3, v3
.LBB153_214:
	s_or_b32 exec_lo, exec_lo, s6
	s_mov_b32 s1, 0
	s_branch .LBB153_220
.LBB153_215:
	s_mov_b32 s6, -1
                                        ; implicit-def: $vgpr3
	s_branch .LBB153_226
.LBB153_216:
	s_or_saveexec_b32 s6, s6
	v_mov_b32_e32 v3, 0x7e00
	s_xor_b32 exec_lo, exec_lo, s6
	s_cbranch_execz .LBB153_200
.LBB153_217:
	v_cmp_ne_u16_e32 vcc_lo, 0, v4
	v_mov_b32_e32 v3, v4
	s_andn2_b32 s1, s1, exec_lo
	s_and_b32 s17, vcc_lo, exec_lo
	s_or_b32 s1, s1, s17
	s_or_b32 exec_lo, exec_lo, s6
	s_and_saveexec_b32 s6, s1
	s_cbranch_execnz .LBB153_201
	s_branch .LBB153_202
.LBB153_218:
	s_mov_b32 s1, -1
                                        ; implicit-def: $vgpr3
	s_branch .LBB153_223
.LBB153_219:
	s_mov_b32 s1, -1
                                        ; implicit-def: $vgpr3
.LBB153_220:
	s_and_b32 vcc_lo, exec_lo, s1
	s_cbranch_vccz .LBB153_222
; %bb.221:
	global_load_ubyte v3, v[0:1], off
	s_waitcnt vmcnt(0)
	v_lshlrev_b32_e32 v3, 24, v3
	v_and_b32_e32 v4, 0x7f000000, v3
	v_ffbh_u32_e32 v5, v4
	v_add_nc_u32_e32 v7, 0x1000000, v4
	v_cmp_ne_u32_e32 vcc_lo, 0, v4
	v_min_u32_e32 v5, 32, v5
	v_sub_nc_u32_e64 v5, v5, 4 clamp
	v_lshlrev_b32_e32 v6, v5, v4
	v_lshlrev_b32_e32 v5, 23, v5
	v_lshrrev_b32_e32 v6, 4, v6
	v_sub_nc_u32_e32 v5, v6, v5
	v_ashrrev_i32_e32 v6, 8, v7
	v_add_nc_u32_e32 v5, 0x3c000000, v5
	v_and_or_b32 v5, 0x7f800000, v6, v5
	v_cndmask_b32_e32 v4, 0, v5, vcc_lo
	v_and_or_b32 v3, 0x80000000, v3, v4
	v_cvt_f16_f32_e32 v3, v3
.LBB153_222:
	s_mov_b32 s1, 0
.LBB153_223:
	s_andn2_b32 vcc_lo, exec_lo, s1
	s_cbranch_vccnz .LBB153_225
; %bb.224:
	global_load_ubyte v3, v[0:1], off
	s_waitcnt vmcnt(0)
	v_lshlrev_b32_e32 v4, 25, v3
	v_lshlrev_b16 v3, 8, v3
	v_lshrrev_b32_e32 v5, 4, v4
	v_and_or_b32 v6, 0x7f00, v3, 0.5
	v_cmp_gt_u32_e32 vcc_lo, 0x8000000, v4
	v_bfe_i32 v3, v3, 0, 16
	v_or_b32_e32 v5, 0x70000000, v5
	v_add_f32_e32 v6, -0.5, v6
	v_mul_f32_e32 v5, 0x7800000, v5
	v_cndmask_b32_e32 v4, v5, v6, vcc_lo
	v_and_or_b32 v3, 0x80000000, v3, v4
	v_cvt_f16_f32_e32 v3, v3
.LBB153_225:
	s_mov_b32 s6, 0
	s_mov_b32 s1, -1
.LBB153_226:
	s_andn2_b32 vcc_lo, exec_lo, s6
	s_cbranch_vccnz .LBB153_239
; %bb.227:
	s_cmp_gt_i32 s0, 14
	s_cbranch_scc0 .LBB153_230
; %bb.228:
	s_cmp_eq_u32 s0, 15
	s_cbranch_scc0 .LBB153_233
; %bb.229:
	global_load_ushort v3, v[0:1], off
	s_mov_b32 s1, -1
	s_mov_b32 s14, 0
	s_waitcnt vmcnt(0)
	v_lshlrev_b32_e32 v3, 16, v3
	v_cvt_f16_f32_e32 v3, v3
	s_branch .LBB153_234
.LBB153_230:
	s_mov_b32 s6, -1
                                        ; implicit-def: $vgpr3
	s_branch .LBB153_235
.LBB153_231:
	s_or_saveexec_b32 s6, s6
	v_mov_b32_e32 v3, 0x7e00
	s_xor_b32 exec_lo, exec_lo, s6
	s_cbranch_execz .LBB153_212
.LBB153_232:
	v_cmp_ne_u16_e32 vcc_lo, 0, v4
	v_mov_b32_e32 v3, v4
	s_andn2_b32 s1, s1, exec_lo
	s_and_b32 s17, vcc_lo, exec_lo
	s_or_b32 s1, s1, s17
	s_or_b32 exec_lo, exec_lo, s6
	s_and_saveexec_b32 s6, s1
	s_cbranch_execnz .LBB153_213
	s_branch .LBB153_214
.LBB153_233:
	s_mov_b32 s14, -1
                                        ; implicit-def: $vgpr3
.LBB153_234:
	s_mov_b32 s6, 0
.LBB153_235:
	s_and_b32 vcc_lo, exec_lo, s6
	s_cbranch_vccz .LBB153_239
; %bb.236:
	s_cmp_eq_u32 s0, 11
	s_cbranch_scc0 .LBB153_238
; %bb.237:
	global_load_ubyte v3, v[0:1], off
	s_mov_b32 s14, 0
	s_mov_b32 s1, -1
	s_waitcnt vmcnt(0)
	v_cmp_ne_u16_e32 vcc_lo, 0, v3
	v_cndmask_b32_e64 v3, 0, 0x3c00, vcc_lo
	s_branch .LBB153_239
.LBB153_238:
	s_mov_b32 s14, -1
                                        ; implicit-def: $vgpr3
.LBB153_239:
	s_branch .LBB153_10
.LBB153_240:
	s_cmp_lt_i32 s0, 5
	s_cbranch_scc1 .LBB153_245
; %bb.241:
	s_cmp_lt_i32 s0, 8
	s_cbranch_scc1 .LBB153_246
; %bb.242:
	;; [unrolled: 3-line block ×3, first 2 shown]
	s_cmp_gt_i32 s0, 9
	s_cbranch_scc0 .LBB153_248
; %bb.244:
	global_load_dwordx2 v[3:4], v[0:1], off
	s_mov_b32 s1, 0
	s_waitcnt vmcnt(0)
	v_and_or_b32 v3, 0x1ff, v4, v3
	v_lshrrev_b32_e32 v5, 8, v4
	v_bfe_u32 v6, v4, 20, 11
	v_lshrrev_b32_e32 v4, 16, v4
	v_cmp_ne_u32_e32 vcc_lo, 0, v3
	v_sub_nc_u32_e32 v7, 0x3f1, v6
	v_add_nc_u32_e32 v6, 0xfffffc10, v6
	v_cndmask_b32_e64 v3, 0, 1, vcc_lo
	v_and_or_b32 v3, 0xffe, v5, v3
	v_med3_i32 v5, v7, 0, 13
	v_or_b32_e32 v7, 0x1000, v3
	v_lshrrev_b32_e32 v8, v5, v7
	v_lshlrev_b32_e32 v5, v5, v8
	v_cmp_ne_u32_e32 vcc_lo, v5, v7
	v_lshl_or_b32 v7, v6, 12, v3
	v_cndmask_b32_e64 v5, 0, 1, vcc_lo
	v_cmp_gt_i32_e32 vcc_lo, 1, v6
	v_or_b32_e32 v5, v8, v5
	v_cndmask_b32_e32 v5, v7, v5, vcc_lo
	v_and_b32_e32 v7, 7, v5
	v_lshrrev_b32_e32 v5, 2, v5
	v_cmp_lt_i32_e32 vcc_lo, 5, v7
	v_cndmask_b32_e64 v8, 0, 1, vcc_lo
	v_cmp_eq_u32_e32 vcc_lo, 3, v7
	v_cndmask_b32_e64 v7, 0, 1, vcc_lo
	v_cmp_ne_u32_e32 vcc_lo, 0, v3
	v_or_b32_e32 v7, v7, v8
	v_mov_b32_e32 v8, 0x7e00
	v_add_nc_u32_e32 v5, v5, v7
	v_cndmask_b32_e32 v3, 0x7c00, v8, vcc_lo
	v_cmp_gt_i32_e32 vcc_lo, 31, v6
	v_cndmask_b32_e32 v5, 0x7c00, v5, vcc_lo
	v_cmp_eq_u32_e32 vcc_lo, 0x40f, v6
	v_cndmask_b32_e32 v3, v5, v3, vcc_lo
	v_and_or_b32 v3, 0x8000, v4, v3
	s_branch .LBB153_249
.LBB153_245:
                                        ; implicit-def: $vgpr3
	s_branch .LBB153_267
.LBB153_246:
	s_mov_b32 s1, -1
                                        ; implicit-def: $vgpr3
	s_branch .LBB153_255
.LBB153_247:
	s_mov_b32 s1, -1
                                        ; implicit-def: $vgpr3
	s_branch .LBB153_252
.LBB153_248:
	s_mov_b32 s1, -1
                                        ; implicit-def: $vgpr3
.LBB153_249:
	s_andn2_b32 vcc_lo, exec_lo, s1
	s_cbranch_vccnz .LBB153_251
; %bb.250:
	global_load_dword v3, v[0:1], off
	s_waitcnt vmcnt(0)
	v_cvt_f16_f32_e32 v3, v3
.LBB153_251:
	s_mov_b32 s1, 0
.LBB153_252:
	s_andn2_b32 vcc_lo, exec_lo, s1
	s_cbranch_vccnz .LBB153_254
; %bb.253:
	global_load_dword v3, v[0:1], off
.LBB153_254:
	s_mov_b32 s1, 0
.LBB153_255:
	s_andn2_b32 vcc_lo, exec_lo, s1
	s_cbranch_vccnz .LBB153_266
; %bb.256:
	s_cmp_lt_i32 s0, 6
	s_cbranch_scc1 .LBB153_259
; %bb.257:
	s_cmp_gt_i32 s0, 6
	s_cbranch_scc0 .LBB153_260
; %bb.258:
	global_load_dwordx2 v[3:4], v[0:1], off
	s_mov_b32 s1, 0
	s_waitcnt vmcnt(0)
	v_and_or_b32 v3, 0x1ff, v4, v3
	v_lshrrev_b32_e32 v5, 8, v4
	v_bfe_u32 v6, v4, 20, 11
	v_lshrrev_b32_e32 v4, 16, v4
	v_cmp_ne_u32_e32 vcc_lo, 0, v3
	v_sub_nc_u32_e32 v7, 0x3f1, v6
	v_add_nc_u32_e32 v6, 0xfffffc10, v6
	v_cndmask_b32_e64 v3, 0, 1, vcc_lo
	v_and_or_b32 v3, 0xffe, v5, v3
	v_med3_i32 v5, v7, 0, 13
	v_or_b32_e32 v7, 0x1000, v3
	v_lshrrev_b32_e32 v8, v5, v7
	v_lshlrev_b32_e32 v5, v5, v8
	v_cmp_ne_u32_e32 vcc_lo, v5, v7
	v_lshl_or_b32 v7, v6, 12, v3
	v_cndmask_b32_e64 v5, 0, 1, vcc_lo
	v_cmp_gt_i32_e32 vcc_lo, 1, v6
	v_or_b32_e32 v5, v8, v5
	v_cndmask_b32_e32 v5, v7, v5, vcc_lo
	v_and_b32_e32 v7, 7, v5
	v_lshrrev_b32_e32 v5, 2, v5
	v_cmp_lt_i32_e32 vcc_lo, 5, v7
	v_cndmask_b32_e64 v8, 0, 1, vcc_lo
	v_cmp_eq_u32_e32 vcc_lo, 3, v7
	v_cndmask_b32_e64 v7, 0, 1, vcc_lo
	v_cmp_ne_u32_e32 vcc_lo, 0, v3
	v_or_b32_e32 v7, v7, v8
	v_mov_b32_e32 v8, 0x7e00
	v_add_nc_u32_e32 v5, v5, v7
	v_cndmask_b32_e32 v3, 0x7c00, v8, vcc_lo
	v_cmp_gt_i32_e32 vcc_lo, 31, v6
	v_cndmask_b32_e32 v5, 0x7c00, v5, vcc_lo
	v_cmp_eq_u32_e32 vcc_lo, 0x40f, v6
	v_cndmask_b32_e32 v3, v5, v3, vcc_lo
	v_and_or_b32 v3, 0x8000, v4, v3
	s_branch .LBB153_261
.LBB153_259:
	s_mov_b32 s1, -1
                                        ; implicit-def: $vgpr3
	s_branch .LBB153_264
.LBB153_260:
	s_mov_b32 s1, -1
                                        ; implicit-def: $vgpr3
.LBB153_261:
	s_andn2_b32 vcc_lo, exec_lo, s1
	s_cbranch_vccnz .LBB153_263
; %bb.262:
	global_load_dword v3, v[0:1], off
	s_waitcnt vmcnt(0)
	v_cvt_f16_f32_e32 v3, v3
.LBB153_263:
	s_mov_b32 s1, 0
.LBB153_264:
	s_andn2_b32 vcc_lo, exec_lo, s1
	s_cbranch_vccnz .LBB153_266
; %bb.265:
	global_load_ushort v3, v[0:1], off
.LBB153_266:
	s_cbranch_execnz .LBB153_286
.LBB153_267:
	s_cmp_lt_i32 s0, 2
	s_cbranch_scc1 .LBB153_271
; %bb.268:
	s_cmp_lt_i32 s0, 3
	s_cbranch_scc1 .LBB153_272
; %bb.269:
	s_cmp_gt_i32 s0, 3
	s_cbranch_scc0 .LBB153_273
; %bb.270:
	global_load_dwordx2 v[3:4], v[0:1], off
	s_mov_b32 s1, 0
	s_waitcnt vmcnt(0)
	v_xor_b32_e32 v5, v3, v4
	v_ffbh_i32_e32 v6, v4
	v_ashrrev_i32_e32 v5, 31, v5
	v_add_nc_u32_e32 v6, -1, v6
	v_add_nc_u32_e32 v5, 32, v5
	v_min_u32_e32 v5, v6, v5
	v_lshlrev_b64 v[3:4], v5, v[3:4]
	v_min_u32_e32 v3, 1, v3
	v_or_b32_e32 v3, v4, v3
	v_sub_nc_u32_e32 v4, 32, v5
	v_cvt_f32_i32_e32 v3, v3
	v_ldexp_f32 v3, v3, v4
	v_cvt_f16_f32_e32 v3, v3
	s_branch .LBB153_274
.LBB153_271:
	s_mov_b32 s1, -1
                                        ; implicit-def: $vgpr3
	s_branch .LBB153_280
.LBB153_272:
	s_mov_b32 s1, -1
                                        ; implicit-def: $vgpr3
	s_branch .LBB153_277
.LBB153_273:
	s_mov_b32 s1, -1
                                        ; implicit-def: $vgpr3
.LBB153_274:
	s_andn2_b32 vcc_lo, exec_lo, s1
	s_cbranch_vccnz .LBB153_276
; %bb.275:
	global_load_dword v3, v[0:1], off
	s_waitcnt vmcnt(0)
	v_cvt_f32_i32_e32 v3, v3
	v_cvt_f16_f32_e32 v3, v3
.LBB153_276:
	s_mov_b32 s1, 0
.LBB153_277:
	s_andn2_b32 vcc_lo, exec_lo, s1
	s_cbranch_vccnz .LBB153_279
; %bb.278:
	global_load_ushort v3, v[0:1], off
	s_waitcnt vmcnt(0)
	v_cvt_f16_i16_e32 v3, v3
.LBB153_279:
	s_mov_b32 s1, 0
.LBB153_280:
	s_andn2_b32 vcc_lo, exec_lo, s1
	s_cbranch_vccnz .LBB153_286
; %bb.281:
	s_cmp_gt_i32 s0, 0
	s_mov_b32 s0, 0
	s_cbranch_scc0 .LBB153_283
; %bb.282:
	global_load_sbyte v3, v[0:1], off
	s_waitcnt vmcnt(0)
	v_cvt_f16_i16_e32 v3, v3
	s_branch .LBB153_284
.LBB153_283:
	s_mov_b32 s0, -1
                                        ; implicit-def: $vgpr3
.LBB153_284:
	s_andn2_b32 vcc_lo, exec_lo, s0
	s_cbranch_vccnz .LBB153_286
; %bb.285:
	global_load_ubyte v0, v[0:1], off
	s_waitcnt vmcnt(0)
	v_cvt_f16_u16_e32 v3, v0
.LBB153_286:
	s_branch .LBB153_11
.LBB153_287:
	s_mov_b32 s0, 0
.LBB153_288:
	s_mov_b32 s1, 0
                                        ; implicit-def: $vgpr2
.LBB153_289:
	s_and_b32 s6, s0, exec_lo
	s_and_b32 s14, s14, exec_lo
	s_orn2_b32 s1, s1, exec_lo
.LBB153_290:
	s_or_b32 exec_lo, exec_lo, s15
	s_mov_b32 s17, 0
	s_mov_b32 s0, 0
                                        ; implicit-def: $vgpr0_vgpr1
                                        ; implicit-def: $vgpr3
	s_and_saveexec_b32 s15, s1
	s_cbranch_execz .LBB153_299
; %bb.291:
	s_mov_b32 s0, -1
	s_mov_b32 s16, s14
	s_mov_b32 s17, s6
	s_mov_b32 s18, exec_lo
	v_cmpx_gt_i32_e64 s7, v2
	s_cbranch_execz .LBB153_591
; %bb.292:
	v_mul_lo_u32 v0, v2, s13
	s_and_b32 s0, 0xffff, s3
	s_cmp_lt_i32 s0, 11
	v_ashrrev_i32_e32 v1, 31, v0
	v_add_co_u32 v0, vcc_lo, s10, v0
	v_add_co_ci_u32_e64 v1, null, s11, v1, vcc_lo
	s_cbranch_scc1 .LBB153_302
; %bb.293:
	s_cmp_gt_i32 s0, 25
	s_cbranch_scc0 .LBB153_349
; %bb.294:
	s_cmp_gt_i32 s0, 28
	s_cbranch_scc0 .LBB153_351
	;; [unrolled: 3-line block ×4, first 2 shown]
; %bb.297:
	s_cmp_eq_u32 s0, 46
	s_mov_b32 s17, 0
	s_cbranch_scc0 .LBB153_361
; %bb.298:
	global_load_dword v3, v[0:1], off
	s_mov_b32 s1, -1
	s_mov_b32 s16, 0
	s_waitcnt vmcnt(0)
	v_lshlrev_b32_e32 v3, 16, v3
	v_cvt_f16_f32_e32 v3, v3
	s_branch .LBB153_363
.LBB153_299:
	s_or_b32 exec_lo, exec_lo, s15
	s_mov_b32 s7, 0
	s_and_saveexec_b32 s1, s14
	s_cbranch_execnz .LBB153_977
.LBB153_300:
	s_or_b32 exec_lo, exec_lo, s1
	s_and_saveexec_b32 s1, s16
	s_xor_b32 s1, exec_lo, s1
	s_cbranch_execz .LBB153_978
.LBB153_301:
	global_load_ubyte v3, v[0:1], off
	s_or_b32 s0, s0, exec_lo
	s_waitcnt vmcnt(0)
	v_cmp_ne_u16_e32 vcc_lo, 0, v3
	v_cndmask_b32_e64 v3, 0, 0x3c00, vcc_lo
	s_or_b32 exec_lo, exec_lo, s1
	s_and_saveexec_b32 s1, s17
	s_cbranch_execz .LBB153_1024
	s_branch .LBB153_979
.LBB153_302:
	s_mov_b32 s1, 0
	s_mov_b32 s16, s14
                                        ; implicit-def: $vgpr3
	s_cbranch_execnz .LBB153_540
.LBB153_303:
	s_andn2_b32 vcc_lo, exec_lo, s1
	s_cbranch_vccnz .LBB153_588
.LBB153_304:
	s_waitcnt vmcnt(0)
	v_cvt_f32_f16_e32 v0, v3
	s_mov_b32 s1, exec_lo
                                        ; implicit-def: $vgpr4
	v_and_b32_e32 v1, 0x7fffffff, v0
	v_cmpx_ngt_f32_e64 0x3c800000, |v0|
	s_xor_b32 s1, exec_lo, s1
	s_cbranch_execz .LBB153_334
; %bb.305:
	s_mov_b32 s17, exec_lo
                                        ; implicit-def: $vgpr4
	v_cmpx_nlt_f32_e64 |v0|, 2.0
	s_xor_b32 s17, exec_lo, s17
	s_cbranch_execz .LBB153_315
; %bb.306:
	v_cmp_ngt_f32_e64 s0, 0x41000000, |v0|
                                        ; implicit-def: $vgpr4
	s_and_saveexec_b32 s19, s0
	s_xor_b32 s0, exec_lo, s19
	s_cbranch_execz .LBB153_312
; %bb.307:
	v_cmp_ngt_f32_e64 s19, 0x5c800000, |v0|
                                        ; implicit-def: $vgpr4
	s_and_saveexec_b32 s20, s19
	s_xor_b32 s19, exec_lo, s20
	s_cbranch_execz .LBB153_309
; %bb.308:
	v_cmp_gt_f32_e64 s20, 0x800000, |v0|
	v_cndmask_b32_e64 v4, 0, 32, s20
	v_ldexp_f32 v4, |v0|, v4
	v_log_f32_e32 v4, v4
	v_mul_f32_e32 v5, 0x3f317217, v4
	v_cmp_gt_f32_e64 vcc_lo, 0x7f800000, |v4|
	v_fma_f32 v6, 0x3f317217, v4, -v5
	v_fmamk_f32 v6, v4, 0x3377d1cf, v6
	v_add_f32_e32 v5, v5, v6
	v_cndmask_b32_e32 v4, v4, v5, vcc_lo
	v_cndmask_b32_e64 v5, 0, 0x41b17218, s20
	v_sub_f32_e32 v4, v4, v5
	v_fma_f32 v4, |v0|, v4, -|v0|
.LBB153_309:
	s_andn2_saveexec_b32 s19, s19
	s_cbranch_execz .LBB153_311
; %bb.310:
	v_cmp_gt_f32_e64 s20, 0x800000, |v0|
	v_rcp_f32_e64 v5, |v0|
	s_mov_b32 s21, 0xbad5c4e8
	v_cndmask_b32_e64 v4, 0, 32, s20
	v_ldexp_f32 v4, |v0|, v4
	v_mul_f32_e32 v6, v5, v5
	v_log_f32_e32 v4, v4
	v_fmaak_f32 v8, s21, v6, 0x3a5b3dd2
	v_fmaak_f32 v8, v6, v8, 0xba1c065c
	v_mul_f32_e32 v7, 0x3f317217, v4
	v_fmaak_f32 v8, v6, v8, 0x3a500cfd
	v_cmp_gt_f32_e64 vcc_lo, 0x7f800000, |v4|
	v_fma_f32 v9, 0x3f317217, v4, -v7
	v_fmaak_f32 v8, v6, v8, 0xbb360b61
	v_fmamk_f32 v9, v4, 0x3377d1cf, v9
	v_fmaak_f32 v6, v6, v8, 0x3daaaaab
	v_add_f32_e32 v7, v7, v9
	v_cndmask_b32_e32 v4, v4, v7, vcc_lo
	v_cndmask_b32_e64 v7, 0, 0x41b17218, s20
	v_sub_f32_e32 v7, v4, v7
	v_fmaak_f32 v4, v5, v6, 0x3ed67f1d
	v_add_f32_e64 v5, |v0|, -0.5
	v_add_f32_e32 v6, -1.0, v7
	v_fmac_f32_e32 v4, v5, v6
.LBB153_311:
	s_or_b32 exec_lo, exec_lo, s19
.LBB153_312:
	s_andn2_saveexec_b32 s19, s0
	s_cbranch_execz .LBB153_314
; %bb.313:
	v_cvt_i32_f32_e32 v4, v1
	s_mov_b32 s0, 0x36f5d7bd
	s_mov_b32 s20, 0x3805ff67
	v_cvt_f32_i32_e32 v5, v4
	v_cmp_lt_i32_e32 vcc_lo, 2, v4
	v_sub_f32_e64 v5, |v0|, v5
	v_add_f32_e32 v6, 2.0, v5
	v_add_f32_e32 v7, 0x40400000, v5
	v_add_f32_e32 v8, 4.0, v5
	v_add_f32_e32 v9, 0x40a00000, v5
	v_cndmask_b32_e32 v6, 1.0, v6, vcc_lo
	v_cmp_lt_i32_e32 vcc_lo, 3, v4
	v_cndmask_b32_e32 v7, 1.0, v7, vcc_lo
	v_cmp_lt_i32_e32 vcc_lo, 4, v4
	v_mul_f32_e32 v6, v6, v7
	v_cndmask_b32_e32 v8, 1.0, v8, vcc_lo
	v_cmp_lt_i32_e32 vcc_lo, 5, v4
	v_add_f32_e32 v7, 0x40c00000, v5
	v_mul_f32_e32 v6, v8, v6
	v_cndmask_b32_e32 v9, 1.0, v9, vcc_lo
	v_cmp_lt_i32_e32 vcc_lo, 6, v4
	v_fmaak_f32 v8, s20, v5, 0x3af135b4
	v_mul_f32_e32 v6, v9, v6
	v_cndmask_b32_e32 v4, 1.0, v7, vcc_lo
	v_mul_f32_e32 v4, v4, v6
	v_fmaak_f32 v6, s0, v5, 0x3a4beed6
	v_cmp_gt_f32_e32 vcc_lo, 0x800000, v4
	v_fmaak_f32 v6, v5, v6, 0x3c98bf54
	v_cndmask_b32_e64 v7, 0, 32, vcc_lo
	v_fmaak_f32 v6, v5, v6, 0x3e300f6e
	v_ldexp_f32 v4, v4, v7
	v_fmaak_f32 v7, v5, v8, 0x3cda40e4
	v_fmaak_f32 v6, v5, v6, 0x3f38d0c5
	v_log_f32_e32 v4, v4
	v_fmaak_f32 v7, v5, v7, 0x3e15dce6
	v_fmaak_f32 v6, v5, v6, 0x3fb22d3b
	;; [unrolled: 1-line block ×3, first 2 shown]
	v_fma_f32 v6, v5, v6, 1.0
	v_mul_f32_e32 v8, 0x3f317217, v4
	v_fmaak_f32 v7, v5, v7, 0x3e5c245a
	v_rcp_f32_e32 v6, v6
	v_cmp_gt_f32_e64 s0, 0x7f800000, |v4|
	v_fma_f32 v9, 0x3f317217, v4, -v8
	v_fmaak_f32 v7, v5, v7, 0xbd9e233f
	v_fmamk_f32 v9, v4, 0x3377d1cf, v9
	v_mul_f32_e32 v7, v5, v7
	v_add_f32_e32 v8, v8, v9
	v_mul_f32_e32 v6, v7, v6
	v_cndmask_b32_e64 v7, 0, 0x41b17218, vcc_lo
	v_cndmask_b32_e64 v4, v4, v8, s0
	v_fmac_f32_e32 v6, 0.5, v5
	v_sub_f32_e32 v4, v4, v7
	v_add_f32_e32 v4, v4, v6
.LBB153_314:
	s_or_b32 exec_lo, exec_lo, s19
.LBB153_315:
	s_andn2_saveexec_b32 s17, s17
	s_cbranch_execz .LBB153_333
; %bb.316:
	s_mov_b32 s19, exec_lo
                                        ; implicit-def: $vgpr4
                                        ; implicit-def: $vgpr6
                                        ; implicit-def: $vgpr5
	v_cmpx_ge_f32_e64 0x3f666666, |v0|
	s_xor_b32 s19, exec_lo, s19
	s_cbranch_execz .LBB153_318
; %bb.317:
	v_cmp_gt_f32_e64 s0, 0x800000, |v0|
	v_sub_f32_e64 v7, 1.0, |v0|
	v_cmp_gt_f32_e64 vcc_lo, 0x3f3b4a23, |v0|
	v_cndmask_b32_e64 v4, 0, 32, s0
	v_cndmask_b32_e64 v8, 0, 0x41b17218, s0
	v_ldexp_f32 v4, |v0|, v4
	v_log_f32_e32 v4, v4
	v_mul_f32_e32 v5, 0x3f317217, v4
	v_cmp_gt_f32_e64 s0, 0x7f800000, |v4|
	v_fma_f32 v6, 0x3f317217, v4, -v5
	v_fmamk_f32 v6, v4, 0x3377d1cf, v6
	v_add_f32_e32 v5, v5, v6
	v_add_f32_e64 v6, 0xbeec5b0c, |v0|
	v_cndmask_b32_e64 v4, v4, v5, s0
	v_cndmask_b32_e32 v5, v7, v6, vcc_lo
	v_cndmask_b32_e64 v6, 0, 1, vcc_lo
	v_cmp_gt_f32_e64 s0, 0x3e6d3309, |v0|
	v_sub_f32_e32 v4, v4, v8
	v_cndmask_b32_e64 v5, v5, |v0|, s0
	v_cndmask_b32_e64 v6, v6, 2, s0
	v_xor_b32_e32 v4, 0x80000000, v4
.LBB153_318:
	s_andn2_saveexec_b32 s0, s19
	s_cbranch_execz .LBB153_320
; %bb.319:
	v_sub_f32_e64 v4, 2.0, |v0|
	v_add_f32_e64 v5, 0xbfbb16c3, |v0|
	v_cmp_gt_f32_e64 vcc_lo, 0x3fdda512, |v0|
	v_add_f32_e64 v6, |v0|, -1.0
	v_cndmask_b32_e32 v5, v4, v5, vcc_lo
	v_cndmask_b32_e64 v4, v4, 1.0, vcc_lo
	v_cmp_gt_f32_e64 vcc_lo, 0x3f9d70a4, |v0|
	v_cvt_i32_f32_e32 v4, v4
	v_cndmask_b32_e32 v5, v5, v6, vcc_lo
	v_cndmask_b32_e64 v6, v4, 2, vcc_lo
	v_mov_b32_e32 v4, 0
.LBB153_320:
	s_or_b32 exec_lo, exec_lo, s0
	s_mov_b32 s0, exec_lo
	v_cmpx_lt_i32_e32 0, v6
	s_xor_b32 s0, exec_lo, s0
	s_cbranch_execz .LBB153_328
; %bb.321:
	s_mov_b32 s19, exec_lo
	v_cmpx_lt_i32_e32 1, v6
	s_xor_b32 s19, exec_lo, s19
	s_cbranch_execz .LBB153_325
; %bb.322:
	s_mov_b32 s20, exec_lo
	v_cmpx_eq_u32_e32 2, v6
	s_cbranch_execz .LBB153_324
; %bb.323:
	s_mov_b32 s21, 0x3b52d5db
	v_fmaak_f32 v6, s21, v5, 0x3dd572af
	s_mov_b32 s21, 0x3c5b3c5e
	v_fmaak_f32 v7, s21, v5, 0x3e6a7578
	v_fmaak_f32 v6, v5, v6, 0x3f44efdf
	;; [unrolled: 1-line block ×7, first 2 shown]
	v_fma_f32 v6, v5, v6, 1.0
	v_fmaak_f32 v7, v5, v7, 0xbd9e233f
	v_rcp_f32_e32 v6, v6
	v_mul_f32_e32 v7, v5, v7
	v_mul_f32_e32 v6, v7, v6
	v_fmac_f32_e32 v6, -0.5, v5
	v_add_f32_e32 v4, v4, v6
.LBB153_324:
	s_or_b32 exec_lo, exec_lo, s20
                                        ; implicit-def: $vgpr5
.LBB153_325:
	s_andn2_saveexec_b32 s19, s19
	s_cbranch_execz .LBB153_327
; %bb.326:
	v_mul_f32_e32 v6, v5, v5
	s_mov_b32 s20, 0xb9a3f927
	s_mov_b32 s21, 0x39afe9f7
	v_mul_f32_e32 v7, v5, v6
	v_fmaak_f32 v8, s20, v7, 0x3a66f867
	v_fmaak_f32 v9, s21, v7, 0xba0d3085
	s_mov_b32 s20, 0x39a57b6b
	v_fmaak_f32 v10, s20, v7, 0xbab7f476
	v_fmaak_f32 v8, v7, v8, 0xbb7177fe
	;; [unrolled: 1-line block ×9, first 2 shown]
	v_fmac_f32_e32 v8, v5, v9
	v_fmaak_f32 v5, v7, v10, 0x3ef7b95e
	v_fma_f32 v7, v7, -v8, 0xa2863e55
	v_fma_f32 v5, v6, v5, -v7
	v_add_f32_e32 v5, 0xbdf8cdce, v5
	v_add_f32_e32 v4, v4, v5
.LBB153_327:
	s_or_b32 exec_lo, exec_lo, s19
                                        ; implicit-def: $vgpr6
                                        ; implicit-def: $vgpr5
.LBB153_328:
	s_andn2_saveexec_b32 s0, s0
	s_cbranch_execz .LBB153_332
; %bb.329:
	s_mov_b32 s19, exec_lo
	v_cmpx_eq_u32_e32 0, v6
	s_cbranch_execz .LBB153_331
; %bb.330:
	v_mul_f32_e32 v6, v5, v5
	s_mov_b32 s20, 0x383c2c75
	v_fmaak_f32 v7, s20, v6, 0x38e28445
	s_mov_b32 s20, 0x37d383a2
	v_fmaak_f32 v8, s20, v6, 0x39679767
	v_fmaak_f32 v7, v6, v7, 0x3a05b634
	;; [unrolled: 1-line block ×9, first 2 shown]
	v_mul_f32_e32 v6, v6, v7
	v_fmac_f32_e32 v6, v5, v8
	v_fmac_f32_e32 v6, -0.5, v5
	v_add_f32_e32 v4, v4, v6
.LBB153_331:
	s_or_b32 exec_lo, exec_lo, s19
.LBB153_332:
	s_or_b32 exec_lo, exec_lo, s0
.LBB153_333:
	s_or_b32 exec_lo, exec_lo, s17
.LBB153_334:
	s_andn2_saveexec_b32 s0, s1
	s_cbranch_execz .LBB153_336
; %bb.335:
	v_cmp_gt_f32_e64 s1, 0x800000, |v0|
	s_mov_b32 s17, 0x3e8a8991
	v_fma_f32 v7, |v0|, s17, 0xbecd26ab
	v_cndmask_b32_e64 v4, 0, 32, s1
	v_ldexp_f32 v4, |v0|, v4
	v_log_f32_e32 v4, v4
	v_mul_f32_e32 v5, 0x3f317217, v4
	v_cmp_gt_f32_e64 vcc_lo, 0x7f800000, |v4|
	v_fma_f32 v6, 0x3f317217, v4, -v5
	v_fmamk_f32 v6, v4, 0x3377d1cf, v6
	v_add_f32_e32 v5, v5, v6
	v_fma_f32 v6, |v0|, v7, 0x3f528d33
	v_cndmask_b32_e32 v4, v4, v5, vcc_lo
	v_cndmask_b32_e64 v5, 0, 0x41b17218, s1
	v_fma_f32 v6, |v0|, v6, 0xbf13c468
	v_sub_f32_e32 v4, v4, v5
	v_fma_f32 v4, |v0|, v6, -v4
.LBB153_336:
	s_or_b32 exec_lo, exec_lo, s0
	v_cmp_le_f16_e32 vcc_lo, 0, v3
	s_mov_b32 s1, exec_lo
	v_cmpx_nle_f16_e32 0, v3
	s_xor_b32 s17, exec_lo, s1
	s_cbranch_execz .LBB153_340
; %bb.337:
	v_cmp_gt_f32_e64 s0, 0x4b000000, |v0|
	v_cmp_lt_f32_e64 s1, 0x35000000, |v0|
	s_and_b32 s0, s0, s1
	s_and_saveexec_b32 s19, s0
	s_cbranch_execz .LBB153_339
; %bb.338:
	v_mul_f32_e64 v5, |v0|, 0.5
	s_mov_b32 s1, 0x3d4be544
	v_xor_b32_e32 v1, v1, v0
	v_floor_f32_e32 v6, v5
	v_cmp_neq_f32_e64 s0, 0x7f800000, v5
	v_sub_f32_e32 v6, v5, v6
	v_min_f32_e32 v6, 0x3f7fffff, v6
	v_add_f32_e32 v6, v6, v6
	v_cndmask_b32_e64 v5, 0, v6, s0
	v_cmp_gt_f32_e64 s0, |v0|, 1.0
	v_cndmask_b32_e64 v5, |v0|, v5, s0
	s_mov_b32 s0, 0x3e75aa41
	v_add_f32_e32 v6, v5, v5
	v_rndne_f32_e32 v6, v6
	v_fmac_f32_e32 v5, -0.5, v6
	v_cvt_i32_f32_e32 v6, v6
	v_mul_f32_e32 v7, v5, v5
	v_fmaak_f32 v8, s0, v7, 0xbf1f24be
	v_fmaak_f32 v9, s1, v7, 0x3e642e9d
	v_mul_f32_e32 v10, v5, v7
	v_fmaak_f32 v8, v7, v8, 0x40234736
	v_fmaak_f32 v9, v7, v9, 0xbfaad1da
	;; [unrolled: 1-line block ×4, first 2 shown]
	v_mul_f32_e32 v8, v10, v8
	v_fmaak_f32 v9, v7, v9, 0xc09de9e6
	v_and_b32_e32 v10, 1, v6
	v_lshlrev_b32_e32 v6, 30, v6
	v_fmamk_f32 v5, v5, 0x40490fdb, v8
	v_fma_f32 v7, v7, v9, 1.0
	v_cmp_eq_u32_e64 s0, 0, v10
	v_and_b32_e32 v6, 0x80000000, v6
	v_cndmask_b32_e64 v5, v7, v5, s0
	v_xor3_b32 v1, v1, v6, v5
	v_mul_f32_e32 v1, v0, v1
	v_frexp_mant_f32_e64 v5, |v1|
	v_frexp_exp_i32_f32_e32 v1, v1
	v_rcp_f32_e32 v5, v5
	v_sub_nc_u32_e32 v1, 2, v1
	v_mul_f32_e32 v5, 0x3f490fdb, v5
	v_ldexp_f32 v1, v5, v1
	v_cmp_gt_f32_e64 s0, 0x800000, v1
	v_cndmask_b32_e64 v5, 0, 32, s0
	v_ldexp_f32 v1, v1, v5
	v_log_f32_e32 v1, v1
	v_mul_f32_e32 v5, 0x3f317217, v1
	v_cmp_gt_f32_e64 s1, 0x7f800000, |v1|
	v_fma_f32 v6, 0x3f317217, v1, -v5
	v_fmamk_f32 v6, v1, 0x3377d1cf, v6
	v_add_f32_e32 v5, v5, v6
	v_floor_f32_e32 v6, v0
	v_cndmask_b32_e64 v1, v1, v5, s1
	v_cndmask_b32_e64 v5, 0, 0x41b17218, s0
	v_sub_f32_e32 v6, v0, v6
	v_sub_f32_e32 v1, v1, v5
	v_min_f32_e32 v5, 0x3f7fffff, v6
	v_sub_f32_e32 v1, v1, v4
	v_cmp_neq_f32_e64 s0, 0, v5
	v_cndmask_b32_e64 v4, 0x7f800000, v1, s0
.LBB153_339:
	s_or_b32 exec_lo, exec_lo, s19
.LBB153_340:
	s_andn2_saveexec_b32 s17, s17
; %bb.341:
	v_cmp_eq_f16_e64 s0, 1.0, v3
	v_cmp_eq_f16_e64 s1, 2.0, v3
	s_or_b32 s0, s0, s1
	v_cndmask_b32_e64 v4, v4, 0, s0
; %bb.342:
	s_or_b32 exec_lo, exec_lo, s17
	v_cvt_f16_f32_e32 v1, v4
	v_mul_lo_u32 v4, v2, s12
	v_cmp_gt_f32_e64 s0, 0x4b000000, |v0|
	s_and_b32 s1, s5, 0xff
	s_or_b32 vcc_lo, vcc_lo, s0
	v_cmp_class_f32_e64 s0, v0, 0x264
	v_cndmask_b32_e32 v1, 0x7c00, v1, vcc_lo
	v_ashrrev_i32_e32 v5, 31, v4
	v_add_co_u32 v0, vcc_lo, s8, v4
	s_cmp_lt_i32 s1, 11
	v_cndmask_b32_e64 v6, v1, 0x7c00, s0
	v_add_co_ci_u32_e64 v1, null, s9, v5, vcc_lo
	v_cmp_u_f16_e32 vcc_lo, v3, v3
	v_cndmask_b32_e32 v3, v6, v3, vcc_lo
	s_cbranch_scc1 .LBB153_350
; %bb.343:
	s_and_b32 s17, 0xffff, s1
	s_cmp_gt_i32 s17, 25
	s_cbranch_scc0 .LBB153_352
; %bb.344:
	s_cmp_gt_i32 s17, 28
	s_cbranch_scc0 .LBB153_354
; %bb.345:
	;; [unrolled: 3-line block ×4, first 2 shown]
	s_mov_b32 s20, 0
	s_mov_b32 s0, -1
	s_cmp_eq_u32 s17, 46
	s_mov_b32 s19, 0
	s_cbranch_scc0 .LBB153_367
; %bb.348:
	v_cvt_f32_f16_e32 v4, v3
	v_cmp_o_f16_e32 vcc_lo, v3, v3
	s_mov_b32 s19, -1
	s_mov_b32 s0, 0
	v_bfe_u32 v5, v4, 16, 1
	v_add3_u32 v4, v4, v5, 0x7fff
	v_mov_b32_e32 v5, 0x7fc0
	v_cndmask_b32_sdwa v4, v5, v4, vcc_lo dst_sel:DWORD dst_unused:UNUSED_PAD src0_sel:DWORD src1_sel:WORD_1
	global_store_dword v[0:1], v4, off
	s_branch .LBB153_367
.LBB153_349:
	s_mov_b32 s17, -1
	s_mov_b32 s1, 0
	s_mov_b32 s16, s14
                                        ; implicit-def: $vgpr3
	s_branch .LBB153_504
.LBB153_350:
	s_mov_b32 s17, -1
	s_mov_b32 s19, 0
	s_mov_b32 s0, s6
	s_branch .LBB153_436
.LBB153_351:
	s_mov_b32 s17, -1
	s_mov_b32 s1, 0
	s_mov_b32 s16, s14
                                        ; implicit-def: $vgpr3
	s_branch .LBB153_485
.LBB153_352:
	s_mov_b32 s20, -1
	s_mov_b32 s19, 0
	s_mov_b32 s0, s6
	s_branch .LBB153_394
.LBB153_353:
	s_mov_b32 s17, -1
	s_mov_b32 s1, 0
	s_mov_b32 s16, s14
                                        ; implicit-def: $vgpr3
	s_branch .LBB153_480
.LBB153_354:
	s_mov_b32 s20, -1
	s_mov_b32 s19, 0
	s_mov_b32 s0, s6
	s_branch .LBB153_377
.LBB153_355:
	s_andn2_saveexec_b32 s19, s19
	s_cbranch_execz .LBB153_92
.LBB153_356:
	v_add_f32_e64 v5, 0x46000000, |v4|
	s_andn2_b32 s18, s18, exec_lo
	v_and_b32_e32 v5, 0xff, v5
	v_cmp_ne_u32_e32 vcc_lo, 0, v5
	s_and_b32 s20, vcc_lo, exec_lo
	s_or_b32 s18, s18, s20
	s_or_b32 exec_lo, exec_lo, s19
	v_mov_b32_e32 v6, 0
	s_and_saveexec_b32 s19, s18
	s_cbranch_execnz .LBB153_93
	s_branch .LBB153_94
.LBB153_357:
	s_mov_b32 s17, -1
	s_mov_b32 s1, 0
	s_mov_b32 s16, s14
	s_branch .LBB153_362
.LBB153_358:
	s_mov_b32 s20, -1
	s_mov_b32 s19, 0
	s_mov_b32 s0, s6
	s_branch .LBB153_373
.LBB153_359:
	s_andn2_saveexec_b32 s19, s19
	s_cbranch_execz .LBB153_105
.LBB153_360:
	v_add_f32_e64 v5, 0x42800000, |v4|
	s_andn2_b32 s18, s18, exec_lo
	v_and_b32_e32 v5, 0xff, v5
	v_cmp_ne_u32_e32 vcc_lo, 0, v5
	s_and_b32 s20, vcc_lo, exec_lo
	s_or_b32 s18, s18, s20
	s_or_b32 exec_lo, exec_lo, s19
	v_mov_b32_e32 v6, 0
	s_and_saveexec_b32 s19, s18
	s_cbranch_execnz .LBB153_106
	s_branch .LBB153_107
.LBB153_361:
	s_mov_b32 s16, -1
	s_mov_b32 s1, 0
.LBB153_362:
                                        ; implicit-def: $vgpr3
.LBB153_363:
	s_and_b32 vcc_lo, exec_lo, s17
	s_cbranch_vccz .LBB153_479
; %bb.364:
	s_cmp_eq_u32 s0, 44
	s_cbranch_scc0 .LBB153_478
; %bb.365:
	global_load_ubyte v3, v[0:1], off
	s_mov_b32 s16, 0
	s_mov_b32 s1, -1
	s_waitcnt vmcnt(0)
	v_lshlrev_b32_e32 v4, 23, v3
	v_cmp_ne_u32_e32 vcc_lo, 0xff, v3
	v_cvt_f16_f32_e32 v4, v4
	v_cndmask_b32_e32 v4, 0x7e00, v4, vcc_lo
	v_cmp_ne_u32_e32 vcc_lo, 0, v3
	v_cndmask_b32_e32 v3, 0, v4, vcc_lo
	s_branch .LBB153_479
.LBB153_366:
	s_mov_b32 s20, -1
	s_mov_b32 s19, 0
	s_mov_b32 s0, s6
.LBB153_367:
	s_and_b32 vcc_lo, exec_lo, s20
	s_cbranch_vccz .LBB153_372
; %bb.368:
	s_cmp_eq_u32 s17, 44
	s_mov_b32 s0, -1
	s_cbranch_scc0 .LBB153_372
; %bb.369:
	v_cvt_f32_f16_e32 v4, v3
	v_mov_b32_e32 v5, 0xff
	s_mov_b32 s19, exec_lo
	v_bfe_u32 v6, v4, 23, 8
	v_cmpx_ne_u32_e32 0xff, v6
	s_cbranch_execz .LBB153_371
; %bb.370:
	v_and_b32_e32 v5, 0x400000, v4
	v_and_or_b32 v6, 0x3fffff, v4, v6
	v_lshrrev_b32_e32 v4, 23, v4
	v_cmp_ne_u32_e32 vcc_lo, 0, v5
	v_cmp_ne_u32_e64 s0, 0, v6
	s_and_b32 s0, vcc_lo, s0
	v_cndmask_b32_e64 v5, 0, 1, s0
	v_add_nc_u32_e32 v5, v4, v5
.LBB153_371:
	s_or_b32 exec_lo, exec_lo, s19
	s_mov_b32 s19, -1
	s_mov_b32 s0, 0
	global_store_byte v[0:1], v5, off
.LBB153_372:
	s_mov_b32 s20, 0
.LBB153_373:
	s_and_b32 vcc_lo, exec_lo, s20
	s_cbranch_vccz .LBB153_376
; %bb.374:
	s_cmp_eq_u32 s17, 29
	s_mov_b32 s0, -1
	s_cbranch_scc0 .LBB153_376
; %bb.375:
	v_cvt_f32_f16_e32 v4, v3
	v_mov_b32_e32 v5, 0
	s_mov_b32 s19, -1
	s_mov_b32 s0, 0
	s_mov_b32 s20, 0
	v_cvt_u32_f32_e32 v4, v4
	global_store_dwordx2 v[0:1], v[4:5], off
	s_branch .LBB153_377
.LBB153_376:
	s_mov_b32 s20, 0
.LBB153_377:
	s_and_b32 vcc_lo, exec_lo, s20
	s_cbranch_vccz .LBB153_393
; %bb.378:
	s_cmp_lt_i32 s17, 27
	s_mov_b32 s19, -1
	s_cbranch_scc1 .LBB153_384
; %bb.379:
	s_cmp_gt_i32 s17, 27
	s_cbranch_scc0 .LBB153_381
; %bb.380:
	v_cvt_f32_f16_e32 v4, v3
	s_mov_b32 s19, 0
	v_cvt_u32_f32_e32 v4, v4
	global_store_dword v[0:1], v4, off
.LBB153_381:
	s_andn2_b32 vcc_lo, exec_lo, s19
	s_cbranch_vccnz .LBB153_383
; %bb.382:
	v_cvt_u16_f16_e32 v4, v3
	global_store_short v[0:1], v4, off
.LBB153_383:
	s_mov_b32 s19, 0
.LBB153_384:
	s_andn2_b32 vcc_lo, exec_lo, s19
	s_cbranch_vccnz .LBB153_392
; %bb.385:
	v_cvt_f32_f16_e32 v4, v3
	v_mov_b32_e32 v6, 0x80
	s_mov_b32 s19, exec_lo
	v_and_b32_e32 v5, 0x7fffffff, v4
	v_cmpx_gt_u32_e32 0x43800000, v5
	s_cbranch_execz .LBB153_391
; %bb.386:
	v_cmp_lt_u32_e32 vcc_lo, 0x3bffffff, v5
	s_mov_b32 s20, 0
                                        ; implicit-def: $vgpr5
	s_and_saveexec_b32 s21, vcc_lo
	s_xor_b32 s21, exec_lo, s21
	s_cbranch_execz .LBB153_604
; %bb.387:
	v_bfe_u32 v5, v4, 20, 1
	s_mov_b32 s20, exec_lo
	v_add3_u32 v5, v4, v5, 0x487ffff
	v_lshrrev_b32_e32 v5, 20, v5
	s_andn2_saveexec_b32 s21, s21
	s_cbranch_execnz .LBB153_605
.LBB153_388:
	s_or_b32 exec_lo, exec_lo, s21
	v_mov_b32_e32 v6, 0
	s_and_saveexec_b32 s21, s20
.LBB153_389:
	v_lshrrev_b32_e32 v4, 24, v4
	v_and_or_b32 v6, 0x80, v4, v5
.LBB153_390:
	s_or_b32 exec_lo, exec_lo, s21
.LBB153_391:
	s_or_b32 exec_lo, exec_lo, s19
	global_store_byte v[0:1], v6, off
.LBB153_392:
	s_mov_b32 s19, -1
.LBB153_393:
	s_mov_b32 s20, 0
.LBB153_394:
	s_and_b32 vcc_lo, exec_lo, s20
	s_cbranch_vccz .LBB153_435
; %bb.395:
	s_cmp_gt_i32 s17, 22
	s_mov_b32 s20, -1
	s_cbranch_scc0 .LBB153_427
; %bb.396:
	s_cmp_lt_i32 s17, 24
	s_mov_b32 s19, -1
	s_cbranch_scc1 .LBB153_416
; %bb.397:
	s_cmp_gt_i32 s17, 24
	s_cbranch_scc0 .LBB153_405
; %bb.398:
	v_cvt_f32_f16_e32 v4, v3
	v_mov_b32_e32 v6, 0x80
	s_mov_b32 s19, exec_lo
	v_and_b32_e32 v5, 0x7fffffff, v4
	v_cmpx_gt_u32_e32 0x47800000, v5
	s_cbranch_execz .LBB153_404
; %bb.399:
	v_cmp_lt_u32_e32 vcc_lo, 0x37ffffff, v5
	s_mov_b32 s20, 0
                                        ; implicit-def: $vgpr5
	s_and_saveexec_b32 s21, vcc_lo
	s_xor_b32 s21, exec_lo, s21
	s_cbranch_execz .LBB153_607
; %bb.400:
	v_bfe_u32 v5, v4, 21, 1
	s_mov_b32 s20, exec_lo
	v_add3_u32 v5, v4, v5, 0x88fffff
	v_lshrrev_b32_e32 v5, 21, v5
	s_andn2_saveexec_b32 s21, s21
	s_cbranch_execnz .LBB153_608
.LBB153_401:
	s_or_b32 exec_lo, exec_lo, s21
	v_mov_b32_e32 v6, 0
	s_and_saveexec_b32 s21, s20
.LBB153_402:
	v_lshrrev_b32_e32 v4, 24, v4
	v_and_or_b32 v6, 0x80, v4, v5
.LBB153_403:
	s_or_b32 exec_lo, exec_lo, s21
.LBB153_404:
	s_or_b32 exec_lo, exec_lo, s19
	s_mov_b32 s19, 0
	global_store_byte v[0:1], v6, off
.LBB153_405:
	s_and_b32 vcc_lo, exec_lo, s19
	s_cbranch_vccz .LBB153_415
; %bb.406:
	v_cvt_f32_f16_e32 v4, v3
	s_mov_b32 s19, exec_lo
                                        ; implicit-def: $vgpr5
	v_and_b32_e32 v6, 0x7fffffff, v4
	v_cmpx_gt_u32_e32 0x43f00000, v6
	s_xor_b32 s19, exec_lo, s19
	s_cbranch_execz .LBB153_412
; %bb.407:
	s_mov_b32 s20, exec_lo
                                        ; implicit-def: $vgpr5
	v_cmpx_lt_u32_e32 0x3c7fffff, v6
	s_xor_b32 s20, exec_lo, s20
; %bb.408:
	v_bfe_u32 v5, v4, 20, 1
	v_add3_u32 v5, v4, v5, 0x407ffff
	v_and_b32_e32 v6, 0xff00000, v5
	v_lshrrev_b32_e32 v5, 20, v5
	v_cmp_ne_u32_e32 vcc_lo, 0x7f00000, v6
	v_cndmask_b32_e32 v5, 0x7e, v5, vcc_lo
; %bb.409:
	s_andn2_saveexec_b32 s20, s20
; %bb.410:
	v_add_f32_e64 v5, 0x46800000, |v4|
; %bb.411:
	s_or_b32 exec_lo, exec_lo, s20
                                        ; implicit-def: $vgpr6
.LBB153_412:
	s_andn2_saveexec_b32 s19, s19
; %bb.413:
	v_mov_b32_e32 v5, 0x7f
	v_cmp_lt_u32_e32 vcc_lo, 0x7f800000, v6
	v_cndmask_b32_e32 v5, 0x7e, v5, vcc_lo
; %bb.414:
	s_or_b32 exec_lo, exec_lo, s19
	v_lshrrev_b32_e32 v4, 24, v4
	v_and_or_b32 v4, 0x80, v4, v5
	global_store_byte v[0:1], v4, off
.LBB153_415:
	s_mov_b32 s19, 0
.LBB153_416:
	s_andn2_b32 vcc_lo, exec_lo, s19
	s_cbranch_vccnz .LBB153_426
; %bb.417:
	v_cvt_f32_f16_e32 v4, v3
	s_mov_b32 s19, exec_lo
                                        ; implicit-def: $vgpr5
	v_and_b32_e32 v6, 0x7fffffff, v4
	v_cmpx_gt_u32_e32 0x47800000, v6
	s_xor_b32 s19, exec_lo, s19
	s_cbranch_execz .LBB153_423
; %bb.418:
	s_mov_b32 s20, exec_lo
                                        ; implicit-def: $vgpr5
	v_cmpx_lt_u32_e32 0x387fffff, v6
	s_xor_b32 s20, exec_lo, s20
; %bb.419:
	v_bfe_u32 v5, v4, 21, 1
	v_add3_u32 v5, v4, v5, 0x80fffff
	v_lshrrev_b32_e32 v5, 21, v5
; %bb.420:
	s_andn2_saveexec_b32 s20, s20
; %bb.421:
	v_add_f32_e64 v5, 0x43000000, |v4|
; %bb.422:
	s_or_b32 exec_lo, exec_lo, s20
                                        ; implicit-def: $vgpr6
.LBB153_423:
	s_andn2_saveexec_b32 s19, s19
; %bb.424:
	v_mov_b32_e32 v5, 0x7f
	v_cmp_lt_u32_e32 vcc_lo, 0x7f800000, v6
	v_cndmask_b32_e32 v5, 0x7c, v5, vcc_lo
; %bb.425:
	s_or_b32 exec_lo, exec_lo, s19
	v_lshrrev_b32_e32 v4, 24, v4
	v_and_or_b32 v4, 0x80, v4, v5
	global_store_byte v[0:1], v4, off
.LBB153_426:
	s_mov_b32 s20, 0
	s_mov_b32 s19, -1
.LBB153_427:
	s_andn2_b32 vcc_lo, exec_lo, s20
	s_cbranch_vccnz .LBB153_435
; %bb.428:
	s_cmp_gt_i32 s17, 14
	s_mov_b32 s20, -1
	s_cbranch_scc0 .LBB153_432
; %bb.429:
	s_cmp_eq_u32 s17, 15
	s_mov_b32 s0, -1
	s_cbranch_scc0 .LBB153_431
; %bb.430:
	v_cvt_f32_f16_e32 v4, v3
	v_cmp_o_f16_e32 vcc_lo, v3, v3
	s_mov_b32 s19, -1
	s_mov_b32 s0, 0
	v_bfe_u32 v5, v4, 16, 1
	v_add3_u32 v4, v4, v5, 0x7fff
	v_mov_b32_e32 v5, 0x7fc0
	v_cndmask_b32_sdwa v4, v5, v4, vcc_lo dst_sel:DWORD dst_unused:UNUSED_PAD src0_sel:DWORD src1_sel:WORD_1
	global_store_short v[0:1], v4, off
.LBB153_431:
	s_mov_b32 s20, 0
.LBB153_432:
	s_and_b32 vcc_lo, exec_lo, s20
	s_cbranch_vccz .LBB153_435
; %bb.433:
	s_cmp_eq_u32 s17, 11
	s_mov_b32 s0, -1
	s_cbranch_scc0 .LBB153_435
; %bb.434:
	v_cmp_neq_f16_e32 vcc_lo, 0, v3
	s_mov_b32 s0, 0
	s_mov_b32 s19, -1
	v_cndmask_b32_e64 v4, 0, 1, vcc_lo
	global_store_byte v[0:1], v4, off
.LBB153_435:
	s_mov_b32 s17, 0
.LBB153_436:
	s_and_b32 vcc_lo, exec_lo, s17
	s_cbranch_vccz .LBB153_475
; %bb.437:
	s_and_b32 s1, 0xffff, s1
	s_mov_b32 s17, -1
	s_cmp_lt_i32 s1, 5
	s_cbranch_scc1 .LBB153_458
; %bb.438:
	s_cmp_lt_i32 s1, 8
	s_cbranch_scc1 .LBB153_448
; %bb.439:
	;; [unrolled: 3-line block ×3, first 2 shown]
	s_cmp_gt_i32 s1, 9
	s_cbranch_scc0 .LBB153_442
; %bb.441:
	v_cvt_f32_f16_e32 v4, v3
	v_mov_b32_e32 v6, 0
	s_mov_b32 s17, 0
	v_cvt_f64_f32_e32 v[4:5], v4
	v_mov_b32_e32 v7, v6
	global_store_dwordx4 v[0:1], v[4:7], off
.LBB153_442:
	s_andn2_b32 vcc_lo, exec_lo, s17
	s_cbranch_vccnz .LBB153_444
; %bb.443:
	v_cvt_f32_f16_e32 v4, v3
	v_mov_b32_e32 v5, 0
	global_store_dwordx2 v[0:1], v[4:5], off
.LBB153_444:
	s_mov_b32 s17, 0
.LBB153_445:
	s_andn2_b32 vcc_lo, exec_lo, s17
	s_cbranch_vccnz .LBB153_447
; %bb.446:
	v_and_b32_e32 v4, 0xffff, v3
	global_store_dword v[0:1], v4, off
.LBB153_447:
	s_mov_b32 s17, 0
.LBB153_448:
	s_andn2_b32 vcc_lo, exec_lo, s17
	s_cbranch_vccnz .LBB153_457
; %bb.449:
	s_cmp_lt_i32 s1, 6
	s_mov_b32 s17, -1
	s_cbranch_scc1 .LBB153_455
; %bb.450:
	s_cmp_gt_i32 s1, 6
	s_cbranch_scc0 .LBB153_452
; %bb.451:
	v_cvt_f32_f16_e32 v4, v3
	s_mov_b32 s17, 0
	v_cvt_f64_f32_e32 v[4:5], v4
	global_store_dwordx2 v[0:1], v[4:5], off
.LBB153_452:
	s_andn2_b32 vcc_lo, exec_lo, s17
	s_cbranch_vccnz .LBB153_454
; %bb.453:
	v_cvt_f32_f16_e32 v4, v3
	global_store_dword v[0:1], v4, off
.LBB153_454:
	s_mov_b32 s17, 0
.LBB153_455:
	s_andn2_b32 vcc_lo, exec_lo, s17
	s_cbranch_vccnz .LBB153_457
; %bb.456:
	global_store_short v[0:1], v3, off
.LBB153_457:
	s_mov_b32 s17, 0
.LBB153_458:
	s_andn2_b32 vcc_lo, exec_lo, s17
	s_cbranch_vccnz .LBB153_474
; %bb.459:
	s_cmp_lt_i32 s1, 2
	s_mov_b32 s17, -1
	s_cbranch_scc1 .LBB153_469
; %bb.460:
	s_cmp_lt_i32 s1, 3
	s_cbranch_scc1 .LBB153_466
; %bb.461:
	s_cmp_gt_i32 s1, 3
	s_cbranch_scc0 .LBB153_463
; %bb.462:
	v_cvt_f32_f16_e32 v4, v3
	s_mov_b32 s17, 0
	v_cvt_i32_f32_e32 v4, v4
	v_ashrrev_i32_e32 v5, 31, v4
	global_store_dwordx2 v[0:1], v[4:5], off
.LBB153_463:
	s_andn2_b32 vcc_lo, exec_lo, s17
	s_cbranch_vccnz .LBB153_465
; %bb.464:
	v_cvt_f32_f16_e32 v4, v3
	v_cvt_i32_f32_e32 v4, v4
	global_store_dword v[0:1], v4, off
.LBB153_465:
	s_mov_b32 s17, 0
.LBB153_466:
	s_andn2_b32 vcc_lo, exec_lo, s17
	s_cbranch_vccnz .LBB153_468
; %bb.467:
	v_cvt_i16_f16_e32 v4, v3
	global_store_short v[0:1], v4, off
.LBB153_468:
	s_mov_b32 s17, 0
.LBB153_469:
	s_andn2_b32 vcc_lo, exec_lo, s17
	s_cbranch_vccnz .LBB153_474
; %bb.470:
	s_cmp_gt_i32 s1, 0
	s_mov_b32 s1, -1
	s_cbranch_scc0 .LBB153_472
; %bb.471:
	v_cvt_i16_f16_e32 v4, v3
	s_mov_b32 s1, 0
	global_store_byte v[0:1], v4, off
.LBB153_472:
	s_andn2_b32 vcc_lo, exec_lo, s1
	s_cbranch_vccnz .LBB153_474
; %bb.473:
	v_cvt_f32_f16_e32 v3, v3
	v_cvt_i32_f32_e32 v3, v3
	global_store_byte v[0:1], v3, off
.LBB153_474:
	s_mov_b32 s19, -1
.LBB153_475:
	s_andn2_b32 vcc_lo, exec_lo, s19
	s_cbranch_vccnz .LBB153_477
; %bb.476:
	v_add_nc_u32_e32 v2, 0x80, v2
	s_mov_b32 s1, -1
	s_branch .LBB153_590
.LBB153_477:
	s_mov_b32 s1, 0
	s_branch .LBB153_589
.LBB153_478:
	s_mov_b32 s16, -1
                                        ; implicit-def: $vgpr3
.LBB153_479:
	s_mov_b32 s17, 0
.LBB153_480:
	s_and_b32 vcc_lo, exec_lo, s17
	s_cbranch_vccz .LBB153_484
; %bb.481:
	s_cmp_eq_u32 s0, 29
	s_cbranch_scc0 .LBB153_483
; %bb.482:
	global_load_dwordx2 v[3:4], v[0:1], off
	s_mov_b32 s1, -1
	s_mov_b32 s16, 0
	s_mov_b32 s17, 0
	s_waitcnt vmcnt(0)
	v_ffbh_u32_e32 v5, v4
	v_min_u32_e32 v5, 32, v5
	v_lshlrev_b64 v[3:4], v5, v[3:4]
	v_min_u32_e32 v3, 1, v3
	v_or_b32_e32 v3, v4, v3
	v_sub_nc_u32_e32 v4, 32, v5
	v_cvt_f32_u32_e32 v3, v3
	v_ldexp_f32 v3, v3, v4
	v_cvt_f16_f32_e32 v3, v3
	s_branch .LBB153_485
.LBB153_483:
	s_mov_b32 s16, -1
                                        ; implicit-def: $vgpr3
.LBB153_484:
	s_mov_b32 s17, 0
.LBB153_485:
	s_and_b32 vcc_lo, exec_lo, s17
	s_cbranch_vccz .LBB153_503
; %bb.486:
	s_cmp_lt_i32 s0, 27
	s_cbranch_scc1 .LBB153_489
; %bb.487:
	s_cmp_gt_i32 s0, 27
	s_cbranch_scc0 .LBB153_490
; %bb.488:
	global_load_dword v3, v[0:1], off
	s_mov_b32 s1, 0
	s_waitcnt vmcnt(0)
	v_cvt_f32_u32_e32 v3, v3
	v_cvt_f16_f32_e32 v3, v3
	s_branch .LBB153_491
.LBB153_489:
	s_mov_b32 s1, -1
                                        ; implicit-def: $vgpr3
	s_branch .LBB153_494
.LBB153_490:
	s_mov_b32 s1, -1
                                        ; implicit-def: $vgpr3
.LBB153_491:
	s_andn2_b32 vcc_lo, exec_lo, s1
	s_cbranch_vccnz .LBB153_493
; %bb.492:
	global_load_ushort v3, v[0:1], off
	s_waitcnt vmcnt(0)
	v_cvt_f16_u16_e32 v3, v3
.LBB153_493:
	s_mov_b32 s1, 0
.LBB153_494:
	s_andn2_b32 vcc_lo, exec_lo, s1
	s_cbranch_vccnz .LBB153_502
; %bb.495:
	global_load_ubyte v4, v[0:1], off
	s_mov_b32 s1, 0
	s_mov_b32 s17, exec_lo
	s_waitcnt vmcnt(0)
	v_cmpx_lt_i16_e32 0x7f, v4
	s_xor_b32 s17, exec_lo, s17
	s_cbranch_execz .LBB153_516
; %bb.496:
	s_mov_b32 s1, -1
	s_mov_b32 s19, exec_lo
	v_cmpx_eq_u16_e32 0x80, v4
; %bb.497:
	s_xor_b32 s1, exec_lo, -1
; %bb.498:
	s_or_b32 exec_lo, exec_lo, s19
	s_and_b32 s1, s1, exec_lo
	s_or_saveexec_b32 s17, s17
	v_mov_b32_e32 v3, 0x7e00
	s_xor_b32 exec_lo, exec_lo, s17
	s_cbranch_execnz .LBB153_517
.LBB153_499:
	s_or_b32 exec_lo, exec_lo, s17
	s_and_saveexec_b32 s17, s1
	s_cbranch_execz .LBB153_501
.LBB153_500:
	v_and_b32_e32 v3, 0xffff, v4
	v_lshlrev_b32_e32 v4, 24, v4
	v_and_b32_e32 v5, 7, v3
	v_bfe_u32 v8, v3, 3, 4
	v_and_b32_e32 v4, 0x80000000, v4
	v_ffbh_u32_e32 v6, v5
	v_cmp_eq_u32_e32 vcc_lo, 0, v8
	v_min_u32_e32 v6, 32, v6
	v_subrev_nc_u32_e32 v7, 28, v6
	v_sub_nc_u32_e32 v6, 29, v6
	v_lshlrev_b32_e32 v3, v7, v3
	v_cndmask_b32_e32 v6, v8, v6, vcc_lo
	v_and_b32_e32 v3, 7, v3
	v_cndmask_b32_e32 v3, v5, v3, vcc_lo
	v_lshl_add_u32 v5, v6, 23, 0x3b800000
	v_lshlrev_b32_e32 v3, 20, v3
	v_or3_b32 v3, v4, v5, v3
	v_cvt_f16_f32_e32 v3, v3
.LBB153_501:
	s_or_b32 exec_lo, exec_lo, s17
.LBB153_502:
	s_mov_b32 s1, -1
.LBB153_503:
	s_mov_b32 s17, 0
.LBB153_504:
	s_and_b32 vcc_lo, exec_lo, s17
	s_cbranch_vccz .LBB153_539
; %bb.505:
	s_cmp_gt_i32 s0, 22
	s_cbranch_scc0 .LBB153_515
; %bb.506:
	s_cmp_lt_i32 s0, 24
	s_cbranch_scc1 .LBB153_518
; %bb.507:
	s_cmp_gt_i32 s0, 24
	s_cbranch_scc0 .LBB153_519
; %bb.508:
	global_load_ubyte v4, v[0:1], off
	s_mov_b32 s1, 0
	s_mov_b32 s17, exec_lo
	s_waitcnt vmcnt(0)
	v_cmpx_lt_i16_e32 0x7f, v4
	s_xor_b32 s17, exec_lo, s17
	s_cbranch_execz .LBB153_531
; %bb.509:
	s_mov_b32 s1, -1
	s_mov_b32 s19, exec_lo
	v_cmpx_eq_u16_e32 0x80, v4
; %bb.510:
	s_xor_b32 s1, exec_lo, -1
; %bb.511:
	s_or_b32 exec_lo, exec_lo, s19
	s_and_b32 s1, s1, exec_lo
	s_or_saveexec_b32 s17, s17
	v_mov_b32_e32 v3, 0x7e00
	s_xor_b32 exec_lo, exec_lo, s17
	s_cbranch_execnz .LBB153_532
.LBB153_512:
	s_or_b32 exec_lo, exec_lo, s17
	s_and_saveexec_b32 s17, s1
	s_cbranch_execz .LBB153_514
.LBB153_513:
	v_and_b32_e32 v3, 0xffff, v4
	v_lshlrev_b32_e32 v4, 24, v4
	v_and_b32_e32 v5, 3, v3
	v_bfe_u32 v8, v3, 2, 5
	v_and_b32_e32 v4, 0x80000000, v4
	v_ffbh_u32_e32 v6, v5
	v_cmp_eq_u32_e32 vcc_lo, 0, v8
	v_min_u32_e32 v6, 32, v6
	v_subrev_nc_u32_e32 v7, 29, v6
	v_sub_nc_u32_e32 v6, 30, v6
	v_lshlrev_b32_e32 v3, v7, v3
	v_cndmask_b32_e32 v6, v8, v6, vcc_lo
	v_and_b32_e32 v3, 3, v3
	v_cndmask_b32_e32 v3, v5, v3, vcc_lo
	v_lshl_add_u32 v5, v6, 23, 0x37800000
	v_lshlrev_b32_e32 v3, 21, v3
	v_or3_b32 v3, v4, v5, v3
	v_cvt_f16_f32_e32 v3, v3
.LBB153_514:
	s_or_b32 exec_lo, exec_lo, s17
	s_mov_b32 s1, 0
	s_branch .LBB153_520
.LBB153_515:
	s_mov_b32 s17, -1
                                        ; implicit-def: $vgpr3
	s_branch .LBB153_526
.LBB153_516:
	s_or_saveexec_b32 s17, s17
	v_mov_b32_e32 v3, 0x7e00
	s_xor_b32 exec_lo, exec_lo, s17
	s_cbranch_execz .LBB153_499
.LBB153_517:
	v_cmp_ne_u16_e32 vcc_lo, 0, v4
	v_mov_b32_e32 v3, v4
	s_andn2_b32 s1, s1, exec_lo
	s_and_b32 s19, vcc_lo, exec_lo
	s_or_b32 s1, s1, s19
	s_or_b32 exec_lo, exec_lo, s17
	s_and_saveexec_b32 s17, s1
	s_cbranch_execnz .LBB153_500
	s_branch .LBB153_501
.LBB153_518:
	s_mov_b32 s1, -1
                                        ; implicit-def: $vgpr3
	s_branch .LBB153_523
.LBB153_519:
	s_mov_b32 s1, -1
                                        ; implicit-def: $vgpr3
.LBB153_520:
	s_and_b32 vcc_lo, exec_lo, s1
	s_cbranch_vccz .LBB153_522
; %bb.521:
	global_load_ubyte v3, v[0:1], off
	s_waitcnt vmcnt(0)
	v_lshlrev_b32_e32 v3, 24, v3
	v_and_b32_e32 v4, 0x7f000000, v3
	v_ffbh_u32_e32 v5, v4
	v_add_nc_u32_e32 v7, 0x1000000, v4
	v_cmp_ne_u32_e32 vcc_lo, 0, v4
	v_min_u32_e32 v5, 32, v5
	v_sub_nc_u32_e64 v5, v5, 4 clamp
	v_lshlrev_b32_e32 v6, v5, v4
	v_lshlrev_b32_e32 v5, 23, v5
	v_lshrrev_b32_e32 v6, 4, v6
	v_sub_nc_u32_e32 v5, v6, v5
	v_ashrrev_i32_e32 v6, 8, v7
	v_add_nc_u32_e32 v5, 0x3c000000, v5
	v_and_or_b32 v5, 0x7f800000, v6, v5
	v_cndmask_b32_e32 v4, 0, v5, vcc_lo
	v_and_or_b32 v3, 0x80000000, v3, v4
	v_cvt_f16_f32_e32 v3, v3
.LBB153_522:
	s_mov_b32 s1, 0
.LBB153_523:
	s_andn2_b32 vcc_lo, exec_lo, s1
	s_cbranch_vccnz .LBB153_525
; %bb.524:
	global_load_ubyte v3, v[0:1], off
	s_waitcnt vmcnt(0)
	v_lshlrev_b32_e32 v4, 25, v3
	v_lshlrev_b16 v3, 8, v3
	v_lshrrev_b32_e32 v5, 4, v4
	v_and_or_b32 v6, 0x7f00, v3, 0.5
	v_cmp_gt_u32_e32 vcc_lo, 0x8000000, v4
	v_bfe_i32 v3, v3, 0, 16
	v_or_b32_e32 v5, 0x70000000, v5
	v_add_f32_e32 v6, -0.5, v6
	v_mul_f32_e32 v5, 0x7800000, v5
	v_cndmask_b32_e32 v4, v5, v6, vcc_lo
	v_and_or_b32 v3, 0x80000000, v3, v4
	v_cvt_f16_f32_e32 v3, v3
.LBB153_525:
	s_mov_b32 s17, 0
	s_mov_b32 s1, -1
.LBB153_526:
	s_andn2_b32 vcc_lo, exec_lo, s17
	s_cbranch_vccnz .LBB153_539
; %bb.527:
	s_cmp_gt_i32 s0, 14
	s_cbranch_scc0 .LBB153_530
; %bb.528:
	s_cmp_eq_u32 s0, 15
	s_cbranch_scc0 .LBB153_533
; %bb.529:
	global_load_ushort v3, v[0:1], off
	s_mov_b32 s1, -1
	s_mov_b32 s16, 0
	s_waitcnt vmcnt(0)
	v_lshlrev_b32_e32 v3, 16, v3
	v_cvt_f16_f32_e32 v3, v3
	s_branch .LBB153_534
.LBB153_530:
	s_mov_b32 s17, -1
                                        ; implicit-def: $vgpr3
	s_branch .LBB153_535
.LBB153_531:
	s_or_saveexec_b32 s17, s17
	v_mov_b32_e32 v3, 0x7e00
	s_xor_b32 exec_lo, exec_lo, s17
	s_cbranch_execz .LBB153_512
.LBB153_532:
	v_cmp_ne_u16_e32 vcc_lo, 0, v4
	v_mov_b32_e32 v3, v4
	s_andn2_b32 s1, s1, exec_lo
	s_and_b32 s19, vcc_lo, exec_lo
	s_or_b32 s1, s1, s19
	s_or_b32 exec_lo, exec_lo, s17
	s_and_saveexec_b32 s17, s1
	s_cbranch_execnz .LBB153_513
	s_branch .LBB153_514
.LBB153_533:
	s_mov_b32 s16, -1
                                        ; implicit-def: $vgpr3
.LBB153_534:
	s_mov_b32 s17, 0
.LBB153_535:
	s_and_b32 vcc_lo, exec_lo, s17
	s_cbranch_vccz .LBB153_539
; %bb.536:
	s_cmp_eq_u32 s0, 11
	s_cbranch_scc0 .LBB153_538
; %bb.537:
	global_load_ubyte v3, v[0:1], off
	s_mov_b32 s16, 0
	s_mov_b32 s1, -1
	s_waitcnt vmcnt(0)
	v_cmp_ne_u16_e32 vcc_lo, 0, v3
	v_cndmask_b32_e64 v3, 0, 0x3c00, vcc_lo
	s_branch .LBB153_539
.LBB153_538:
	s_mov_b32 s16, -1
                                        ; implicit-def: $vgpr3
.LBB153_539:
	s_branch .LBB153_303
.LBB153_540:
	s_cmp_lt_i32 s0, 5
	s_cbranch_scc1 .LBB153_545
; %bb.541:
	s_cmp_lt_i32 s0, 8
	s_cbranch_scc1 .LBB153_546
; %bb.542:
	;; [unrolled: 3-line block ×3, first 2 shown]
	s_cmp_gt_i32 s0, 9
	s_cbranch_scc0 .LBB153_548
; %bb.544:
	global_load_dwordx2 v[3:4], v[0:1], off
	s_mov_b32 s1, 0
	s_waitcnt vmcnt(0)
	v_and_or_b32 v3, 0x1ff, v4, v3
	v_lshrrev_b32_e32 v5, 8, v4
	v_bfe_u32 v6, v4, 20, 11
	v_lshrrev_b32_e32 v4, 16, v4
	v_cmp_ne_u32_e32 vcc_lo, 0, v3
	v_sub_nc_u32_e32 v7, 0x3f1, v6
	v_add_nc_u32_e32 v6, 0xfffffc10, v6
	v_cndmask_b32_e64 v3, 0, 1, vcc_lo
	v_and_or_b32 v3, 0xffe, v5, v3
	v_med3_i32 v5, v7, 0, 13
	v_or_b32_e32 v7, 0x1000, v3
	v_lshrrev_b32_e32 v8, v5, v7
	v_lshlrev_b32_e32 v5, v5, v8
	v_cmp_ne_u32_e32 vcc_lo, v5, v7
	v_lshl_or_b32 v7, v6, 12, v3
	v_cndmask_b32_e64 v5, 0, 1, vcc_lo
	v_cmp_gt_i32_e32 vcc_lo, 1, v6
	v_or_b32_e32 v5, v8, v5
	v_cndmask_b32_e32 v5, v7, v5, vcc_lo
	v_and_b32_e32 v7, 7, v5
	v_lshrrev_b32_e32 v5, 2, v5
	v_cmp_lt_i32_e32 vcc_lo, 5, v7
	v_cndmask_b32_e64 v8, 0, 1, vcc_lo
	v_cmp_eq_u32_e32 vcc_lo, 3, v7
	v_cndmask_b32_e64 v7, 0, 1, vcc_lo
	v_cmp_ne_u32_e32 vcc_lo, 0, v3
	v_or_b32_e32 v7, v7, v8
	v_mov_b32_e32 v8, 0x7e00
	v_add_nc_u32_e32 v5, v5, v7
	v_cndmask_b32_e32 v3, 0x7c00, v8, vcc_lo
	v_cmp_gt_i32_e32 vcc_lo, 31, v6
	v_cndmask_b32_e32 v5, 0x7c00, v5, vcc_lo
	v_cmp_eq_u32_e32 vcc_lo, 0x40f, v6
	v_cndmask_b32_e32 v3, v5, v3, vcc_lo
	v_and_or_b32 v3, 0x8000, v4, v3
	s_branch .LBB153_549
.LBB153_545:
	s_mov_b32 s1, -1
                                        ; implicit-def: $vgpr3
	s_branch .LBB153_567
.LBB153_546:
	s_mov_b32 s1, -1
                                        ; implicit-def: $vgpr3
	s_branch .LBB153_555
.LBB153_547:
	s_mov_b32 s1, -1
                                        ; implicit-def: $vgpr3
	s_branch .LBB153_552
.LBB153_548:
	s_mov_b32 s1, -1
                                        ; implicit-def: $vgpr3
.LBB153_549:
	s_andn2_b32 vcc_lo, exec_lo, s1
	s_cbranch_vccnz .LBB153_551
; %bb.550:
	global_load_dword v3, v[0:1], off
	s_waitcnt vmcnt(0)
	v_cvt_f16_f32_e32 v3, v3
.LBB153_551:
	s_mov_b32 s1, 0
.LBB153_552:
	s_andn2_b32 vcc_lo, exec_lo, s1
	s_cbranch_vccnz .LBB153_554
; %bb.553:
	global_load_dword v3, v[0:1], off
.LBB153_554:
	s_mov_b32 s1, 0
.LBB153_555:
	s_andn2_b32 vcc_lo, exec_lo, s1
	s_cbranch_vccnz .LBB153_566
; %bb.556:
	s_cmp_lt_i32 s0, 6
	s_cbranch_scc1 .LBB153_559
; %bb.557:
	s_cmp_gt_i32 s0, 6
	s_cbranch_scc0 .LBB153_560
; %bb.558:
	global_load_dwordx2 v[3:4], v[0:1], off
	s_mov_b32 s1, 0
	s_waitcnt vmcnt(0)
	v_and_or_b32 v3, 0x1ff, v4, v3
	v_lshrrev_b32_e32 v5, 8, v4
	v_bfe_u32 v6, v4, 20, 11
	v_lshrrev_b32_e32 v4, 16, v4
	v_cmp_ne_u32_e32 vcc_lo, 0, v3
	v_sub_nc_u32_e32 v7, 0x3f1, v6
	v_add_nc_u32_e32 v6, 0xfffffc10, v6
	v_cndmask_b32_e64 v3, 0, 1, vcc_lo
	v_and_or_b32 v3, 0xffe, v5, v3
	v_med3_i32 v5, v7, 0, 13
	v_or_b32_e32 v7, 0x1000, v3
	v_lshrrev_b32_e32 v8, v5, v7
	v_lshlrev_b32_e32 v5, v5, v8
	v_cmp_ne_u32_e32 vcc_lo, v5, v7
	v_lshl_or_b32 v7, v6, 12, v3
	v_cndmask_b32_e64 v5, 0, 1, vcc_lo
	v_cmp_gt_i32_e32 vcc_lo, 1, v6
	v_or_b32_e32 v5, v8, v5
	v_cndmask_b32_e32 v5, v7, v5, vcc_lo
	v_and_b32_e32 v7, 7, v5
	v_lshrrev_b32_e32 v5, 2, v5
	v_cmp_lt_i32_e32 vcc_lo, 5, v7
	v_cndmask_b32_e64 v8, 0, 1, vcc_lo
	v_cmp_eq_u32_e32 vcc_lo, 3, v7
	v_cndmask_b32_e64 v7, 0, 1, vcc_lo
	v_cmp_ne_u32_e32 vcc_lo, 0, v3
	v_or_b32_e32 v7, v7, v8
	v_mov_b32_e32 v8, 0x7e00
	v_add_nc_u32_e32 v5, v5, v7
	v_cndmask_b32_e32 v3, 0x7c00, v8, vcc_lo
	v_cmp_gt_i32_e32 vcc_lo, 31, v6
	v_cndmask_b32_e32 v5, 0x7c00, v5, vcc_lo
	v_cmp_eq_u32_e32 vcc_lo, 0x40f, v6
	v_cndmask_b32_e32 v3, v5, v3, vcc_lo
	v_and_or_b32 v3, 0x8000, v4, v3
	s_branch .LBB153_561
.LBB153_559:
	s_mov_b32 s1, -1
                                        ; implicit-def: $vgpr3
	s_branch .LBB153_564
.LBB153_560:
	s_mov_b32 s1, -1
                                        ; implicit-def: $vgpr3
.LBB153_561:
	s_andn2_b32 vcc_lo, exec_lo, s1
	s_cbranch_vccnz .LBB153_563
; %bb.562:
	global_load_dword v3, v[0:1], off
	s_waitcnt vmcnt(0)
	v_cvt_f16_f32_e32 v3, v3
.LBB153_563:
	s_mov_b32 s1, 0
.LBB153_564:
	s_andn2_b32 vcc_lo, exec_lo, s1
	s_cbranch_vccnz .LBB153_566
; %bb.565:
	global_load_ushort v3, v[0:1], off
.LBB153_566:
	s_mov_b32 s1, 0
.LBB153_567:
	s_andn2_b32 vcc_lo, exec_lo, s1
	s_cbranch_vccnz .LBB153_587
; %bb.568:
	s_cmp_lt_i32 s0, 2
	s_cbranch_scc1 .LBB153_572
; %bb.569:
	s_cmp_lt_i32 s0, 3
	s_cbranch_scc1 .LBB153_573
; %bb.570:
	s_cmp_gt_i32 s0, 3
	s_cbranch_scc0 .LBB153_574
; %bb.571:
	global_load_dwordx2 v[3:4], v[0:1], off
	s_mov_b32 s1, 0
	s_waitcnt vmcnt(0)
	v_xor_b32_e32 v5, v3, v4
	v_ffbh_i32_e32 v6, v4
	v_ashrrev_i32_e32 v5, 31, v5
	v_add_nc_u32_e32 v6, -1, v6
	v_add_nc_u32_e32 v5, 32, v5
	v_min_u32_e32 v5, v6, v5
	v_lshlrev_b64 v[3:4], v5, v[3:4]
	v_min_u32_e32 v3, 1, v3
	v_or_b32_e32 v3, v4, v3
	v_sub_nc_u32_e32 v4, 32, v5
	v_cvt_f32_i32_e32 v3, v3
	v_ldexp_f32 v3, v3, v4
	v_cvt_f16_f32_e32 v3, v3
	s_branch .LBB153_575
.LBB153_572:
	s_mov_b32 s1, -1
                                        ; implicit-def: $vgpr3
	s_branch .LBB153_581
.LBB153_573:
	s_mov_b32 s1, -1
                                        ; implicit-def: $vgpr3
	s_branch .LBB153_578
.LBB153_574:
	s_mov_b32 s1, -1
                                        ; implicit-def: $vgpr3
.LBB153_575:
	s_andn2_b32 vcc_lo, exec_lo, s1
	s_cbranch_vccnz .LBB153_577
; %bb.576:
	global_load_dword v3, v[0:1], off
	s_waitcnt vmcnt(0)
	v_cvt_f32_i32_e32 v3, v3
	v_cvt_f16_f32_e32 v3, v3
.LBB153_577:
	s_mov_b32 s1, 0
.LBB153_578:
	s_andn2_b32 vcc_lo, exec_lo, s1
	s_cbranch_vccnz .LBB153_580
; %bb.579:
	global_load_ushort v3, v[0:1], off
	s_waitcnt vmcnt(0)
	v_cvt_f16_i16_e32 v3, v3
.LBB153_580:
	s_mov_b32 s1, 0
.LBB153_581:
	s_andn2_b32 vcc_lo, exec_lo, s1
	s_cbranch_vccnz .LBB153_587
; %bb.582:
	s_cmp_gt_i32 s0, 0
	s_mov_b32 s0, 0
	s_cbranch_scc0 .LBB153_584
; %bb.583:
	global_load_sbyte v3, v[0:1], off
	s_waitcnt vmcnt(0)
	v_cvt_f16_i16_e32 v3, v3
	s_branch .LBB153_585
.LBB153_584:
	s_mov_b32 s0, -1
                                        ; implicit-def: $vgpr3
.LBB153_585:
	s_andn2_b32 vcc_lo, exec_lo, s0
	s_cbranch_vccnz .LBB153_587
; %bb.586:
	global_load_ubyte v0, v[0:1], off
	s_waitcnt vmcnt(0)
	v_cvt_f16_u16_e32 v3, v0
.LBB153_587:
	s_branch .LBB153_304
.LBB153_588:
	s_mov_b32 s1, 0
	s_mov_b32 s0, s6
.LBB153_589:
                                        ; implicit-def: $vgpr2
.LBB153_590:
	s_andn2_b32 s17, s6, exec_lo
	s_and_b32 s0, s0, exec_lo
	s_andn2_b32 s19, s14, exec_lo
	s_and_b32 s16, s16, exec_lo
	s_or_b32 s17, s17, s0
	s_or_b32 s16, s19, s16
	s_orn2_b32 s0, s1, exec_lo
.LBB153_591:
	s_or_b32 exec_lo, exec_lo, s18
	s_mov_b32 s1, 0
	s_mov_b32 s19, 0
	;; [unrolled: 1-line block ×3, first 2 shown]
                                        ; implicit-def: $vgpr0_vgpr1
                                        ; implicit-def: $vgpr3
	s_and_saveexec_b32 s18, s0
	s_cbranch_execz .LBB153_976
; %bb.592:
	s_mov_b32 s20, -1
	s_mov_b32 s0, s16
	s_mov_b32 s1, s17
	s_mov_b32 s19, exec_lo
	v_cmpx_gt_i32_e64 s7, v2
	s_cbranch_execz .LBB153_890
; %bb.593:
	v_mul_lo_u32 v0, v2, s13
	s_and_b32 s0, 0xffff, s3
	s_cmp_lt_i32 s0, 11
	v_ashrrev_i32_e32 v1, 31, v0
	v_add_co_u32 v0, vcc_lo, s10, v0
	v_add_co_ci_u32_e64 v1, null, s11, v1, vcc_lo
	s_cbranch_scc1 .LBB153_600
; %bb.594:
	s_cmp_gt_i32 s0, 25
	s_cbranch_scc0 .LBB153_601
; %bb.595:
	s_cmp_gt_i32 s0, 28
	s_cbranch_scc0 .LBB153_602
	;; [unrolled: 3-line block ×4, first 2 shown]
; %bb.598:
	s_cmp_eq_u32 s0, 46
	s_mov_b32 s21, 0
	s_cbranch_scc0 .LBB153_609
; %bb.599:
	global_load_dword v3, v[0:1], off
	s_mov_b32 s1, -1
	s_mov_b32 s20, 0
	s_waitcnt vmcnt(0)
	v_lshlrev_b32_e32 v3, 16, v3
	v_cvt_f16_f32_e32 v3, v3
	s_branch .LBB153_611
.LBB153_600:
	s_mov_b32 s21, -1
	s_mov_b32 s1, 0
	s_mov_b32 s20, s16
                                        ; implicit-def: $vgpr3
	s_branch .LBB153_676
.LBB153_601:
	s_mov_b32 s21, -1
	s_mov_b32 s1, 0
	s_mov_b32 s20, s16
                                        ; implicit-def: $vgpr3
	s_branch .LBB153_640
.LBB153_602:
	s_mov_b32 s21, -1
	s_mov_b32 s1, 0
	s_mov_b32 s20, s16
                                        ; implicit-def: $vgpr3
	s_branch .LBB153_621
.LBB153_603:
	s_mov_b32 s21, -1
	s_mov_b32 s1, 0
	s_mov_b32 s20, s16
                                        ; implicit-def: $vgpr3
	s_branch .LBB153_616
.LBB153_604:
	s_andn2_saveexec_b32 s21, s21
	s_cbranch_execz .LBB153_388
.LBB153_605:
	v_add_f32_e64 v5, 0x46000000, |v4|
	s_andn2_b32 s20, s20, exec_lo
	v_and_b32_e32 v5, 0xff, v5
	v_cmp_ne_u32_e32 vcc_lo, 0, v5
	s_and_b32 s22, vcc_lo, exec_lo
	s_or_b32 s20, s20, s22
	s_or_b32 exec_lo, exec_lo, s21
	v_mov_b32_e32 v6, 0
	s_and_saveexec_b32 s21, s20
	s_cbranch_execnz .LBB153_389
	s_branch .LBB153_390
.LBB153_606:
	s_mov_b32 s21, -1
	s_mov_b32 s1, 0
	s_mov_b32 s20, s16
	s_branch .LBB153_610
.LBB153_607:
	s_andn2_saveexec_b32 s21, s21
	s_cbranch_execz .LBB153_401
.LBB153_608:
	v_add_f32_e64 v5, 0x42800000, |v4|
	s_andn2_b32 s20, s20, exec_lo
	v_and_b32_e32 v5, 0xff, v5
	v_cmp_ne_u32_e32 vcc_lo, 0, v5
	s_and_b32 s22, vcc_lo, exec_lo
	s_or_b32 s20, s20, s22
	s_or_b32 exec_lo, exec_lo, s21
	v_mov_b32_e32 v6, 0
	s_and_saveexec_b32 s21, s20
	s_cbranch_execnz .LBB153_402
	s_branch .LBB153_403
.LBB153_609:
	s_mov_b32 s1, 0
.LBB153_610:
                                        ; implicit-def: $vgpr3
.LBB153_611:
	s_and_b32 vcc_lo, exec_lo, s21
	s_cbranch_vccz .LBB153_615
; %bb.612:
	s_cmp_eq_u32 s0, 44
	s_cbranch_scc0 .LBB153_614
; %bb.613:
	global_load_ubyte v3, v[0:1], off
	s_mov_b32 s20, 0
	s_mov_b32 s1, -1
	s_waitcnt vmcnt(0)
	v_lshlrev_b32_e32 v4, 23, v3
	v_cmp_ne_u32_e32 vcc_lo, 0xff, v3
	v_cvt_f16_f32_e32 v4, v4
	v_cndmask_b32_e32 v4, 0x7e00, v4, vcc_lo
	v_cmp_ne_u32_e32 vcc_lo, 0, v3
	v_cndmask_b32_e32 v3, 0, v4, vcc_lo
	s_branch .LBB153_615
.LBB153_614:
	s_mov_b32 s20, -1
                                        ; implicit-def: $vgpr3
.LBB153_615:
	s_mov_b32 s21, 0
.LBB153_616:
	s_and_b32 vcc_lo, exec_lo, s21
	s_cbranch_vccz .LBB153_620
; %bb.617:
	s_cmp_eq_u32 s0, 29
	s_cbranch_scc0 .LBB153_619
; %bb.618:
	global_load_dwordx2 v[3:4], v[0:1], off
	s_mov_b32 s1, -1
	s_mov_b32 s20, 0
	s_mov_b32 s21, 0
	s_waitcnt vmcnt(0)
	v_ffbh_u32_e32 v5, v4
	v_min_u32_e32 v5, 32, v5
	v_lshlrev_b64 v[3:4], v5, v[3:4]
	v_min_u32_e32 v3, 1, v3
	v_or_b32_e32 v3, v4, v3
	v_sub_nc_u32_e32 v4, 32, v5
	v_cvt_f32_u32_e32 v3, v3
	v_ldexp_f32 v3, v3, v4
	v_cvt_f16_f32_e32 v3, v3
	s_branch .LBB153_621
.LBB153_619:
	s_mov_b32 s20, -1
                                        ; implicit-def: $vgpr3
.LBB153_620:
	s_mov_b32 s21, 0
.LBB153_621:
	s_and_b32 vcc_lo, exec_lo, s21
	s_cbranch_vccz .LBB153_639
; %bb.622:
	s_cmp_lt_i32 s0, 27
	s_cbranch_scc1 .LBB153_625
; %bb.623:
	s_cmp_gt_i32 s0, 27
	s_cbranch_scc0 .LBB153_626
; %bb.624:
	global_load_dword v3, v[0:1], off
	s_mov_b32 s1, 0
	s_waitcnt vmcnt(0)
	v_cvt_f32_u32_e32 v3, v3
	v_cvt_f16_f32_e32 v3, v3
	s_branch .LBB153_627
.LBB153_625:
	s_mov_b32 s1, -1
                                        ; implicit-def: $vgpr3
	s_branch .LBB153_630
.LBB153_626:
	s_mov_b32 s1, -1
                                        ; implicit-def: $vgpr3
.LBB153_627:
	s_andn2_b32 vcc_lo, exec_lo, s1
	s_cbranch_vccnz .LBB153_629
; %bb.628:
	global_load_ushort v3, v[0:1], off
	s_waitcnt vmcnt(0)
	v_cvt_f16_u16_e32 v3, v3
.LBB153_629:
	s_mov_b32 s1, 0
.LBB153_630:
	s_andn2_b32 vcc_lo, exec_lo, s1
	s_cbranch_vccnz .LBB153_638
; %bb.631:
	global_load_ubyte v4, v[0:1], off
	s_mov_b32 s1, 0
	s_mov_b32 s21, exec_lo
	s_waitcnt vmcnt(0)
	v_cmpx_lt_i16_e32 0x7f, v4
	s_xor_b32 s21, exec_lo, s21
	s_cbranch_execz .LBB153_652
; %bb.632:
	s_mov_b32 s1, -1
	s_mov_b32 s22, exec_lo
	v_cmpx_eq_u16_e32 0x80, v4
; %bb.633:
	s_xor_b32 s1, exec_lo, -1
; %bb.634:
	s_or_b32 exec_lo, exec_lo, s22
	s_and_b32 s1, s1, exec_lo
	s_or_saveexec_b32 s21, s21
	v_mov_b32_e32 v3, 0x7e00
	s_xor_b32 exec_lo, exec_lo, s21
	s_cbranch_execnz .LBB153_653
.LBB153_635:
	s_or_b32 exec_lo, exec_lo, s21
	s_and_saveexec_b32 s21, s1
	s_cbranch_execz .LBB153_637
.LBB153_636:
	v_and_b32_e32 v3, 0xffff, v4
	v_lshlrev_b32_e32 v4, 24, v4
	v_and_b32_e32 v5, 7, v3
	v_bfe_u32 v8, v3, 3, 4
	v_and_b32_e32 v4, 0x80000000, v4
	v_ffbh_u32_e32 v6, v5
	v_cmp_eq_u32_e32 vcc_lo, 0, v8
	v_min_u32_e32 v6, 32, v6
	v_subrev_nc_u32_e32 v7, 28, v6
	v_sub_nc_u32_e32 v6, 29, v6
	v_lshlrev_b32_e32 v3, v7, v3
	v_cndmask_b32_e32 v6, v8, v6, vcc_lo
	v_and_b32_e32 v3, 7, v3
	v_cndmask_b32_e32 v3, v5, v3, vcc_lo
	v_lshl_add_u32 v5, v6, 23, 0x3b800000
	v_lshlrev_b32_e32 v3, 20, v3
	v_or3_b32 v3, v4, v5, v3
	v_cvt_f16_f32_e32 v3, v3
.LBB153_637:
	s_or_b32 exec_lo, exec_lo, s21
.LBB153_638:
	s_mov_b32 s1, -1
.LBB153_639:
	s_mov_b32 s21, 0
.LBB153_640:
	s_and_b32 vcc_lo, exec_lo, s21
	s_cbranch_vccz .LBB153_675
; %bb.641:
	s_cmp_gt_i32 s0, 22
	s_cbranch_scc0 .LBB153_651
; %bb.642:
	s_cmp_lt_i32 s0, 24
	s_cbranch_scc1 .LBB153_654
; %bb.643:
	s_cmp_gt_i32 s0, 24
	s_cbranch_scc0 .LBB153_655
; %bb.644:
	global_load_ubyte v4, v[0:1], off
	s_mov_b32 s1, 0
	s_mov_b32 s21, exec_lo
	s_waitcnt vmcnt(0)
	v_cmpx_lt_i16_e32 0x7f, v4
	s_xor_b32 s21, exec_lo, s21
	s_cbranch_execz .LBB153_667
; %bb.645:
	s_mov_b32 s1, -1
	s_mov_b32 s22, exec_lo
	v_cmpx_eq_u16_e32 0x80, v4
; %bb.646:
	s_xor_b32 s1, exec_lo, -1
; %bb.647:
	s_or_b32 exec_lo, exec_lo, s22
	s_and_b32 s1, s1, exec_lo
	s_or_saveexec_b32 s21, s21
	v_mov_b32_e32 v3, 0x7e00
	s_xor_b32 exec_lo, exec_lo, s21
	s_cbranch_execnz .LBB153_668
.LBB153_648:
	s_or_b32 exec_lo, exec_lo, s21
	s_and_saveexec_b32 s21, s1
	s_cbranch_execz .LBB153_650
.LBB153_649:
	v_and_b32_e32 v3, 0xffff, v4
	v_lshlrev_b32_e32 v4, 24, v4
	v_and_b32_e32 v5, 3, v3
	v_bfe_u32 v8, v3, 2, 5
	v_and_b32_e32 v4, 0x80000000, v4
	v_ffbh_u32_e32 v6, v5
	v_cmp_eq_u32_e32 vcc_lo, 0, v8
	v_min_u32_e32 v6, 32, v6
	v_subrev_nc_u32_e32 v7, 29, v6
	v_sub_nc_u32_e32 v6, 30, v6
	v_lshlrev_b32_e32 v3, v7, v3
	v_cndmask_b32_e32 v6, v8, v6, vcc_lo
	v_and_b32_e32 v3, 3, v3
	v_cndmask_b32_e32 v3, v5, v3, vcc_lo
	v_lshl_add_u32 v5, v6, 23, 0x37800000
	v_lshlrev_b32_e32 v3, 21, v3
	v_or3_b32 v3, v4, v5, v3
	v_cvt_f16_f32_e32 v3, v3
.LBB153_650:
	s_or_b32 exec_lo, exec_lo, s21
	s_mov_b32 s1, 0
	s_branch .LBB153_656
.LBB153_651:
	s_mov_b32 s21, -1
                                        ; implicit-def: $vgpr3
	s_branch .LBB153_662
.LBB153_652:
	s_or_saveexec_b32 s21, s21
	v_mov_b32_e32 v3, 0x7e00
	s_xor_b32 exec_lo, exec_lo, s21
	s_cbranch_execz .LBB153_635
.LBB153_653:
	v_cmp_ne_u16_e32 vcc_lo, 0, v4
	v_mov_b32_e32 v3, v4
	s_andn2_b32 s1, s1, exec_lo
	s_and_b32 s22, vcc_lo, exec_lo
	s_or_b32 s1, s1, s22
	s_or_b32 exec_lo, exec_lo, s21
	s_and_saveexec_b32 s21, s1
	s_cbranch_execnz .LBB153_636
	s_branch .LBB153_637
.LBB153_654:
	s_mov_b32 s1, -1
                                        ; implicit-def: $vgpr3
	s_branch .LBB153_659
.LBB153_655:
	s_mov_b32 s1, -1
                                        ; implicit-def: $vgpr3
.LBB153_656:
	s_and_b32 vcc_lo, exec_lo, s1
	s_cbranch_vccz .LBB153_658
; %bb.657:
	global_load_ubyte v3, v[0:1], off
	s_waitcnt vmcnt(0)
	v_lshlrev_b32_e32 v3, 24, v3
	v_and_b32_e32 v4, 0x7f000000, v3
	v_ffbh_u32_e32 v5, v4
	v_add_nc_u32_e32 v7, 0x1000000, v4
	v_cmp_ne_u32_e32 vcc_lo, 0, v4
	v_min_u32_e32 v5, 32, v5
	v_sub_nc_u32_e64 v5, v5, 4 clamp
	v_lshlrev_b32_e32 v6, v5, v4
	v_lshlrev_b32_e32 v5, 23, v5
	v_lshrrev_b32_e32 v6, 4, v6
	v_sub_nc_u32_e32 v5, v6, v5
	v_ashrrev_i32_e32 v6, 8, v7
	v_add_nc_u32_e32 v5, 0x3c000000, v5
	v_and_or_b32 v5, 0x7f800000, v6, v5
	v_cndmask_b32_e32 v4, 0, v5, vcc_lo
	v_and_or_b32 v3, 0x80000000, v3, v4
	v_cvt_f16_f32_e32 v3, v3
.LBB153_658:
	s_mov_b32 s1, 0
.LBB153_659:
	s_andn2_b32 vcc_lo, exec_lo, s1
	s_cbranch_vccnz .LBB153_661
; %bb.660:
	global_load_ubyte v3, v[0:1], off
	s_waitcnt vmcnt(0)
	v_lshlrev_b32_e32 v4, 25, v3
	v_lshlrev_b16 v3, 8, v3
	v_lshrrev_b32_e32 v5, 4, v4
	v_and_or_b32 v6, 0x7f00, v3, 0.5
	v_cmp_gt_u32_e32 vcc_lo, 0x8000000, v4
	v_bfe_i32 v3, v3, 0, 16
	v_or_b32_e32 v5, 0x70000000, v5
	v_add_f32_e32 v6, -0.5, v6
	v_mul_f32_e32 v5, 0x7800000, v5
	v_cndmask_b32_e32 v4, v5, v6, vcc_lo
	v_and_or_b32 v3, 0x80000000, v3, v4
	v_cvt_f16_f32_e32 v3, v3
.LBB153_661:
	s_mov_b32 s21, 0
	s_mov_b32 s1, -1
.LBB153_662:
	s_andn2_b32 vcc_lo, exec_lo, s21
	s_cbranch_vccnz .LBB153_675
; %bb.663:
	s_cmp_gt_i32 s0, 14
	s_cbranch_scc0 .LBB153_666
; %bb.664:
	s_cmp_eq_u32 s0, 15
	s_cbranch_scc0 .LBB153_669
; %bb.665:
	global_load_ushort v3, v[0:1], off
	s_mov_b32 s1, -1
	s_mov_b32 s20, 0
	s_waitcnt vmcnt(0)
	v_lshlrev_b32_e32 v3, 16, v3
	v_cvt_f16_f32_e32 v3, v3
	s_branch .LBB153_670
.LBB153_666:
	s_mov_b32 s21, -1
                                        ; implicit-def: $vgpr3
	s_branch .LBB153_671
.LBB153_667:
	s_or_saveexec_b32 s21, s21
	v_mov_b32_e32 v3, 0x7e00
	s_xor_b32 exec_lo, exec_lo, s21
	s_cbranch_execz .LBB153_648
.LBB153_668:
	v_cmp_ne_u16_e32 vcc_lo, 0, v4
	v_mov_b32_e32 v3, v4
	s_andn2_b32 s1, s1, exec_lo
	s_and_b32 s22, vcc_lo, exec_lo
	s_or_b32 s1, s1, s22
	s_or_b32 exec_lo, exec_lo, s21
	s_and_saveexec_b32 s21, s1
	s_cbranch_execnz .LBB153_649
	s_branch .LBB153_650
.LBB153_669:
	s_mov_b32 s20, -1
                                        ; implicit-def: $vgpr3
.LBB153_670:
	s_mov_b32 s21, 0
.LBB153_671:
	s_and_b32 vcc_lo, exec_lo, s21
	s_cbranch_vccz .LBB153_675
; %bb.672:
	s_cmp_eq_u32 s0, 11
	s_cbranch_scc0 .LBB153_674
; %bb.673:
	global_load_ubyte v3, v[0:1], off
	s_mov_b32 s20, 0
	s_mov_b32 s1, -1
	s_waitcnt vmcnt(0)
	v_cmp_ne_u16_e32 vcc_lo, 0, v3
	v_cndmask_b32_e64 v3, 0, 0x3c00, vcc_lo
	s_branch .LBB153_675
.LBB153_674:
	s_mov_b32 s20, -1
                                        ; implicit-def: $vgpr3
.LBB153_675:
	s_mov_b32 s21, 0
.LBB153_676:
	s_and_b32 vcc_lo, exec_lo, s21
	s_cbranch_vccz .LBB153_725
; %bb.677:
	s_cmp_lt_i32 s0, 5
	s_cbranch_scc1 .LBB153_682
; %bb.678:
	s_cmp_lt_i32 s0, 8
	s_cbranch_scc1 .LBB153_683
	;; [unrolled: 3-line block ×3, first 2 shown]
; %bb.680:
	s_cmp_gt_i32 s0, 9
	s_cbranch_scc0 .LBB153_685
; %bb.681:
	global_load_dwordx2 v[3:4], v[0:1], off
	s_mov_b32 s1, 0
	s_waitcnt vmcnt(0)
	v_and_or_b32 v3, 0x1ff, v4, v3
	v_lshrrev_b32_e32 v5, 8, v4
	v_bfe_u32 v6, v4, 20, 11
	v_lshrrev_b32_e32 v4, 16, v4
	v_cmp_ne_u32_e32 vcc_lo, 0, v3
	v_sub_nc_u32_e32 v7, 0x3f1, v6
	v_add_nc_u32_e32 v6, 0xfffffc10, v6
	v_cndmask_b32_e64 v3, 0, 1, vcc_lo
	v_and_or_b32 v3, 0xffe, v5, v3
	v_med3_i32 v5, v7, 0, 13
	v_or_b32_e32 v7, 0x1000, v3
	v_lshrrev_b32_e32 v8, v5, v7
	v_lshlrev_b32_e32 v5, v5, v8
	v_cmp_ne_u32_e32 vcc_lo, v5, v7
	v_lshl_or_b32 v7, v6, 12, v3
	v_cndmask_b32_e64 v5, 0, 1, vcc_lo
	v_cmp_gt_i32_e32 vcc_lo, 1, v6
	v_or_b32_e32 v5, v8, v5
	v_cndmask_b32_e32 v5, v7, v5, vcc_lo
	v_and_b32_e32 v7, 7, v5
	v_lshrrev_b32_e32 v5, 2, v5
	v_cmp_lt_i32_e32 vcc_lo, 5, v7
	v_cndmask_b32_e64 v8, 0, 1, vcc_lo
	v_cmp_eq_u32_e32 vcc_lo, 3, v7
	v_cndmask_b32_e64 v7, 0, 1, vcc_lo
	v_cmp_ne_u32_e32 vcc_lo, 0, v3
	v_or_b32_e32 v7, v7, v8
	v_mov_b32_e32 v8, 0x7e00
	v_add_nc_u32_e32 v5, v5, v7
	v_cndmask_b32_e32 v3, 0x7c00, v8, vcc_lo
	v_cmp_gt_i32_e32 vcc_lo, 31, v6
	v_cndmask_b32_e32 v5, 0x7c00, v5, vcc_lo
	v_cmp_eq_u32_e32 vcc_lo, 0x40f, v6
	v_cndmask_b32_e32 v3, v5, v3, vcc_lo
	v_and_or_b32 v3, 0x8000, v4, v3
	s_branch .LBB153_686
.LBB153_682:
	s_mov_b32 s1, -1
                                        ; implicit-def: $vgpr3
	s_branch .LBB153_704
.LBB153_683:
	s_mov_b32 s1, -1
                                        ; implicit-def: $vgpr3
	s_branch .LBB153_692
.LBB153_684:
	s_mov_b32 s1, -1
                                        ; implicit-def: $vgpr3
	s_branch .LBB153_689
.LBB153_685:
	s_mov_b32 s1, -1
                                        ; implicit-def: $vgpr3
.LBB153_686:
	s_andn2_b32 vcc_lo, exec_lo, s1
	s_cbranch_vccnz .LBB153_688
; %bb.687:
	global_load_dword v3, v[0:1], off
	s_waitcnt vmcnt(0)
	v_cvt_f16_f32_e32 v3, v3
.LBB153_688:
	s_mov_b32 s1, 0
.LBB153_689:
	s_andn2_b32 vcc_lo, exec_lo, s1
	s_cbranch_vccnz .LBB153_691
; %bb.690:
	global_load_dword v3, v[0:1], off
.LBB153_691:
	s_mov_b32 s1, 0
.LBB153_692:
	s_andn2_b32 vcc_lo, exec_lo, s1
	s_cbranch_vccnz .LBB153_703
; %bb.693:
	s_cmp_lt_i32 s0, 6
	s_cbranch_scc1 .LBB153_696
; %bb.694:
	s_cmp_gt_i32 s0, 6
	s_cbranch_scc0 .LBB153_697
; %bb.695:
	global_load_dwordx2 v[3:4], v[0:1], off
	s_mov_b32 s1, 0
	s_waitcnt vmcnt(0)
	v_and_or_b32 v3, 0x1ff, v4, v3
	v_lshrrev_b32_e32 v5, 8, v4
	v_bfe_u32 v6, v4, 20, 11
	v_lshrrev_b32_e32 v4, 16, v4
	v_cmp_ne_u32_e32 vcc_lo, 0, v3
	v_sub_nc_u32_e32 v7, 0x3f1, v6
	v_add_nc_u32_e32 v6, 0xfffffc10, v6
	v_cndmask_b32_e64 v3, 0, 1, vcc_lo
	v_and_or_b32 v3, 0xffe, v5, v3
	v_med3_i32 v5, v7, 0, 13
	v_or_b32_e32 v7, 0x1000, v3
	v_lshrrev_b32_e32 v8, v5, v7
	v_lshlrev_b32_e32 v5, v5, v8
	v_cmp_ne_u32_e32 vcc_lo, v5, v7
	v_lshl_or_b32 v7, v6, 12, v3
	v_cndmask_b32_e64 v5, 0, 1, vcc_lo
	v_cmp_gt_i32_e32 vcc_lo, 1, v6
	v_or_b32_e32 v5, v8, v5
	v_cndmask_b32_e32 v5, v7, v5, vcc_lo
	v_and_b32_e32 v7, 7, v5
	v_lshrrev_b32_e32 v5, 2, v5
	v_cmp_lt_i32_e32 vcc_lo, 5, v7
	v_cndmask_b32_e64 v8, 0, 1, vcc_lo
	v_cmp_eq_u32_e32 vcc_lo, 3, v7
	v_cndmask_b32_e64 v7, 0, 1, vcc_lo
	v_cmp_ne_u32_e32 vcc_lo, 0, v3
	v_or_b32_e32 v7, v7, v8
	v_mov_b32_e32 v8, 0x7e00
	v_add_nc_u32_e32 v5, v5, v7
	v_cndmask_b32_e32 v3, 0x7c00, v8, vcc_lo
	v_cmp_gt_i32_e32 vcc_lo, 31, v6
	v_cndmask_b32_e32 v5, 0x7c00, v5, vcc_lo
	v_cmp_eq_u32_e32 vcc_lo, 0x40f, v6
	v_cndmask_b32_e32 v3, v5, v3, vcc_lo
	v_and_or_b32 v3, 0x8000, v4, v3
	s_branch .LBB153_698
.LBB153_696:
	s_mov_b32 s1, -1
                                        ; implicit-def: $vgpr3
	s_branch .LBB153_701
.LBB153_697:
	s_mov_b32 s1, -1
                                        ; implicit-def: $vgpr3
.LBB153_698:
	s_andn2_b32 vcc_lo, exec_lo, s1
	s_cbranch_vccnz .LBB153_700
; %bb.699:
	global_load_dword v3, v[0:1], off
	s_waitcnt vmcnt(0)
	v_cvt_f16_f32_e32 v3, v3
.LBB153_700:
	s_mov_b32 s1, 0
.LBB153_701:
	s_andn2_b32 vcc_lo, exec_lo, s1
	s_cbranch_vccnz .LBB153_703
; %bb.702:
	global_load_ushort v3, v[0:1], off
.LBB153_703:
	s_mov_b32 s1, 0
.LBB153_704:
	s_andn2_b32 vcc_lo, exec_lo, s1
	s_cbranch_vccnz .LBB153_724
; %bb.705:
	s_cmp_lt_i32 s0, 2
	s_cbranch_scc1 .LBB153_709
; %bb.706:
	s_cmp_lt_i32 s0, 3
	s_cbranch_scc1 .LBB153_710
; %bb.707:
	s_cmp_gt_i32 s0, 3
	s_cbranch_scc0 .LBB153_711
; %bb.708:
	global_load_dwordx2 v[3:4], v[0:1], off
	s_mov_b32 s1, 0
	s_waitcnt vmcnt(0)
	v_xor_b32_e32 v5, v3, v4
	v_ffbh_i32_e32 v6, v4
	v_ashrrev_i32_e32 v5, 31, v5
	v_add_nc_u32_e32 v6, -1, v6
	v_add_nc_u32_e32 v5, 32, v5
	v_min_u32_e32 v5, v6, v5
	v_lshlrev_b64 v[3:4], v5, v[3:4]
	v_min_u32_e32 v3, 1, v3
	v_or_b32_e32 v3, v4, v3
	v_sub_nc_u32_e32 v4, 32, v5
	v_cvt_f32_i32_e32 v3, v3
	v_ldexp_f32 v3, v3, v4
	v_cvt_f16_f32_e32 v3, v3
	s_branch .LBB153_712
.LBB153_709:
	s_mov_b32 s1, -1
                                        ; implicit-def: $vgpr3
	s_branch .LBB153_718
.LBB153_710:
	s_mov_b32 s1, -1
                                        ; implicit-def: $vgpr3
	s_branch .LBB153_715
.LBB153_711:
	s_mov_b32 s1, -1
                                        ; implicit-def: $vgpr3
.LBB153_712:
	s_andn2_b32 vcc_lo, exec_lo, s1
	s_cbranch_vccnz .LBB153_714
; %bb.713:
	global_load_dword v3, v[0:1], off
	s_waitcnt vmcnt(0)
	v_cvt_f32_i32_e32 v3, v3
	v_cvt_f16_f32_e32 v3, v3
.LBB153_714:
	s_mov_b32 s1, 0
.LBB153_715:
	s_andn2_b32 vcc_lo, exec_lo, s1
	s_cbranch_vccnz .LBB153_717
; %bb.716:
	global_load_ushort v3, v[0:1], off
	s_waitcnt vmcnt(0)
	v_cvt_f16_i16_e32 v3, v3
.LBB153_717:
	s_mov_b32 s1, 0
.LBB153_718:
	s_andn2_b32 vcc_lo, exec_lo, s1
	s_cbranch_vccnz .LBB153_724
; %bb.719:
	s_cmp_gt_i32 s0, 0
	s_mov_b32 s0, 0
	s_cbranch_scc0 .LBB153_721
; %bb.720:
	global_load_sbyte v3, v[0:1], off
	s_waitcnt vmcnt(0)
	v_cvt_f16_i16_e32 v3, v3
	s_branch .LBB153_722
.LBB153_721:
	s_mov_b32 s0, -1
                                        ; implicit-def: $vgpr3
.LBB153_722:
	s_andn2_b32 vcc_lo, exec_lo, s0
	s_cbranch_vccnz .LBB153_724
; %bb.723:
	global_load_ubyte v0, v[0:1], off
	s_waitcnt vmcnt(0)
	v_cvt_f16_u16_e32 v3, v0
.LBB153_724:
	s_mov_b32 s1, -1
.LBB153_725:
	s_andn2_b32 vcc_lo, exec_lo, s1
	s_cbranch_vccnz .LBB153_771
; %bb.726:
	s_waitcnt vmcnt(0)
	v_cvt_f32_f16_e32 v0, v3
	s_mov_b32 s1, exec_lo
                                        ; implicit-def: $vgpr4
	v_and_b32_e32 v1, 0x7fffffff, v0
	v_cmpx_ngt_f32_e64 0x3c800000, |v0|
	s_xor_b32 s1, exec_lo, s1
	s_cbranch_execz .LBB153_756
; %bb.727:
	s_mov_b32 s21, exec_lo
                                        ; implicit-def: $vgpr4
	v_cmpx_nlt_f32_e64 |v0|, 2.0
	s_xor_b32 s21, exec_lo, s21
	s_cbranch_execz .LBB153_737
; %bb.728:
	v_cmp_ngt_f32_e64 s0, 0x41000000, |v0|
                                        ; implicit-def: $vgpr4
	s_and_saveexec_b32 s22, s0
	s_xor_b32 s0, exec_lo, s22
	s_cbranch_execz .LBB153_734
; %bb.729:
	v_cmp_ngt_f32_e64 s22, 0x5c800000, |v0|
                                        ; implicit-def: $vgpr4
	s_and_saveexec_b32 s23, s22
	s_xor_b32 s22, exec_lo, s23
	s_cbranch_execz .LBB153_731
; %bb.730:
	v_cmp_gt_f32_e64 s23, 0x800000, |v0|
	v_cndmask_b32_e64 v4, 0, 32, s23
	v_ldexp_f32 v4, |v0|, v4
	v_log_f32_e32 v4, v4
	v_mul_f32_e32 v5, 0x3f317217, v4
	v_cmp_gt_f32_e64 vcc_lo, 0x7f800000, |v4|
	v_fma_f32 v6, 0x3f317217, v4, -v5
	v_fmamk_f32 v6, v4, 0x3377d1cf, v6
	v_add_f32_e32 v5, v5, v6
	v_cndmask_b32_e32 v4, v4, v5, vcc_lo
	v_cndmask_b32_e64 v5, 0, 0x41b17218, s23
	v_sub_f32_e32 v4, v4, v5
	v_fma_f32 v4, |v0|, v4, -|v0|
.LBB153_731:
	s_andn2_saveexec_b32 s22, s22
	s_cbranch_execz .LBB153_733
; %bb.732:
	v_cmp_gt_f32_e64 s23, 0x800000, |v0|
	v_rcp_f32_e64 v5, |v0|
	s_mov_b32 s24, 0xbad5c4e8
	v_cndmask_b32_e64 v4, 0, 32, s23
	v_ldexp_f32 v4, |v0|, v4
	v_mul_f32_e32 v6, v5, v5
	v_log_f32_e32 v4, v4
	v_fmaak_f32 v8, s24, v6, 0x3a5b3dd2
	v_fmaak_f32 v8, v6, v8, 0xba1c065c
	v_mul_f32_e32 v7, 0x3f317217, v4
	v_fmaak_f32 v8, v6, v8, 0x3a500cfd
	v_cmp_gt_f32_e64 vcc_lo, 0x7f800000, |v4|
	v_fma_f32 v9, 0x3f317217, v4, -v7
	v_fmaak_f32 v8, v6, v8, 0xbb360b61
	v_fmamk_f32 v9, v4, 0x3377d1cf, v9
	v_fmaak_f32 v6, v6, v8, 0x3daaaaab
	v_add_f32_e32 v7, v7, v9
	v_cndmask_b32_e32 v4, v4, v7, vcc_lo
	v_cndmask_b32_e64 v7, 0, 0x41b17218, s23
	v_sub_f32_e32 v7, v4, v7
	v_fmaak_f32 v4, v5, v6, 0x3ed67f1d
	v_add_f32_e64 v5, |v0|, -0.5
	v_add_f32_e32 v6, -1.0, v7
	v_fmac_f32_e32 v4, v5, v6
.LBB153_733:
	s_or_b32 exec_lo, exec_lo, s22
.LBB153_734:
	s_andn2_saveexec_b32 s22, s0
	s_cbranch_execz .LBB153_736
; %bb.735:
	v_cvt_i32_f32_e32 v4, v1
	s_mov_b32 s0, 0x36f5d7bd
	s_mov_b32 s23, 0x3805ff67
	v_cvt_f32_i32_e32 v5, v4
	v_cmp_lt_i32_e32 vcc_lo, 2, v4
	v_sub_f32_e64 v5, |v0|, v5
	v_add_f32_e32 v6, 2.0, v5
	v_add_f32_e32 v7, 0x40400000, v5
	v_add_f32_e32 v8, 4.0, v5
	v_add_f32_e32 v9, 0x40a00000, v5
	v_cndmask_b32_e32 v6, 1.0, v6, vcc_lo
	v_cmp_lt_i32_e32 vcc_lo, 3, v4
	v_cndmask_b32_e32 v7, 1.0, v7, vcc_lo
	v_cmp_lt_i32_e32 vcc_lo, 4, v4
	v_mul_f32_e32 v6, v6, v7
	v_cndmask_b32_e32 v8, 1.0, v8, vcc_lo
	v_cmp_lt_i32_e32 vcc_lo, 5, v4
	v_add_f32_e32 v7, 0x40c00000, v5
	v_mul_f32_e32 v6, v8, v6
	v_cndmask_b32_e32 v9, 1.0, v9, vcc_lo
	v_cmp_lt_i32_e32 vcc_lo, 6, v4
	v_fmaak_f32 v8, s23, v5, 0x3af135b4
	v_mul_f32_e32 v6, v9, v6
	v_cndmask_b32_e32 v4, 1.0, v7, vcc_lo
	v_mul_f32_e32 v4, v4, v6
	v_fmaak_f32 v6, s0, v5, 0x3a4beed6
	v_cmp_gt_f32_e32 vcc_lo, 0x800000, v4
	v_fmaak_f32 v6, v5, v6, 0x3c98bf54
	v_cndmask_b32_e64 v7, 0, 32, vcc_lo
	v_fmaak_f32 v6, v5, v6, 0x3e300f6e
	v_ldexp_f32 v4, v4, v7
	v_fmaak_f32 v7, v5, v8, 0x3cda40e4
	v_fmaak_f32 v6, v5, v6, 0x3f38d0c5
	v_log_f32_e32 v4, v4
	v_fmaak_f32 v7, v5, v7, 0x3e15dce6
	v_fmaak_f32 v6, v5, v6, 0x3fb22d3b
	;; [unrolled: 1-line block ×3, first 2 shown]
	v_fma_f32 v6, v5, v6, 1.0
	v_mul_f32_e32 v8, 0x3f317217, v4
	v_fmaak_f32 v7, v5, v7, 0x3e5c245a
	v_rcp_f32_e32 v6, v6
	v_cmp_gt_f32_e64 s0, 0x7f800000, |v4|
	v_fma_f32 v9, 0x3f317217, v4, -v8
	v_fmaak_f32 v7, v5, v7, 0xbd9e233f
	v_fmamk_f32 v9, v4, 0x3377d1cf, v9
	v_mul_f32_e32 v7, v5, v7
	v_add_f32_e32 v8, v8, v9
	v_mul_f32_e32 v6, v7, v6
	v_cndmask_b32_e64 v7, 0, 0x41b17218, vcc_lo
	v_cndmask_b32_e64 v4, v4, v8, s0
	v_fmac_f32_e32 v6, 0.5, v5
	v_sub_f32_e32 v4, v4, v7
	v_add_f32_e32 v4, v4, v6
.LBB153_736:
	s_or_b32 exec_lo, exec_lo, s22
.LBB153_737:
	s_andn2_saveexec_b32 s21, s21
	s_cbranch_execz .LBB153_755
; %bb.738:
	s_mov_b32 s22, exec_lo
                                        ; implicit-def: $vgpr4
                                        ; implicit-def: $vgpr6
                                        ; implicit-def: $vgpr5
	v_cmpx_ge_f32_e64 0x3f666666, |v0|
	s_xor_b32 s22, exec_lo, s22
	s_cbranch_execz .LBB153_740
; %bb.739:
	v_cmp_gt_f32_e64 s0, 0x800000, |v0|
	v_sub_f32_e64 v7, 1.0, |v0|
	v_cmp_gt_f32_e64 vcc_lo, 0x3f3b4a23, |v0|
	v_cndmask_b32_e64 v4, 0, 32, s0
	v_cndmask_b32_e64 v8, 0, 0x41b17218, s0
	v_ldexp_f32 v4, |v0|, v4
	v_log_f32_e32 v4, v4
	v_mul_f32_e32 v5, 0x3f317217, v4
	v_cmp_gt_f32_e64 s0, 0x7f800000, |v4|
	v_fma_f32 v6, 0x3f317217, v4, -v5
	v_fmamk_f32 v6, v4, 0x3377d1cf, v6
	v_add_f32_e32 v5, v5, v6
	v_add_f32_e64 v6, 0xbeec5b0c, |v0|
	v_cndmask_b32_e64 v4, v4, v5, s0
	v_cndmask_b32_e32 v5, v7, v6, vcc_lo
	v_cndmask_b32_e64 v6, 0, 1, vcc_lo
	v_cmp_gt_f32_e64 s0, 0x3e6d3309, |v0|
	v_sub_f32_e32 v4, v4, v8
	v_cndmask_b32_e64 v5, v5, |v0|, s0
	v_cndmask_b32_e64 v6, v6, 2, s0
	v_xor_b32_e32 v4, 0x80000000, v4
.LBB153_740:
	s_andn2_saveexec_b32 s0, s22
	s_cbranch_execz .LBB153_742
; %bb.741:
	v_sub_f32_e64 v4, 2.0, |v0|
	v_add_f32_e64 v5, 0xbfbb16c3, |v0|
	v_cmp_gt_f32_e64 vcc_lo, 0x3fdda512, |v0|
	v_add_f32_e64 v6, |v0|, -1.0
	v_cndmask_b32_e32 v5, v4, v5, vcc_lo
	v_cndmask_b32_e64 v4, v4, 1.0, vcc_lo
	v_cmp_gt_f32_e64 vcc_lo, 0x3f9d70a4, |v0|
	v_cvt_i32_f32_e32 v4, v4
	v_cndmask_b32_e32 v5, v5, v6, vcc_lo
	v_cndmask_b32_e64 v6, v4, 2, vcc_lo
	v_mov_b32_e32 v4, 0
.LBB153_742:
	s_or_b32 exec_lo, exec_lo, s0
	s_mov_b32 s0, exec_lo
	v_cmpx_lt_i32_e32 0, v6
	s_xor_b32 s0, exec_lo, s0
	s_cbranch_execz .LBB153_750
; %bb.743:
	s_mov_b32 s22, exec_lo
	v_cmpx_lt_i32_e32 1, v6
	s_xor_b32 s22, exec_lo, s22
	s_cbranch_execz .LBB153_747
; %bb.744:
	s_mov_b32 s23, exec_lo
	v_cmpx_eq_u32_e32 2, v6
	s_cbranch_execz .LBB153_746
; %bb.745:
	s_mov_b32 s24, 0x3b52d5db
	v_fmaak_f32 v6, s24, v5, 0x3dd572af
	s_mov_b32 s24, 0x3c5b3c5e
	v_fmaak_f32 v7, s24, v5, 0x3e6a7578
	v_fmaak_f32 v6, v5, v6, 0x3f44efdf
	;; [unrolled: 1-line block ×7, first 2 shown]
	v_fma_f32 v6, v5, v6, 1.0
	v_fmaak_f32 v7, v5, v7, 0xbd9e233f
	v_rcp_f32_e32 v6, v6
	v_mul_f32_e32 v7, v5, v7
	v_mul_f32_e32 v6, v7, v6
	v_fmac_f32_e32 v6, -0.5, v5
	v_add_f32_e32 v4, v4, v6
.LBB153_746:
	s_or_b32 exec_lo, exec_lo, s23
                                        ; implicit-def: $vgpr5
.LBB153_747:
	s_andn2_saveexec_b32 s22, s22
	s_cbranch_execz .LBB153_749
; %bb.748:
	v_mul_f32_e32 v6, v5, v5
	s_mov_b32 s23, 0xb9a3f927
	s_mov_b32 s24, 0x39afe9f7
	v_mul_f32_e32 v7, v5, v6
	v_fmaak_f32 v8, s23, v7, 0x3a66f867
	v_fmaak_f32 v9, s24, v7, 0xba0d3085
	s_mov_b32 s23, 0x39a57b6b
	v_fmaak_f32 v10, s23, v7, 0xbab7f476
	v_fmaak_f32 v8, v7, v8, 0xbb7177fe
	;; [unrolled: 1-line block ×9, first 2 shown]
	v_fmac_f32_e32 v8, v5, v9
	v_fmaak_f32 v5, v7, v10, 0x3ef7b95e
	v_fma_f32 v7, v7, -v8, 0xa2863e55
	v_fma_f32 v5, v6, v5, -v7
	v_add_f32_e32 v5, 0xbdf8cdce, v5
	v_add_f32_e32 v4, v4, v5
.LBB153_749:
	s_or_b32 exec_lo, exec_lo, s22
                                        ; implicit-def: $vgpr6
                                        ; implicit-def: $vgpr5
.LBB153_750:
	s_andn2_saveexec_b32 s0, s0
	s_cbranch_execz .LBB153_754
; %bb.751:
	s_mov_b32 s22, exec_lo
	v_cmpx_eq_u32_e32 0, v6
	s_cbranch_execz .LBB153_753
; %bb.752:
	v_mul_f32_e32 v6, v5, v5
	s_mov_b32 s23, 0x383c2c75
	v_fmaak_f32 v7, s23, v6, 0x38e28445
	s_mov_b32 s23, 0x37d383a2
	v_fmaak_f32 v8, s23, v6, 0x39679767
	v_fmaak_f32 v7, v6, v7, 0x3a05b634
	;; [unrolled: 1-line block ×9, first 2 shown]
	v_mul_f32_e32 v6, v6, v7
	v_fmac_f32_e32 v6, v5, v8
	v_fmac_f32_e32 v6, -0.5, v5
	v_add_f32_e32 v4, v4, v6
.LBB153_753:
	s_or_b32 exec_lo, exec_lo, s22
.LBB153_754:
	s_or_b32 exec_lo, exec_lo, s0
.LBB153_755:
	s_or_b32 exec_lo, exec_lo, s21
.LBB153_756:
	s_andn2_saveexec_b32 s0, s1
	s_cbranch_execz .LBB153_758
; %bb.757:
	v_cmp_gt_f32_e64 s1, 0x800000, |v0|
	s_mov_b32 s21, 0x3e8a8991
	v_fma_f32 v7, |v0|, s21, 0xbecd26ab
	v_cndmask_b32_e64 v4, 0, 32, s1
	v_ldexp_f32 v4, |v0|, v4
	v_log_f32_e32 v4, v4
	v_mul_f32_e32 v5, 0x3f317217, v4
	v_cmp_gt_f32_e64 vcc_lo, 0x7f800000, |v4|
	v_fma_f32 v6, 0x3f317217, v4, -v5
	v_fmamk_f32 v6, v4, 0x3377d1cf, v6
	v_add_f32_e32 v5, v5, v6
	v_fma_f32 v6, |v0|, v7, 0x3f528d33
	v_cndmask_b32_e32 v4, v4, v5, vcc_lo
	v_cndmask_b32_e64 v5, 0, 0x41b17218, s1
	v_fma_f32 v6, |v0|, v6, 0xbf13c468
	v_sub_f32_e32 v4, v4, v5
	v_fma_f32 v4, |v0|, v6, -v4
.LBB153_758:
	s_or_b32 exec_lo, exec_lo, s0
	v_cmp_le_f16_e32 vcc_lo, 0, v3
	s_mov_b32 s1, exec_lo
	v_cmpx_nle_f16_e32 0, v3
	s_xor_b32 s21, exec_lo, s1
	s_cbranch_execz .LBB153_762
; %bb.759:
	v_cmp_gt_f32_e64 s0, 0x4b000000, |v0|
	v_cmp_lt_f32_e64 s1, 0x35000000, |v0|
	s_and_b32 s0, s0, s1
	s_and_saveexec_b32 s22, s0
	s_cbranch_execz .LBB153_761
; %bb.760:
	v_mul_f32_e64 v5, |v0|, 0.5
	s_mov_b32 s1, 0x3d4be544
	v_xor_b32_e32 v1, v1, v0
	v_floor_f32_e32 v6, v5
	v_cmp_neq_f32_e64 s0, 0x7f800000, v5
	v_sub_f32_e32 v6, v5, v6
	v_min_f32_e32 v6, 0x3f7fffff, v6
	v_add_f32_e32 v6, v6, v6
	v_cndmask_b32_e64 v5, 0, v6, s0
	v_cmp_gt_f32_e64 s0, |v0|, 1.0
	v_cndmask_b32_e64 v5, |v0|, v5, s0
	s_mov_b32 s0, 0x3e75aa41
	v_add_f32_e32 v6, v5, v5
	v_rndne_f32_e32 v6, v6
	v_fmac_f32_e32 v5, -0.5, v6
	v_cvt_i32_f32_e32 v6, v6
	v_mul_f32_e32 v7, v5, v5
	v_fmaak_f32 v8, s0, v7, 0xbf1f24be
	v_fmaak_f32 v9, s1, v7, 0x3e642e9d
	v_mul_f32_e32 v10, v5, v7
	v_fmaak_f32 v8, v7, v8, 0x40234736
	v_fmaak_f32 v9, v7, v9, 0xbfaad1da
	;; [unrolled: 1-line block ×4, first 2 shown]
	v_mul_f32_e32 v8, v10, v8
	v_fmaak_f32 v9, v7, v9, 0xc09de9e6
	v_and_b32_e32 v10, 1, v6
	v_lshlrev_b32_e32 v6, 30, v6
	v_fmamk_f32 v5, v5, 0x40490fdb, v8
	v_fma_f32 v7, v7, v9, 1.0
	v_cmp_eq_u32_e64 s0, 0, v10
	v_and_b32_e32 v6, 0x80000000, v6
	v_cndmask_b32_e64 v5, v7, v5, s0
	v_xor3_b32 v1, v1, v6, v5
	v_mul_f32_e32 v1, v0, v1
	v_frexp_mant_f32_e64 v5, |v1|
	v_frexp_exp_i32_f32_e32 v1, v1
	v_rcp_f32_e32 v5, v5
	v_sub_nc_u32_e32 v1, 2, v1
	v_mul_f32_e32 v5, 0x3f490fdb, v5
	v_ldexp_f32 v1, v5, v1
	v_cmp_gt_f32_e64 s0, 0x800000, v1
	v_cndmask_b32_e64 v5, 0, 32, s0
	v_ldexp_f32 v1, v1, v5
	v_log_f32_e32 v1, v1
	v_mul_f32_e32 v5, 0x3f317217, v1
	v_cmp_gt_f32_e64 s1, 0x7f800000, |v1|
	v_fma_f32 v6, 0x3f317217, v1, -v5
	v_fmamk_f32 v6, v1, 0x3377d1cf, v6
	v_add_f32_e32 v5, v5, v6
	v_floor_f32_e32 v6, v0
	v_cndmask_b32_e64 v1, v1, v5, s1
	v_cndmask_b32_e64 v5, 0, 0x41b17218, s0
	v_sub_f32_e32 v6, v0, v6
	v_sub_f32_e32 v1, v1, v5
	v_min_f32_e32 v5, 0x3f7fffff, v6
	v_sub_f32_e32 v1, v1, v4
	v_cmp_neq_f32_e64 s0, 0, v5
	v_cndmask_b32_e64 v4, 0x7f800000, v1, s0
.LBB153_761:
	s_or_b32 exec_lo, exec_lo, s22
.LBB153_762:
	s_andn2_saveexec_b32 s21, s21
; %bb.763:
	v_cmp_eq_f16_e64 s0, 1.0, v3
	v_cmp_eq_f16_e64 s1, 2.0, v3
	s_or_b32 s0, s0, s1
	v_cndmask_b32_e64 v4, v4, 0, s0
; %bb.764:
	s_or_b32 exec_lo, exec_lo, s21
	v_cvt_f16_f32_e32 v1, v4
	v_mul_lo_u32 v4, v2, s12
	v_cmp_gt_f32_e64 s0, 0x4b000000, |v0|
	s_and_b32 s1, s5, 0xff
	s_or_b32 vcc_lo, vcc_lo, s0
	v_cmp_class_f32_e64 s0, v0, 0x264
	v_cndmask_b32_e32 v1, 0x7c00, v1, vcc_lo
	v_ashrrev_i32_e32 v5, 31, v4
	v_add_co_u32 v0, vcc_lo, s8, v4
	s_cmp_lt_i32 s1, 11
	v_cndmask_b32_e64 v6, v1, 0x7c00, s0
	v_add_co_ci_u32_e64 v1, null, s9, v5, vcc_lo
	v_cmp_u_f16_e32 vcc_lo, v3, v3
	v_cndmask_b32_e32 v3, v6, v3, vcc_lo
	s_cbranch_scc1 .LBB153_772
; %bb.765:
	s_and_b32 s21, 0xffff, s1
	s_cmp_gt_i32 s21, 25
	s_cbranch_scc0 .LBB153_773
; %bb.766:
	s_cmp_gt_i32 s21, 28
	s_cbranch_scc0 .LBB153_774
; %bb.767:
	;; [unrolled: 3-line block ×4, first 2 shown]
	s_mov_b32 s23, 0
	s_mov_b32 s0, -1
	s_cmp_eq_u32 s21, 46
	s_mov_b32 s22, 0
	s_cbranch_scc0 .LBB153_777
; %bb.770:
	v_cvt_f32_f16_e32 v4, v3
	v_cmp_o_f16_e32 vcc_lo, v3, v3
	s_mov_b32 s22, -1
	s_mov_b32 s0, 0
	v_bfe_u32 v5, v4, 16, 1
	v_add3_u32 v4, v4, v5, 0x7fff
	v_mov_b32_e32 v5, 0x7fc0
	v_cndmask_b32_sdwa v4, v5, v4, vcc_lo dst_sel:DWORD dst_unused:UNUSED_PAD src0_sel:DWORD src1_sel:WORD_1
	global_store_dword v[0:1], v4, off
	s_branch .LBB153_777
.LBB153_771:
	s_mov_b32 s21, 0
	s_mov_b32 s0, s17
	s_branch .LBB153_888
.LBB153_772:
	s_mov_b32 s21, -1
	s_mov_b32 s22, 0
	s_mov_b32 s0, s17
	s_branch .LBB153_846
.LBB153_773:
	s_mov_b32 s23, -1
	s_mov_b32 s22, 0
	s_mov_b32 s0, s17
	s_branch .LBB153_804
.LBB153_774:
	s_mov_b32 s23, -1
	s_mov_b32 s22, 0
	s_mov_b32 s0, s17
	s_branch .LBB153_787
.LBB153_775:
	s_mov_b32 s23, -1
	s_mov_b32 s22, 0
	s_mov_b32 s0, s17
	s_branch .LBB153_783
.LBB153_776:
	s_mov_b32 s23, -1
	s_mov_b32 s22, 0
	s_mov_b32 s0, s17
.LBB153_777:
	s_and_b32 vcc_lo, exec_lo, s23
	s_cbranch_vccz .LBB153_782
; %bb.778:
	s_cmp_eq_u32 s21, 44
	s_mov_b32 s0, -1
	s_cbranch_scc0 .LBB153_782
; %bb.779:
	v_cvt_f32_f16_e32 v4, v3
	v_mov_b32_e32 v5, 0xff
	s_mov_b32 s22, exec_lo
	v_bfe_u32 v6, v4, 23, 8
	v_cmpx_ne_u32_e32 0xff, v6
	s_cbranch_execz .LBB153_781
; %bb.780:
	v_and_b32_e32 v5, 0x400000, v4
	v_and_or_b32 v6, 0x3fffff, v4, v6
	v_lshrrev_b32_e32 v4, 23, v4
	v_cmp_ne_u32_e32 vcc_lo, 0, v5
	v_cmp_ne_u32_e64 s0, 0, v6
	s_and_b32 s0, vcc_lo, s0
	v_cndmask_b32_e64 v5, 0, 1, s0
	v_add_nc_u32_e32 v5, v4, v5
.LBB153_781:
	s_or_b32 exec_lo, exec_lo, s22
	s_mov_b32 s22, -1
	s_mov_b32 s0, 0
	global_store_byte v[0:1], v5, off
.LBB153_782:
	s_mov_b32 s23, 0
.LBB153_783:
	s_and_b32 vcc_lo, exec_lo, s23
	s_cbranch_vccz .LBB153_786
; %bb.784:
	s_cmp_eq_u32 s21, 29
	s_mov_b32 s0, -1
	s_cbranch_scc0 .LBB153_786
; %bb.785:
	v_cvt_f32_f16_e32 v4, v3
	v_mov_b32_e32 v5, 0
	s_mov_b32 s22, -1
	s_mov_b32 s0, 0
	s_mov_b32 s23, 0
	v_cvt_u32_f32_e32 v4, v4
	global_store_dwordx2 v[0:1], v[4:5], off
	s_branch .LBB153_787
.LBB153_786:
	s_mov_b32 s23, 0
.LBB153_787:
	s_and_b32 vcc_lo, exec_lo, s23
	s_cbranch_vccz .LBB153_803
; %bb.788:
	s_cmp_lt_i32 s21, 27
	s_mov_b32 s22, -1
	s_cbranch_scc1 .LBB153_794
; %bb.789:
	s_cmp_gt_i32 s21, 27
	s_cbranch_scc0 .LBB153_791
; %bb.790:
	v_cvt_f32_f16_e32 v4, v3
	s_mov_b32 s22, 0
	v_cvt_u32_f32_e32 v4, v4
	global_store_dword v[0:1], v4, off
.LBB153_791:
	s_andn2_b32 vcc_lo, exec_lo, s22
	s_cbranch_vccnz .LBB153_793
; %bb.792:
	v_cvt_u16_f16_e32 v4, v3
	global_store_short v[0:1], v4, off
.LBB153_793:
	s_mov_b32 s22, 0
.LBB153_794:
	s_andn2_b32 vcc_lo, exec_lo, s22
	s_cbranch_vccnz .LBB153_802
; %bb.795:
	v_cvt_f32_f16_e32 v4, v3
	v_mov_b32_e32 v6, 0x80
	s_mov_b32 s22, exec_lo
	v_and_b32_e32 v5, 0x7fffffff, v4
	v_cmpx_gt_u32_e32 0x43800000, v5
	s_cbranch_execz .LBB153_801
; %bb.796:
	v_cmp_lt_u32_e32 vcc_lo, 0x3bffffff, v5
	s_mov_b32 s23, 0
                                        ; implicit-def: $vgpr5
	s_and_saveexec_b32 s24, vcc_lo
	s_xor_b32 s24, exec_lo, s24
	s_cbranch_execz .LBB153_903
; %bb.797:
	v_bfe_u32 v5, v4, 20, 1
	s_mov_b32 s23, exec_lo
	v_add3_u32 v5, v4, v5, 0x487ffff
	v_lshrrev_b32_e32 v5, 20, v5
	s_andn2_saveexec_b32 s24, s24
	s_cbranch_execnz .LBB153_904
.LBB153_798:
	s_or_b32 exec_lo, exec_lo, s24
	v_mov_b32_e32 v6, 0
	s_and_saveexec_b32 s24, s23
.LBB153_799:
	v_lshrrev_b32_e32 v4, 24, v4
	v_and_or_b32 v6, 0x80, v4, v5
.LBB153_800:
	s_or_b32 exec_lo, exec_lo, s24
.LBB153_801:
	s_or_b32 exec_lo, exec_lo, s22
	global_store_byte v[0:1], v6, off
.LBB153_802:
	s_mov_b32 s22, -1
.LBB153_803:
	s_mov_b32 s23, 0
.LBB153_804:
	s_and_b32 vcc_lo, exec_lo, s23
	s_cbranch_vccz .LBB153_845
; %bb.805:
	s_cmp_gt_i32 s21, 22
	s_mov_b32 s23, -1
	s_cbranch_scc0 .LBB153_837
; %bb.806:
	s_cmp_lt_i32 s21, 24
	s_mov_b32 s22, -1
	s_cbranch_scc1 .LBB153_826
; %bb.807:
	s_cmp_gt_i32 s21, 24
	s_cbranch_scc0 .LBB153_815
; %bb.808:
	v_cvt_f32_f16_e32 v4, v3
	v_mov_b32_e32 v6, 0x80
	s_mov_b32 s22, exec_lo
	v_and_b32_e32 v5, 0x7fffffff, v4
	v_cmpx_gt_u32_e32 0x47800000, v5
	s_cbranch_execz .LBB153_814
; %bb.809:
	v_cmp_lt_u32_e32 vcc_lo, 0x37ffffff, v5
	s_mov_b32 s23, 0
                                        ; implicit-def: $vgpr5
	s_and_saveexec_b32 s24, vcc_lo
	s_xor_b32 s24, exec_lo, s24
	s_cbranch_execz .LBB153_906
; %bb.810:
	v_bfe_u32 v5, v4, 21, 1
	s_mov_b32 s23, exec_lo
	v_add3_u32 v5, v4, v5, 0x88fffff
	v_lshrrev_b32_e32 v5, 21, v5
	s_andn2_saveexec_b32 s24, s24
	s_cbranch_execnz .LBB153_907
.LBB153_811:
	s_or_b32 exec_lo, exec_lo, s24
	v_mov_b32_e32 v6, 0
	s_and_saveexec_b32 s24, s23
.LBB153_812:
	v_lshrrev_b32_e32 v4, 24, v4
	v_and_or_b32 v6, 0x80, v4, v5
.LBB153_813:
	s_or_b32 exec_lo, exec_lo, s24
.LBB153_814:
	s_or_b32 exec_lo, exec_lo, s22
	s_mov_b32 s22, 0
	global_store_byte v[0:1], v6, off
.LBB153_815:
	s_and_b32 vcc_lo, exec_lo, s22
	s_cbranch_vccz .LBB153_825
; %bb.816:
	v_cvt_f32_f16_e32 v4, v3
	s_mov_b32 s22, exec_lo
                                        ; implicit-def: $vgpr5
	v_and_b32_e32 v6, 0x7fffffff, v4
	v_cmpx_gt_u32_e32 0x43f00000, v6
	s_xor_b32 s22, exec_lo, s22
	s_cbranch_execz .LBB153_822
; %bb.817:
	s_mov_b32 s23, exec_lo
                                        ; implicit-def: $vgpr5
	v_cmpx_lt_u32_e32 0x3c7fffff, v6
	s_xor_b32 s23, exec_lo, s23
; %bb.818:
	v_bfe_u32 v5, v4, 20, 1
	v_add3_u32 v5, v4, v5, 0x407ffff
	v_and_b32_e32 v6, 0xff00000, v5
	v_lshrrev_b32_e32 v5, 20, v5
	v_cmp_ne_u32_e32 vcc_lo, 0x7f00000, v6
	v_cndmask_b32_e32 v5, 0x7e, v5, vcc_lo
; %bb.819:
	s_andn2_saveexec_b32 s23, s23
; %bb.820:
	v_add_f32_e64 v5, 0x46800000, |v4|
; %bb.821:
	s_or_b32 exec_lo, exec_lo, s23
                                        ; implicit-def: $vgpr6
.LBB153_822:
	s_andn2_saveexec_b32 s22, s22
; %bb.823:
	v_mov_b32_e32 v5, 0x7f
	v_cmp_lt_u32_e32 vcc_lo, 0x7f800000, v6
	v_cndmask_b32_e32 v5, 0x7e, v5, vcc_lo
; %bb.824:
	s_or_b32 exec_lo, exec_lo, s22
	v_lshrrev_b32_e32 v4, 24, v4
	v_and_or_b32 v4, 0x80, v4, v5
	global_store_byte v[0:1], v4, off
.LBB153_825:
	s_mov_b32 s22, 0
.LBB153_826:
	s_andn2_b32 vcc_lo, exec_lo, s22
	s_cbranch_vccnz .LBB153_836
; %bb.827:
	v_cvt_f32_f16_e32 v4, v3
	s_mov_b32 s22, exec_lo
                                        ; implicit-def: $vgpr5
	v_and_b32_e32 v6, 0x7fffffff, v4
	v_cmpx_gt_u32_e32 0x47800000, v6
	s_xor_b32 s22, exec_lo, s22
	s_cbranch_execz .LBB153_833
; %bb.828:
	s_mov_b32 s23, exec_lo
                                        ; implicit-def: $vgpr5
	v_cmpx_lt_u32_e32 0x387fffff, v6
	s_xor_b32 s23, exec_lo, s23
; %bb.829:
	v_bfe_u32 v5, v4, 21, 1
	v_add3_u32 v5, v4, v5, 0x80fffff
	v_lshrrev_b32_e32 v5, 21, v5
; %bb.830:
	s_andn2_saveexec_b32 s23, s23
; %bb.831:
	v_add_f32_e64 v5, 0x43000000, |v4|
; %bb.832:
	s_or_b32 exec_lo, exec_lo, s23
                                        ; implicit-def: $vgpr6
.LBB153_833:
	s_andn2_saveexec_b32 s22, s22
; %bb.834:
	v_mov_b32_e32 v5, 0x7f
	v_cmp_lt_u32_e32 vcc_lo, 0x7f800000, v6
	v_cndmask_b32_e32 v5, 0x7c, v5, vcc_lo
; %bb.835:
	s_or_b32 exec_lo, exec_lo, s22
	v_lshrrev_b32_e32 v4, 24, v4
	v_and_or_b32 v4, 0x80, v4, v5
	global_store_byte v[0:1], v4, off
.LBB153_836:
	s_mov_b32 s23, 0
	s_mov_b32 s22, -1
.LBB153_837:
	s_andn2_b32 vcc_lo, exec_lo, s23
	s_cbranch_vccnz .LBB153_845
; %bb.838:
	s_cmp_gt_i32 s21, 14
	s_mov_b32 s23, -1
	s_cbranch_scc0 .LBB153_842
; %bb.839:
	s_cmp_eq_u32 s21, 15
	s_mov_b32 s0, -1
	s_cbranch_scc0 .LBB153_841
; %bb.840:
	v_cvt_f32_f16_e32 v4, v3
	v_cmp_o_f16_e32 vcc_lo, v3, v3
	s_mov_b32 s22, -1
	s_mov_b32 s0, 0
	v_bfe_u32 v5, v4, 16, 1
	v_add3_u32 v4, v4, v5, 0x7fff
	v_mov_b32_e32 v5, 0x7fc0
	v_cndmask_b32_sdwa v4, v5, v4, vcc_lo dst_sel:DWORD dst_unused:UNUSED_PAD src0_sel:DWORD src1_sel:WORD_1
	global_store_short v[0:1], v4, off
.LBB153_841:
	s_mov_b32 s23, 0
.LBB153_842:
	s_and_b32 vcc_lo, exec_lo, s23
	s_cbranch_vccz .LBB153_845
; %bb.843:
	s_cmp_eq_u32 s21, 11
	s_mov_b32 s0, -1
	s_cbranch_scc0 .LBB153_845
; %bb.844:
	v_cmp_neq_f16_e32 vcc_lo, 0, v3
	s_mov_b32 s0, 0
	s_mov_b32 s22, -1
	v_cndmask_b32_e64 v4, 0, 1, vcc_lo
	global_store_byte v[0:1], v4, off
.LBB153_845:
	s_mov_b32 s21, 0
.LBB153_846:
	s_and_b32 vcc_lo, exec_lo, s21
	s_cbranch_vccz .LBB153_885
; %bb.847:
	s_and_b32 s1, 0xffff, s1
	s_mov_b32 s21, -1
	s_cmp_lt_i32 s1, 5
	s_cbranch_scc1 .LBB153_868
; %bb.848:
	s_cmp_lt_i32 s1, 8
	s_cbranch_scc1 .LBB153_858
; %bb.849:
	;; [unrolled: 3-line block ×3, first 2 shown]
	s_cmp_gt_i32 s1, 9
	s_cbranch_scc0 .LBB153_852
; %bb.851:
	v_cvt_f32_f16_e32 v4, v3
	v_mov_b32_e32 v6, 0
	s_mov_b32 s21, 0
	v_cvt_f64_f32_e32 v[4:5], v4
	v_mov_b32_e32 v7, v6
	global_store_dwordx4 v[0:1], v[4:7], off
.LBB153_852:
	s_andn2_b32 vcc_lo, exec_lo, s21
	s_cbranch_vccnz .LBB153_854
; %bb.853:
	v_cvt_f32_f16_e32 v4, v3
	v_mov_b32_e32 v5, 0
	global_store_dwordx2 v[0:1], v[4:5], off
.LBB153_854:
	s_mov_b32 s21, 0
.LBB153_855:
	s_andn2_b32 vcc_lo, exec_lo, s21
	s_cbranch_vccnz .LBB153_857
; %bb.856:
	v_and_b32_e32 v4, 0xffff, v3
	global_store_dword v[0:1], v4, off
.LBB153_857:
	s_mov_b32 s21, 0
.LBB153_858:
	s_andn2_b32 vcc_lo, exec_lo, s21
	s_cbranch_vccnz .LBB153_867
; %bb.859:
	s_cmp_lt_i32 s1, 6
	s_mov_b32 s21, -1
	s_cbranch_scc1 .LBB153_865
; %bb.860:
	s_cmp_gt_i32 s1, 6
	s_cbranch_scc0 .LBB153_862
; %bb.861:
	v_cvt_f32_f16_e32 v4, v3
	s_mov_b32 s21, 0
	v_cvt_f64_f32_e32 v[4:5], v4
	global_store_dwordx2 v[0:1], v[4:5], off
.LBB153_862:
	s_andn2_b32 vcc_lo, exec_lo, s21
	s_cbranch_vccnz .LBB153_864
; %bb.863:
	v_cvt_f32_f16_e32 v4, v3
	global_store_dword v[0:1], v4, off
.LBB153_864:
	s_mov_b32 s21, 0
.LBB153_865:
	s_andn2_b32 vcc_lo, exec_lo, s21
	s_cbranch_vccnz .LBB153_867
; %bb.866:
	global_store_short v[0:1], v3, off
.LBB153_867:
	s_mov_b32 s21, 0
.LBB153_868:
	s_andn2_b32 vcc_lo, exec_lo, s21
	s_cbranch_vccnz .LBB153_884
; %bb.869:
	s_cmp_lt_i32 s1, 2
	s_mov_b32 s21, -1
	s_cbranch_scc1 .LBB153_879
; %bb.870:
	s_cmp_lt_i32 s1, 3
	s_cbranch_scc1 .LBB153_876
; %bb.871:
	s_cmp_gt_i32 s1, 3
	s_cbranch_scc0 .LBB153_873
; %bb.872:
	v_cvt_f32_f16_e32 v4, v3
	s_mov_b32 s21, 0
	v_cvt_i32_f32_e32 v4, v4
	v_ashrrev_i32_e32 v5, 31, v4
	global_store_dwordx2 v[0:1], v[4:5], off
.LBB153_873:
	s_andn2_b32 vcc_lo, exec_lo, s21
	s_cbranch_vccnz .LBB153_875
; %bb.874:
	v_cvt_f32_f16_e32 v4, v3
	v_cvt_i32_f32_e32 v4, v4
	global_store_dword v[0:1], v4, off
.LBB153_875:
	s_mov_b32 s21, 0
.LBB153_876:
	s_andn2_b32 vcc_lo, exec_lo, s21
	s_cbranch_vccnz .LBB153_878
; %bb.877:
	v_cvt_i16_f16_e32 v4, v3
	global_store_short v[0:1], v4, off
.LBB153_878:
	s_mov_b32 s21, 0
.LBB153_879:
	s_andn2_b32 vcc_lo, exec_lo, s21
	s_cbranch_vccnz .LBB153_884
; %bb.880:
	s_cmp_gt_i32 s1, 0
	s_mov_b32 s1, -1
	s_cbranch_scc0 .LBB153_882
; %bb.881:
	v_cvt_i16_f16_e32 v4, v3
	s_mov_b32 s1, 0
	global_store_byte v[0:1], v4, off
.LBB153_882:
	s_andn2_b32 vcc_lo, exec_lo, s1
	s_cbranch_vccnz .LBB153_884
; %bb.883:
	v_cvt_f32_f16_e32 v3, v3
	v_cvt_i32_f32_e32 v3, v3
	global_store_byte v[0:1], v3, off
.LBB153_884:
	s_mov_b32 s22, -1
.LBB153_885:
	s_andn2_b32 vcc_lo, exec_lo, s22
	s_cbranch_vccnz .LBB153_887
; %bb.886:
	v_add_nc_u32_e32 v2, 0x80, v2
	s_mov_b32 s21, -1
	s_branch .LBB153_889
.LBB153_887:
	s_mov_b32 s21, 0
.LBB153_888:
                                        ; implicit-def: $vgpr2
.LBB153_889:
	s_andn2_b32 s1, s17, exec_lo
	s_and_b32 s0, s0, exec_lo
	s_andn2_b32 s22, s16, exec_lo
	s_and_b32 s20, s20, exec_lo
	s_or_b32 s1, s1, s0
	s_or_b32 s0, s22, s20
	s_orn2_b32 s20, s21, exec_lo
.LBB153_890:
	s_or_b32 exec_lo, exec_lo, s19
	s_mov_b32 s21, 0
	s_mov_b32 s22, 0
	;; [unrolled: 1-line block ×3, first 2 shown]
                                        ; implicit-def: $vgpr0_vgpr1
                                        ; implicit-def: $vgpr3
	s_and_saveexec_b32 s19, s20
	s_cbranch_execz .LBB153_975
; %bb.891:
	v_cmp_gt_i32_e32 vcc_lo, s7, v2
	s_mov_b32 s20, 0
	s_mov_b32 s21, s0
	;; [unrolled: 1-line block ×3, first 2 shown]
                                        ; implicit-def: $vgpr0_vgpr1
                                        ; implicit-def: $vgpr3
	s_and_saveexec_b32 s7, vcc_lo
	s_cbranch_execz .LBB153_974
; %bb.892:
	v_mul_lo_u32 v0, v2, s13
	s_and_b32 s20, 0xffff, s3
	s_cmp_lt_i32 s20, 11
	v_ashrrev_i32_e32 v1, 31, v0
	v_add_co_u32 v0, vcc_lo, s10, v0
	v_add_co_ci_u32_e64 v1, null, s11, v1, vcc_lo
	s_cbranch_scc1 .LBB153_899
; %bb.893:
	s_cmp_gt_i32 s20, 25
	s_cbranch_scc0 .LBB153_900
; %bb.894:
	s_cmp_gt_i32 s20, 28
	s_cbranch_scc0 .LBB153_901
	;; [unrolled: 3-line block ×4, first 2 shown]
; %bb.897:
	s_cmp_eq_u32 s20, 46
	s_cbranch_scc0 .LBB153_908
; %bb.898:
	global_load_dword v3, v[0:1], off
	s_mov_b32 s21, 0
	s_mov_b32 s23, -1
	s_waitcnt vmcnt(0)
	v_lshlrev_b32_e32 v3, 16, v3
	v_cvt_f16_f32_e32 v3, v3
	s_branch .LBB153_910
.LBB153_899:
	s_mov_b32 s20, -1
	s_mov_b32 s21, s0
                                        ; implicit-def: $vgpr3
	s_branch .LBB153_973
.LBB153_900:
	s_mov_b32 s24, -1
	s_mov_b32 s21, s0
                                        ; implicit-def: $vgpr3
	s_branch .LBB153_939
.LBB153_901:
	s_mov_b32 s24, -1
	s_mov_b32 s21, s0
                                        ; implicit-def: $vgpr3
	s_branch .LBB153_920
.LBB153_902:
	s_mov_b32 s24, -1
	s_mov_b32 s21, s0
                                        ; implicit-def: $vgpr3
	s_branch .LBB153_915
.LBB153_903:
	s_andn2_saveexec_b32 s24, s24
	s_cbranch_execz .LBB153_798
.LBB153_904:
	v_add_f32_e64 v5, 0x46000000, |v4|
	s_andn2_b32 s23, s23, exec_lo
	v_and_b32_e32 v5, 0xff, v5
	v_cmp_ne_u32_e32 vcc_lo, 0, v5
	s_and_b32 s25, vcc_lo, exec_lo
	s_or_b32 s23, s23, s25
	s_or_b32 exec_lo, exec_lo, s24
	v_mov_b32_e32 v6, 0
	s_and_saveexec_b32 s24, s23
	s_cbranch_execnz .LBB153_799
	s_branch .LBB153_800
.LBB153_905:
	s_mov_b32 s24, -1
	s_mov_b32 s21, s0
	s_branch .LBB153_909
.LBB153_906:
	s_andn2_saveexec_b32 s24, s24
	s_cbranch_execz .LBB153_811
.LBB153_907:
	v_add_f32_e64 v5, 0x42800000, |v4|
	s_andn2_b32 s23, s23, exec_lo
	v_and_b32_e32 v5, 0xff, v5
	v_cmp_ne_u32_e32 vcc_lo, 0, v5
	s_and_b32 s25, vcc_lo, exec_lo
	s_or_b32 s23, s23, s25
	s_or_b32 exec_lo, exec_lo, s24
	v_mov_b32_e32 v6, 0
	s_and_saveexec_b32 s24, s23
	s_cbranch_execnz .LBB153_812
	s_branch .LBB153_813
.LBB153_908:
	s_mov_b32 s21, -1
.LBB153_909:
                                        ; implicit-def: $vgpr3
.LBB153_910:
	s_and_b32 vcc_lo, exec_lo, s24
	s_cbranch_vccz .LBB153_914
; %bb.911:
	s_cmp_eq_u32 s20, 44
	s_cbranch_scc0 .LBB153_913
; %bb.912:
	global_load_ubyte v3, v[0:1], off
	s_mov_b32 s21, 0
	s_mov_b32 s23, -1
	s_waitcnt vmcnt(0)
	v_lshlrev_b32_e32 v4, 23, v3
	v_cmp_ne_u32_e32 vcc_lo, 0xff, v3
	v_cvt_f16_f32_e32 v4, v4
	v_cndmask_b32_e32 v4, 0x7e00, v4, vcc_lo
	v_cmp_ne_u32_e32 vcc_lo, 0, v3
	v_cndmask_b32_e32 v3, 0, v4, vcc_lo
	s_branch .LBB153_914
.LBB153_913:
	s_mov_b32 s21, -1
                                        ; implicit-def: $vgpr3
.LBB153_914:
	s_mov_b32 s24, 0
.LBB153_915:
	s_and_b32 vcc_lo, exec_lo, s24
	s_cbranch_vccz .LBB153_919
; %bb.916:
	s_cmp_eq_u32 s20, 29
	s_cbranch_scc0 .LBB153_918
; %bb.917:
	global_load_dwordx2 v[3:4], v[0:1], off
	s_mov_b32 s21, 0
	s_mov_b32 s23, -1
	s_mov_b32 s24, 0
	s_waitcnt vmcnt(0)
	v_ffbh_u32_e32 v5, v4
	v_min_u32_e32 v5, 32, v5
	v_lshlrev_b64 v[3:4], v5, v[3:4]
	v_min_u32_e32 v3, 1, v3
	v_or_b32_e32 v3, v4, v3
	v_sub_nc_u32_e32 v4, 32, v5
	v_cvt_f32_u32_e32 v3, v3
	v_ldexp_f32 v3, v3, v4
	v_cvt_f16_f32_e32 v3, v3
	s_branch .LBB153_920
.LBB153_918:
	s_mov_b32 s21, -1
                                        ; implicit-def: $vgpr3
.LBB153_919:
	s_mov_b32 s24, 0
.LBB153_920:
	s_and_b32 vcc_lo, exec_lo, s24
	s_cbranch_vccz .LBB153_938
; %bb.921:
	s_cmp_lt_i32 s20, 27
	s_cbranch_scc1 .LBB153_924
; %bb.922:
	s_cmp_gt_i32 s20, 27
	s_cbranch_scc0 .LBB153_925
; %bb.923:
	global_load_dword v3, v[0:1], off
	s_mov_b32 s23, 0
	s_waitcnt vmcnt(0)
	v_cvt_f32_u32_e32 v3, v3
	v_cvt_f16_f32_e32 v3, v3
	s_branch .LBB153_926
.LBB153_924:
	s_mov_b32 s23, -1
                                        ; implicit-def: $vgpr3
	s_branch .LBB153_929
.LBB153_925:
	s_mov_b32 s23, -1
                                        ; implicit-def: $vgpr3
.LBB153_926:
	s_andn2_b32 vcc_lo, exec_lo, s23
	s_cbranch_vccnz .LBB153_928
; %bb.927:
	global_load_ushort v3, v[0:1], off
	s_waitcnt vmcnt(0)
	v_cvt_f16_u16_e32 v3, v3
.LBB153_928:
	s_mov_b32 s23, 0
.LBB153_929:
	s_andn2_b32 vcc_lo, exec_lo, s23
	s_cbranch_vccnz .LBB153_937
; %bb.930:
	global_load_ubyte v4, v[0:1], off
	s_mov_b32 s23, 0
	s_mov_b32 s24, exec_lo
	s_waitcnt vmcnt(0)
	v_cmpx_lt_i16_e32 0x7f, v4
	s_xor_b32 s24, exec_lo, s24
	s_cbranch_execz .LBB153_951
; %bb.931:
	s_mov_b32 s23, -1
	s_mov_b32 s25, exec_lo
	v_cmpx_eq_u16_e32 0x80, v4
; %bb.932:
	s_xor_b32 s23, exec_lo, -1
; %bb.933:
	s_or_b32 exec_lo, exec_lo, s25
	s_and_b32 s23, s23, exec_lo
	s_or_saveexec_b32 s24, s24
	v_mov_b32_e32 v3, 0x7e00
	s_xor_b32 exec_lo, exec_lo, s24
	s_cbranch_execnz .LBB153_952
.LBB153_934:
	s_or_b32 exec_lo, exec_lo, s24
	s_and_saveexec_b32 s24, s23
	s_cbranch_execz .LBB153_936
.LBB153_935:
	v_and_b32_e32 v3, 0xffff, v4
	v_lshlrev_b32_e32 v4, 24, v4
	v_and_b32_e32 v5, 7, v3
	v_bfe_u32 v8, v3, 3, 4
	v_and_b32_e32 v4, 0x80000000, v4
	v_ffbh_u32_e32 v6, v5
	v_cmp_eq_u32_e32 vcc_lo, 0, v8
	v_min_u32_e32 v6, 32, v6
	v_subrev_nc_u32_e32 v7, 28, v6
	v_sub_nc_u32_e32 v6, 29, v6
	v_lshlrev_b32_e32 v3, v7, v3
	v_cndmask_b32_e32 v6, v8, v6, vcc_lo
	v_and_b32_e32 v3, 7, v3
	v_cndmask_b32_e32 v3, v5, v3, vcc_lo
	v_lshl_add_u32 v5, v6, 23, 0x3b800000
	v_lshlrev_b32_e32 v3, 20, v3
	v_or3_b32 v3, v4, v5, v3
	v_cvt_f16_f32_e32 v3, v3
.LBB153_936:
	s_or_b32 exec_lo, exec_lo, s24
.LBB153_937:
	s_mov_b32 s23, -1
.LBB153_938:
	s_mov_b32 s24, 0
.LBB153_939:
	s_and_b32 vcc_lo, exec_lo, s24
	s_cbranch_vccz .LBB153_972
; %bb.940:
	s_cmp_gt_i32 s20, 22
	s_cbranch_scc0 .LBB153_950
; %bb.941:
	s_cmp_lt_i32 s20, 24
	s_cbranch_scc1 .LBB153_953
; %bb.942:
	s_cmp_gt_i32 s20, 24
	s_cbranch_scc0 .LBB153_954
; %bb.943:
	global_load_ubyte v4, v[0:1], off
	s_mov_b32 s23, exec_lo
	s_waitcnt vmcnt(0)
	v_cmpx_lt_i16_e32 0x7f, v4
	s_xor_b32 s23, exec_lo, s23
	s_cbranch_execz .LBB153_966
; %bb.944:
	s_mov_b32 s22, -1
	s_mov_b32 s24, exec_lo
	v_cmpx_eq_u16_e32 0x80, v4
; %bb.945:
	s_xor_b32 s22, exec_lo, -1
; %bb.946:
	s_or_b32 exec_lo, exec_lo, s24
	s_and_b32 s22, s22, exec_lo
	s_or_saveexec_b32 s23, s23
	v_mov_b32_e32 v3, 0x7e00
	s_xor_b32 exec_lo, exec_lo, s23
	s_cbranch_execnz .LBB153_967
.LBB153_947:
	s_or_b32 exec_lo, exec_lo, s23
	s_and_saveexec_b32 s23, s22
	s_cbranch_execz .LBB153_949
.LBB153_948:
	v_and_b32_e32 v3, 0xffff, v4
	v_lshlrev_b32_e32 v4, 24, v4
	v_and_b32_e32 v5, 3, v3
	v_bfe_u32 v8, v3, 2, 5
	v_and_b32_e32 v4, 0x80000000, v4
	v_ffbh_u32_e32 v6, v5
	v_cmp_eq_u32_e32 vcc_lo, 0, v8
	v_min_u32_e32 v6, 32, v6
	v_subrev_nc_u32_e32 v7, 29, v6
	v_sub_nc_u32_e32 v6, 30, v6
	v_lshlrev_b32_e32 v3, v7, v3
	v_cndmask_b32_e32 v6, v8, v6, vcc_lo
	v_and_b32_e32 v3, 3, v3
	v_cndmask_b32_e32 v3, v5, v3, vcc_lo
	v_lshl_add_u32 v5, v6, 23, 0x37800000
	v_lshlrev_b32_e32 v3, 21, v3
	v_or3_b32 v3, v4, v5, v3
	v_cvt_f16_f32_e32 v3, v3
.LBB153_949:
	s_or_b32 exec_lo, exec_lo, s23
	s_mov_b32 s22, 0
	s_branch .LBB153_955
.LBB153_950:
	s_mov_b32 s22, -1
                                        ; implicit-def: $vgpr3
	s_branch .LBB153_961
.LBB153_951:
	s_or_saveexec_b32 s24, s24
	v_mov_b32_e32 v3, 0x7e00
	s_xor_b32 exec_lo, exec_lo, s24
	s_cbranch_execz .LBB153_934
.LBB153_952:
	v_cmp_ne_u16_e32 vcc_lo, 0, v4
	v_mov_b32_e32 v3, v4
	s_andn2_b32 s23, s23, exec_lo
	s_and_b32 s25, vcc_lo, exec_lo
	s_or_b32 s23, s23, s25
	s_or_b32 exec_lo, exec_lo, s24
	s_and_saveexec_b32 s24, s23
	s_cbranch_execnz .LBB153_935
	s_branch .LBB153_936
.LBB153_953:
	s_mov_b32 s22, -1
                                        ; implicit-def: $vgpr3
	s_branch .LBB153_958
.LBB153_954:
	s_mov_b32 s22, -1
                                        ; implicit-def: $vgpr3
.LBB153_955:
	s_and_b32 vcc_lo, exec_lo, s22
	s_cbranch_vccz .LBB153_957
; %bb.956:
	global_load_ubyte v3, v[0:1], off
	s_waitcnt vmcnt(0)
	v_lshlrev_b32_e32 v3, 24, v3
	v_and_b32_e32 v4, 0x7f000000, v3
	v_ffbh_u32_e32 v5, v4
	v_add_nc_u32_e32 v7, 0x1000000, v4
	v_cmp_ne_u32_e32 vcc_lo, 0, v4
	v_min_u32_e32 v5, 32, v5
	v_sub_nc_u32_e64 v5, v5, 4 clamp
	v_lshlrev_b32_e32 v6, v5, v4
	v_lshlrev_b32_e32 v5, 23, v5
	v_lshrrev_b32_e32 v6, 4, v6
	v_sub_nc_u32_e32 v5, v6, v5
	v_ashrrev_i32_e32 v6, 8, v7
	v_add_nc_u32_e32 v5, 0x3c000000, v5
	v_and_or_b32 v5, 0x7f800000, v6, v5
	v_cndmask_b32_e32 v4, 0, v5, vcc_lo
	v_and_or_b32 v3, 0x80000000, v3, v4
	v_cvt_f16_f32_e32 v3, v3
.LBB153_957:
	s_mov_b32 s22, 0
.LBB153_958:
	s_andn2_b32 vcc_lo, exec_lo, s22
	s_cbranch_vccnz .LBB153_960
; %bb.959:
	global_load_ubyte v3, v[0:1], off
	s_waitcnt vmcnt(0)
	v_lshlrev_b32_e32 v4, 25, v3
	v_lshlrev_b16 v3, 8, v3
	v_lshrrev_b32_e32 v5, 4, v4
	v_and_or_b32 v6, 0x7f00, v3, 0.5
	v_cmp_gt_u32_e32 vcc_lo, 0x8000000, v4
	v_bfe_i32 v3, v3, 0, 16
	v_or_b32_e32 v5, 0x70000000, v5
	v_add_f32_e32 v6, -0.5, v6
	v_mul_f32_e32 v5, 0x7800000, v5
	v_cndmask_b32_e32 v4, v5, v6, vcc_lo
	v_and_or_b32 v3, 0x80000000, v3, v4
	v_cvt_f16_f32_e32 v3, v3
.LBB153_960:
	s_mov_b32 s22, 0
	s_mov_b32 s23, -1
.LBB153_961:
	s_andn2_b32 vcc_lo, exec_lo, s22
	s_mov_b32 s22, 0
	s_cbranch_vccnz .LBB153_972
; %bb.962:
	s_cmp_gt_i32 s20, 14
	s_cbranch_scc0 .LBB153_965
; %bb.963:
	s_cmp_eq_u32 s20, 15
	s_cbranch_scc0 .LBB153_968
; %bb.964:
	global_load_ushort v3, v[0:1], off
	s_mov_b32 s21, 0
	s_mov_b32 s23, -1
	s_waitcnt vmcnt(0)
	v_lshlrev_b32_e32 v3, 16, v3
	v_cvt_f16_f32_e32 v3, v3
	s_branch .LBB153_970
.LBB153_965:
	s_mov_b32 s22, -1
	s_branch .LBB153_969
.LBB153_966:
	s_or_saveexec_b32 s23, s23
	v_mov_b32_e32 v3, 0x7e00
	s_xor_b32 exec_lo, exec_lo, s23
	s_cbranch_execz .LBB153_947
.LBB153_967:
	v_cmp_ne_u16_e32 vcc_lo, 0, v4
	v_mov_b32_e32 v3, v4
	s_andn2_b32 s22, s22, exec_lo
	s_and_b32 s24, vcc_lo, exec_lo
	s_or_b32 s22, s22, s24
	s_or_b32 exec_lo, exec_lo, s23
	s_and_saveexec_b32 s23, s22
	s_cbranch_execnz .LBB153_948
	s_branch .LBB153_949
.LBB153_968:
	s_mov_b32 s21, -1
.LBB153_969:
                                        ; implicit-def: $vgpr3
.LBB153_970:
	s_and_b32 vcc_lo, exec_lo, s22
	s_mov_b32 s22, 0
	s_cbranch_vccz .LBB153_972
; %bb.971:
	s_cmp_lg_u32 s20, 11
	s_mov_b32 s22, -1
	s_cselect_b32 s20, -1, 0
	s_andn2_b32 s21, s21, exec_lo
	s_and_b32 s20, s20, exec_lo
	s_or_b32 s21, s21, s20
.LBB153_972:
	s_mov_b32 s20, 0
.LBB153_973:
	s_andn2_b32 s25, s0, exec_lo
	s_and_b32 s21, s21, exec_lo
	s_and_b32 s23, s23, exec_lo
	;; [unrolled: 1-line block ×4, first 2 shown]
	s_or_b32 s21, s25, s21
.LBB153_974:
	s_or_b32 exec_lo, exec_lo, s7
	s_andn2_b32 s0, s0, exec_lo
	s_and_b32 s7, s21, exec_lo
	s_and_b32 s23, s23, exec_lo
	s_and_b32 s22, s24, exec_lo
	s_and_b32 s21, s20, exec_lo
	s_or_b32 s0, s0, s7
.LBB153_975:
	s_or_b32 exec_lo, exec_lo, s19
	s_andn2_b32 s7, s17, exec_lo
	s_and_b32 s1, s1, exec_lo
	s_and_b32 s0, s0, exec_lo
	s_or_b32 s17, s7, s1
	s_andn2_b32 s7, s16, exec_lo
	s_and_b32 s20, s23, exec_lo
	s_and_b32 s19, s22, exec_lo
	;; [unrolled: 1-line block ×3, first 2 shown]
	s_or_b32 s16, s7, s0
.LBB153_976:
	s_or_b32 exec_lo, exec_lo, s18
	s_andn2_b32 s0, s6, exec_lo
	s_and_b32 s6, s17, exec_lo
	s_andn2_b32 s7, s14, exec_lo
	s_and_b32 s14, s16, exec_lo
	s_or_b32 s6, s0, s6
	s_and_b32 s0, s20, exec_lo
	s_and_b32 s17, s19, exec_lo
	s_and_b32 s16, s1, exec_lo
	s_or_b32 s14, s7, s14
	s_or_b32 exec_lo, exec_lo, s15
	s_mov_b32 s7, 0
	s_and_saveexec_b32 s1, s14
	s_cbranch_execz .LBB153_300
.LBB153_977:
	s_mov_b32 s7, exec_lo
	s_andn2_b32 s16, s16, exec_lo
	s_trap 2
	s_or_b32 exec_lo, exec_lo, s1
	s_and_saveexec_b32 s1, s16
	s_xor_b32 s1, exec_lo, s1
	s_cbranch_execnz .LBB153_301
.LBB153_978:
	s_or_b32 exec_lo, exec_lo, s1
	s_and_saveexec_b32 s1, s17
	s_cbranch_execz .LBB153_1024
.LBB153_979:
	s_sext_i32_i16 s14, s3
	s_cmp_lt_i32 s14, 5
	s_cbranch_scc1 .LBB153_984
; %bb.980:
	s_cmp_lt_i32 s14, 8
	s_cbranch_scc1 .LBB153_985
; %bb.981:
	;; [unrolled: 3-line block ×3, first 2 shown]
	s_cmp_gt_i32 s14, 9
	s_cbranch_scc0 .LBB153_987
; %bb.983:
	global_load_dwordx2 v[3:4], v[0:1], off
	s_mov_b32 s14, 0
	s_waitcnt vmcnt(0)
	v_and_or_b32 v3, 0x1ff, v4, v3
	v_lshrrev_b32_e32 v5, 8, v4
	v_bfe_u32 v6, v4, 20, 11
	v_lshrrev_b32_e32 v4, 16, v4
	v_cmp_ne_u32_e32 vcc_lo, 0, v3
	v_sub_nc_u32_e32 v7, 0x3f1, v6
	v_add_nc_u32_e32 v6, 0xfffffc10, v6
	v_cndmask_b32_e64 v3, 0, 1, vcc_lo
	v_and_or_b32 v3, 0xffe, v5, v3
	v_med3_i32 v5, v7, 0, 13
	v_or_b32_e32 v7, 0x1000, v3
	v_lshrrev_b32_e32 v8, v5, v7
	v_lshlrev_b32_e32 v5, v5, v8
	v_cmp_ne_u32_e32 vcc_lo, v5, v7
	v_lshl_or_b32 v7, v6, 12, v3
	v_cndmask_b32_e64 v5, 0, 1, vcc_lo
	v_cmp_gt_i32_e32 vcc_lo, 1, v6
	v_or_b32_e32 v5, v8, v5
	v_cndmask_b32_e32 v5, v7, v5, vcc_lo
	v_and_b32_e32 v7, 7, v5
	v_lshrrev_b32_e32 v5, 2, v5
	v_cmp_lt_i32_e32 vcc_lo, 5, v7
	v_cndmask_b32_e64 v8, 0, 1, vcc_lo
	v_cmp_eq_u32_e32 vcc_lo, 3, v7
	v_cndmask_b32_e64 v7, 0, 1, vcc_lo
	v_cmp_ne_u32_e32 vcc_lo, 0, v3
	v_or_b32_e32 v7, v7, v8
	v_mov_b32_e32 v8, 0x7e00
	v_add_nc_u32_e32 v5, v5, v7
	v_cndmask_b32_e32 v3, 0x7c00, v8, vcc_lo
	v_cmp_gt_i32_e32 vcc_lo, 31, v6
	v_cndmask_b32_e32 v5, 0x7c00, v5, vcc_lo
	v_cmp_eq_u32_e32 vcc_lo, 0x40f, v6
	v_cndmask_b32_e32 v3, v5, v3, vcc_lo
	v_and_or_b32 v3, 0x8000, v4, v3
	s_branch .LBB153_988
.LBB153_984:
                                        ; implicit-def: $vgpr3
	s_branch .LBB153_1005
.LBB153_985:
                                        ; implicit-def: $vgpr3
	s_branch .LBB153_994
.LBB153_986:
	s_mov_b32 s14, -1
                                        ; implicit-def: $vgpr3
	s_branch .LBB153_991
.LBB153_987:
	s_mov_b32 s14, -1
                                        ; implicit-def: $vgpr3
.LBB153_988:
	s_andn2_b32 vcc_lo, exec_lo, s14
	s_cbranch_vccnz .LBB153_990
; %bb.989:
	global_load_dword v3, v[0:1], off
	s_waitcnt vmcnt(0)
	v_cvt_f16_f32_e32 v3, v3
.LBB153_990:
	s_mov_b32 s14, 0
.LBB153_991:
	s_andn2_b32 vcc_lo, exec_lo, s14
	s_cbranch_vccnz .LBB153_993
; %bb.992:
	global_load_dword v3, v[0:1], off
.LBB153_993:
	s_cbranch_execnz .LBB153_1004
.LBB153_994:
	s_sext_i32_i16 s14, s3
	s_cmp_lt_i32 s14, 6
	s_cbranch_scc1 .LBB153_997
; %bb.995:
	s_cmp_gt_i32 s14, 6
	s_cbranch_scc0 .LBB153_998
; %bb.996:
	global_load_dwordx2 v[3:4], v[0:1], off
	s_mov_b32 s14, 0
	s_waitcnt vmcnt(0)
	v_and_or_b32 v3, 0x1ff, v4, v3
	v_lshrrev_b32_e32 v5, 8, v4
	v_bfe_u32 v6, v4, 20, 11
	v_lshrrev_b32_e32 v4, 16, v4
	v_cmp_ne_u32_e32 vcc_lo, 0, v3
	v_sub_nc_u32_e32 v7, 0x3f1, v6
	v_add_nc_u32_e32 v6, 0xfffffc10, v6
	v_cndmask_b32_e64 v3, 0, 1, vcc_lo
	v_and_or_b32 v3, 0xffe, v5, v3
	v_med3_i32 v5, v7, 0, 13
	v_or_b32_e32 v7, 0x1000, v3
	v_lshrrev_b32_e32 v8, v5, v7
	v_lshlrev_b32_e32 v5, v5, v8
	v_cmp_ne_u32_e32 vcc_lo, v5, v7
	v_lshl_or_b32 v7, v6, 12, v3
	v_cndmask_b32_e64 v5, 0, 1, vcc_lo
	v_cmp_gt_i32_e32 vcc_lo, 1, v6
	v_or_b32_e32 v5, v8, v5
	v_cndmask_b32_e32 v5, v7, v5, vcc_lo
	v_and_b32_e32 v7, 7, v5
	v_lshrrev_b32_e32 v5, 2, v5
	v_cmp_lt_i32_e32 vcc_lo, 5, v7
	v_cndmask_b32_e64 v8, 0, 1, vcc_lo
	v_cmp_eq_u32_e32 vcc_lo, 3, v7
	v_cndmask_b32_e64 v7, 0, 1, vcc_lo
	v_cmp_ne_u32_e32 vcc_lo, 0, v3
	v_or_b32_e32 v7, v7, v8
	v_mov_b32_e32 v8, 0x7e00
	v_add_nc_u32_e32 v5, v5, v7
	v_cndmask_b32_e32 v3, 0x7c00, v8, vcc_lo
	v_cmp_gt_i32_e32 vcc_lo, 31, v6
	v_cndmask_b32_e32 v5, 0x7c00, v5, vcc_lo
	v_cmp_eq_u32_e32 vcc_lo, 0x40f, v6
	v_cndmask_b32_e32 v3, v5, v3, vcc_lo
	v_and_or_b32 v3, 0x8000, v4, v3
	s_branch .LBB153_999
.LBB153_997:
	s_mov_b32 s14, -1
                                        ; implicit-def: $vgpr3
	s_branch .LBB153_1002
.LBB153_998:
	s_mov_b32 s14, -1
                                        ; implicit-def: $vgpr3
.LBB153_999:
	s_andn2_b32 vcc_lo, exec_lo, s14
	s_cbranch_vccnz .LBB153_1001
; %bb.1000:
	global_load_dword v3, v[0:1], off
	s_waitcnt vmcnt(0)
	v_cvt_f16_f32_e32 v3, v3
.LBB153_1001:
	s_mov_b32 s14, 0
.LBB153_1002:
	s_andn2_b32 vcc_lo, exec_lo, s14
	s_cbranch_vccnz .LBB153_1004
; %bb.1003:
	global_load_ushort v3, v[0:1], off
.LBB153_1004:
	s_cbranch_execnz .LBB153_1023
.LBB153_1005:
	s_sext_i32_i16 s14, s3
	s_cmp_lt_i32 s14, 2
	s_cbranch_scc1 .LBB153_1009
; %bb.1006:
	s_cmp_lt_i32 s14, 3
	s_cbranch_scc1 .LBB153_1010
; %bb.1007:
	s_cmp_gt_i32 s14, 3
	s_cbranch_scc0 .LBB153_1011
; %bb.1008:
	global_load_dwordx2 v[3:4], v[0:1], off
	s_mov_b32 s14, 0
	s_waitcnt vmcnt(0)
	v_xor_b32_e32 v5, v3, v4
	v_ffbh_i32_e32 v6, v4
	v_ashrrev_i32_e32 v5, 31, v5
	v_add_nc_u32_e32 v6, -1, v6
	v_add_nc_u32_e32 v5, 32, v5
	v_min_u32_e32 v5, v6, v5
	v_lshlrev_b64 v[3:4], v5, v[3:4]
	v_min_u32_e32 v3, 1, v3
	v_or_b32_e32 v3, v4, v3
	v_sub_nc_u32_e32 v4, 32, v5
	v_cvt_f32_i32_e32 v3, v3
	v_ldexp_f32 v3, v3, v4
	v_cvt_f16_f32_e32 v3, v3
	s_branch .LBB153_1012
.LBB153_1009:
                                        ; implicit-def: $vgpr3
	s_branch .LBB153_1018
.LBB153_1010:
	s_mov_b32 s14, -1
                                        ; implicit-def: $vgpr3
	s_branch .LBB153_1015
.LBB153_1011:
	s_mov_b32 s14, -1
                                        ; implicit-def: $vgpr3
.LBB153_1012:
	s_andn2_b32 vcc_lo, exec_lo, s14
	s_cbranch_vccnz .LBB153_1014
; %bb.1013:
	global_load_dword v3, v[0:1], off
	s_waitcnt vmcnt(0)
	v_cvt_f32_i32_e32 v3, v3
	v_cvt_f16_f32_e32 v3, v3
.LBB153_1014:
	s_mov_b32 s14, 0
.LBB153_1015:
	s_andn2_b32 vcc_lo, exec_lo, s14
	s_cbranch_vccnz .LBB153_1017
; %bb.1016:
	global_load_ushort v3, v[0:1], off
	s_waitcnt vmcnt(0)
	v_cvt_f16_i16_e32 v3, v3
.LBB153_1017:
	s_cbranch_execnz .LBB153_1023
.LBB153_1018:
	s_sext_i32_i16 s14, s3
	s_cmp_gt_i32 s14, 0
	s_mov_b32 s14, 0
	s_cbranch_scc0 .LBB153_1020
; %bb.1019:
	global_load_sbyte v3, v[0:1], off
	s_waitcnt vmcnt(0)
	v_cvt_f16_i16_e32 v3, v3
	s_branch .LBB153_1021
.LBB153_1020:
	s_mov_b32 s14, -1
                                        ; implicit-def: $vgpr3
.LBB153_1021:
	s_andn2_b32 vcc_lo, exec_lo, s14
	s_cbranch_vccnz .LBB153_1023
; %bb.1022:
	global_load_ubyte v0, v[0:1], off
	s_waitcnt vmcnt(0)
	v_cvt_f16_u16_e32 v3, v0
.LBB153_1023:
	s_or_b32 s0, s0, exec_lo
.LBB153_1024:
	s_or_b32 exec_lo, exec_lo, s1
	s_mov_b32 s16, 0
	s_mov_b32 s15, 0
                                        ; implicit-def: $sgpr1
                                        ; implicit-def: $vgpr0_vgpr1
                                        ; implicit-def: $vgpr4
	s_and_saveexec_b32 s14, s0
	s_cbranch_execz .LBB153_1070
; %bb.1025:
	s_waitcnt vmcnt(0)
	v_cvt_f32_f16_e32 v0, v3
	s_mov_b32 s1, exec_lo
                                        ; implicit-def: $vgpr4
	v_and_b32_e32 v1, 0x7fffffff, v0
	v_cmpx_ngt_f32_e64 0x3c800000, |v0|
	s_xor_b32 s1, exec_lo, s1
	s_cbranch_execz .LBB153_1055
; %bb.1026:
	s_mov_b32 s15, exec_lo
                                        ; implicit-def: $vgpr4
	v_cmpx_nlt_f32_e64 |v0|, 2.0
	s_xor_b32 s15, exec_lo, s15
	s_cbranch_execz .LBB153_1036
; %bb.1027:
	v_cmp_ngt_f32_e64 s0, 0x41000000, |v0|
                                        ; implicit-def: $vgpr4
	s_and_saveexec_b32 s16, s0
	s_xor_b32 s0, exec_lo, s16
	s_cbranch_execz .LBB153_1033
; %bb.1028:
	v_cmp_ngt_f32_e64 s16, 0x5c800000, |v0|
                                        ; implicit-def: $vgpr4
	s_and_saveexec_b32 s17, s16
	s_xor_b32 s16, exec_lo, s17
	s_cbranch_execz .LBB153_1030
; %bb.1029:
	v_cmp_gt_f32_e64 s17, 0x800000, |v0|
	v_cndmask_b32_e64 v4, 0, 32, s17
	v_ldexp_f32 v4, |v0|, v4
	v_log_f32_e32 v4, v4
	v_mul_f32_e32 v5, 0x3f317217, v4
	v_cmp_gt_f32_e64 vcc_lo, 0x7f800000, |v4|
	v_fma_f32 v6, 0x3f317217, v4, -v5
	v_fmamk_f32 v6, v4, 0x3377d1cf, v6
	v_add_f32_e32 v5, v5, v6
	v_cndmask_b32_e32 v4, v4, v5, vcc_lo
	v_cndmask_b32_e64 v5, 0, 0x41b17218, s17
	v_sub_f32_e32 v4, v4, v5
	v_fma_f32 v4, |v0|, v4, -|v0|
.LBB153_1030:
	s_andn2_saveexec_b32 s16, s16
	s_cbranch_execz .LBB153_1032
; %bb.1031:
	v_cmp_gt_f32_e64 s17, 0x800000, |v0|
	v_rcp_f32_e64 v5, |v0|
	s_mov_b32 s18, 0xbad5c4e8
	v_cndmask_b32_e64 v4, 0, 32, s17
	v_ldexp_f32 v4, |v0|, v4
	v_mul_f32_e32 v6, v5, v5
	v_log_f32_e32 v4, v4
	v_fmaak_f32 v8, s18, v6, 0x3a5b3dd2
	v_fmaak_f32 v8, v6, v8, 0xba1c065c
	v_mul_f32_e32 v7, 0x3f317217, v4
	v_fmaak_f32 v8, v6, v8, 0x3a500cfd
	v_cmp_gt_f32_e64 vcc_lo, 0x7f800000, |v4|
	v_fma_f32 v9, 0x3f317217, v4, -v7
	v_fmaak_f32 v8, v6, v8, 0xbb360b61
	v_fmamk_f32 v9, v4, 0x3377d1cf, v9
	v_fmaak_f32 v6, v6, v8, 0x3daaaaab
	v_add_f32_e32 v7, v7, v9
	v_cndmask_b32_e32 v4, v4, v7, vcc_lo
	v_cndmask_b32_e64 v7, 0, 0x41b17218, s17
	v_sub_f32_e32 v7, v4, v7
	v_fmaak_f32 v4, v5, v6, 0x3ed67f1d
	v_add_f32_e64 v5, |v0|, -0.5
	v_add_f32_e32 v6, -1.0, v7
	v_fmac_f32_e32 v4, v5, v6
.LBB153_1032:
	s_or_b32 exec_lo, exec_lo, s16
.LBB153_1033:
	s_andn2_saveexec_b32 s16, s0
	s_cbranch_execz .LBB153_1035
; %bb.1034:
	v_cvt_i32_f32_e32 v4, v1
	s_mov_b32 s0, 0x36f5d7bd
	s_mov_b32 s17, 0x3805ff67
	v_cvt_f32_i32_e32 v5, v4
	v_cmp_lt_i32_e32 vcc_lo, 2, v4
	v_sub_f32_e64 v5, |v0|, v5
	v_add_f32_e32 v6, 2.0, v5
	v_add_f32_e32 v7, 0x40400000, v5
	v_add_f32_e32 v8, 4.0, v5
	v_add_f32_e32 v9, 0x40a00000, v5
	v_cndmask_b32_e32 v6, 1.0, v6, vcc_lo
	v_cmp_lt_i32_e32 vcc_lo, 3, v4
	v_cndmask_b32_e32 v7, 1.0, v7, vcc_lo
	v_cmp_lt_i32_e32 vcc_lo, 4, v4
	v_mul_f32_e32 v6, v6, v7
	v_cndmask_b32_e32 v8, 1.0, v8, vcc_lo
	v_cmp_lt_i32_e32 vcc_lo, 5, v4
	v_add_f32_e32 v7, 0x40c00000, v5
	v_mul_f32_e32 v6, v8, v6
	v_cndmask_b32_e32 v9, 1.0, v9, vcc_lo
	v_cmp_lt_i32_e32 vcc_lo, 6, v4
	v_fmaak_f32 v8, s17, v5, 0x3af135b4
	v_mul_f32_e32 v6, v9, v6
	v_cndmask_b32_e32 v4, 1.0, v7, vcc_lo
	v_mul_f32_e32 v4, v4, v6
	v_fmaak_f32 v6, s0, v5, 0x3a4beed6
	v_cmp_gt_f32_e32 vcc_lo, 0x800000, v4
	v_fmaak_f32 v6, v5, v6, 0x3c98bf54
	v_cndmask_b32_e64 v7, 0, 32, vcc_lo
	v_fmaak_f32 v6, v5, v6, 0x3e300f6e
	v_ldexp_f32 v4, v4, v7
	v_fmaak_f32 v7, v5, v8, 0x3cda40e4
	v_fmaak_f32 v6, v5, v6, 0x3f38d0c5
	v_log_f32_e32 v4, v4
	v_fmaak_f32 v7, v5, v7, 0x3e15dce6
	v_fmaak_f32 v6, v5, v6, 0x3fb22d3b
	;; [unrolled: 1-line block ×3, first 2 shown]
	v_fma_f32 v6, v5, v6, 1.0
	v_mul_f32_e32 v8, 0x3f317217, v4
	v_fmaak_f32 v7, v5, v7, 0x3e5c245a
	v_rcp_f32_e32 v6, v6
	v_cmp_gt_f32_e64 s0, 0x7f800000, |v4|
	v_fma_f32 v9, 0x3f317217, v4, -v8
	v_fmaak_f32 v7, v5, v7, 0xbd9e233f
	v_fmamk_f32 v9, v4, 0x3377d1cf, v9
	v_mul_f32_e32 v7, v5, v7
	v_add_f32_e32 v8, v8, v9
	v_mul_f32_e32 v6, v7, v6
	v_cndmask_b32_e64 v7, 0, 0x41b17218, vcc_lo
	v_cndmask_b32_e64 v4, v4, v8, s0
	v_fmac_f32_e32 v6, 0.5, v5
	v_sub_f32_e32 v4, v4, v7
	v_add_f32_e32 v4, v4, v6
.LBB153_1035:
	s_or_b32 exec_lo, exec_lo, s16
.LBB153_1036:
	s_andn2_saveexec_b32 s15, s15
	s_cbranch_execz .LBB153_1054
; %bb.1037:
	s_mov_b32 s16, exec_lo
                                        ; implicit-def: $vgpr4
                                        ; implicit-def: $vgpr6
                                        ; implicit-def: $vgpr5
	v_cmpx_ge_f32_e64 0x3f666666, |v0|
	s_xor_b32 s16, exec_lo, s16
	s_cbranch_execz .LBB153_1039
; %bb.1038:
	v_cmp_gt_f32_e64 s0, 0x800000, |v0|
	v_sub_f32_e64 v7, 1.0, |v0|
	v_cmp_gt_f32_e64 vcc_lo, 0x3f3b4a23, |v0|
	v_cndmask_b32_e64 v4, 0, 32, s0
	v_cndmask_b32_e64 v8, 0, 0x41b17218, s0
	v_ldexp_f32 v4, |v0|, v4
	v_log_f32_e32 v4, v4
	v_mul_f32_e32 v5, 0x3f317217, v4
	v_cmp_gt_f32_e64 s0, 0x7f800000, |v4|
	v_fma_f32 v6, 0x3f317217, v4, -v5
	v_fmamk_f32 v6, v4, 0x3377d1cf, v6
	v_add_f32_e32 v5, v5, v6
	v_add_f32_e64 v6, 0xbeec5b0c, |v0|
	v_cndmask_b32_e64 v4, v4, v5, s0
	v_cndmask_b32_e32 v5, v7, v6, vcc_lo
	v_cndmask_b32_e64 v6, 0, 1, vcc_lo
	v_cmp_gt_f32_e64 s0, 0x3e6d3309, |v0|
	v_sub_f32_e32 v4, v4, v8
	v_cndmask_b32_e64 v5, v5, |v0|, s0
	v_cndmask_b32_e64 v6, v6, 2, s0
	v_xor_b32_e32 v4, 0x80000000, v4
.LBB153_1039:
	s_andn2_saveexec_b32 s0, s16
	s_cbranch_execz .LBB153_1041
; %bb.1040:
	v_sub_f32_e64 v4, 2.0, |v0|
	v_add_f32_e64 v5, 0xbfbb16c3, |v0|
	v_cmp_gt_f32_e64 vcc_lo, 0x3fdda512, |v0|
	v_add_f32_e64 v6, |v0|, -1.0
	v_cndmask_b32_e32 v5, v4, v5, vcc_lo
	v_cndmask_b32_e64 v4, v4, 1.0, vcc_lo
	v_cmp_gt_f32_e64 vcc_lo, 0x3f9d70a4, |v0|
	v_cvt_i32_f32_e32 v4, v4
	v_cndmask_b32_e32 v5, v5, v6, vcc_lo
	v_cndmask_b32_e64 v6, v4, 2, vcc_lo
	v_mov_b32_e32 v4, 0
.LBB153_1041:
	s_or_b32 exec_lo, exec_lo, s0
	s_mov_b32 s0, exec_lo
	v_cmpx_lt_i32_e32 0, v6
	s_xor_b32 s0, exec_lo, s0
	s_cbranch_execz .LBB153_1049
; %bb.1042:
	s_mov_b32 s16, exec_lo
	v_cmpx_lt_i32_e32 1, v6
	s_xor_b32 s16, exec_lo, s16
	s_cbranch_execz .LBB153_1046
; %bb.1043:
	s_mov_b32 s17, exec_lo
	v_cmpx_eq_u32_e32 2, v6
	s_cbranch_execz .LBB153_1045
; %bb.1044:
	s_mov_b32 s18, 0x3b52d5db
	v_fmaak_f32 v6, s18, v5, 0x3dd572af
	s_mov_b32 s18, 0x3c5b3c5e
	v_fmaak_f32 v7, s18, v5, 0x3e6a7578
	v_fmaak_f32 v6, v5, v6, 0x3f44efdf
	;; [unrolled: 1-line block ×7, first 2 shown]
	v_fma_f32 v6, v5, v6, 1.0
	v_fmaak_f32 v7, v5, v7, 0xbd9e233f
	v_rcp_f32_e32 v6, v6
	v_mul_f32_e32 v7, v5, v7
	v_mul_f32_e32 v6, v7, v6
	v_fmac_f32_e32 v6, -0.5, v5
	v_add_f32_e32 v4, v4, v6
.LBB153_1045:
	s_or_b32 exec_lo, exec_lo, s17
                                        ; implicit-def: $vgpr5
.LBB153_1046:
	s_andn2_saveexec_b32 s16, s16
	s_cbranch_execz .LBB153_1048
; %bb.1047:
	v_mul_f32_e32 v6, v5, v5
	s_mov_b32 s17, 0xb9a3f927
	s_mov_b32 s18, 0x39afe9f7
	v_mul_f32_e32 v7, v5, v6
	v_fmaak_f32 v8, s17, v7, 0x3a66f867
	v_fmaak_f32 v9, s18, v7, 0xba0d3085
	s_mov_b32 s17, 0x39a57b6b
	v_fmaak_f32 v10, s17, v7, 0xbab7f476
	v_fmaak_f32 v8, v7, v8, 0xbb7177fe
	;; [unrolled: 1-line block ×9, first 2 shown]
	v_fmac_f32_e32 v8, v5, v9
	v_fmaak_f32 v5, v7, v10, 0x3ef7b95e
	v_fma_f32 v7, v7, -v8, 0xa2863e55
	v_fma_f32 v5, v6, v5, -v7
	v_add_f32_e32 v5, 0xbdf8cdce, v5
	v_add_f32_e32 v4, v4, v5
.LBB153_1048:
	s_or_b32 exec_lo, exec_lo, s16
                                        ; implicit-def: $vgpr6
                                        ; implicit-def: $vgpr5
.LBB153_1049:
	s_andn2_saveexec_b32 s0, s0
	s_cbranch_execz .LBB153_1053
; %bb.1050:
	s_mov_b32 s16, exec_lo
	v_cmpx_eq_u32_e32 0, v6
	s_cbranch_execz .LBB153_1052
; %bb.1051:
	v_mul_f32_e32 v6, v5, v5
	s_mov_b32 s17, 0x383c2c75
	v_fmaak_f32 v7, s17, v6, 0x38e28445
	s_mov_b32 s17, 0x37d383a2
	v_fmaak_f32 v8, s17, v6, 0x39679767
	v_fmaak_f32 v7, v6, v7, 0x3a05b634
	;; [unrolled: 1-line block ×9, first 2 shown]
	v_mul_f32_e32 v6, v6, v7
	v_fmac_f32_e32 v6, v5, v8
	v_fmac_f32_e32 v6, -0.5, v5
	v_add_f32_e32 v4, v4, v6
.LBB153_1052:
	s_or_b32 exec_lo, exec_lo, s16
.LBB153_1053:
	s_or_b32 exec_lo, exec_lo, s0
.LBB153_1054:
	s_or_b32 exec_lo, exec_lo, s15
.LBB153_1055:
	s_andn2_saveexec_b32 s0, s1
	s_cbranch_execz .LBB153_1057
; %bb.1056:
	v_cmp_gt_f32_e64 s1, 0x800000, |v0|
	s_mov_b32 s15, 0x3e8a8991
	v_fma_f32 v7, |v0|, s15, 0xbecd26ab
	v_cndmask_b32_e64 v4, 0, 32, s1
	v_ldexp_f32 v4, |v0|, v4
	v_log_f32_e32 v4, v4
	v_mul_f32_e32 v5, 0x3f317217, v4
	v_cmp_gt_f32_e64 vcc_lo, 0x7f800000, |v4|
	v_fma_f32 v6, 0x3f317217, v4, -v5
	v_fmamk_f32 v6, v4, 0x3377d1cf, v6
	v_add_f32_e32 v5, v5, v6
	v_fma_f32 v6, |v0|, v7, 0x3f528d33
	v_cndmask_b32_e32 v4, v4, v5, vcc_lo
	v_cndmask_b32_e64 v5, 0, 0x41b17218, s1
	v_fma_f32 v6, |v0|, v6, 0xbf13c468
	v_sub_f32_e32 v4, v4, v5
	v_fma_f32 v4, |v0|, v6, -v4
.LBB153_1057:
	s_or_b32 exec_lo, exec_lo, s0
	v_cmp_le_f16_e32 vcc_lo, 0, v3
	s_mov_b32 s1, exec_lo
	v_cmpx_nle_f16_e32 0, v3
	s_xor_b32 s15, exec_lo, s1
	s_cbranch_execz .LBB153_1061
; %bb.1058:
	v_cmp_gt_f32_e64 s0, 0x4b000000, |v0|
	v_cmp_lt_f32_e64 s1, 0x35000000, |v0|
	s_and_b32 s0, s0, s1
	s_and_saveexec_b32 s16, s0
	s_cbranch_execz .LBB153_1060
; %bb.1059:
	v_mul_f32_e64 v5, |v0|, 0.5
	s_mov_b32 s1, 0x3d4be544
	v_xor_b32_e32 v1, v1, v0
	v_floor_f32_e32 v6, v5
	v_cmp_neq_f32_e64 s0, 0x7f800000, v5
	v_sub_f32_e32 v6, v5, v6
	v_min_f32_e32 v6, 0x3f7fffff, v6
	v_add_f32_e32 v6, v6, v6
	v_cndmask_b32_e64 v5, 0, v6, s0
	v_cmp_gt_f32_e64 s0, |v0|, 1.0
	v_cndmask_b32_e64 v5, |v0|, v5, s0
	s_mov_b32 s0, 0x3e75aa41
	v_add_f32_e32 v6, v5, v5
	v_rndne_f32_e32 v6, v6
	v_fmac_f32_e32 v5, -0.5, v6
	v_cvt_i32_f32_e32 v6, v6
	v_mul_f32_e32 v7, v5, v5
	v_fmaak_f32 v8, s0, v7, 0xbf1f24be
	v_fmaak_f32 v9, s1, v7, 0x3e642e9d
	v_mul_f32_e32 v10, v5, v7
	v_fmaak_f32 v8, v7, v8, 0x40234736
	v_fmaak_f32 v9, v7, v9, 0xbfaad1da
	;; [unrolled: 1-line block ×4, first 2 shown]
	v_mul_f32_e32 v8, v10, v8
	v_fmaak_f32 v9, v7, v9, 0xc09de9e6
	v_and_b32_e32 v10, 1, v6
	v_lshlrev_b32_e32 v6, 30, v6
	v_fmamk_f32 v5, v5, 0x40490fdb, v8
	v_fma_f32 v7, v7, v9, 1.0
	v_cmp_eq_u32_e64 s0, 0, v10
	v_and_b32_e32 v6, 0x80000000, v6
	v_cndmask_b32_e64 v5, v7, v5, s0
	v_xor3_b32 v1, v1, v6, v5
	v_mul_f32_e32 v1, v0, v1
	v_frexp_mant_f32_e64 v5, |v1|
	v_frexp_exp_i32_f32_e32 v1, v1
	v_rcp_f32_e32 v5, v5
	v_sub_nc_u32_e32 v1, 2, v1
	v_mul_f32_e32 v5, 0x3f490fdb, v5
	v_ldexp_f32 v1, v5, v1
	v_cmp_gt_f32_e64 s0, 0x800000, v1
	v_cndmask_b32_e64 v5, 0, 32, s0
	v_ldexp_f32 v1, v1, v5
	v_log_f32_e32 v1, v1
	v_mul_f32_e32 v5, 0x3f317217, v1
	v_cmp_gt_f32_e64 s1, 0x7f800000, |v1|
	v_fma_f32 v6, 0x3f317217, v1, -v5
	v_fmamk_f32 v6, v1, 0x3377d1cf, v6
	v_add_f32_e32 v5, v5, v6
	v_floor_f32_e32 v6, v0
	v_cndmask_b32_e64 v1, v1, v5, s1
	v_cndmask_b32_e64 v5, 0, 0x41b17218, s0
	v_sub_f32_e32 v6, v0, v6
	v_sub_f32_e32 v1, v1, v5
	v_min_f32_e32 v5, 0x3f7fffff, v6
	v_sub_f32_e32 v1, v1, v4
	v_cmp_neq_f32_e64 s0, 0, v5
	v_cndmask_b32_e64 v4, 0x7f800000, v1, s0
.LBB153_1060:
	s_or_b32 exec_lo, exec_lo, s16
.LBB153_1061:
	s_andn2_saveexec_b32 s15, s15
; %bb.1062:
	v_cmp_eq_f16_e64 s0, 1.0, v3
	v_cmp_eq_f16_e64 s1, 2.0, v3
	s_or_b32 s0, s0, s1
	v_cndmask_b32_e64 v4, v4, 0, s0
; %bb.1063:
	s_or_b32 exec_lo, exec_lo, s15
	v_mul_lo_u32 v2, v2, s12
	v_cmp_gt_f32_e64 s0, 0x4b000000, |v0|
	v_cvt_f16_f32_e32 v1, v4
	s_and_b32 s1, s5, 0xff
	s_or_b32 vcc_lo, vcc_lo, s0
	v_cmp_class_f32_e64 s0, v0, 0x264
	v_cndmask_b32_e32 v1, 0x7c00, v1, vcc_lo
	v_ashrrev_i32_e32 v4, 31, v2
	v_add_co_u32 v0, vcc_lo, s8, v2
	s_cmp_lt_i32 s1, 11
	v_cndmask_b32_e64 v5, v1, 0x7c00, s0
	v_add_co_ci_u32_e64 v1, null, s9, v4, vcc_lo
	v_cmp_u_f16_e32 vcc_lo, v3, v3
	v_cndmask_b32_e32 v4, v5, v3, vcc_lo
	s_cbranch_scc1 .LBB153_1073
; %bb.1064:
	s_and_b32 s15, 0xffff, s1
	s_mov_b32 s16, -1
	s_cmp_gt_i32 s15, 25
	s_mov_b32 s0, s6
	s_cbranch_scc0 .LBB153_1101
; %bb.1065:
	s_cmp_gt_i32 s15, 28
	s_mov_b32 s0, s6
	s_cbranch_scc0 .LBB153_1085
; %bb.1066:
	;; [unrolled: 4-line block ×4, first 2 shown]
	s_cmp_eq_u32 s15, 46
	s_mov_b32 s0, -1
	s_cbranch_scc0 .LBB153_1074
; %bb.1069:
	v_cvt_f32_f16_e32 v2, v4
	v_cmp_o_f16_e32 vcc_lo, v4, v4
	s_mov_b32 s0, 0
	s_mov_b32 s16, 0
	v_bfe_u32 v3, v2, 16, 1
	v_add3_u32 v2, v2, v3, 0x7fff
	v_mov_b32_e32 v3, 0x7fc0
	v_cndmask_b32_sdwa v2, v3, v2, vcc_lo dst_sel:DWORD dst_unused:UNUSED_PAD src0_sel:DWORD src1_sel:WORD_1
	global_store_dword v[0:1], v2, off
	s_branch .LBB153_1075
.LBB153_1070:
	s_or_b32 exec_lo, exec_lo, s14
	s_and_saveexec_b32 s0, s6
	s_cbranch_execnz .LBB153_1143
.LBB153_1071:
	s_or_b32 exec_lo, exec_lo, s0
	s_and_saveexec_b32 s0, s16
	s_xor_b32 s0, exec_lo, s0
	s_cbranch_execz .LBB153_1144
.LBB153_1072:
	v_cmp_neq_f16_e32 vcc_lo, 0, v4
	v_cndmask_b32_e64 v2, 0, 1, vcc_lo
	global_store_byte v[0:1], v2, off
	s_or_b32 exec_lo, exec_lo, s0
	s_and_saveexec_b32 s0, s15
	s_xor_b32 s0, exec_lo, s0
	s_cbranch_execz .LBB153_1182
	s_branch .LBB153_1145
.LBB153_1073:
	s_mov_b32 s17, 0
	s_mov_b32 s16, -1
	s_mov_b32 s0, s6
	s_branch .LBB153_1142
.LBB153_1074:
	s_mov_b32 s16, 0
.LBB153_1075:
	s_and_b32 vcc_lo, exec_lo, s16
	s_cbranch_vccz .LBB153_1080
; %bb.1076:
	s_cmp_eq_u32 s15, 44
	s_mov_b32 s0, -1
	s_cbranch_scc0 .LBB153_1080
; %bb.1077:
	v_cvt_f32_f16_e32 v2, v4
	v_mov_b32_e32 v3, 0xff
	s_mov_b32 s16, exec_lo
	v_bfe_u32 v5, v2, 23, 8
	v_cmpx_ne_u32_e32 0xff, v5
	s_cbranch_execz .LBB153_1079
; %bb.1078:
	v_and_b32_e32 v3, 0x400000, v2
	v_and_or_b32 v5, 0x3fffff, v2, v5
	v_lshrrev_b32_e32 v2, 23, v2
	v_cmp_ne_u32_e32 vcc_lo, 0, v3
	v_cmp_ne_u32_e64 s0, 0, v5
	s_and_b32 s0, vcc_lo, s0
	v_cndmask_b32_e64 v3, 0, 1, s0
	v_add_nc_u32_e32 v3, v2, v3
.LBB153_1079:
	s_or_b32 exec_lo, exec_lo, s16
	s_mov_b32 s0, 0
	global_store_byte v[0:1], v3, off
.LBB153_1080:
	s_mov_b32 s16, 0
.LBB153_1081:
	s_and_b32 vcc_lo, exec_lo, s16
	s_cbranch_vccz .LBB153_1084
; %bb.1082:
	s_cmp_eq_u32 s15, 29
	s_mov_b32 s0, -1
	s_cbranch_scc0 .LBB153_1084
; %bb.1083:
	v_cvt_f32_f16_e32 v2, v4
	v_mov_b32_e32 v3, 0
	s_mov_b32 s0, 0
	s_mov_b32 s16, 0
	v_cvt_u32_f32_e32 v2, v2
	global_store_dwordx2 v[0:1], v[2:3], off
	s_branch .LBB153_1085
.LBB153_1084:
	s_mov_b32 s16, 0
.LBB153_1085:
	s_and_b32 vcc_lo, exec_lo, s16
	s_cbranch_vccz .LBB153_1100
; %bb.1086:
	s_cmp_lt_i32 s15, 27
	s_mov_b32 s16, -1
	s_cbranch_scc1 .LBB153_1092
; %bb.1087:
	s_cmp_gt_i32 s15, 27
	s_cbranch_scc0 .LBB153_1089
; %bb.1088:
	v_cvt_f32_f16_e32 v2, v4
	s_mov_b32 s16, 0
	v_cvt_u32_f32_e32 v2, v2
	global_store_dword v[0:1], v2, off
.LBB153_1089:
	s_andn2_b32 vcc_lo, exec_lo, s16
	s_cbranch_vccnz .LBB153_1091
; %bb.1090:
	v_cvt_u16_f16_e32 v2, v4
	global_store_short v[0:1], v2, off
.LBB153_1091:
	s_mov_b32 s16, 0
.LBB153_1092:
	s_andn2_b32 vcc_lo, exec_lo, s16
	s_cbranch_vccnz .LBB153_1100
; %bb.1093:
	v_cvt_f32_f16_e32 v2, v4
	v_mov_b32_e32 v5, 0x80
	s_mov_b32 s16, exec_lo
	v_and_b32_e32 v3, 0x7fffffff, v2
	v_cmpx_gt_u32_e32 0x43800000, v3
	s_cbranch_execz .LBB153_1099
; %bb.1094:
	v_cmp_lt_u32_e32 vcc_lo, 0x3bffffff, v3
	s_mov_b32 s17, 0
                                        ; implicit-def: $vgpr3
	s_and_saveexec_b32 s18, vcc_lo
	s_xor_b32 s18, exec_lo, s18
	s_cbranch_execz .LBB153_1197
; %bb.1095:
	v_bfe_u32 v3, v2, 20, 1
	s_mov_b32 s17, exec_lo
	v_add3_u32 v3, v2, v3, 0x487ffff
	v_lshrrev_b32_e32 v3, 20, v3
	s_andn2_saveexec_b32 s18, s18
	s_cbranch_execnz .LBB153_1198
.LBB153_1096:
	s_or_b32 exec_lo, exec_lo, s18
	v_mov_b32_e32 v5, 0
	s_and_saveexec_b32 s18, s17
.LBB153_1097:
	v_lshrrev_b32_e32 v2, 24, v2
	v_and_or_b32 v5, 0x80, v2, v3
.LBB153_1098:
	s_or_b32 exec_lo, exec_lo, s18
.LBB153_1099:
	s_or_b32 exec_lo, exec_lo, s16
	global_store_byte v[0:1], v5, off
.LBB153_1100:
	s_mov_b32 s16, 0
.LBB153_1101:
	s_and_b32 vcc_lo, exec_lo, s16
	s_mov_b32 s16, 0
	s_cbranch_vccz .LBB153_1141
; %bb.1102:
	s_cmp_gt_i32 s15, 22
	s_mov_b32 s17, -1
	s_cbranch_scc0 .LBB153_1134
; %bb.1103:
	s_cmp_lt_i32 s15, 24
	s_cbranch_scc1 .LBB153_1123
; %bb.1104:
	s_cmp_gt_i32 s15, 24
	s_cbranch_scc0 .LBB153_1112
; %bb.1105:
	v_cvt_f32_f16_e32 v2, v4
	v_mov_b32_e32 v5, 0x80
	s_mov_b32 s17, exec_lo
	v_and_b32_e32 v3, 0x7fffffff, v2
	v_cmpx_gt_u32_e32 0x47800000, v3
	s_cbranch_execz .LBB153_1111
; %bb.1106:
	v_cmp_lt_u32_e32 vcc_lo, 0x37ffffff, v3
	s_mov_b32 s18, 0
                                        ; implicit-def: $vgpr3
	s_and_saveexec_b32 s19, vcc_lo
	s_xor_b32 s19, exec_lo, s19
	s_cbranch_execz .LBB153_1361
; %bb.1107:
	v_bfe_u32 v3, v2, 21, 1
	s_mov_b32 s18, exec_lo
	v_add3_u32 v3, v2, v3, 0x88fffff
	v_lshrrev_b32_e32 v3, 21, v3
	s_andn2_saveexec_b32 s19, s19
	s_cbranch_execnz .LBB153_1362
.LBB153_1108:
	s_or_b32 exec_lo, exec_lo, s19
	v_mov_b32_e32 v5, 0
	s_and_saveexec_b32 s19, s18
.LBB153_1109:
	v_lshrrev_b32_e32 v2, 24, v2
	v_and_or_b32 v5, 0x80, v2, v3
.LBB153_1110:
	s_or_b32 exec_lo, exec_lo, s19
.LBB153_1111:
	s_or_b32 exec_lo, exec_lo, s17
	s_mov_b32 s17, 0
	global_store_byte v[0:1], v5, off
.LBB153_1112:
	s_and_b32 vcc_lo, exec_lo, s17
	s_cbranch_vccz .LBB153_1122
; %bb.1113:
	v_cvt_f32_f16_e32 v2, v4
	s_mov_b32 s17, exec_lo
                                        ; implicit-def: $vgpr3
	v_and_b32_e32 v5, 0x7fffffff, v2
	v_cmpx_gt_u32_e32 0x43f00000, v5
	s_xor_b32 s17, exec_lo, s17
	s_cbranch_execz .LBB153_1119
; %bb.1114:
	s_mov_b32 s18, exec_lo
                                        ; implicit-def: $vgpr3
	v_cmpx_lt_u32_e32 0x3c7fffff, v5
	s_xor_b32 s18, exec_lo, s18
; %bb.1115:
	v_bfe_u32 v3, v2, 20, 1
	v_add3_u32 v3, v2, v3, 0x407ffff
	v_and_b32_e32 v5, 0xff00000, v3
	v_lshrrev_b32_e32 v3, 20, v3
	v_cmp_ne_u32_e32 vcc_lo, 0x7f00000, v5
	v_cndmask_b32_e32 v3, 0x7e, v3, vcc_lo
; %bb.1116:
	s_andn2_saveexec_b32 s18, s18
; %bb.1117:
	v_add_f32_e64 v3, 0x46800000, |v2|
; %bb.1118:
	s_or_b32 exec_lo, exec_lo, s18
                                        ; implicit-def: $vgpr5
.LBB153_1119:
	s_andn2_saveexec_b32 s17, s17
; %bb.1120:
	v_mov_b32_e32 v3, 0x7f
	v_cmp_lt_u32_e32 vcc_lo, 0x7f800000, v5
	v_cndmask_b32_e32 v3, 0x7e, v3, vcc_lo
; %bb.1121:
	s_or_b32 exec_lo, exec_lo, s17
	v_lshrrev_b32_e32 v2, 24, v2
	v_and_or_b32 v2, 0x80, v2, v3
	global_store_byte v[0:1], v2, off
.LBB153_1122:
	s_mov_b32 s17, 0
.LBB153_1123:
	s_andn2_b32 vcc_lo, exec_lo, s17
	s_cbranch_vccnz .LBB153_1133
; %bb.1124:
	v_cvt_f32_f16_e32 v2, v4
	s_mov_b32 s17, exec_lo
                                        ; implicit-def: $vgpr3
	v_and_b32_e32 v5, 0x7fffffff, v2
	v_cmpx_gt_u32_e32 0x47800000, v5
	s_xor_b32 s17, exec_lo, s17
	s_cbranch_execz .LBB153_1130
; %bb.1125:
	s_mov_b32 s18, exec_lo
                                        ; implicit-def: $vgpr3
	v_cmpx_lt_u32_e32 0x387fffff, v5
	s_xor_b32 s18, exec_lo, s18
; %bb.1126:
	v_bfe_u32 v3, v2, 21, 1
	v_add3_u32 v3, v2, v3, 0x80fffff
	v_lshrrev_b32_e32 v3, 21, v3
; %bb.1127:
	s_andn2_saveexec_b32 s18, s18
; %bb.1128:
	v_add_f32_e64 v3, 0x43000000, |v2|
; %bb.1129:
	s_or_b32 exec_lo, exec_lo, s18
                                        ; implicit-def: $vgpr5
.LBB153_1130:
	s_andn2_saveexec_b32 s17, s17
; %bb.1131:
	v_mov_b32_e32 v3, 0x7f
	v_cmp_lt_u32_e32 vcc_lo, 0x7f800000, v5
	v_cndmask_b32_e32 v3, 0x7c, v3, vcc_lo
; %bb.1132:
	s_or_b32 exec_lo, exec_lo, s17
	v_lshrrev_b32_e32 v2, 24, v2
	v_and_or_b32 v2, 0x80, v2, v3
	global_store_byte v[0:1], v2, off
.LBB153_1133:
	s_mov_b32 s17, 0
.LBB153_1134:
	s_andn2_b32 vcc_lo, exec_lo, s17
	s_mov_b32 s17, 0
	s_cbranch_vccnz .LBB153_1142
; %bb.1135:
	s_cmp_gt_i32 s15, 14
	s_mov_b32 s17, -1
	s_cbranch_scc0 .LBB153_1139
; %bb.1136:
	s_cmp_eq_u32 s15, 15
	s_mov_b32 s0, -1
	s_cbranch_scc0 .LBB153_1138
; %bb.1137:
	v_cvt_f32_f16_e32 v2, v4
	v_cmp_o_f16_e32 vcc_lo, v4, v4
	s_mov_b32 s0, 0
	v_bfe_u32 v3, v2, 16, 1
	v_add3_u32 v2, v2, v3, 0x7fff
	v_mov_b32_e32 v3, 0x7fc0
	v_cndmask_b32_sdwa v2, v3, v2, vcc_lo dst_sel:DWORD dst_unused:UNUSED_PAD src0_sel:DWORD src1_sel:WORD_1
	global_store_short v[0:1], v2, off
.LBB153_1138:
	s_mov_b32 s17, 0
.LBB153_1139:
	s_and_b32 vcc_lo, exec_lo, s17
	s_mov_b32 s17, 0
	s_cbranch_vccz .LBB153_1142
; %bb.1140:
	s_cmp_lg_u32 s15, 11
	s_mov_b32 s17, -1
	s_cselect_b32 s15, -1, 0
	s_andn2_b32 s0, s0, exec_lo
	s_and_b32 s15, s15, exec_lo
	s_or_b32 s0, s0, s15
	s_branch .LBB153_1142
.LBB153_1141:
	s_mov_b32 s17, 0
.LBB153_1142:
	s_andn2_b32 s6, s6, exec_lo
	s_and_b32 s0, s0, exec_lo
	s_and_b32 s15, s16, exec_lo
	;; [unrolled: 1-line block ×3, first 2 shown]
	s_or_b32 s6, s6, s0
	s_or_b32 exec_lo, exec_lo, s14
	s_and_saveexec_b32 s0, s6
	s_cbranch_execz .LBB153_1071
.LBB153_1143:
	s_or_b32 s7, s7, exec_lo
	s_andn2_b32 s16, s16, exec_lo
	s_trap 2
	s_or_b32 exec_lo, exec_lo, s0
	s_and_saveexec_b32 s0, s16
	s_xor_b32 s0, exec_lo, s0
	s_cbranch_execnz .LBB153_1072
.LBB153_1144:
	s_or_b32 exec_lo, exec_lo, s0
	s_and_saveexec_b32 s0, s15
	s_xor_b32 s0, exec_lo, s0
	s_cbranch_execz .LBB153_1182
.LBB153_1145:
	s_sext_i32_i16 s14, s1
	s_mov_b32 s6, -1
	s_cmp_lt_i32 s14, 5
	s_cbranch_scc1 .LBB153_1166
; %bb.1146:
	s_cmp_lt_i32 s14, 8
	s_cbranch_scc1 .LBB153_1156
; %bb.1147:
	;; [unrolled: 3-line block ×3, first 2 shown]
	s_cmp_gt_i32 s14, 9
	s_cbranch_scc0 .LBB153_1150
; %bb.1149:
	v_cvt_f32_f16_e32 v2, v4
	v_mov_b32_e32 v7, 0
	s_mov_b32 s6, 0
	v_cvt_f64_f32_e32 v[5:6], v2
	v_mov_b32_e32 v8, v7
	global_store_dwordx4 v[0:1], v[5:8], off
.LBB153_1150:
	s_andn2_b32 vcc_lo, exec_lo, s6
	s_cbranch_vccnz .LBB153_1152
; %bb.1151:
	v_cvt_f32_f16_e32 v2, v4
	s_waitcnt vmcnt(0)
	v_mov_b32_e32 v3, 0
	global_store_dwordx2 v[0:1], v[2:3], off
.LBB153_1152:
	s_mov_b32 s6, 0
.LBB153_1153:
	s_andn2_b32 vcc_lo, exec_lo, s6
	s_cbranch_vccnz .LBB153_1155
; %bb.1154:
	v_and_b32_e32 v2, 0xffff, v4
	global_store_dword v[0:1], v2, off
.LBB153_1155:
	s_mov_b32 s6, 0
.LBB153_1156:
	s_andn2_b32 vcc_lo, exec_lo, s6
	s_cbranch_vccnz .LBB153_1165
; %bb.1157:
	s_sext_i32_i16 s14, s1
	s_mov_b32 s6, -1
	s_cmp_lt_i32 s14, 6
	s_cbranch_scc1 .LBB153_1163
; %bb.1158:
	s_cmp_gt_i32 s14, 6
	s_cbranch_scc0 .LBB153_1160
; %bb.1159:
	v_cvt_f32_f16_e32 v2, v4
	s_mov_b32 s6, 0
	s_waitcnt vmcnt(0)
	v_cvt_f64_f32_e32 v[2:3], v2
	global_store_dwordx2 v[0:1], v[2:3], off
.LBB153_1160:
	s_andn2_b32 vcc_lo, exec_lo, s6
	s_cbranch_vccnz .LBB153_1162
; %bb.1161:
	v_cvt_f32_f16_e32 v2, v4
	global_store_dword v[0:1], v2, off
.LBB153_1162:
	s_mov_b32 s6, 0
.LBB153_1163:
	s_andn2_b32 vcc_lo, exec_lo, s6
	s_cbranch_vccnz .LBB153_1165
; %bb.1164:
	global_store_short v[0:1], v4, off
.LBB153_1165:
	s_mov_b32 s6, 0
.LBB153_1166:
	s_andn2_b32 vcc_lo, exec_lo, s6
	s_cbranch_vccnz .LBB153_1182
; %bb.1167:
	s_sext_i32_i16 s14, s1
	s_mov_b32 s6, -1
	s_cmp_lt_i32 s14, 2
	s_cbranch_scc1 .LBB153_1177
; %bb.1168:
	s_cmp_lt_i32 s14, 3
	s_cbranch_scc1 .LBB153_1174
; %bb.1169:
	s_cmp_gt_i32 s14, 3
	s_cbranch_scc0 .LBB153_1171
; %bb.1170:
	v_cvt_f32_f16_e32 v2, v4
	s_mov_b32 s6, 0
	v_cvt_i32_f32_e32 v2, v2
	s_waitcnt vmcnt(0)
	v_ashrrev_i32_e32 v3, 31, v2
	global_store_dwordx2 v[0:1], v[2:3], off
.LBB153_1171:
	s_andn2_b32 vcc_lo, exec_lo, s6
	s_cbranch_vccnz .LBB153_1173
; %bb.1172:
	v_cvt_f32_f16_e32 v2, v4
	v_cvt_i32_f32_e32 v2, v2
	global_store_dword v[0:1], v2, off
.LBB153_1173:
	s_mov_b32 s6, 0
.LBB153_1174:
	s_andn2_b32 vcc_lo, exec_lo, s6
	s_cbranch_vccnz .LBB153_1176
; %bb.1175:
	v_cvt_i16_f16_e32 v2, v4
	global_store_short v[0:1], v2, off
.LBB153_1176:
	s_mov_b32 s6, 0
.LBB153_1177:
	s_andn2_b32 vcc_lo, exec_lo, s6
	s_cbranch_vccnz .LBB153_1182
; %bb.1178:
	s_sext_i32_i16 s1, s1
	s_cmp_gt_i32 s1, 0
	s_mov_b32 s1, -1
	s_cbranch_scc0 .LBB153_1180
; %bb.1179:
	v_cvt_i16_f16_e32 v2, v4
	s_mov_b32 s1, 0
	global_store_byte v[0:1], v2, off
.LBB153_1180:
	s_andn2_b32 vcc_lo, exec_lo, s1
	s_cbranch_vccnz .LBB153_1182
; %bb.1181:
	v_cvt_f32_f16_e32 v2, v4
	v_cvt_i32_f32_e32 v2, v2
	global_store_byte v[0:1], v2, off
.LBB153_1182:
	s_or_b32 exec_lo, exec_lo, s0
	s_and_b32 s6, s7, exec_lo
                                        ; implicit-def: $vgpr2
.LBB153_1183:
	s_or_saveexec_b32 s7, s4
	s_mov_b32 s0, 0
                                        ; implicit-def: $sgpr4
                                        ; implicit-def: $vgpr0_vgpr1
                                        ; implicit-def: $vgpr3
	s_xor_b32 exec_lo, exec_lo, s7
	s_cbranch_execz .LBB153_2287
; %bb.1184:
	v_mul_lo_u32 v5, s13, v2
	s_and_b32 s4, 0xffff, s3
	s_cmp_lt_i32 s4, 11
	v_ashrrev_i32_e32 v1, 31, v5
	v_add_co_u32 v0, vcc_lo, s10, v5
	v_add_co_ci_u32_e64 v1, null, s11, v1, vcc_lo
	s_cbranch_scc1 .LBB153_1191
; %bb.1185:
	s_cmp_gt_i32 s4, 25
	s_mov_b32 s1, 0
	s_cbranch_scc0 .LBB153_1193
; %bb.1186:
	s_cmp_gt_i32 s4, 28
	s_cbranch_scc0 .LBB153_1194
; %bb.1187:
	s_cmp_gt_i32 s4, 43
	;; [unrolled: 3-line block ×3, first 2 shown]
	s_cbranch_scc0 .LBB153_1196
; %bb.1189:
	s_cmp_eq_u32 s4, 46
	s_mov_b32 s3, 0
	s_cbranch_scc0 .LBB153_1199
; %bb.1190:
	global_load_dword v3, v[0:1], off
	s_mov_b32 s2, -1
	s_waitcnt vmcnt(0)
	v_lshlrev_b32_e32 v3, 16, v3
	v_cvt_f16_f32_e32 v3, v3
	s_branch .LBB153_1201
.LBB153_1191:
	s_mov_b32 s14, s6
                                        ; implicit-def: $vgpr3
	s_cbranch_execnz .LBB153_1264
.LBB153_1192:
	s_andn2_b32 vcc_lo, exec_lo, s2
	s_cbranch_vccz .LBB153_1309
	s_branch .LBB153_2285
.LBB153_1193:
                                        ; implicit-def: $vgpr3
	s_cbranch_execnz .LBB153_1229
	s_branch .LBB153_1260
.LBB153_1194:
	s_mov_b32 s3, -1
                                        ; implicit-def: $vgpr3
	s_branch .LBB153_1210
.LBB153_1195:
                                        ; implicit-def: $vgpr3
	s_cbranch_execnz .LBB153_1206
	s_branch .LBB153_1209
.LBB153_1196:
	s_mov_b32 s3, -1
	s_branch .LBB153_1200
.LBB153_1197:
	s_andn2_saveexec_b32 s18, s18
	s_cbranch_execz .LBB153_1096
.LBB153_1198:
	v_add_f32_e64 v3, 0x46000000, |v2|
	s_andn2_b32 s17, s17, exec_lo
	v_and_b32_e32 v3, 0xff, v3
	v_cmp_ne_u32_e32 vcc_lo, 0, v3
	s_and_b32 s19, vcc_lo, exec_lo
	s_or_b32 s17, s17, s19
	s_or_b32 exec_lo, exec_lo, s18
	v_mov_b32_e32 v5, 0
	s_and_saveexec_b32 s18, s17
	s_cbranch_execnz .LBB153_1097
	s_branch .LBB153_1098
.LBB153_1199:
	s_mov_b32 s0, -1
.LBB153_1200:
                                        ; implicit-def: $vgpr3
.LBB153_1201:
	s_and_b32 vcc_lo, exec_lo, s3
	s_cbranch_vccz .LBB153_1204
; %bb.1202:
	s_cmp_eq_u32 s4, 44
	s_cbranch_scc0 .LBB153_1205
; %bb.1203:
	global_load_ubyte v3, v[0:1], off
	s_mov_b32 s0, 0
	s_mov_b32 s2, -1
	s_waitcnt vmcnt(0)
	v_lshlrev_b32_e32 v4, 23, v3
	v_cmp_ne_u32_e32 vcc_lo, 0xff, v3
	v_cvt_f16_f32_e32 v4, v4
	v_cndmask_b32_e32 v4, 0x7e00, v4, vcc_lo
	v_cmp_ne_u32_e32 vcc_lo, 0, v3
	v_cndmask_b32_e32 v3, 0, v4, vcc_lo
.LBB153_1204:
	s_branch .LBB153_1209
.LBB153_1205:
	s_mov_b32 s0, -1
                                        ; implicit-def: $vgpr3
	s_branch .LBB153_1209
.LBB153_1206:
	s_cmp_eq_u32 s4, 29
	s_cbranch_scc0 .LBB153_1208
; %bb.1207:
	global_load_dwordx2 v[3:4], v[0:1], off
	s_mov_b32 s0, 0
	s_mov_b32 s2, -1
	s_mov_b32 s3, 0
	s_waitcnt vmcnt(0)
	v_ffbh_u32_e32 v6, v4
	v_min_u32_e32 v6, 32, v6
	v_lshlrev_b64 v[3:4], v6, v[3:4]
	v_min_u32_e32 v3, 1, v3
	v_or_b32_e32 v3, v4, v3
	v_sub_nc_u32_e32 v4, 32, v6
	v_cvt_f32_u32_e32 v3, v3
	v_ldexp_f32 v3, v3, v4
	v_cvt_f16_f32_e32 v3, v3
	s_branch .LBB153_1210
.LBB153_1208:
	s_mov_b32 s0, -1
                                        ; implicit-def: $vgpr3
.LBB153_1209:
	s_mov_b32 s3, 0
.LBB153_1210:
	s_and_b32 vcc_lo, exec_lo, s3
	s_cbranch_vccz .LBB153_1228
; %bb.1211:
	s_cmp_lt_i32 s4, 27
	s_cbranch_scc1 .LBB153_1214
; %bb.1212:
	s_cmp_gt_i32 s4, 27
	s_cbranch_scc0 .LBB153_1215
; %bb.1213:
	global_load_dword v3, v[0:1], off
	s_mov_b32 s2, 0
	s_waitcnt vmcnt(0)
	v_cvt_f32_u32_e32 v3, v3
	v_cvt_f16_f32_e32 v3, v3
	s_branch .LBB153_1216
.LBB153_1214:
	s_mov_b32 s2, -1
                                        ; implicit-def: $vgpr3
	s_branch .LBB153_1219
.LBB153_1215:
	s_mov_b32 s2, -1
                                        ; implicit-def: $vgpr3
.LBB153_1216:
	s_andn2_b32 vcc_lo, exec_lo, s2
	s_cbranch_vccnz .LBB153_1218
; %bb.1217:
	global_load_ushort v3, v[0:1], off
	s_waitcnt vmcnt(0)
	v_cvt_f16_u16_e32 v3, v3
.LBB153_1218:
	s_mov_b32 s2, 0
.LBB153_1219:
	s_andn2_b32 vcc_lo, exec_lo, s2
	s_cbranch_vccnz .LBB153_1227
; %bb.1220:
	global_load_ubyte v4, v[0:1], off
	s_mov_b32 s2, 0
	s_mov_b32 s3, exec_lo
	s_waitcnt vmcnt(0)
	v_cmpx_lt_i16_e32 0x7f, v4
	s_xor_b32 s3, exec_lo, s3
	s_cbranch_execz .LBB153_1240
; %bb.1221:
	s_mov_b32 s2, -1
	s_mov_b32 s14, exec_lo
	v_cmpx_eq_u16_e32 0x80, v4
; %bb.1222:
	s_xor_b32 s2, exec_lo, -1
; %bb.1223:
	s_or_b32 exec_lo, exec_lo, s14
	s_and_b32 s2, s2, exec_lo
	s_or_saveexec_b32 s3, s3
	v_mov_b32_e32 v3, 0x7e00
	s_xor_b32 exec_lo, exec_lo, s3
	s_cbranch_execnz .LBB153_1241
.LBB153_1224:
	s_or_b32 exec_lo, exec_lo, s3
	s_and_saveexec_b32 s3, s2
	s_cbranch_execz .LBB153_1226
.LBB153_1225:
	v_and_b32_e32 v3, 0xffff, v4
	v_lshlrev_b32_e32 v4, 24, v4
	v_and_b32_e32 v6, 7, v3
	v_bfe_u32 v9, v3, 3, 4
	v_and_b32_e32 v4, 0x80000000, v4
	v_ffbh_u32_e32 v7, v6
	v_cmp_eq_u32_e32 vcc_lo, 0, v9
	v_min_u32_e32 v7, 32, v7
	v_subrev_nc_u32_e32 v8, 28, v7
	v_sub_nc_u32_e32 v7, 29, v7
	v_lshlrev_b32_e32 v3, v8, v3
	v_cndmask_b32_e32 v7, v9, v7, vcc_lo
	v_and_b32_e32 v3, 7, v3
	v_cndmask_b32_e32 v3, v6, v3, vcc_lo
	v_lshl_add_u32 v6, v7, 23, 0x3b800000
	v_lshlrev_b32_e32 v3, 20, v3
	v_or3_b32 v3, v4, v6, v3
	v_cvt_f16_f32_e32 v3, v3
.LBB153_1226:
	s_or_b32 exec_lo, exec_lo, s3
.LBB153_1227:
	s_mov_b32 s2, -1
.LBB153_1228:
	s_branch .LBB153_1260
.LBB153_1229:
	s_cmp_gt_i32 s4, 22
	s_cbranch_scc0 .LBB153_1239
; %bb.1230:
	s_cmp_lt_i32 s4, 24
	s_cbranch_scc1 .LBB153_1242
; %bb.1231:
	s_cmp_gt_i32 s4, 24
	s_cbranch_scc0 .LBB153_1243
; %bb.1232:
	global_load_ubyte v4, v[0:1], off
	s_mov_b32 s2, exec_lo
	s_waitcnt vmcnt(0)
	v_cmpx_lt_i16_e32 0x7f, v4
	s_xor_b32 s2, exec_lo, s2
	s_cbranch_execz .LBB153_1254
; %bb.1233:
	s_mov_b32 s1, -1
	s_mov_b32 s3, exec_lo
	v_cmpx_eq_u16_e32 0x80, v4
; %bb.1234:
	s_xor_b32 s1, exec_lo, -1
; %bb.1235:
	s_or_b32 exec_lo, exec_lo, s3
	s_and_b32 s1, s1, exec_lo
	s_or_saveexec_b32 s2, s2
	v_mov_b32_e32 v3, 0x7e00
	s_xor_b32 exec_lo, exec_lo, s2
	s_cbranch_execnz .LBB153_1255
.LBB153_1236:
	s_or_b32 exec_lo, exec_lo, s2
	s_and_saveexec_b32 s2, s1
	s_cbranch_execz .LBB153_1238
.LBB153_1237:
	v_and_b32_e32 v3, 0xffff, v4
	v_lshlrev_b32_e32 v4, 24, v4
	v_and_b32_e32 v6, 3, v3
	v_bfe_u32 v9, v3, 2, 5
	v_and_b32_e32 v4, 0x80000000, v4
	v_ffbh_u32_e32 v7, v6
	v_cmp_eq_u32_e32 vcc_lo, 0, v9
	v_min_u32_e32 v7, 32, v7
	v_subrev_nc_u32_e32 v8, 29, v7
	v_sub_nc_u32_e32 v7, 30, v7
	v_lshlrev_b32_e32 v3, v8, v3
	v_cndmask_b32_e32 v7, v9, v7, vcc_lo
	v_and_b32_e32 v3, 3, v3
	v_cndmask_b32_e32 v3, v6, v3, vcc_lo
	v_lshl_add_u32 v6, v7, 23, 0x37800000
	v_lshlrev_b32_e32 v3, 21, v3
	v_or3_b32 v3, v4, v6, v3
	v_cvt_f16_f32_e32 v3, v3
.LBB153_1238:
	s_or_b32 exec_lo, exec_lo, s2
	s_mov_b32 s1, 0
	s_branch .LBB153_1244
.LBB153_1239:
                                        ; implicit-def: $vgpr3
	s_mov_b32 s1, 0
	s_branch .LBB153_1250
.LBB153_1240:
	s_or_saveexec_b32 s3, s3
	v_mov_b32_e32 v3, 0x7e00
	s_xor_b32 exec_lo, exec_lo, s3
	s_cbranch_execz .LBB153_1224
.LBB153_1241:
	v_cmp_ne_u16_e32 vcc_lo, 0, v4
	v_mov_b32_e32 v3, v4
	s_andn2_b32 s2, s2, exec_lo
	s_and_b32 s14, vcc_lo, exec_lo
	s_or_b32 s2, s2, s14
	s_or_b32 exec_lo, exec_lo, s3
	s_and_saveexec_b32 s3, s2
	s_cbranch_execnz .LBB153_1225
	s_branch .LBB153_1226
.LBB153_1242:
	s_mov_b32 s1, -1
                                        ; implicit-def: $vgpr3
	s_branch .LBB153_1247
.LBB153_1243:
	s_mov_b32 s1, -1
                                        ; implicit-def: $vgpr3
.LBB153_1244:
	s_and_b32 vcc_lo, exec_lo, s1
	s_cbranch_vccz .LBB153_1246
; %bb.1245:
	global_load_ubyte v3, v[0:1], off
	s_waitcnt vmcnt(0)
	v_lshlrev_b32_e32 v3, 24, v3
	v_and_b32_e32 v4, 0x7f000000, v3
	v_ffbh_u32_e32 v6, v4
	v_add_nc_u32_e32 v8, 0x1000000, v4
	v_cmp_ne_u32_e32 vcc_lo, 0, v4
	v_min_u32_e32 v6, 32, v6
	v_sub_nc_u32_e64 v6, v6, 4 clamp
	v_lshlrev_b32_e32 v7, v6, v4
	v_lshlrev_b32_e32 v6, 23, v6
	v_lshrrev_b32_e32 v7, 4, v7
	v_sub_nc_u32_e32 v6, v7, v6
	v_ashrrev_i32_e32 v7, 8, v8
	v_add_nc_u32_e32 v6, 0x3c000000, v6
	v_and_or_b32 v6, 0x7f800000, v7, v6
	v_cndmask_b32_e32 v4, 0, v6, vcc_lo
	v_and_or_b32 v3, 0x80000000, v3, v4
	v_cvt_f16_f32_e32 v3, v3
.LBB153_1246:
	s_mov_b32 s1, 0
.LBB153_1247:
	s_andn2_b32 vcc_lo, exec_lo, s1
	s_cbranch_vccnz .LBB153_1249
; %bb.1248:
	global_load_ubyte v3, v[0:1], off
	s_waitcnt vmcnt(0)
	v_lshlrev_b32_e32 v4, 25, v3
	v_lshlrev_b16 v3, 8, v3
	v_lshrrev_b32_e32 v6, 4, v4
	v_and_or_b32 v7, 0x7f00, v3, 0.5
	v_cmp_gt_u32_e32 vcc_lo, 0x8000000, v4
	v_bfe_i32 v3, v3, 0, 16
	v_or_b32_e32 v6, 0x70000000, v6
	v_add_f32_e32 v7, -0.5, v7
	v_mul_f32_e32 v6, 0x7800000, v6
	v_cndmask_b32_e32 v4, v6, v7, vcc_lo
	v_and_or_b32 v3, 0x80000000, v3, v4
	v_cvt_f16_f32_e32 v3, v3
.LBB153_1249:
	s_mov_b32 s2, -1
	s_mov_b32 s1, 0
	s_cbranch_execnz .LBB153_1260
.LBB153_1250:
	s_cmp_gt_i32 s4, 14
	s_cbranch_scc0 .LBB153_1253
; %bb.1251:
	s_cmp_eq_u32 s4, 15
	s_cbranch_scc0 .LBB153_1256
; %bb.1252:
	global_load_ushort v3, v[0:1], off
	s_mov_b32 s0, 0
	s_mov_b32 s2, -1
	s_waitcnt vmcnt(0)
	v_lshlrev_b32_e32 v3, 16, v3
	v_cvt_f16_f32_e32 v3, v3
	s_branch .LBB153_1258
.LBB153_1253:
	s_mov_b32 s1, -1
	s_branch .LBB153_1257
.LBB153_1254:
	s_or_saveexec_b32 s2, s2
	v_mov_b32_e32 v3, 0x7e00
	s_xor_b32 exec_lo, exec_lo, s2
	s_cbranch_execz .LBB153_1236
.LBB153_1255:
	v_cmp_ne_u16_e32 vcc_lo, 0, v4
	v_mov_b32_e32 v3, v4
	s_andn2_b32 s1, s1, exec_lo
	s_and_b32 s3, vcc_lo, exec_lo
	s_or_b32 s1, s1, s3
	s_or_b32 exec_lo, exec_lo, s2
	s_and_saveexec_b32 s2, s1
	s_cbranch_execnz .LBB153_1237
	s_branch .LBB153_1238
.LBB153_1256:
	s_mov_b32 s0, -1
.LBB153_1257:
                                        ; implicit-def: $vgpr3
.LBB153_1258:
	s_and_b32 vcc_lo, exec_lo, s1
	s_mov_b32 s1, 0
	s_cbranch_vccz .LBB153_1260
; %bb.1259:
	s_cmp_lg_u32 s4, 11
	s_mov_b32 s1, -1
	s_cselect_b32 s0, -1, 0
.LBB153_1260:
	s_and_b32 vcc_lo, exec_lo, s0
	s_mov_b32 s14, s6
	s_cbranch_vccnz .LBB153_1359
; %bb.1261:
	s_andn2_b32 vcc_lo, exec_lo, s1
	s_cbranch_vccnz .LBB153_1263
.LBB153_1262:
	global_load_ubyte v3, v[0:1], off
	s_mov_b32 s2, -1
	s_waitcnt vmcnt(0)
	v_cmp_ne_u16_e32 vcc_lo, 0, v3
	v_cndmask_b32_e64 v3, 0, 0x3c00, vcc_lo
.LBB153_1263:
	s_branch .LBB153_1192
.LBB153_1264:
	s_cmp_lt_i32 s4, 5
	s_cbranch_scc1 .LBB153_1269
; %bb.1265:
	s_cmp_lt_i32 s4, 8
	s_cbranch_scc1 .LBB153_1270
; %bb.1266:
	;; [unrolled: 3-line block ×3, first 2 shown]
	s_cmp_gt_i32 s4, 9
	s_cbranch_scc0 .LBB153_1272
; %bb.1268:
	global_load_dwordx2 v[3:4], v[0:1], off
	s_mov_b32 s0, 0
	s_waitcnt vmcnt(0)
	v_and_or_b32 v3, 0x1ff, v4, v3
	v_lshrrev_b32_e32 v6, 8, v4
	v_bfe_u32 v7, v4, 20, 11
	v_lshrrev_b32_e32 v4, 16, v4
	v_cmp_ne_u32_e32 vcc_lo, 0, v3
	v_sub_nc_u32_e32 v8, 0x3f1, v7
	v_add_nc_u32_e32 v7, 0xfffffc10, v7
	v_cndmask_b32_e64 v3, 0, 1, vcc_lo
	v_and_or_b32 v3, 0xffe, v6, v3
	v_med3_i32 v6, v8, 0, 13
	v_or_b32_e32 v8, 0x1000, v3
	v_lshrrev_b32_e32 v9, v6, v8
	v_lshlrev_b32_e32 v6, v6, v9
	v_cmp_ne_u32_e32 vcc_lo, v6, v8
	v_lshl_or_b32 v8, v7, 12, v3
	v_cndmask_b32_e64 v6, 0, 1, vcc_lo
	v_cmp_gt_i32_e32 vcc_lo, 1, v7
	v_or_b32_e32 v6, v9, v6
	v_cndmask_b32_e32 v6, v8, v6, vcc_lo
	v_and_b32_e32 v8, 7, v6
	v_lshrrev_b32_e32 v6, 2, v6
	v_cmp_lt_i32_e32 vcc_lo, 5, v8
	v_cndmask_b32_e64 v9, 0, 1, vcc_lo
	v_cmp_eq_u32_e32 vcc_lo, 3, v8
	v_cndmask_b32_e64 v8, 0, 1, vcc_lo
	v_cmp_ne_u32_e32 vcc_lo, 0, v3
	v_or_b32_e32 v8, v8, v9
	v_mov_b32_e32 v9, 0x7e00
	v_add_nc_u32_e32 v6, v6, v8
	v_cndmask_b32_e32 v3, 0x7c00, v9, vcc_lo
	v_cmp_gt_i32_e32 vcc_lo, 31, v7
	v_cndmask_b32_e32 v6, 0x7c00, v6, vcc_lo
	v_cmp_eq_u32_e32 vcc_lo, 0x40f, v7
	v_cndmask_b32_e32 v3, v6, v3, vcc_lo
	v_and_or_b32 v3, 0x8000, v4, v3
	s_branch .LBB153_1273
.LBB153_1269:
                                        ; implicit-def: $vgpr3
	s_branch .LBB153_1290
.LBB153_1270:
                                        ; implicit-def: $vgpr3
	s_branch .LBB153_1279
.LBB153_1271:
	s_mov_b32 s0, -1
                                        ; implicit-def: $vgpr3
	s_branch .LBB153_1276
.LBB153_1272:
	s_mov_b32 s0, -1
                                        ; implicit-def: $vgpr3
.LBB153_1273:
	s_andn2_b32 vcc_lo, exec_lo, s0
	s_cbranch_vccnz .LBB153_1275
; %bb.1274:
	global_load_dword v3, v[0:1], off
	s_waitcnt vmcnt(0)
	v_cvt_f16_f32_e32 v3, v3
.LBB153_1275:
	s_mov_b32 s0, 0
.LBB153_1276:
	s_andn2_b32 vcc_lo, exec_lo, s0
	s_cbranch_vccnz .LBB153_1278
; %bb.1277:
	global_load_dword v3, v[0:1], off
.LBB153_1278:
	s_cbranch_execnz .LBB153_1289
.LBB153_1279:
	s_cmp_lt_i32 s4, 6
	s_cbranch_scc1 .LBB153_1282
; %bb.1280:
	s_cmp_gt_i32 s4, 6
	s_cbranch_scc0 .LBB153_1283
; %bb.1281:
	global_load_dwordx2 v[3:4], v[0:1], off
	s_mov_b32 s0, 0
	s_waitcnt vmcnt(0)
	v_and_or_b32 v3, 0x1ff, v4, v3
	v_lshrrev_b32_e32 v6, 8, v4
	v_bfe_u32 v7, v4, 20, 11
	v_lshrrev_b32_e32 v4, 16, v4
	v_cmp_ne_u32_e32 vcc_lo, 0, v3
	v_sub_nc_u32_e32 v8, 0x3f1, v7
	v_add_nc_u32_e32 v7, 0xfffffc10, v7
	v_cndmask_b32_e64 v3, 0, 1, vcc_lo
	v_and_or_b32 v3, 0xffe, v6, v3
	v_med3_i32 v6, v8, 0, 13
	v_or_b32_e32 v8, 0x1000, v3
	v_lshrrev_b32_e32 v9, v6, v8
	v_lshlrev_b32_e32 v6, v6, v9
	v_cmp_ne_u32_e32 vcc_lo, v6, v8
	v_lshl_or_b32 v8, v7, 12, v3
	v_cndmask_b32_e64 v6, 0, 1, vcc_lo
	v_cmp_gt_i32_e32 vcc_lo, 1, v7
	v_or_b32_e32 v6, v9, v6
	v_cndmask_b32_e32 v6, v8, v6, vcc_lo
	v_and_b32_e32 v8, 7, v6
	v_lshrrev_b32_e32 v6, 2, v6
	v_cmp_lt_i32_e32 vcc_lo, 5, v8
	v_cndmask_b32_e64 v9, 0, 1, vcc_lo
	v_cmp_eq_u32_e32 vcc_lo, 3, v8
	v_cndmask_b32_e64 v8, 0, 1, vcc_lo
	v_cmp_ne_u32_e32 vcc_lo, 0, v3
	v_or_b32_e32 v8, v8, v9
	v_mov_b32_e32 v9, 0x7e00
	v_add_nc_u32_e32 v6, v6, v8
	v_cndmask_b32_e32 v3, 0x7c00, v9, vcc_lo
	v_cmp_gt_i32_e32 vcc_lo, 31, v7
	v_cndmask_b32_e32 v6, 0x7c00, v6, vcc_lo
	v_cmp_eq_u32_e32 vcc_lo, 0x40f, v7
	v_cndmask_b32_e32 v3, v6, v3, vcc_lo
	v_and_or_b32 v3, 0x8000, v4, v3
	s_branch .LBB153_1284
.LBB153_1282:
	s_mov_b32 s0, -1
                                        ; implicit-def: $vgpr3
	s_branch .LBB153_1287
.LBB153_1283:
	s_mov_b32 s0, -1
                                        ; implicit-def: $vgpr3
.LBB153_1284:
	s_andn2_b32 vcc_lo, exec_lo, s0
	s_cbranch_vccnz .LBB153_1286
; %bb.1285:
	global_load_dword v3, v[0:1], off
	s_waitcnt vmcnt(0)
	v_cvt_f16_f32_e32 v3, v3
.LBB153_1286:
	s_mov_b32 s0, 0
.LBB153_1287:
	s_andn2_b32 vcc_lo, exec_lo, s0
	s_cbranch_vccnz .LBB153_1289
; %bb.1288:
	global_load_ushort v3, v[0:1], off
.LBB153_1289:
	s_cbranch_execnz .LBB153_1308
.LBB153_1290:
	s_cmp_lt_i32 s4, 2
	s_cbranch_scc1 .LBB153_1294
; %bb.1291:
	s_cmp_lt_i32 s4, 3
	s_cbranch_scc1 .LBB153_1295
; %bb.1292:
	s_cmp_gt_i32 s4, 3
	s_cbranch_scc0 .LBB153_1296
; %bb.1293:
	global_load_dwordx2 v[3:4], v[0:1], off
	s_mov_b32 s0, 0
	s_waitcnt vmcnt(0)
	v_xor_b32_e32 v6, v3, v4
	v_ffbh_i32_e32 v7, v4
	v_ashrrev_i32_e32 v6, 31, v6
	v_add_nc_u32_e32 v7, -1, v7
	v_add_nc_u32_e32 v6, 32, v6
	v_min_u32_e32 v6, v7, v6
	v_lshlrev_b64 v[3:4], v6, v[3:4]
	v_min_u32_e32 v3, 1, v3
	v_or_b32_e32 v3, v4, v3
	v_sub_nc_u32_e32 v4, 32, v6
	v_cvt_f32_i32_e32 v3, v3
	v_ldexp_f32 v3, v3, v4
	v_cvt_f16_f32_e32 v3, v3
	s_branch .LBB153_1297
.LBB153_1294:
                                        ; implicit-def: $vgpr3
	s_branch .LBB153_1303
.LBB153_1295:
	s_mov_b32 s0, -1
                                        ; implicit-def: $vgpr3
	s_branch .LBB153_1300
.LBB153_1296:
	s_mov_b32 s0, -1
                                        ; implicit-def: $vgpr3
.LBB153_1297:
	s_andn2_b32 vcc_lo, exec_lo, s0
	s_cbranch_vccnz .LBB153_1299
; %bb.1298:
	global_load_dword v3, v[0:1], off
	s_waitcnt vmcnt(0)
	v_cvt_f32_i32_e32 v3, v3
	v_cvt_f16_f32_e32 v3, v3
.LBB153_1299:
	s_mov_b32 s0, 0
.LBB153_1300:
	s_andn2_b32 vcc_lo, exec_lo, s0
	s_cbranch_vccnz .LBB153_1302
; %bb.1301:
	global_load_ushort v3, v[0:1], off
	s_waitcnt vmcnt(0)
	v_cvt_f16_i16_e32 v3, v3
.LBB153_1302:
	s_cbranch_execnz .LBB153_1308
.LBB153_1303:
	s_cmp_gt_i32 s4, 0
	s_mov_b32 s0, 0
	s_cbranch_scc0 .LBB153_1305
; %bb.1304:
	global_load_sbyte v3, v[0:1], off
	s_waitcnt vmcnt(0)
	v_cvt_f16_i16_e32 v3, v3
	s_branch .LBB153_1306
.LBB153_1305:
	s_mov_b32 s0, -1
                                        ; implicit-def: $vgpr3
.LBB153_1306:
	s_andn2_b32 vcc_lo, exec_lo, s0
	s_cbranch_vccnz .LBB153_1308
; %bb.1307:
	global_load_ubyte v0, v[0:1], off
	s_waitcnt vmcnt(0)
	v_cvt_f16_u16_e32 v3, v0
.LBB153_1308:
.LBB153_1309:
	s_waitcnt vmcnt(0)
	v_cvt_f32_f16_e32 v4, v3
	s_mov_b32 s1, exec_lo
                                        ; implicit-def: $vgpr6
	v_and_b32_e32 v0, 0x7fffffff, v4
	v_cmpx_ngt_f32_e64 0x3c800000, |v4|
	s_xor_b32 s1, exec_lo, s1
	s_cbranch_execz .LBB153_1339
; %bb.1310:
	s_mov_b32 s2, exec_lo
                                        ; implicit-def: $vgpr6
	v_cmpx_nlt_f32_e64 |v4|, 2.0
	s_xor_b32 s2, exec_lo, s2
	s_cbranch_execz .LBB153_1320
; %bb.1311:
	v_cmp_ngt_f32_e64 s0, 0x41000000, |v4|
                                        ; implicit-def: $vgpr6
	s_and_saveexec_b32 s3, s0
	s_xor_b32 s0, exec_lo, s3
	s_cbranch_execz .LBB153_1317
; %bb.1312:
	v_cmp_ngt_f32_e64 s3, 0x5c800000, |v4|
                                        ; implicit-def: $vgpr6
	s_and_saveexec_b32 s15, s3
	s_xor_b32 s3, exec_lo, s15
	s_cbranch_execz .LBB153_1314
; %bb.1313:
	v_cmp_gt_f32_e64 s15, 0x800000, |v4|
	v_cndmask_b32_e64 v1, 0, 32, s15
	v_ldexp_f32 v1, |v4|, v1
	v_log_f32_e32 v1, v1
	v_mul_f32_e32 v6, 0x3f317217, v1
	v_cmp_gt_f32_e64 vcc_lo, 0x7f800000, |v1|
	v_fma_f32 v7, 0x3f317217, v1, -v6
	v_fmamk_f32 v7, v1, 0x3377d1cf, v7
	v_add_f32_e32 v6, v6, v7
	v_cndmask_b32_e32 v1, v1, v6, vcc_lo
	v_cndmask_b32_e64 v6, 0, 0x41b17218, s15
	v_sub_f32_e32 v1, v1, v6
	v_fma_f32 v6, |v4|, v1, -|v4|
.LBB153_1314:
	s_andn2_saveexec_b32 s3, s3
	s_cbranch_execz .LBB153_1316
; %bb.1315:
	v_cmp_gt_f32_e64 s15, 0x800000, |v4|
	v_rcp_f32_e64 v6, |v4|
	s_mov_b32 s16, 0xbad5c4e8
	v_cndmask_b32_e64 v1, 0, 32, s15
	v_ldexp_f32 v1, |v4|, v1
	v_mul_f32_e32 v7, v6, v6
	v_log_f32_e32 v1, v1
	v_fmaak_f32 v9, s16, v7, 0x3a5b3dd2
	v_fmaak_f32 v9, v7, v9, 0xba1c065c
	v_mul_f32_e32 v8, 0x3f317217, v1
	v_fmaak_f32 v9, v7, v9, 0x3a500cfd
	v_cmp_gt_f32_e64 vcc_lo, 0x7f800000, |v1|
	v_fma_f32 v10, 0x3f317217, v1, -v8
	v_fmaak_f32 v9, v7, v9, 0xbb360b61
	v_fmamk_f32 v10, v1, 0x3377d1cf, v10
	v_fmaak_f32 v7, v7, v9, 0x3daaaaab
	v_add_f32_e32 v8, v8, v10
	v_fmaak_f32 v6, v6, v7, 0x3ed67f1d
	v_add_f32_e64 v7, |v4|, -0.5
	v_cndmask_b32_e32 v1, v1, v8, vcc_lo
	v_cndmask_b32_e64 v8, 0, 0x41b17218, s15
	v_sub_f32_e32 v1, v1, v8
	v_add_f32_e32 v1, -1.0, v1
	v_fmac_f32_e32 v6, v7, v1
.LBB153_1316:
	s_or_b32 exec_lo, exec_lo, s3
.LBB153_1317:
	s_andn2_saveexec_b32 s3, s0
	s_cbranch_execz .LBB153_1319
; %bb.1318:
	v_cvt_i32_f32_e32 v1, v0
	s_mov_b32 s0, 0x36f5d7bd
	s_mov_b32 s15, 0x3805ff67
	v_cvt_f32_i32_e32 v6, v1
	v_cmp_lt_i32_e32 vcc_lo, 2, v1
	v_sub_f32_e64 v6, |v4|, v6
	v_add_f32_e32 v7, 2.0, v6
	v_add_f32_e32 v8, 0x40400000, v6
	v_add_f32_e32 v9, 4.0, v6
	v_add_f32_e32 v10, 0x40a00000, v6
	v_cndmask_b32_e32 v7, 1.0, v7, vcc_lo
	v_cmp_lt_i32_e32 vcc_lo, 3, v1
	v_cndmask_b32_e32 v8, 1.0, v8, vcc_lo
	v_cmp_lt_i32_e32 vcc_lo, 4, v1
	v_mul_f32_e32 v7, v7, v8
	v_cndmask_b32_e32 v9, 1.0, v9, vcc_lo
	v_cmp_lt_i32_e32 vcc_lo, 5, v1
	v_add_f32_e32 v8, 0x40c00000, v6
	v_mul_f32_e32 v7, v9, v7
	v_cndmask_b32_e32 v10, 1.0, v10, vcc_lo
	v_cmp_lt_i32_e32 vcc_lo, 6, v1
	v_fmaak_f32 v9, s15, v6, 0x3af135b4
	v_mul_f32_e32 v7, v10, v7
	v_cndmask_b32_e32 v1, 1.0, v8, vcc_lo
	v_mul_f32_e32 v1, v1, v7
	v_fmaak_f32 v7, s0, v6, 0x3a4beed6
	v_cmp_gt_f32_e32 vcc_lo, 0x800000, v1
	v_fmaak_f32 v7, v6, v7, 0x3c98bf54
	v_cndmask_b32_e64 v8, 0, 32, vcc_lo
	v_fmaak_f32 v7, v6, v7, 0x3e300f6e
	v_ldexp_f32 v1, v1, v8
	v_fmaak_f32 v8, v6, v9, 0x3cda40e4
	v_fmaak_f32 v7, v6, v7, 0x3f38d0c5
	v_log_f32_e32 v1, v1
	v_fmaak_f32 v8, v6, v8, 0x3e15dce6
	v_fmaak_f32 v7, v6, v7, 0x3fb22d3b
	;; [unrolled: 1-line block ×3, first 2 shown]
	v_fma_f32 v7, v6, v7, 1.0
	v_mul_f32_e32 v9, 0x3f317217, v1
	v_fmaak_f32 v8, v6, v8, 0x3e5c245a
	v_rcp_f32_e32 v7, v7
	v_cmp_gt_f32_e64 s0, 0x7f800000, |v1|
	v_fma_f32 v10, 0x3f317217, v1, -v9
	v_fmaak_f32 v8, v6, v8, 0xbd9e233f
	v_fmamk_f32 v10, v1, 0x3377d1cf, v10
	v_mul_f32_e32 v8, v6, v8
	v_add_f32_e32 v9, v9, v10
	v_mul_f32_e32 v7, v8, v7
	v_cndmask_b32_e64 v8, 0, 0x41b17218, vcc_lo
	v_cndmask_b32_e64 v1, v1, v9, s0
	v_fmac_f32_e32 v7, 0.5, v6
	v_sub_f32_e32 v1, v1, v8
	v_add_f32_e32 v6, v1, v7
.LBB153_1319:
	s_or_b32 exec_lo, exec_lo, s3
.LBB153_1320:
	s_andn2_saveexec_b32 s2, s2
	s_cbranch_execz .LBB153_1338
; %bb.1321:
	s_mov_b32 s3, exec_lo
                                        ; implicit-def: $vgpr6
                                        ; implicit-def: $vgpr7
                                        ; implicit-def: $vgpr1
	v_cmpx_ge_f32_e64 0x3f666666, |v4|
	s_xor_b32 s3, exec_lo, s3
	s_cbranch_execz .LBB153_1323
; %bb.1322:
	v_cmp_gt_f32_e64 s0, 0x800000, |v4|
	v_sub_f32_e64 v8, 1.0, |v4|
	v_cmp_gt_f32_e64 vcc_lo, 0x3f3b4a23, |v4|
	v_cndmask_b32_e64 v1, 0, 32, s0
	v_cndmask_b32_e64 v9, 0, 0x41b17218, s0
	v_ldexp_f32 v1, |v4|, v1
	v_log_f32_e32 v1, v1
	v_mul_f32_e32 v6, 0x3f317217, v1
	v_cmp_gt_f32_e64 s0, 0x7f800000, |v1|
	v_fma_f32 v7, 0x3f317217, v1, -v6
	v_fmamk_f32 v7, v1, 0x3377d1cf, v7
	v_add_f32_e32 v6, v6, v7
	v_add_f32_e64 v7, 0xbeec5b0c, |v4|
	v_cndmask_b32_e64 v1, v1, v6, s0
	v_cndmask_b32_e32 v6, v8, v7, vcc_lo
	v_cndmask_b32_e64 v7, 0, 1, vcc_lo
	v_cmp_gt_f32_e64 s0, 0x3e6d3309, |v4|
	v_sub_f32_e32 v8, v1, v9
	v_cndmask_b32_e64 v1, v6, |v4|, s0
	v_cndmask_b32_e64 v7, v7, 2, s0
	v_xor_b32_e32 v6, 0x80000000, v8
.LBB153_1323:
	s_andn2_saveexec_b32 s0, s3
	s_cbranch_execz .LBB153_1325
; %bb.1324:
	v_sub_f32_e64 v1, 2.0, |v4|
	v_add_f32_e64 v6, 0xbfbb16c3, |v4|
	v_cmp_gt_f32_e64 vcc_lo, 0x3fdda512, |v4|
	v_add_f32_e64 v7, |v4|, -1.0
	v_cndmask_b32_e32 v6, v1, v6, vcc_lo
	v_cndmask_b32_e64 v1, v1, 1.0, vcc_lo
	v_cmp_gt_f32_e64 vcc_lo, 0x3f9d70a4, |v4|
	v_cvt_i32_f32_e32 v8, v1
	v_cndmask_b32_e32 v1, v6, v7, vcc_lo
	v_mov_b32_e32 v6, 0
	v_cndmask_b32_e64 v7, v8, 2, vcc_lo
.LBB153_1325:
	s_or_b32 exec_lo, exec_lo, s0
	s_mov_b32 s0, exec_lo
	v_cmpx_lt_i32_e32 0, v7
	s_xor_b32 s0, exec_lo, s0
	s_cbranch_execz .LBB153_1333
; %bb.1326:
	s_mov_b32 s3, exec_lo
	v_cmpx_lt_i32_e32 1, v7
	s_xor_b32 s3, exec_lo, s3
	s_cbranch_execz .LBB153_1330
; %bb.1327:
	s_mov_b32 s15, exec_lo
	v_cmpx_eq_u32_e32 2, v7
	s_cbranch_execz .LBB153_1329
; %bb.1328:
	s_mov_b32 s16, 0x3b52d5db
	v_fmaak_f32 v7, s16, v1, 0x3dd572af
	s_mov_b32 s16, 0x3c5b3c5e
	v_fmaak_f32 v8, s16, v1, 0x3e6a7578
	v_fmaak_f32 v7, v1, v7, 0x3f44efdf
	;; [unrolled: 1-line block ×7, first 2 shown]
	v_fma_f32 v7, v1, v7, 1.0
	v_fmaak_f32 v8, v1, v8, 0xbd9e233f
	v_rcp_f32_e32 v7, v7
	v_mul_f32_e32 v8, v1, v8
	v_mul_f32_e32 v7, v8, v7
	v_fmac_f32_e32 v7, -0.5, v1
	v_add_f32_e32 v6, v6, v7
.LBB153_1329:
	s_or_b32 exec_lo, exec_lo, s15
                                        ; implicit-def: $vgpr1
.LBB153_1330:
	s_andn2_saveexec_b32 s3, s3
	s_cbranch_execz .LBB153_1332
; %bb.1331:
	v_mul_f32_e32 v7, v1, v1
	s_mov_b32 s15, 0xb9a3f927
	s_mov_b32 s16, 0x39afe9f7
	v_mul_f32_e32 v8, v1, v7
	v_fmaak_f32 v9, s15, v8, 0x3a66f867
	v_fmaak_f32 v10, s16, v8, 0xba0d3085
	s_mov_b32 s15, 0x39a57b6b
	v_fmaak_f32 v11, s15, v8, 0xbab7f476
	v_fmaak_f32 v9, v8, v9, 0xbb7177fe
	v_fmaak_f32 v10, v8, v10, 0x3b141699
	v_fmaak_f32 v11, v8, v11, 0x3bc7e707
	v_fmaak_f32 v9, v8, v9, 0x3c93373d
	v_fmaak_f32 v10, v8, v10, 0xbc28fcfe
	v_fmaak_f32 v11, v8, v11, 0xbd064d47
	v_fmaak_f32 v9, v8, v9, 0xbe17213c
	v_fmaak_f32 v10, v8, v10, 0x3d845a15
	v_fmac_f32_e32 v9, v1, v10
	v_fmaak_f32 v1, v8, v11, 0x3ef7b95e
	v_fma_f32 v8, v8, -v9, 0xa2863e55
	v_fma_f32 v1, v7, v1, -v8
	v_add_f32_e32 v1, 0xbdf8cdce, v1
	v_add_f32_e32 v6, v6, v1
.LBB153_1332:
	s_or_b32 exec_lo, exec_lo, s3
                                        ; implicit-def: $vgpr7
                                        ; implicit-def: $vgpr1
.LBB153_1333:
	s_andn2_saveexec_b32 s0, s0
	s_cbranch_execz .LBB153_1337
; %bb.1334:
	s_mov_b32 s3, exec_lo
	v_cmpx_eq_u32_e32 0, v7
	s_cbranch_execz .LBB153_1336
; %bb.1335:
	v_mul_f32_e32 v7, v1, v1
	s_mov_b32 s15, 0x383c2c75
	v_fmaak_f32 v8, s15, v7, 0x38e28445
	s_mov_b32 s15, 0x37d383a2
	v_fmaak_f32 v9, s15, v7, 0x39679767
	v_fmaak_f32 v8, v7, v8, 0x3a05b634
	v_fmaak_f32 v9, v7, v9, 0x3a9c54a1
	v_fmaak_f32 v8, v7, v8, 0x3b3d6ec6
	v_fmaak_f32 v9, v7, v9, 0x3bf2027e
	v_fmaak_f32 v8, v7, v8, 0x3ca89915
	v_fmaak_f32 v9, v7, v9, 0x3d89f001
	v_fmaak_f32 v8, v7, v8, 0x3ea51a66
	v_fmaak_f32 v9, v7, v9, 0x3d9e233f
	v_mul_f32_e32 v7, v7, v8
	v_fmac_f32_e32 v7, v1, v9
	v_fmac_f32_e32 v7, -0.5, v1
	v_add_f32_e32 v6, v6, v7
.LBB153_1336:
	s_or_b32 exec_lo, exec_lo, s3
.LBB153_1337:
	s_or_b32 exec_lo, exec_lo, s0
.LBB153_1338:
	s_or_b32 exec_lo, exec_lo, s2
.LBB153_1339:
	s_andn2_saveexec_b32 s0, s1
	s_cbranch_execz .LBB153_1341
; %bb.1340:
	v_cmp_gt_f32_e64 s1, 0x800000, |v4|
	s_mov_b32 s2, 0x3e8a8991
	v_fma_f32 v8, |v4|, s2, 0xbecd26ab
	v_cndmask_b32_e64 v1, 0, 32, s1
	v_ldexp_f32 v1, |v4|, v1
	v_log_f32_e32 v1, v1
	v_mul_f32_e32 v6, 0x3f317217, v1
	v_cmp_gt_f32_e64 vcc_lo, 0x7f800000, |v1|
	v_fma_f32 v7, 0x3f317217, v1, -v6
	v_fmamk_f32 v7, v1, 0x3377d1cf, v7
	v_add_f32_e32 v6, v6, v7
	v_fma_f32 v7, |v4|, v8, 0x3f528d33
	v_cndmask_b32_e32 v1, v1, v6, vcc_lo
	v_cndmask_b32_e64 v6, 0, 0x41b17218, s1
	v_fma_f32 v7, |v4|, v7, 0xbf13c468
	v_sub_f32_e32 v1, v1, v6
	v_fma_f32 v6, |v4|, v7, -v1
.LBB153_1341:
	s_or_b32 exec_lo, exec_lo, s0
	v_cmp_le_f16_e64 s0, 0, v3
	s_mov_b32 s1, exec_lo
	v_cmpx_nle_f16_e32 0, v3
	s_xor_b32 s2, exec_lo, s1
	s_cbranch_execz .LBB153_1345
; %bb.1342:
	v_cmp_gt_f32_e64 s1, 0x4b000000, |v4|
	v_cmp_lt_f32_e64 s3, 0x35000000, |v4|
	s_and_b32 s1, s1, s3
	s_and_saveexec_b32 s3, s1
	s_cbranch_execz .LBB153_1344
; %bb.1343:
	v_mul_f32_e64 v1, |v4|, 0.5
	v_cmp_gt_f32_e64 s1, |v4|, 1.0
	s_mov_b32 s15, 0x3d4be544
	v_xor_b32_e32 v0, v0, v4
	v_floor_f32_e32 v7, v1
	v_cmp_neq_f32_e32 vcc_lo, 0x7f800000, v1
	v_sub_f32_e32 v7, v1, v7
	v_min_f32_e32 v7, 0x3f7fffff, v7
	v_add_f32_e32 v7, v7, v7
	v_cndmask_b32_e32 v1, 0, v7, vcc_lo
	v_cndmask_b32_e64 v1, |v4|, v1, s1
	s_mov_b32 s1, 0x3e75aa41
	v_add_f32_e32 v7, v1, v1
	v_rndne_f32_e32 v7, v7
	v_fmac_f32_e32 v1, -0.5, v7
	v_cvt_i32_f32_e32 v7, v7
	v_mul_f32_e32 v8, v1, v1
	v_fmaak_f32 v9, s1, v8, 0xbf1f24be
	v_fmaak_f32 v10, s15, v8, 0x3e642e9d
	v_mul_f32_e32 v11, v1, v8
	v_fmaak_f32 v9, v8, v9, 0x40234736
	v_fmaak_f32 v10, v8, v10, 0xbfaad1da
	;; [unrolled: 1-line block ×4, first 2 shown]
	v_mul_f32_e32 v9, v11, v9
	v_fmaak_f32 v10, v8, v10, 0xc09de9e6
	v_and_b32_e32 v11, 1, v7
	v_lshlrev_b32_e32 v7, 30, v7
	v_fmamk_f32 v1, v1, 0x40490fdb, v9
	v_fma_f32 v8, v8, v10, 1.0
	v_cmp_eq_u32_e32 vcc_lo, 0, v11
	v_and_b32_e32 v7, 0x80000000, v7
	v_cndmask_b32_e32 v1, v8, v1, vcc_lo
	v_xor3_b32 v0, v0, v7, v1
	v_mul_f32_e32 v0, v4, v0
	v_frexp_mant_f32_e64 v1, |v0|
	v_frexp_exp_i32_f32_e32 v0, v0
	v_rcp_f32_e32 v1, v1
	v_sub_nc_u32_e32 v0, 2, v0
	v_mul_f32_e32 v1, 0x3f490fdb, v1
	v_ldexp_f32 v0, v1, v0
	v_cmp_gt_f32_e32 vcc_lo, 0x800000, v0
	v_cndmask_b32_e64 v1, 0, 32, vcc_lo
	v_ldexp_f32 v0, v0, v1
	v_log_f32_e32 v0, v0
	v_mul_f32_e32 v1, 0x3f317217, v0
	v_cmp_gt_f32_e64 s1, 0x7f800000, |v0|
	v_fma_f32 v7, 0x3f317217, v0, -v1
	v_fmamk_f32 v7, v0, 0x3377d1cf, v7
	v_add_f32_e32 v1, v1, v7
	v_floor_f32_e32 v7, v4
	v_cndmask_b32_e64 v0, v0, v1, s1
	v_cndmask_b32_e64 v1, 0, 0x41b17218, vcc_lo
	v_sub_f32_e32 v7, v4, v7
	v_sub_f32_e32 v0, v0, v1
	v_min_f32_e32 v1, 0x3f7fffff, v7
	v_sub_f32_e32 v0, v0, v6
	v_cmp_neq_f32_e32 vcc_lo, 0, v1
	v_cndmask_b32_e32 v6, 0x7f800000, v0, vcc_lo
.LBB153_1344:
	s_or_b32 exec_lo, exec_lo, s3
.LBB153_1345:
	s_andn2_saveexec_b32 s2, s2
; %bb.1346:
	v_cmp_eq_f16_e32 vcc_lo, 1.0, v3
	v_cmp_eq_f16_e64 s1, 2.0, v3
	s_or_b32 s1, vcc_lo, s1
	v_cndmask_b32_e64 v6, v6, 0, s1
; %bb.1347:
	s_or_b32 exec_lo, exec_lo, s2
	s_lshl_b32 s13, s13, 7
	s_cmp_lt_i32 s4, 11
	v_add_nc_u32_e32 v8, s13, v5
	v_ashrrev_i32_e32 v1, 31, v8
	v_add_co_u32 v0, vcc_lo, s10, v8
	v_add_co_ci_u32_e64 v1, null, s11, v1, vcc_lo
	s_cbranch_scc1 .LBB153_1354
; %bb.1348:
	s_cmp_gt_i32 s4, 25
	s_mov_b32 s2, 0
	s_cbranch_scc0 .LBB153_1356
; %bb.1349:
	s_cmp_gt_i32 s4, 28
	s_cbranch_scc0 .LBB153_1357
; %bb.1350:
	s_cmp_gt_i32 s4, 43
	;; [unrolled: 3-line block ×3, first 2 shown]
	s_cbranch_scc0 .LBB153_1360
; %bb.1352:
	s_cmp_eq_u32 s4, 46
	s_mov_b32 s15, 0
	s_cbranch_scc0 .LBB153_1363
; %bb.1353:
	global_load_dword v5, v[0:1], off
	s_mov_b32 s1, 0
	s_mov_b32 s3, -1
	s_waitcnt vmcnt(0)
	v_lshlrev_b32_e32 v5, 16, v5
	v_cvt_f16_f32_e32 v5, v5
	s_branch .LBB153_1365
.LBB153_1354:
	s_mov_b32 s3, 0
                                        ; implicit-def: $vgpr5
	s_cbranch_execnz .LBB153_1430
.LBB153_1355:
	s_andn2_b32 vcc_lo, exec_lo, s3
	s_cbranch_vccnz .LBB153_2285
	s_branch .LBB153_1477
.LBB153_1356:
	s_mov_b32 s3, 0
	s_mov_b32 s1, 0
                                        ; implicit-def: $vgpr5
	s_cbranch_execnz .LBB153_1394
	s_branch .LBB153_1426
.LBB153_1357:
	s_mov_b32 s15, -1
	s_mov_b32 s3, 0
	s_mov_b32 s1, 0
                                        ; implicit-def: $vgpr5
	s_branch .LBB153_1375
.LBB153_1358:
	s_mov_b32 s15, -1
	s_mov_b32 s3, 0
	s_mov_b32 s1, 0
                                        ; implicit-def: $vgpr5
	s_branch .LBB153_1370
.LBB153_1359:
	s_or_b32 s14, s6, exec_lo
	s_trap 2
	s_cbranch_execz .LBB153_1262
	s_branch .LBB153_1263
.LBB153_1360:
	s_mov_b32 s15, -1
	s_mov_b32 s3, 0
	s_mov_b32 s1, 0
	s_branch .LBB153_1364
.LBB153_1361:
	s_andn2_saveexec_b32 s19, s19
	s_cbranch_execz .LBB153_1108
.LBB153_1362:
	v_add_f32_e64 v3, 0x42800000, |v2|
	s_andn2_b32 s18, s18, exec_lo
	v_and_b32_e32 v3, 0xff, v3
	v_cmp_ne_u32_e32 vcc_lo, 0, v3
	s_and_b32 s20, vcc_lo, exec_lo
	s_or_b32 s18, s18, s20
	s_or_b32 exec_lo, exec_lo, s19
	v_mov_b32_e32 v5, 0
	s_and_saveexec_b32 s19, s18
	s_cbranch_execnz .LBB153_1109
	s_branch .LBB153_1110
.LBB153_1363:
	s_mov_b32 s1, -1
	s_mov_b32 s3, 0
.LBB153_1364:
                                        ; implicit-def: $vgpr5
.LBB153_1365:
	s_and_b32 vcc_lo, exec_lo, s15
	s_cbranch_vccz .LBB153_1369
; %bb.1366:
	s_cmp_eq_u32 s4, 44
	s_cbranch_scc0 .LBB153_1368
; %bb.1367:
	global_load_ubyte v5, v[0:1], off
	s_mov_b32 s1, 0
	s_mov_b32 s3, -1
	s_waitcnt vmcnt(0)
	v_lshlrev_b32_e32 v7, 23, v5
	v_cmp_ne_u32_e32 vcc_lo, 0xff, v5
	v_cvt_f16_f32_e32 v7, v7
	v_cndmask_b32_e32 v7, 0x7e00, v7, vcc_lo
	v_cmp_ne_u32_e32 vcc_lo, 0, v5
	v_cndmask_b32_e32 v5, 0, v7, vcc_lo
	s_branch .LBB153_1369
.LBB153_1368:
	s_mov_b32 s1, -1
                                        ; implicit-def: $vgpr5
.LBB153_1369:
	s_mov_b32 s15, 0
.LBB153_1370:
	s_and_b32 vcc_lo, exec_lo, s15
	s_cbranch_vccz .LBB153_1374
; %bb.1371:
	s_cmp_eq_u32 s4, 29
	s_cbranch_scc0 .LBB153_1373
; %bb.1372:
	global_load_dwordx2 v[9:10], v[0:1], off
	s_mov_b32 s1, 0
	s_mov_b32 s3, -1
	s_mov_b32 s15, 0
	s_waitcnt vmcnt(0)
	v_ffbh_u32_e32 v5, v10
	v_min_u32_e32 v5, 32, v5
	v_lshlrev_b64 v[9:10], v5, v[9:10]
	v_sub_nc_u32_e32 v5, 32, v5
	v_min_u32_e32 v7, 1, v9
	v_or_b32_e32 v7, v10, v7
	v_cvt_f32_u32_e32 v7, v7
	v_ldexp_f32 v5, v7, v5
	v_cvt_f16_f32_e32 v5, v5
	s_branch .LBB153_1375
.LBB153_1373:
	s_mov_b32 s1, -1
                                        ; implicit-def: $vgpr5
.LBB153_1374:
	s_mov_b32 s15, 0
.LBB153_1375:
	s_and_b32 vcc_lo, exec_lo, s15
	s_cbranch_vccz .LBB153_1393
; %bb.1376:
	s_cmp_lt_i32 s4, 27
	s_cbranch_scc1 .LBB153_1379
; %bb.1377:
	s_cmp_gt_i32 s4, 27
	s_cbranch_scc0 .LBB153_1380
; %bb.1378:
	global_load_dword v5, v[0:1], off
	s_mov_b32 s3, 0
	s_waitcnt vmcnt(0)
	v_cvt_f32_u32_e32 v5, v5
	v_cvt_f16_f32_e32 v5, v5
	s_branch .LBB153_1381
.LBB153_1379:
	s_mov_b32 s3, -1
                                        ; implicit-def: $vgpr5
	s_branch .LBB153_1384
.LBB153_1380:
	s_mov_b32 s3, -1
                                        ; implicit-def: $vgpr5
.LBB153_1381:
	s_andn2_b32 vcc_lo, exec_lo, s3
	s_cbranch_vccnz .LBB153_1383
; %bb.1382:
	global_load_ushort v5, v[0:1], off
	s_waitcnt vmcnt(0)
	v_cvt_f16_u16_e32 v5, v5
.LBB153_1383:
	s_mov_b32 s3, 0
.LBB153_1384:
	s_andn2_b32 vcc_lo, exec_lo, s3
	s_cbranch_vccnz .LBB153_1392
; %bb.1385:
	global_load_ubyte v7, v[0:1], off
	s_mov_b32 s3, 0
	s_mov_b32 s15, exec_lo
	s_waitcnt vmcnt(0)
	v_cmpx_lt_i16_e32 0x7f, v7
	s_xor_b32 s15, exec_lo, s15
	s_cbranch_execz .LBB153_1405
; %bb.1386:
	s_mov_b32 s3, -1
	s_mov_b32 s16, exec_lo
	v_cmpx_eq_u16_e32 0x80, v7
; %bb.1387:
	s_xor_b32 s3, exec_lo, -1
; %bb.1388:
	s_or_b32 exec_lo, exec_lo, s16
	s_and_b32 s3, s3, exec_lo
	s_or_saveexec_b32 s15, s15
	v_mov_b32_e32 v5, 0x7e00
	s_xor_b32 exec_lo, exec_lo, s15
	s_cbranch_execnz .LBB153_1406
.LBB153_1389:
	s_or_b32 exec_lo, exec_lo, s15
	s_and_saveexec_b32 s15, s3
	s_cbranch_execz .LBB153_1391
.LBB153_1390:
	v_and_b32_e32 v5, 0xffff, v7
	v_lshlrev_b32_e32 v7, 24, v7
	v_and_b32_e32 v9, 7, v5
	v_bfe_u32 v12, v5, 3, 4
	v_and_b32_e32 v7, 0x80000000, v7
	v_ffbh_u32_e32 v10, v9
	v_cmp_eq_u32_e32 vcc_lo, 0, v12
	v_min_u32_e32 v10, 32, v10
	v_subrev_nc_u32_e32 v11, 28, v10
	v_sub_nc_u32_e32 v10, 29, v10
	v_lshlrev_b32_e32 v5, v11, v5
	v_cndmask_b32_e32 v10, v12, v10, vcc_lo
	v_and_b32_e32 v5, 7, v5
	v_cndmask_b32_e32 v5, v9, v5, vcc_lo
	v_lshl_add_u32 v9, v10, 23, 0x3b800000
	v_lshlrev_b32_e32 v5, 20, v5
	v_or3_b32 v5, v7, v9, v5
	v_cvt_f16_f32_e32 v5, v5
.LBB153_1391:
	s_or_b32 exec_lo, exec_lo, s15
.LBB153_1392:
	s_mov_b32 s3, -1
.LBB153_1393:
	s_branch .LBB153_1426
.LBB153_1394:
	s_cmp_gt_i32 s4, 22
	s_cbranch_scc0 .LBB153_1404
; %bb.1395:
	s_cmp_lt_i32 s4, 24
	s_cbranch_scc1 .LBB153_1407
; %bb.1396:
	s_cmp_gt_i32 s4, 24
	s_cbranch_scc0 .LBB153_1408
; %bb.1397:
	global_load_ubyte v7, v[0:1], off
	s_mov_b32 s3, exec_lo
	s_waitcnt vmcnt(0)
	v_cmpx_lt_i16_e32 0x7f, v7
	s_xor_b32 s3, exec_lo, s3
	s_cbranch_execz .LBB153_1420
; %bb.1398:
	s_mov_b32 s2, -1
	s_mov_b32 s15, exec_lo
	v_cmpx_eq_u16_e32 0x80, v7
; %bb.1399:
	s_xor_b32 s2, exec_lo, -1
; %bb.1400:
	s_or_b32 exec_lo, exec_lo, s15
	s_and_b32 s2, s2, exec_lo
	s_or_saveexec_b32 s3, s3
	v_mov_b32_e32 v5, 0x7e00
	s_xor_b32 exec_lo, exec_lo, s3
	s_cbranch_execnz .LBB153_1421
.LBB153_1401:
	s_or_b32 exec_lo, exec_lo, s3
	s_and_saveexec_b32 s3, s2
	s_cbranch_execz .LBB153_1403
.LBB153_1402:
	v_and_b32_e32 v5, 0xffff, v7
	v_lshlrev_b32_e32 v7, 24, v7
	v_and_b32_e32 v9, 3, v5
	v_bfe_u32 v12, v5, 2, 5
	v_and_b32_e32 v7, 0x80000000, v7
	v_ffbh_u32_e32 v10, v9
	v_cmp_eq_u32_e32 vcc_lo, 0, v12
	v_min_u32_e32 v10, 32, v10
	v_subrev_nc_u32_e32 v11, 29, v10
	v_sub_nc_u32_e32 v10, 30, v10
	v_lshlrev_b32_e32 v5, v11, v5
	v_cndmask_b32_e32 v10, v12, v10, vcc_lo
	v_and_b32_e32 v5, 3, v5
	v_cndmask_b32_e32 v5, v9, v5, vcc_lo
	v_lshl_add_u32 v9, v10, 23, 0x37800000
	v_lshlrev_b32_e32 v5, 21, v5
	v_or3_b32 v5, v7, v9, v5
	v_cvt_f16_f32_e32 v5, v5
.LBB153_1403:
	s_or_b32 exec_lo, exec_lo, s3
	s_mov_b32 s2, 0
	s_branch .LBB153_1409
.LBB153_1404:
	s_mov_b32 s2, -1
                                        ; implicit-def: $vgpr5
	s_branch .LBB153_1415
.LBB153_1405:
	s_or_saveexec_b32 s15, s15
	v_mov_b32_e32 v5, 0x7e00
	s_xor_b32 exec_lo, exec_lo, s15
	s_cbranch_execz .LBB153_1389
.LBB153_1406:
	v_cmp_ne_u16_e32 vcc_lo, 0, v7
	v_mov_b32_e32 v5, v7
	s_andn2_b32 s3, s3, exec_lo
	s_and_b32 s16, vcc_lo, exec_lo
	s_or_b32 s3, s3, s16
	s_or_b32 exec_lo, exec_lo, s15
	s_and_saveexec_b32 s15, s3
	s_cbranch_execnz .LBB153_1390
	s_branch .LBB153_1391
.LBB153_1407:
	s_mov_b32 s2, -1
                                        ; implicit-def: $vgpr5
	s_branch .LBB153_1412
.LBB153_1408:
	s_mov_b32 s2, -1
                                        ; implicit-def: $vgpr5
.LBB153_1409:
	s_and_b32 vcc_lo, exec_lo, s2
	s_cbranch_vccz .LBB153_1411
; %bb.1410:
	global_load_ubyte v5, v[0:1], off
	s_waitcnt vmcnt(0)
	v_lshlrev_b32_e32 v5, 24, v5
	v_and_b32_e32 v7, 0x7f000000, v5
	v_ffbh_u32_e32 v9, v7
	v_add_nc_u32_e32 v11, 0x1000000, v7
	v_cmp_ne_u32_e32 vcc_lo, 0, v7
	v_min_u32_e32 v9, 32, v9
	v_sub_nc_u32_e64 v9, v9, 4 clamp
	v_lshlrev_b32_e32 v10, v9, v7
	v_lshlrev_b32_e32 v9, 23, v9
	v_lshrrev_b32_e32 v10, 4, v10
	v_sub_nc_u32_e32 v9, v10, v9
	v_ashrrev_i32_e32 v10, 8, v11
	v_add_nc_u32_e32 v9, 0x3c000000, v9
	v_and_or_b32 v9, 0x7f800000, v10, v9
	v_cndmask_b32_e32 v7, 0, v9, vcc_lo
	v_and_or_b32 v5, 0x80000000, v5, v7
	v_cvt_f16_f32_e32 v5, v5
.LBB153_1411:
	s_mov_b32 s2, 0
.LBB153_1412:
	s_andn2_b32 vcc_lo, exec_lo, s2
	s_cbranch_vccnz .LBB153_1414
; %bb.1413:
	global_load_ubyte v5, v[0:1], off
	s_waitcnt vmcnt(0)
	v_lshlrev_b32_e32 v7, 25, v5
	v_lshlrev_b16 v5, 8, v5
	v_lshrrev_b32_e32 v9, 4, v7
	v_and_or_b32 v10, 0x7f00, v5, 0.5
	v_cmp_gt_u32_e32 vcc_lo, 0x8000000, v7
	v_bfe_i32 v5, v5, 0, 16
	v_or_b32_e32 v9, 0x70000000, v9
	v_add_f32_e32 v10, -0.5, v10
	v_mul_f32_e32 v9, 0x7800000, v9
	v_cndmask_b32_e32 v7, v9, v10, vcc_lo
	v_and_or_b32 v5, 0x80000000, v5, v7
	v_cvt_f16_f32_e32 v5, v5
.LBB153_1414:
	s_mov_b32 s2, 0
	s_mov_b32 s3, -1
.LBB153_1415:
	s_andn2_b32 vcc_lo, exec_lo, s2
	s_mov_b32 s2, 0
	s_cbranch_vccnz .LBB153_1426
; %bb.1416:
	s_cmp_gt_i32 s4, 14
	s_cbranch_scc0 .LBB153_1419
; %bb.1417:
	s_cmp_eq_u32 s4, 15
	s_cbranch_scc0 .LBB153_1422
; %bb.1418:
	global_load_ushort v5, v[0:1], off
	s_mov_b32 s1, 0
	s_mov_b32 s3, -1
	s_waitcnt vmcnt(0)
	v_lshlrev_b32_e32 v5, 16, v5
	v_cvt_f16_f32_e32 v5, v5
	s_branch .LBB153_1424
.LBB153_1419:
	s_mov_b32 s2, -1
	s_branch .LBB153_1423
.LBB153_1420:
	s_or_saveexec_b32 s3, s3
	v_mov_b32_e32 v5, 0x7e00
	s_xor_b32 exec_lo, exec_lo, s3
	s_cbranch_execz .LBB153_1401
.LBB153_1421:
	v_cmp_ne_u16_e32 vcc_lo, 0, v7
	v_mov_b32_e32 v5, v7
	s_andn2_b32 s2, s2, exec_lo
	s_and_b32 s15, vcc_lo, exec_lo
	s_or_b32 s2, s2, s15
	s_or_b32 exec_lo, exec_lo, s3
	s_and_saveexec_b32 s3, s2
	s_cbranch_execnz .LBB153_1402
	s_branch .LBB153_1403
.LBB153_1422:
	s_mov_b32 s1, -1
.LBB153_1423:
                                        ; implicit-def: $vgpr5
.LBB153_1424:
	s_and_b32 vcc_lo, exec_lo, s2
	s_mov_b32 s2, 0
	s_cbranch_vccz .LBB153_1426
; %bb.1425:
	s_cmp_lg_u32 s4, 11
	s_mov_b32 s2, -1
	s_cselect_b32 s1, -1, 0
.LBB153_1426:
	s_and_b32 vcc_lo, exec_lo, s1
	s_cbranch_vccnz .LBB153_1527
; %bb.1427:
	s_andn2_b32 vcc_lo, exec_lo, s2
	s_cbranch_vccnz .LBB153_1429
.LBB153_1428:
	global_load_ubyte v5, v[0:1], off
	s_mov_b32 s3, -1
	s_waitcnt vmcnt(0)
	v_cmp_ne_u16_e32 vcc_lo, 0, v5
	v_cndmask_b32_e64 v5, 0, 0x3c00, vcc_lo
.LBB153_1429:
	s_branch .LBB153_1355
.LBB153_1430:
	s_cmp_lt_i32 s4, 5
	s_cbranch_scc1 .LBB153_1435
; %bb.1431:
	s_cmp_lt_i32 s4, 8
	s_cbranch_scc1 .LBB153_1436
; %bb.1432:
	;; [unrolled: 3-line block ×3, first 2 shown]
	s_cmp_gt_i32 s4, 9
	s_cbranch_scc0 .LBB153_1438
; %bb.1434:
	global_load_dwordx2 v[9:10], v[0:1], off
	s_mov_b32 s1, 0
	s_waitcnt vmcnt(0)
	v_and_or_b32 v5, 0x1ff, v10, v9
	v_lshrrev_b32_e32 v7, 8, v10
	v_bfe_u32 v9, v10, 20, 11
	v_cmp_ne_u32_e32 vcc_lo, 0, v5
	v_sub_nc_u32_e32 v11, 0x3f1, v9
	v_add_nc_u32_e32 v9, 0xfffffc10, v9
	v_cndmask_b32_e64 v5, 0, 1, vcc_lo
	v_and_or_b32 v5, 0xffe, v7, v5
	v_med3_i32 v7, v11, 0, 13
	v_or_b32_e32 v11, 0x1000, v5
	v_lshrrev_b32_e32 v12, v7, v11
	v_lshlrev_b32_e32 v7, v7, v12
	v_cmp_ne_u32_e32 vcc_lo, v7, v11
	v_lshl_or_b32 v11, v9, 12, v5
	v_cndmask_b32_e64 v7, 0, 1, vcc_lo
	v_cmp_gt_i32_e32 vcc_lo, 1, v9
	v_or_b32_e32 v7, v12, v7
	v_cndmask_b32_e32 v7, v11, v7, vcc_lo
	v_and_b32_e32 v11, 7, v7
	v_lshrrev_b32_e32 v7, 2, v7
	v_cmp_lt_i32_e32 vcc_lo, 5, v11
	v_cndmask_b32_e64 v12, 0, 1, vcc_lo
	v_cmp_eq_u32_e32 vcc_lo, 3, v11
	v_cndmask_b32_e64 v11, 0, 1, vcc_lo
	v_cmp_ne_u32_e32 vcc_lo, 0, v5
	v_or_b32_e32 v11, v11, v12
	v_mov_b32_e32 v12, 0x7e00
	v_add_nc_u32_e32 v7, v7, v11
	v_cndmask_b32_e32 v5, 0x7c00, v12, vcc_lo
	v_cmp_gt_i32_e32 vcc_lo, 31, v9
	v_cndmask_b32_e32 v7, 0x7c00, v7, vcc_lo
	v_cmp_eq_u32_e32 vcc_lo, 0x40f, v9
	v_cndmask_b32_e32 v5, v7, v5, vcc_lo
	v_lshrrev_b32_e32 v7, 16, v10
	v_and_or_b32 v5, 0x8000, v7, v5
	s_branch .LBB153_1439
.LBB153_1435:
                                        ; implicit-def: $vgpr5
	s_branch .LBB153_1457
.LBB153_1436:
	s_mov_b32 s1, -1
                                        ; implicit-def: $vgpr5
	s_branch .LBB153_1445
.LBB153_1437:
	s_mov_b32 s1, -1
                                        ; implicit-def: $vgpr5
	s_branch .LBB153_1442
.LBB153_1438:
	s_mov_b32 s1, -1
                                        ; implicit-def: $vgpr5
.LBB153_1439:
	s_andn2_b32 vcc_lo, exec_lo, s1
	s_cbranch_vccnz .LBB153_1441
; %bb.1440:
	global_load_dword v5, v[0:1], off
	s_waitcnt vmcnt(0)
	v_cvt_f16_f32_e32 v5, v5
.LBB153_1441:
	s_mov_b32 s1, 0
.LBB153_1442:
	s_andn2_b32 vcc_lo, exec_lo, s1
	s_cbranch_vccnz .LBB153_1444
; %bb.1443:
	global_load_dword v5, v[0:1], off
.LBB153_1444:
	s_mov_b32 s1, 0
.LBB153_1445:
	s_andn2_b32 vcc_lo, exec_lo, s1
	s_cbranch_vccnz .LBB153_1456
; %bb.1446:
	s_cmp_lt_i32 s4, 6
	s_cbranch_scc1 .LBB153_1449
; %bb.1447:
	s_cmp_gt_i32 s4, 6
	s_cbranch_scc0 .LBB153_1450
; %bb.1448:
	global_load_dwordx2 v[9:10], v[0:1], off
	s_mov_b32 s1, 0
	s_waitcnt vmcnt(0)
	v_and_or_b32 v5, 0x1ff, v10, v9
	v_lshrrev_b32_e32 v7, 8, v10
	v_bfe_u32 v9, v10, 20, 11
	v_cmp_ne_u32_e32 vcc_lo, 0, v5
	v_sub_nc_u32_e32 v11, 0x3f1, v9
	v_add_nc_u32_e32 v9, 0xfffffc10, v9
	v_cndmask_b32_e64 v5, 0, 1, vcc_lo
	v_and_or_b32 v5, 0xffe, v7, v5
	v_med3_i32 v7, v11, 0, 13
	v_or_b32_e32 v11, 0x1000, v5
	v_lshrrev_b32_e32 v12, v7, v11
	v_lshlrev_b32_e32 v7, v7, v12
	v_cmp_ne_u32_e32 vcc_lo, v7, v11
	v_lshl_or_b32 v11, v9, 12, v5
	v_cndmask_b32_e64 v7, 0, 1, vcc_lo
	v_cmp_gt_i32_e32 vcc_lo, 1, v9
	v_or_b32_e32 v7, v12, v7
	v_cndmask_b32_e32 v7, v11, v7, vcc_lo
	v_and_b32_e32 v11, 7, v7
	v_lshrrev_b32_e32 v7, 2, v7
	v_cmp_lt_i32_e32 vcc_lo, 5, v11
	v_cndmask_b32_e64 v12, 0, 1, vcc_lo
	v_cmp_eq_u32_e32 vcc_lo, 3, v11
	v_cndmask_b32_e64 v11, 0, 1, vcc_lo
	v_cmp_ne_u32_e32 vcc_lo, 0, v5
	v_or_b32_e32 v11, v11, v12
	v_mov_b32_e32 v12, 0x7e00
	v_add_nc_u32_e32 v7, v7, v11
	v_cndmask_b32_e32 v5, 0x7c00, v12, vcc_lo
	v_cmp_gt_i32_e32 vcc_lo, 31, v9
	v_cndmask_b32_e32 v7, 0x7c00, v7, vcc_lo
	v_cmp_eq_u32_e32 vcc_lo, 0x40f, v9
	v_cndmask_b32_e32 v5, v7, v5, vcc_lo
	v_lshrrev_b32_e32 v7, 16, v10
	v_and_or_b32 v5, 0x8000, v7, v5
	s_branch .LBB153_1451
.LBB153_1449:
	s_mov_b32 s1, -1
                                        ; implicit-def: $vgpr5
	s_branch .LBB153_1454
.LBB153_1450:
	s_mov_b32 s1, -1
                                        ; implicit-def: $vgpr5
.LBB153_1451:
	s_andn2_b32 vcc_lo, exec_lo, s1
	s_cbranch_vccnz .LBB153_1453
; %bb.1452:
	global_load_dword v5, v[0:1], off
	s_waitcnt vmcnt(0)
	v_cvt_f16_f32_e32 v5, v5
.LBB153_1453:
	s_mov_b32 s1, 0
.LBB153_1454:
	s_andn2_b32 vcc_lo, exec_lo, s1
	s_cbranch_vccnz .LBB153_1456
; %bb.1455:
	global_load_ushort v5, v[0:1], off
.LBB153_1456:
	s_cbranch_execnz .LBB153_1476
.LBB153_1457:
	s_cmp_lt_i32 s4, 2
	s_cbranch_scc1 .LBB153_1461
; %bb.1458:
	s_cmp_lt_i32 s4, 3
	s_cbranch_scc1 .LBB153_1462
; %bb.1459:
	s_cmp_gt_i32 s4, 3
	s_cbranch_scc0 .LBB153_1463
; %bb.1460:
	global_load_dwordx2 v[9:10], v[0:1], off
	s_mov_b32 s1, 0
	s_waitcnt vmcnt(0)
	v_xor_b32_e32 v5, v9, v10
	v_ffbh_i32_e32 v7, v10
	v_ashrrev_i32_e32 v5, 31, v5
	v_add_nc_u32_e32 v7, -1, v7
	v_add_nc_u32_e32 v5, 32, v5
	v_min_u32_e32 v5, v7, v5
	v_lshlrev_b64 v[9:10], v5, v[9:10]
	v_sub_nc_u32_e32 v5, 32, v5
	v_min_u32_e32 v7, 1, v9
	v_or_b32_e32 v7, v10, v7
	v_cvt_f32_i32_e32 v7, v7
	v_ldexp_f32 v5, v7, v5
	v_cvt_f16_f32_e32 v5, v5
	s_branch .LBB153_1464
.LBB153_1461:
	s_mov_b32 s1, -1
                                        ; implicit-def: $vgpr5
	s_branch .LBB153_1470
.LBB153_1462:
	s_mov_b32 s1, -1
                                        ; implicit-def: $vgpr5
	s_branch .LBB153_1467
.LBB153_1463:
	s_mov_b32 s1, -1
                                        ; implicit-def: $vgpr5
.LBB153_1464:
	s_andn2_b32 vcc_lo, exec_lo, s1
	s_cbranch_vccnz .LBB153_1466
; %bb.1465:
	global_load_dword v5, v[0:1], off
	s_waitcnt vmcnt(0)
	v_cvt_f32_i32_e32 v5, v5
	v_cvt_f16_f32_e32 v5, v5
.LBB153_1466:
	s_mov_b32 s1, 0
.LBB153_1467:
	s_andn2_b32 vcc_lo, exec_lo, s1
	s_cbranch_vccnz .LBB153_1469
; %bb.1468:
	global_load_ushort v5, v[0:1], off
	s_waitcnt vmcnt(0)
	v_cvt_f16_i16_e32 v5, v5
.LBB153_1469:
	s_mov_b32 s1, 0
.LBB153_1470:
	s_andn2_b32 vcc_lo, exec_lo, s1
	s_cbranch_vccnz .LBB153_1476
; %bb.1471:
	s_cmp_gt_i32 s4, 0
	s_mov_b32 s1, 0
	s_cbranch_scc0 .LBB153_1473
; %bb.1472:
	global_load_sbyte v5, v[0:1], off
	s_waitcnt vmcnt(0)
	v_cvt_f16_i16_e32 v5, v5
	s_branch .LBB153_1474
.LBB153_1473:
	s_mov_b32 s1, -1
                                        ; implicit-def: $vgpr5
.LBB153_1474:
	s_andn2_b32 vcc_lo, exec_lo, s1
	s_cbranch_vccnz .LBB153_1476
; %bb.1475:
	global_load_ubyte v0, v[0:1], off
	s_waitcnt vmcnt(0)
	v_cvt_f16_u16_e32 v5, v0
.LBB153_1476:
.LBB153_1477:
	s_waitcnt vmcnt(0)
	v_cvt_f32_f16_e32 v7, v5
	s_mov_b32 s2, exec_lo
                                        ; implicit-def: $vgpr9
	v_and_b32_e32 v0, 0x7fffffff, v7
	v_cmpx_ngt_f32_e64 0x3c800000, |v7|
	s_xor_b32 s2, exec_lo, s2
	s_cbranch_execz .LBB153_1507
; %bb.1478:
	s_mov_b32 s3, exec_lo
                                        ; implicit-def: $vgpr9
	v_cmpx_nlt_f32_e64 |v7|, 2.0
	s_xor_b32 s3, exec_lo, s3
	s_cbranch_execz .LBB153_1488
; %bb.1479:
	v_cmp_ngt_f32_e64 s1, 0x41000000, |v7|
                                        ; implicit-def: $vgpr9
	s_and_saveexec_b32 s15, s1
	s_xor_b32 s1, exec_lo, s15
	s_cbranch_execz .LBB153_1485
; %bb.1480:
	v_cmp_ngt_f32_e64 s15, 0x5c800000, |v7|
                                        ; implicit-def: $vgpr9
	s_and_saveexec_b32 s16, s15
	s_xor_b32 s15, exec_lo, s16
	s_cbranch_execz .LBB153_1482
; %bb.1481:
	v_cmp_gt_f32_e64 s16, 0x800000, |v7|
	v_cndmask_b32_e64 v1, 0, 32, s16
	v_ldexp_f32 v1, |v7|, v1
	v_log_f32_e32 v1, v1
	v_mul_f32_e32 v9, 0x3f317217, v1
	v_cmp_gt_f32_e64 vcc_lo, 0x7f800000, |v1|
	v_fma_f32 v10, 0x3f317217, v1, -v9
	v_fmamk_f32 v10, v1, 0x3377d1cf, v10
	v_add_f32_e32 v9, v9, v10
	v_cndmask_b32_e32 v1, v1, v9, vcc_lo
	v_cndmask_b32_e64 v9, 0, 0x41b17218, s16
	v_sub_f32_e32 v1, v1, v9
	v_fma_f32 v9, |v7|, v1, -|v7|
.LBB153_1482:
	s_andn2_saveexec_b32 s15, s15
	s_cbranch_execz .LBB153_1484
; %bb.1483:
	v_cmp_gt_f32_e64 s16, 0x800000, |v7|
	v_rcp_f32_e64 v9, |v7|
	s_mov_b32 s17, 0xbad5c4e8
	v_cndmask_b32_e64 v1, 0, 32, s16
	v_ldexp_f32 v1, |v7|, v1
	v_mul_f32_e32 v10, v9, v9
	v_log_f32_e32 v1, v1
	v_fmaak_f32 v12, s17, v10, 0x3a5b3dd2
	v_fmaak_f32 v12, v10, v12, 0xba1c065c
	v_mul_f32_e32 v11, 0x3f317217, v1
	v_fmaak_f32 v12, v10, v12, 0x3a500cfd
	v_cmp_gt_f32_e64 vcc_lo, 0x7f800000, |v1|
	v_fma_f32 v13, 0x3f317217, v1, -v11
	v_fmaak_f32 v12, v10, v12, 0xbb360b61
	v_fmamk_f32 v13, v1, 0x3377d1cf, v13
	v_fmaak_f32 v10, v10, v12, 0x3daaaaab
	v_add_f32_e32 v11, v11, v13
	v_fmaak_f32 v9, v9, v10, 0x3ed67f1d
	v_add_f32_e64 v10, |v7|, -0.5
	v_cndmask_b32_e32 v1, v1, v11, vcc_lo
	v_cndmask_b32_e64 v11, 0, 0x41b17218, s16
	v_sub_f32_e32 v1, v1, v11
	v_add_f32_e32 v1, -1.0, v1
	v_fmac_f32_e32 v9, v10, v1
.LBB153_1484:
	s_or_b32 exec_lo, exec_lo, s15
.LBB153_1485:
	s_andn2_saveexec_b32 s15, s1
	s_cbranch_execz .LBB153_1487
; %bb.1486:
	v_cvt_i32_f32_e32 v1, v0
	s_mov_b32 s1, 0x36f5d7bd
	s_mov_b32 s16, 0x3805ff67
	v_cvt_f32_i32_e32 v9, v1
	v_cmp_lt_i32_e32 vcc_lo, 2, v1
	v_sub_f32_e64 v9, |v7|, v9
	v_add_f32_e32 v10, 2.0, v9
	v_add_f32_e32 v11, 0x40400000, v9
	v_add_f32_e32 v12, 4.0, v9
	v_add_f32_e32 v13, 0x40a00000, v9
	v_cndmask_b32_e32 v10, 1.0, v10, vcc_lo
	v_cmp_lt_i32_e32 vcc_lo, 3, v1
	v_cndmask_b32_e32 v11, 1.0, v11, vcc_lo
	v_cmp_lt_i32_e32 vcc_lo, 4, v1
	v_mul_f32_e32 v10, v10, v11
	v_cndmask_b32_e32 v12, 1.0, v12, vcc_lo
	v_cmp_lt_i32_e32 vcc_lo, 5, v1
	v_add_f32_e32 v11, 0x40c00000, v9
	v_mul_f32_e32 v10, v12, v10
	v_cndmask_b32_e32 v13, 1.0, v13, vcc_lo
	v_cmp_lt_i32_e32 vcc_lo, 6, v1
	v_fmaak_f32 v12, s16, v9, 0x3af135b4
	v_mul_f32_e32 v10, v13, v10
	v_cndmask_b32_e32 v1, 1.0, v11, vcc_lo
	v_mul_f32_e32 v1, v1, v10
	v_fmaak_f32 v10, s1, v9, 0x3a4beed6
	v_cmp_gt_f32_e32 vcc_lo, 0x800000, v1
	v_fmaak_f32 v10, v9, v10, 0x3c98bf54
	v_cndmask_b32_e64 v11, 0, 32, vcc_lo
	v_fmaak_f32 v10, v9, v10, 0x3e300f6e
	v_ldexp_f32 v1, v1, v11
	v_fmaak_f32 v11, v9, v12, 0x3cda40e4
	v_fmaak_f32 v10, v9, v10, 0x3f38d0c5
	v_log_f32_e32 v1, v1
	v_fmaak_f32 v11, v9, v11, 0x3e15dce6
	v_fmaak_f32 v10, v9, v10, 0x3fb22d3b
	;; [unrolled: 1-line block ×3, first 2 shown]
	v_fma_f32 v10, v9, v10, 1.0
	v_mul_f32_e32 v12, 0x3f317217, v1
	v_fmaak_f32 v11, v9, v11, 0x3e5c245a
	v_rcp_f32_e32 v10, v10
	v_cmp_gt_f32_e64 s1, 0x7f800000, |v1|
	v_fma_f32 v13, 0x3f317217, v1, -v12
	v_fmaak_f32 v11, v9, v11, 0xbd9e233f
	v_fmamk_f32 v13, v1, 0x3377d1cf, v13
	v_mul_f32_e32 v11, v9, v11
	v_add_f32_e32 v12, v12, v13
	v_mul_f32_e32 v10, v11, v10
	v_cndmask_b32_e64 v11, 0, 0x41b17218, vcc_lo
	v_cndmask_b32_e64 v1, v1, v12, s1
	v_fmac_f32_e32 v10, 0.5, v9
	v_sub_f32_e32 v1, v1, v11
	v_add_f32_e32 v9, v1, v10
.LBB153_1487:
	s_or_b32 exec_lo, exec_lo, s15
.LBB153_1488:
	s_andn2_saveexec_b32 s3, s3
	s_cbranch_execz .LBB153_1506
; %bb.1489:
	s_mov_b32 s15, exec_lo
                                        ; implicit-def: $vgpr9
                                        ; implicit-def: $vgpr10
                                        ; implicit-def: $vgpr1
	v_cmpx_ge_f32_e64 0x3f666666, |v7|
	s_xor_b32 s15, exec_lo, s15
	s_cbranch_execz .LBB153_1491
; %bb.1490:
	v_cmp_gt_f32_e64 s1, 0x800000, |v7|
	v_sub_f32_e64 v11, 1.0, |v7|
	v_cmp_gt_f32_e64 vcc_lo, 0x3f3b4a23, |v7|
	v_cndmask_b32_e64 v1, 0, 32, s1
	v_cndmask_b32_e64 v12, 0, 0x41b17218, s1
	v_ldexp_f32 v1, |v7|, v1
	v_log_f32_e32 v1, v1
	v_mul_f32_e32 v9, 0x3f317217, v1
	v_cmp_gt_f32_e64 s1, 0x7f800000, |v1|
	v_fma_f32 v10, 0x3f317217, v1, -v9
	v_fmamk_f32 v10, v1, 0x3377d1cf, v10
	v_add_f32_e32 v9, v9, v10
	v_add_f32_e64 v10, 0xbeec5b0c, |v7|
	v_cndmask_b32_e64 v1, v1, v9, s1
	v_cndmask_b32_e32 v9, v11, v10, vcc_lo
	v_cndmask_b32_e64 v10, 0, 1, vcc_lo
	v_cmp_gt_f32_e64 s1, 0x3e6d3309, |v7|
	v_sub_f32_e32 v11, v1, v12
	v_cndmask_b32_e64 v1, v9, |v7|, s1
	v_cndmask_b32_e64 v10, v10, 2, s1
	v_xor_b32_e32 v9, 0x80000000, v11
.LBB153_1491:
	s_andn2_saveexec_b32 s1, s15
	s_cbranch_execz .LBB153_1493
; %bb.1492:
	v_sub_f32_e64 v1, 2.0, |v7|
	v_add_f32_e64 v9, 0xbfbb16c3, |v7|
	v_cmp_gt_f32_e64 vcc_lo, 0x3fdda512, |v7|
	v_add_f32_e64 v10, |v7|, -1.0
	v_cndmask_b32_e32 v9, v1, v9, vcc_lo
	v_cndmask_b32_e64 v1, v1, 1.0, vcc_lo
	v_cmp_gt_f32_e64 vcc_lo, 0x3f9d70a4, |v7|
	v_cvt_i32_f32_e32 v11, v1
	v_cndmask_b32_e32 v1, v9, v10, vcc_lo
	v_mov_b32_e32 v9, 0
	v_cndmask_b32_e64 v10, v11, 2, vcc_lo
.LBB153_1493:
	s_or_b32 exec_lo, exec_lo, s1
	s_mov_b32 s1, exec_lo
	v_cmpx_lt_i32_e32 0, v10
	s_xor_b32 s1, exec_lo, s1
	s_cbranch_execz .LBB153_1501
; %bb.1494:
	s_mov_b32 s15, exec_lo
	v_cmpx_lt_i32_e32 1, v10
	s_xor_b32 s15, exec_lo, s15
	s_cbranch_execz .LBB153_1498
; %bb.1495:
	s_mov_b32 s16, exec_lo
	v_cmpx_eq_u32_e32 2, v10
	s_cbranch_execz .LBB153_1497
; %bb.1496:
	s_mov_b32 s17, 0x3b52d5db
	v_fmaak_f32 v10, s17, v1, 0x3dd572af
	s_mov_b32 s17, 0x3c5b3c5e
	v_fmaak_f32 v11, s17, v1, 0x3e6a7578
	v_fmaak_f32 v10, v1, v10, 0x3f44efdf
	;; [unrolled: 1-line block ×7, first 2 shown]
	v_fma_f32 v10, v1, v10, 1.0
	v_fmaak_f32 v11, v1, v11, 0xbd9e233f
	v_rcp_f32_e32 v10, v10
	v_mul_f32_e32 v11, v1, v11
	v_mul_f32_e32 v10, v11, v10
	v_fmac_f32_e32 v10, -0.5, v1
	v_add_f32_e32 v9, v9, v10
.LBB153_1497:
	s_or_b32 exec_lo, exec_lo, s16
                                        ; implicit-def: $vgpr1
.LBB153_1498:
	s_andn2_saveexec_b32 s15, s15
	s_cbranch_execz .LBB153_1500
; %bb.1499:
	v_mul_f32_e32 v10, v1, v1
	s_mov_b32 s16, 0xb9a3f927
	s_mov_b32 s17, 0x39afe9f7
	v_mul_f32_e32 v11, v1, v10
	v_fmaak_f32 v12, s16, v11, 0x3a66f867
	v_fmaak_f32 v13, s17, v11, 0xba0d3085
	s_mov_b32 s16, 0x39a57b6b
	v_fmaak_f32 v14, s16, v11, 0xbab7f476
	v_fmaak_f32 v12, v11, v12, 0xbb7177fe
	;; [unrolled: 1-line block ×9, first 2 shown]
	v_fmac_f32_e32 v12, v1, v13
	v_fmaak_f32 v1, v11, v14, 0x3ef7b95e
	v_fma_f32 v11, v11, -v12, 0xa2863e55
	v_fma_f32 v1, v10, v1, -v11
	v_add_f32_e32 v1, 0xbdf8cdce, v1
	v_add_f32_e32 v9, v9, v1
.LBB153_1500:
	s_or_b32 exec_lo, exec_lo, s15
                                        ; implicit-def: $vgpr10
                                        ; implicit-def: $vgpr1
.LBB153_1501:
	s_andn2_saveexec_b32 s1, s1
	s_cbranch_execz .LBB153_1505
; %bb.1502:
	s_mov_b32 s15, exec_lo
	v_cmpx_eq_u32_e32 0, v10
	s_cbranch_execz .LBB153_1504
; %bb.1503:
	v_mul_f32_e32 v10, v1, v1
	s_mov_b32 s16, 0x383c2c75
	v_fmaak_f32 v11, s16, v10, 0x38e28445
	s_mov_b32 s16, 0x37d383a2
	v_fmaak_f32 v12, s16, v10, 0x39679767
	v_fmaak_f32 v11, v10, v11, 0x3a05b634
	;; [unrolled: 1-line block ×9, first 2 shown]
	v_mul_f32_e32 v10, v10, v11
	v_fmac_f32_e32 v10, v1, v12
	v_fmac_f32_e32 v10, -0.5, v1
	v_add_f32_e32 v9, v9, v10
.LBB153_1504:
	s_or_b32 exec_lo, exec_lo, s15
.LBB153_1505:
	s_or_b32 exec_lo, exec_lo, s1
.LBB153_1506:
	s_or_b32 exec_lo, exec_lo, s3
.LBB153_1507:
	s_andn2_saveexec_b32 s1, s2
	s_cbranch_execz .LBB153_1509
; %bb.1508:
	v_cmp_gt_f32_e64 s2, 0x800000, |v7|
	s_mov_b32 s3, 0x3e8a8991
	v_fma_f32 v11, |v7|, s3, 0xbecd26ab
	v_cndmask_b32_e64 v1, 0, 32, s2
	v_ldexp_f32 v1, |v7|, v1
	v_log_f32_e32 v1, v1
	v_mul_f32_e32 v9, 0x3f317217, v1
	v_cmp_gt_f32_e64 vcc_lo, 0x7f800000, |v1|
	v_fma_f32 v10, 0x3f317217, v1, -v9
	v_fmamk_f32 v10, v1, 0x3377d1cf, v10
	v_add_f32_e32 v9, v9, v10
	v_fma_f32 v10, |v7|, v11, 0x3f528d33
	v_cndmask_b32_e32 v1, v1, v9, vcc_lo
	v_cndmask_b32_e64 v9, 0, 0x41b17218, s2
	v_fma_f32 v10, |v7|, v10, 0xbf13c468
	v_sub_f32_e32 v1, v1, v9
	v_fma_f32 v9, |v7|, v10, -v1
.LBB153_1509:
	s_or_b32 exec_lo, exec_lo, s1
	v_cmp_le_f16_e64 s1, 0, v5
	s_mov_b32 s2, exec_lo
	v_cmpx_nle_f16_e32 0, v5
	s_xor_b32 s3, exec_lo, s2
	s_cbranch_execz .LBB153_1513
; %bb.1510:
	v_cmp_gt_f32_e64 s2, 0x4b000000, |v7|
	v_cmp_lt_f32_e64 s15, 0x35000000, |v7|
	s_and_b32 s2, s2, s15
	s_and_saveexec_b32 s15, s2
	s_cbranch_execz .LBB153_1512
; %bb.1511:
	v_mul_f32_e64 v1, |v7|, 0.5
	v_cmp_gt_f32_e64 s2, |v7|, 1.0
	s_mov_b32 s16, 0x3d4be544
	v_xor_b32_e32 v0, v0, v7
	v_floor_f32_e32 v10, v1
	v_cmp_neq_f32_e32 vcc_lo, 0x7f800000, v1
	v_sub_f32_e32 v10, v1, v10
	v_min_f32_e32 v10, 0x3f7fffff, v10
	v_add_f32_e32 v10, v10, v10
	v_cndmask_b32_e32 v1, 0, v10, vcc_lo
	v_cndmask_b32_e64 v1, |v7|, v1, s2
	s_mov_b32 s2, 0x3e75aa41
	v_add_f32_e32 v10, v1, v1
	v_rndne_f32_e32 v10, v10
	v_fmac_f32_e32 v1, -0.5, v10
	v_cvt_i32_f32_e32 v10, v10
	v_mul_f32_e32 v11, v1, v1
	v_fmaak_f32 v12, s2, v11, 0xbf1f24be
	v_fmaak_f32 v13, s16, v11, 0x3e642e9d
	v_mul_f32_e32 v14, v1, v11
	v_fmaak_f32 v12, v11, v12, 0x40234736
	v_fmaak_f32 v13, v11, v13, 0xbfaad1da
	;; [unrolled: 1-line block ×4, first 2 shown]
	v_mul_f32_e32 v12, v14, v12
	v_fmaak_f32 v13, v11, v13, 0xc09de9e6
	v_and_b32_e32 v14, 1, v10
	v_lshlrev_b32_e32 v10, 30, v10
	v_fmamk_f32 v1, v1, 0x40490fdb, v12
	v_fma_f32 v11, v11, v13, 1.0
	v_cmp_eq_u32_e32 vcc_lo, 0, v14
	v_and_b32_e32 v10, 0x80000000, v10
	v_cndmask_b32_e32 v1, v11, v1, vcc_lo
	v_xor3_b32 v0, v0, v10, v1
	v_mul_f32_e32 v0, v7, v0
	v_frexp_mant_f32_e64 v1, |v0|
	v_frexp_exp_i32_f32_e32 v0, v0
	v_rcp_f32_e32 v1, v1
	v_sub_nc_u32_e32 v0, 2, v0
	v_mul_f32_e32 v1, 0x3f490fdb, v1
	v_ldexp_f32 v0, v1, v0
	v_cmp_gt_f32_e32 vcc_lo, 0x800000, v0
	v_cndmask_b32_e64 v1, 0, 32, vcc_lo
	v_ldexp_f32 v0, v0, v1
	v_log_f32_e32 v0, v0
	v_mul_f32_e32 v1, 0x3f317217, v0
	v_cmp_gt_f32_e64 s2, 0x7f800000, |v0|
	v_fma_f32 v10, 0x3f317217, v0, -v1
	v_fmamk_f32 v10, v0, 0x3377d1cf, v10
	v_add_f32_e32 v1, v1, v10
	v_floor_f32_e32 v10, v7
	v_cndmask_b32_e64 v0, v0, v1, s2
	v_cndmask_b32_e64 v1, 0, 0x41b17218, vcc_lo
	v_sub_f32_e32 v10, v7, v10
	v_sub_f32_e32 v0, v0, v1
	v_min_f32_e32 v1, 0x3f7fffff, v10
	v_sub_f32_e32 v0, v0, v9
	v_cmp_neq_f32_e32 vcc_lo, 0, v1
	v_cndmask_b32_e32 v9, 0x7f800000, v0, vcc_lo
.LBB153_1512:
	s_or_b32 exec_lo, exec_lo, s15
.LBB153_1513:
	s_andn2_saveexec_b32 s3, s3
; %bb.1514:
	v_cmp_eq_f16_e32 vcc_lo, 1.0, v5
	v_cmp_eq_f16_e64 s2, 2.0, v5
	s_or_b32 s2, vcc_lo, s2
	v_cndmask_b32_e64 v9, v9, 0, s2
; %bb.1515:
	s_or_b32 exec_lo, exec_lo, s3
	v_add_nc_u32_e32 v11, s13, v8
	s_cmp_lt_i32 s4, 11
	v_ashrrev_i32_e32 v1, 31, v11
	v_add_co_u32 v0, vcc_lo, s10, v11
	v_add_co_ci_u32_e64 v1, null, s11, v1, vcc_lo
	s_cbranch_scc1 .LBB153_1522
; %bb.1516:
	s_cmp_gt_i32 s4, 25
	s_mov_b32 s3, 0
	s_cbranch_scc0 .LBB153_1524
; %bb.1517:
	s_cmp_gt_i32 s4, 28
	s_cbranch_scc0 .LBB153_1525
; %bb.1518:
	s_cmp_gt_i32 s4, 43
	;; [unrolled: 3-line block ×3, first 2 shown]
	s_cbranch_scc0 .LBB153_1528
; %bb.1520:
	s_cmp_eq_u32 s4, 46
	s_mov_b32 s16, 0
	s_cbranch_scc0 .LBB153_1529
; %bb.1521:
	global_load_dword v8, v[0:1], off
	s_mov_b32 s2, 0
	s_mov_b32 s15, -1
	s_waitcnt vmcnt(0)
	v_lshlrev_b32_e32 v8, 16, v8
	v_cvt_f16_f32_e32 v8, v8
	s_branch .LBB153_1531
.LBB153_1522:
	s_mov_b32 s15, 0
                                        ; implicit-def: $vgpr8
	s_cbranch_execnz .LBB153_1597
.LBB153_1523:
	s_andn2_b32 vcc_lo, exec_lo, s15
	s_cbranch_vccnz .LBB153_2285
	s_branch .LBB153_1645
.LBB153_1524:
	s_mov_b32 s16, -1
	s_mov_b32 s15, 0
	s_mov_b32 s2, 0
                                        ; implicit-def: $vgpr8
	s_branch .LBB153_1560
.LBB153_1525:
	s_mov_b32 s16, -1
	s_mov_b32 s15, 0
	s_mov_b32 s2, 0
                                        ; implicit-def: $vgpr8
	s_branch .LBB153_1541
.LBB153_1526:
	s_mov_b32 s16, -1
	s_mov_b32 s15, 0
	s_mov_b32 s2, 0
                                        ; implicit-def: $vgpr8
	s_branch .LBB153_1536
.LBB153_1527:
	s_or_b32 s14, s14, exec_lo
	s_trap 2
	s_cbranch_execz .LBB153_1428
	s_branch .LBB153_1429
.LBB153_1528:
	s_mov_b32 s16, -1
	s_mov_b32 s15, 0
	s_mov_b32 s2, 0
	s_branch .LBB153_1530
.LBB153_1529:
	s_mov_b32 s2, -1
	s_mov_b32 s15, 0
.LBB153_1530:
                                        ; implicit-def: $vgpr8
.LBB153_1531:
	s_and_b32 vcc_lo, exec_lo, s16
	s_cbranch_vccz .LBB153_1535
; %bb.1532:
	s_cmp_eq_u32 s4, 44
	s_cbranch_scc0 .LBB153_1534
; %bb.1533:
	global_load_ubyte v8, v[0:1], off
	s_mov_b32 s2, 0
	s_mov_b32 s15, -1
	s_waitcnt vmcnt(0)
	v_lshlrev_b32_e32 v10, 23, v8
	v_cmp_ne_u32_e32 vcc_lo, 0xff, v8
	v_cvt_f16_f32_e32 v10, v10
	v_cndmask_b32_e32 v10, 0x7e00, v10, vcc_lo
	v_cmp_ne_u32_e32 vcc_lo, 0, v8
	v_cndmask_b32_e32 v8, 0, v10, vcc_lo
	s_branch .LBB153_1535
.LBB153_1534:
	s_mov_b32 s2, -1
                                        ; implicit-def: $vgpr8
.LBB153_1535:
	s_mov_b32 s16, 0
.LBB153_1536:
	s_and_b32 vcc_lo, exec_lo, s16
	s_cbranch_vccz .LBB153_1540
; %bb.1537:
	s_cmp_eq_u32 s4, 29
	s_cbranch_scc0 .LBB153_1539
; %bb.1538:
	global_load_dwordx2 v[12:13], v[0:1], off
	s_mov_b32 s2, 0
	s_mov_b32 s15, -1
	s_mov_b32 s16, 0
	s_waitcnt vmcnt(0)
	v_ffbh_u32_e32 v8, v13
	v_min_u32_e32 v8, 32, v8
	v_lshlrev_b64 v[12:13], v8, v[12:13]
	v_sub_nc_u32_e32 v8, 32, v8
	v_min_u32_e32 v10, 1, v12
	v_or_b32_e32 v10, v13, v10
	v_cvt_f32_u32_e32 v10, v10
	v_ldexp_f32 v8, v10, v8
	v_cvt_f16_f32_e32 v8, v8
	s_branch .LBB153_1541
.LBB153_1539:
	s_mov_b32 s2, -1
                                        ; implicit-def: $vgpr8
.LBB153_1540:
	s_mov_b32 s16, 0
.LBB153_1541:
	s_and_b32 vcc_lo, exec_lo, s16
	s_cbranch_vccz .LBB153_1559
; %bb.1542:
	s_cmp_lt_i32 s4, 27
	s_cbranch_scc1 .LBB153_1545
; %bb.1543:
	s_cmp_gt_i32 s4, 27
	s_cbranch_scc0 .LBB153_1546
; %bb.1544:
	global_load_dword v8, v[0:1], off
	s_mov_b32 s15, 0
	s_waitcnt vmcnt(0)
	v_cvt_f32_u32_e32 v8, v8
	v_cvt_f16_f32_e32 v8, v8
	s_branch .LBB153_1547
.LBB153_1545:
	s_mov_b32 s15, -1
                                        ; implicit-def: $vgpr8
	s_branch .LBB153_1550
.LBB153_1546:
	s_mov_b32 s15, -1
                                        ; implicit-def: $vgpr8
.LBB153_1547:
	s_andn2_b32 vcc_lo, exec_lo, s15
	s_cbranch_vccnz .LBB153_1549
; %bb.1548:
	global_load_ushort v8, v[0:1], off
	s_waitcnt vmcnt(0)
	v_cvt_f16_u16_e32 v8, v8
.LBB153_1549:
	s_mov_b32 s15, 0
.LBB153_1550:
	s_andn2_b32 vcc_lo, exec_lo, s15
	s_cbranch_vccnz .LBB153_1558
; %bb.1551:
	global_load_ubyte v10, v[0:1], off
	s_mov_b32 s15, 0
	s_mov_b32 s16, exec_lo
	s_waitcnt vmcnt(0)
	v_cmpx_lt_i16_e32 0x7f, v10
	s_xor_b32 s16, exec_lo, s16
	s_cbranch_execz .LBB153_1572
; %bb.1552:
	s_mov_b32 s15, -1
	s_mov_b32 s17, exec_lo
	v_cmpx_eq_u16_e32 0x80, v10
; %bb.1553:
	s_xor_b32 s15, exec_lo, -1
; %bb.1554:
	s_or_b32 exec_lo, exec_lo, s17
	s_and_b32 s15, s15, exec_lo
	s_or_saveexec_b32 s16, s16
	v_mov_b32_e32 v8, 0x7e00
	s_xor_b32 exec_lo, exec_lo, s16
	s_cbranch_execnz .LBB153_1573
.LBB153_1555:
	s_or_b32 exec_lo, exec_lo, s16
	s_and_saveexec_b32 s16, s15
	s_cbranch_execz .LBB153_1557
.LBB153_1556:
	v_and_b32_e32 v8, 0xffff, v10
	v_lshlrev_b32_e32 v10, 24, v10
	v_and_b32_e32 v12, 7, v8
	v_bfe_u32 v15, v8, 3, 4
	v_and_b32_e32 v10, 0x80000000, v10
	v_ffbh_u32_e32 v13, v12
	v_cmp_eq_u32_e32 vcc_lo, 0, v15
	v_min_u32_e32 v13, 32, v13
	v_subrev_nc_u32_e32 v14, 28, v13
	v_sub_nc_u32_e32 v13, 29, v13
	v_lshlrev_b32_e32 v8, v14, v8
	v_cndmask_b32_e32 v13, v15, v13, vcc_lo
	v_and_b32_e32 v8, 7, v8
	v_cndmask_b32_e32 v8, v12, v8, vcc_lo
	v_lshl_add_u32 v12, v13, 23, 0x3b800000
	v_lshlrev_b32_e32 v8, 20, v8
	v_or3_b32 v8, v10, v12, v8
	v_cvt_f16_f32_e32 v8, v8
.LBB153_1557:
	s_or_b32 exec_lo, exec_lo, s16
.LBB153_1558:
	s_mov_b32 s15, -1
.LBB153_1559:
	s_mov_b32 s16, 0
.LBB153_1560:
	s_and_b32 vcc_lo, exec_lo, s16
	s_cbranch_vccz .LBB153_1593
; %bb.1561:
	s_cmp_gt_i32 s4, 22
	s_cbranch_scc0 .LBB153_1571
; %bb.1562:
	s_cmp_lt_i32 s4, 24
	s_cbranch_scc1 .LBB153_1574
; %bb.1563:
	s_cmp_gt_i32 s4, 24
	s_cbranch_scc0 .LBB153_1575
; %bb.1564:
	global_load_ubyte v10, v[0:1], off
	s_mov_b32 s15, exec_lo
	s_waitcnt vmcnt(0)
	v_cmpx_lt_i16_e32 0x7f, v10
	s_xor_b32 s15, exec_lo, s15
	s_cbranch_execz .LBB153_1587
; %bb.1565:
	s_mov_b32 s3, -1
	s_mov_b32 s16, exec_lo
	v_cmpx_eq_u16_e32 0x80, v10
; %bb.1566:
	s_xor_b32 s3, exec_lo, -1
; %bb.1567:
	s_or_b32 exec_lo, exec_lo, s16
	s_and_b32 s3, s3, exec_lo
	s_or_saveexec_b32 s15, s15
	v_mov_b32_e32 v8, 0x7e00
	s_xor_b32 exec_lo, exec_lo, s15
	s_cbranch_execnz .LBB153_1588
.LBB153_1568:
	s_or_b32 exec_lo, exec_lo, s15
	s_and_saveexec_b32 s15, s3
	s_cbranch_execz .LBB153_1570
.LBB153_1569:
	v_and_b32_e32 v8, 0xffff, v10
	v_lshlrev_b32_e32 v10, 24, v10
	v_and_b32_e32 v12, 3, v8
	v_bfe_u32 v15, v8, 2, 5
	v_and_b32_e32 v10, 0x80000000, v10
	v_ffbh_u32_e32 v13, v12
	v_cmp_eq_u32_e32 vcc_lo, 0, v15
	v_min_u32_e32 v13, 32, v13
	v_subrev_nc_u32_e32 v14, 29, v13
	v_sub_nc_u32_e32 v13, 30, v13
	v_lshlrev_b32_e32 v8, v14, v8
	v_cndmask_b32_e32 v13, v15, v13, vcc_lo
	v_and_b32_e32 v8, 3, v8
	v_cndmask_b32_e32 v8, v12, v8, vcc_lo
	v_lshl_add_u32 v12, v13, 23, 0x37800000
	v_lshlrev_b32_e32 v8, 21, v8
	v_or3_b32 v8, v10, v12, v8
	v_cvt_f16_f32_e32 v8, v8
.LBB153_1570:
	s_or_b32 exec_lo, exec_lo, s15
	s_mov_b32 s3, 0
	s_branch .LBB153_1576
.LBB153_1571:
	s_mov_b32 s3, -1
                                        ; implicit-def: $vgpr8
	s_branch .LBB153_1582
.LBB153_1572:
	s_or_saveexec_b32 s16, s16
	v_mov_b32_e32 v8, 0x7e00
	s_xor_b32 exec_lo, exec_lo, s16
	s_cbranch_execz .LBB153_1555
.LBB153_1573:
	v_cmp_ne_u16_e32 vcc_lo, 0, v10
	v_mov_b32_e32 v8, v10
	s_andn2_b32 s15, s15, exec_lo
	s_and_b32 s17, vcc_lo, exec_lo
	s_or_b32 s15, s15, s17
	s_or_b32 exec_lo, exec_lo, s16
	s_and_saveexec_b32 s16, s15
	s_cbranch_execnz .LBB153_1556
	s_branch .LBB153_1557
.LBB153_1574:
	s_mov_b32 s3, -1
                                        ; implicit-def: $vgpr8
	s_branch .LBB153_1579
.LBB153_1575:
	s_mov_b32 s3, -1
                                        ; implicit-def: $vgpr8
.LBB153_1576:
	s_and_b32 vcc_lo, exec_lo, s3
	s_cbranch_vccz .LBB153_1578
; %bb.1577:
	global_load_ubyte v8, v[0:1], off
	s_waitcnt vmcnt(0)
	v_lshlrev_b32_e32 v8, 24, v8
	v_and_b32_e32 v10, 0x7f000000, v8
	v_ffbh_u32_e32 v12, v10
	v_add_nc_u32_e32 v14, 0x1000000, v10
	v_cmp_ne_u32_e32 vcc_lo, 0, v10
	v_min_u32_e32 v12, 32, v12
	v_sub_nc_u32_e64 v12, v12, 4 clamp
	v_lshlrev_b32_e32 v13, v12, v10
	v_lshlrev_b32_e32 v12, 23, v12
	v_lshrrev_b32_e32 v13, 4, v13
	v_sub_nc_u32_e32 v12, v13, v12
	v_ashrrev_i32_e32 v13, 8, v14
	v_add_nc_u32_e32 v12, 0x3c000000, v12
	v_and_or_b32 v12, 0x7f800000, v13, v12
	v_cndmask_b32_e32 v10, 0, v12, vcc_lo
	v_and_or_b32 v8, 0x80000000, v8, v10
	v_cvt_f16_f32_e32 v8, v8
.LBB153_1578:
	s_mov_b32 s3, 0
.LBB153_1579:
	s_andn2_b32 vcc_lo, exec_lo, s3
	s_cbranch_vccnz .LBB153_1581
; %bb.1580:
	global_load_ubyte v8, v[0:1], off
	s_waitcnt vmcnt(0)
	v_lshlrev_b32_e32 v10, 25, v8
	v_lshlrev_b16 v8, 8, v8
	v_lshrrev_b32_e32 v12, 4, v10
	v_and_or_b32 v13, 0x7f00, v8, 0.5
	v_cmp_gt_u32_e32 vcc_lo, 0x8000000, v10
	v_bfe_i32 v8, v8, 0, 16
	v_or_b32_e32 v12, 0x70000000, v12
	v_add_f32_e32 v13, -0.5, v13
	v_mul_f32_e32 v12, 0x7800000, v12
	v_cndmask_b32_e32 v10, v12, v13, vcc_lo
	v_and_or_b32 v8, 0x80000000, v8, v10
	v_cvt_f16_f32_e32 v8, v8
.LBB153_1581:
	s_mov_b32 s3, 0
	s_mov_b32 s15, -1
.LBB153_1582:
	s_andn2_b32 vcc_lo, exec_lo, s3
	s_mov_b32 s3, 0
	s_cbranch_vccnz .LBB153_1593
; %bb.1583:
	s_cmp_gt_i32 s4, 14
	s_cbranch_scc0 .LBB153_1586
; %bb.1584:
	s_cmp_eq_u32 s4, 15
	s_cbranch_scc0 .LBB153_1589
; %bb.1585:
	global_load_ushort v8, v[0:1], off
	s_mov_b32 s2, 0
	s_mov_b32 s15, -1
	s_waitcnt vmcnt(0)
	v_lshlrev_b32_e32 v8, 16, v8
	v_cvt_f16_f32_e32 v8, v8
	s_branch .LBB153_1591
.LBB153_1586:
	s_mov_b32 s3, -1
	s_branch .LBB153_1590
.LBB153_1587:
	s_or_saveexec_b32 s15, s15
	v_mov_b32_e32 v8, 0x7e00
	s_xor_b32 exec_lo, exec_lo, s15
	s_cbranch_execz .LBB153_1568
.LBB153_1588:
	v_cmp_ne_u16_e32 vcc_lo, 0, v10
	v_mov_b32_e32 v8, v10
	s_andn2_b32 s3, s3, exec_lo
	s_and_b32 s16, vcc_lo, exec_lo
	s_or_b32 s3, s3, s16
	s_or_b32 exec_lo, exec_lo, s15
	s_and_saveexec_b32 s15, s3
	s_cbranch_execnz .LBB153_1569
	s_branch .LBB153_1570
.LBB153_1589:
	s_mov_b32 s2, -1
.LBB153_1590:
                                        ; implicit-def: $vgpr8
.LBB153_1591:
	s_and_b32 vcc_lo, exec_lo, s3
	s_mov_b32 s3, 0
	s_cbranch_vccz .LBB153_1593
; %bb.1592:
	s_cmp_lg_u32 s4, 11
	s_mov_b32 s3, -1
	s_cselect_b32 s2, -1, 0
.LBB153_1593:
	s_and_b32 vcc_lo, exec_lo, s2
	s_cbranch_vccnz .LBB153_1694
; %bb.1594:
	s_andn2_b32 vcc_lo, exec_lo, s3
	s_cbranch_vccnz .LBB153_1596
.LBB153_1595:
	global_load_ubyte v8, v[0:1], off
	s_mov_b32 s15, -1
	s_waitcnt vmcnt(0)
	v_cmp_ne_u16_e32 vcc_lo, 0, v8
	v_cndmask_b32_e64 v8, 0, 0x3c00, vcc_lo
.LBB153_1596:
	s_branch .LBB153_1523
.LBB153_1597:
	s_cmp_lt_i32 s4, 5
	s_cbranch_scc1 .LBB153_1602
; %bb.1598:
	s_cmp_lt_i32 s4, 8
	s_cbranch_scc1 .LBB153_1603
; %bb.1599:
	;; [unrolled: 3-line block ×3, first 2 shown]
	s_cmp_gt_i32 s4, 9
	s_cbranch_scc0 .LBB153_1605
; %bb.1601:
	global_load_dwordx2 v[12:13], v[0:1], off
	s_mov_b32 s2, 0
	s_waitcnt vmcnt(0)
	v_and_or_b32 v8, 0x1ff, v13, v12
	v_lshrrev_b32_e32 v10, 8, v13
	v_bfe_u32 v12, v13, 20, 11
	v_cmp_ne_u32_e32 vcc_lo, 0, v8
	v_sub_nc_u32_e32 v14, 0x3f1, v12
	v_add_nc_u32_e32 v12, 0xfffffc10, v12
	v_cndmask_b32_e64 v8, 0, 1, vcc_lo
	v_and_or_b32 v8, 0xffe, v10, v8
	v_med3_i32 v10, v14, 0, 13
	v_or_b32_e32 v14, 0x1000, v8
	v_lshrrev_b32_e32 v15, v10, v14
	v_lshlrev_b32_e32 v10, v10, v15
	v_cmp_ne_u32_e32 vcc_lo, v10, v14
	v_lshl_or_b32 v14, v12, 12, v8
	v_cndmask_b32_e64 v10, 0, 1, vcc_lo
	v_cmp_gt_i32_e32 vcc_lo, 1, v12
	v_or_b32_e32 v10, v15, v10
	v_cndmask_b32_e32 v10, v14, v10, vcc_lo
	v_and_b32_e32 v14, 7, v10
	v_lshrrev_b32_e32 v10, 2, v10
	v_cmp_lt_i32_e32 vcc_lo, 5, v14
	v_cndmask_b32_e64 v15, 0, 1, vcc_lo
	v_cmp_eq_u32_e32 vcc_lo, 3, v14
	v_cndmask_b32_e64 v14, 0, 1, vcc_lo
	v_cmp_ne_u32_e32 vcc_lo, 0, v8
	v_or_b32_e32 v14, v14, v15
	v_mov_b32_e32 v15, 0x7e00
	v_add_nc_u32_e32 v10, v10, v14
	v_cndmask_b32_e32 v8, 0x7c00, v15, vcc_lo
	v_cmp_gt_i32_e32 vcc_lo, 31, v12
	v_cndmask_b32_e32 v10, 0x7c00, v10, vcc_lo
	v_cmp_eq_u32_e32 vcc_lo, 0x40f, v12
	v_cndmask_b32_e32 v8, v10, v8, vcc_lo
	v_lshrrev_b32_e32 v10, 16, v13
	v_and_or_b32 v8, 0x8000, v10, v8
	s_branch .LBB153_1606
.LBB153_1602:
	s_mov_b32 s2, -1
                                        ; implicit-def: $vgpr8
	s_branch .LBB153_1624
.LBB153_1603:
	s_mov_b32 s2, -1
                                        ; implicit-def: $vgpr8
	s_branch .LBB153_1612
.LBB153_1604:
	s_mov_b32 s2, -1
                                        ; implicit-def: $vgpr8
	s_branch .LBB153_1609
.LBB153_1605:
	s_mov_b32 s2, -1
                                        ; implicit-def: $vgpr8
.LBB153_1606:
	s_andn2_b32 vcc_lo, exec_lo, s2
	s_cbranch_vccnz .LBB153_1608
; %bb.1607:
	global_load_dword v8, v[0:1], off
	s_waitcnt vmcnt(0)
	v_cvt_f16_f32_e32 v8, v8
.LBB153_1608:
	s_mov_b32 s2, 0
.LBB153_1609:
	s_andn2_b32 vcc_lo, exec_lo, s2
	s_cbranch_vccnz .LBB153_1611
; %bb.1610:
	global_load_dword v8, v[0:1], off
.LBB153_1611:
	s_mov_b32 s2, 0
.LBB153_1612:
	s_andn2_b32 vcc_lo, exec_lo, s2
	s_cbranch_vccnz .LBB153_1623
; %bb.1613:
	s_cmp_lt_i32 s4, 6
	s_cbranch_scc1 .LBB153_1616
; %bb.1614:
	s_cmp_gt_i32 s4, 6
	s_cbranch_scc0 .LBB153_1617
; %bb.1615:
	global_load_dwordx2 v[12:13], v[0:1], off
	s_mov_b32 s2, 0
	s_waitcnt vmcnt(0)
	v_and_or_b32 v8, 0x1ff, v13, v12
	v_lshrrev_b32_e32 v10, 8, v13
	v_bfe_u32 v12, v13, 20, 11
	v_cmp_ne_u32_e32 vcc_lo, 0, v8
	v_sub_nc_u32_e32 v14, 0x3f1, v12
	v_add_nc_u32_e32 v12, 0xfffffc10, v12
	v_cndmask_b32_e64 v8, 0, 1, vcc_lo
	v_and_or_b32 v8, 0xffe, v10, v8
	v_med3_i32 v10, v14, 0, 13
	v_or_b32_e32 v14, 0x1000, v8
	v_lshrrev_b32_e32 v15, v10, v14
	v_lshlrev_b32_e32 v10, v10, v15
	v_cmp_ne_u32_e32 vcc_lo, v10, v14
	v_lshl_or_b32 v14, v12, 12, v8
	v_cndmask_b32_e64 v10, 0, 1, vcc_lo
	v_cmp_gt_i32_e32 vcc_lo, 1, v12
	v_or_b32_e32 v10, v15, v10
	v_cndmask_b32_e32 v10, v14, v10, vcc_lo
	v_and_b32_e32 v14, 7, v10
	v_lshrrev_b32_e32 v10, 2, v10
	v_cmp_lt_i32_e32 vcc_lo, 5, v14
	v_cndmask_b32_e64 v15, 0, 1, vcc_lo
	v_cmp_eq_u32_e32 vcc_lo, 3, v14
	v_cndmask_b32_e64 v14, 0, 1, vcc_lo
	v_cmp_ne_u32_e32 vcc_lo, 0, v8
	v_or_b32_e32 v14, v14, v15
	v_mov_b32_e32 v15, 0x7e00
	v_add_nc_u32_e32 v10, v10, v14
	v_cndmask_b32_e32 v8, 0x7c00, v15, vcc_lo
	v_cmp_gt_i32_e32 vcc_lo, 31, v12
	v_cndmask_b32_e32 v10, 0x7c00, v10, vcc_lo
	v_cmp_eq_u32_e32 vcc_lo, 0x40f, v12
	v_cndmask_b32_e32 v8, v10, v8, vcc_lo
	v_lshrrev_b32_e32 v10, 16, v13
	v_and_or_b32 v8, 0x8000, v10, v8
	s_branch .LBB153_1618
.LBB153_1616:
	s_mov_b32 s2, -1
                                        ; implicit-def: $vgpr8
	s_branch .LBB153_1621
.LBB153_1617:
	s_mov_b32 s2, -1
                                        ; implicit-def: $vgpr8
.LBB153_1618:
	s_andn2_b32 vcc_lo, exec_lo, s2
	s_cbranch_vccnz .LBB153_1620
; %bb.1619:
	global_load_dword v8, v[0:1], off
	s_waitcnt vmcnt(0)
	v_cvt_f16_f32_e32 v8, v8
.LBB153_1620:
	s_mov_b32 s2, 0
.LBB153_1621:
	s_andn2_b32 vcc_lo, exec_lo, s2
	s_cbranch_vccnz .LBB153_1623
; %bb.1622:
	global_load_ushort v8, v[0:1], off
.LBB153_1623:
	s_mov_b32 s2, 0
.LBB153_1624:
	s_andn2_b32 vcc_lo, exec_lo, s2
	s_cbranch_vccnz .LBB153_1644
; %bb.1625:
	s_cmp_lt_i32 s4, 2
	s_cbranch_scc1 .LBB153_1629
; %bb.1626:
	s_cmp_lt_i32 s4, 3
	s_cbranch_scc1 .LBB153_1630
; %bb.1627:
	s_cmp_gt_i32 s4, 3
	s_cbranch_scc0 .LBB153_1631
; %bb.1628:
	global_load_dwordx2 v[12:13], v[0:1], off
	s_mov_b32 s2, 0
	s_waitcnt vmcnt(0)
	v_xor_b32_e32 v8, v12, v13
	v_ffbh_i32_e32 v10, v13
	v_ashrrev_i32_e32 v8, 31, v8
	v_add_nc_u32_e32 v10, -1, v10
	v_add_nc_u32_e32 v8, 32, v8
	v_min_u32_e32 v8, v10, v8
	v_lshlrev_b64 v[12:13], v8, v[12:13]
	v_sub_nc_u32_e32 v8, 32, v8
	v_min_u32_e32 v10, 1, v12
	v_or_b32_e32 v10, v13, v10
	v_cvt_f32_i32_e32 v10, v10
	v_ldexp_f32 v8, v10, v8
	v_cvt_f16_f32_e32 v8, v8
	s_branch .LBB153_1632
.LBB153_1629:
	s_mov_b32 s2, -1
                                        ; implicit-def: $vgpr8
	s_branch .LBB153_1638
.LBB153_1630:
	s_mov_b32 s2, -1
                                        ; implicit-def: $vgpr8
	s_branch .LBB153_1635
.LBB153_1631:
	s_mov_b32 s2, -1
                                        ; implicit-def: $vgpr8
.LBB153_1632:
	s_andn2_b32 vcc_lo, exec_lo, s2
	s_cbranch_vccnz .LBB153_1634
; %bb.1633:
	global_load_dword v8, v[0:1], off
	s_waitcnt vmcnt(0)
	v_cvt_f32_i32_e32 v8, v8
	v_cvt_f16_f32_e32 v8, v8
.LBB153_1634:
	s_mov_b32 s2, 0
.LBB153_1635:
	s_andn2_b32 vcc_lo, exec_lo, s2
	s_cbranch_vccnz .LBB153_1637
; %bb.1636:
	global_load_ushort v8, v[0:1], off
	s_waitcnt vmcnt(0)
	v_cvt_f16_i16_e32 v8, v8
.LBB153_1637:
	s_mov_b32 s2, 0
.LBB153_1638:
	s_andn2_b32 vcc_lo, exec_lo, s2
	s_cbranch_vccnz .LBB153_1644
; %bb.1639:
	s_cmp_gt_i32 s4, 0
	s_mov_b32 s2, 0
	s_cbranch_scc0 .LBB153_1641
; %bb.1640:
	global_load_sbyte v8, v[0:1], off
	s_waitcnt vmcnt(0)
	v_cvt_f16_i16_e32 v8, v8
	s_branch .LBB153_1642
.LBB153_1641:
	s_mov_b32 s2, -1
                                        ; implicit-def: $vgpr8
.LBB153_1642:
	s_andn2_b32 vcc_lo, exec_lo, s2
	s_cbranch_vccnz .LBB153_1644
; %bb.1643:
	global_load_ubyte v0, v[0:1], off
	s_waitcnt vmcnt(0)
	v_cvt_f16_u16_e32 v8, v0
.LBB153_1644:
.LBB153_1645:
	s_waitcnt vmcnt(0)
	v_cvt_f32_f16_e32 v10, v8
	s_mov_b32 s3, exec_lo
                                        ; implicit-def: $vgpr12
	v_and_b32_e32 v0, 0x7fffffff, v10
	v_cmpx_ngt_f32_e64 0x3c800000, |v10|
	s_xor_b32 s3, exec_lo, s3
	s_cbranch_execz .LBB153_1675
; %bb.1646:
	s_mov_b32 s15, exec_lo
                                        ; implicit-def: $vgpr12
	v_cmpx_nlt_f32_e64 |v10|, 2.0
	s_xor_b32 s15, exec_lo, s15
	s_cbranch_execz .LBB153_1656
; %bb.1647:
	v_cmp_ngt_f32_e64 s2, 0x41000000, |v10|
                                        ; implicit-def: $vgpr12
	s_and_saveexec_b32 s16, s2
	s_xor_b32 s2, exec_lo, s16
	s_cbranch_execz .LBB153_1653
; %bb.1648:
	v_cmp_ngt_f32_e64 s16, 0x5c800000, |v10|
                                        ; implicit-def: $vgpr12
	s_and_saveexec_b32 s17, s16
	s_xor_b32 s16, exec_lo, s17
	s_cbranch_execz .LBB153_1650
; %bb.1649:
	v_cmp_gt_f32_e64 s17, 0x800000, |v10|
	v_cndmask_b32_e64 v1, 0, 32, s17
	v_ldexp_f32 v1, |v10|, v1
	v_log_f32_e32 v1, v1
	v_mul_f32_e32 v12, 0x3f317217, v1
	v_cmp_gt_f32_e64 vcc_lo, 0x7f800000, |v1|
	v_fma_f32 v13, 0x3f317217, v1, -v12
	v_fmamk_f32 v13, v1, 0x3377d1cf, v13
	v_add_f32_e32 v12, v12, v13
	v_cndmask_b32_e32 v1, v1, v12, vcc_lo
	v_cndmask_b32_e64 v12, 0, 0x41b17218, s17
	v_sub_f32_e32 v1, v1, v12
	v_fma_f32 v12, |v10|, v1, -|v10|
.LBB153_1650:
	s_andn2_saveexec_b32 s16, s16
	s_cbranch_execz .LBB153_1652
; %bb.1651:
	v_cmp_gt_f32_e64 s17, 0x800000, |v10|
	v_rcp_f32_e64 v12, |v10|
	s_mov_b32 s18, 0xbad5c4e8
	v_cndmask_b32_e64 v1, 0, 32, s17
	v_ldexp_f32 v1, |v10|, v1
	v_mul_f32_e32 v13, v12, v12
	v_log_f32_e32 v1, v1
	v_fmaak_f32 v15, s18, v13, 0x3a5b3dd2
	v_fmaak_f32 v15, v13, v15, 0xba1c065c
	v_mul_f32_e32 v14, 0x3f317217, v1
	v_fmaak_f32 v15, v13, v15, 0x3a500cfd
	v_cmp_gt_f32_e64 vcc_lo, 0x7f800000, |v1|
	v_fma_f32 v16, 0x3f317217, v1, -v14
	v_fmaak_f32 v15, v13, v15, 0xbb360b61
	v_fmamk_f32 v16, v1, 0x3377d1cf, v16
	v_fmaak_f32 v13, v13, v15, 0x3daaaaab
	v_add_f32_e32 v14, v14, v16
	v_fmaak_f32 v12, v12, v13, 0x3ed67f1d
	v_add_f32_e64 v13, |v10|, -0.5
	v_cndmask_b32_e32 v1, v1, v14, vcc_lo
	v_cndmask_b32_e64 v14, 0, 0x41b17218, s17
	v_sub_f32_e32 v1, v1, v14
	v_add_f32_e32 v1, -1.0, v1
	v_fmac_f32_e32 v12, v13, v1
.LBB153_1652:
	s_or_b32 exec_lo, exec_lo, s16
.LBB153_1653:
	s_andn2_saveexec_b32 s16, s2
	s_cbranch_execz .LBB153_1655
; %bb.1654:
	v_cvt_i32_f32_e32 v1, v0
	s_mov_b32 s2, 0x36f5d7bd
	s_mov_b32 s17, 0x3805ff67
	v_cvt_f32_i32_e32 v12, v1
	v_cmp_lt_i32_e32 vcc_lo, 2, v1
	v_sub_f32_e64 v12, |v10|, v12
	v_add_f32_e32 v13, 2.0, v12
	v_add_f32_e32 v14, 0x40400000, v12
	v_add_f32_e32 v15, 4.0, v12
	v_add_f32_e32 v16, 0x40a00000, v12
	v_cndmask_b32_e32 v13, 1.0, v13, vcc_lo
	v_cmp_lt_i32_e32 vcc_lo, 3, v1
	v_cndmask_b32_e32 v14, 1.0, v14, vcc_lo
	v_cmp_lt_i32_e32 vcc_lo, 4, v1
	v_mul_f32_e32 v13, v13, v14
	v_cndmask_b32_e32 v15, 1.0, v15, vcc_lo
	v_cmp_lt_i32_e32 vcc_lo, 5, v1
	v_add_f32_e32 v14, 0x40c00000, v12
	v_mul_f32_e32 v13, v15, v13
	v_cndmask_b32_e32 v16, 1.0, v16, vcc_lo
	v_cmp_lt_i32_e32 vcc_lo, 6, v1
	v_fmaak_f32 v15, s17, v12, 0x3af135b4
	v_mul_f32_e32 v13, v16, v13
	v_cndmask_b32_e32 v1, 1.0, v14, vcc_lo
	v_mul_f32_e32 v1, v1, v13
	v_fmaak_f32 v13, s2, v12, 0x3a4beed6
	v_cmp_gt_f32_e32 vcc_lo, 0x800000, v1
	v_fmaak_f32 v13, v12, v13, 0x3c98bf54
	v_cndmask_b32_e64 v14, 0, 32, vcc_lo
	v_fmaak_f32 v13, v12, v13, 0x3e300f6e
	v_ldexp_f32 v1, v1, v14
	v_fmaak_f32 v14, v12, v15, 0x3cda40e4
	v_fmaak_f32 v13, v12, v13, 0x3f38d0c5
	v_log_f32_e32 v1, v1
	v_fmaak_f32 v14, v12, v14, 0x3e15dce6
	v_fmaak_f32 v13, v12, v13, 0x3fb22d3b
	;; [unrolled: 1-line block ×3, first 2 shown]
	v_fma_f32 v13, v12, v13, 1.0
	v_mul_f32_e32 v15, 0x3f317217, v1
	v_fmaak_f32 v14, v12, v14, 0x3e5c245a
	v_rcp_f32_e32 v13, v13
	v_cmp_gt_f32_e64 s2, 0x7f800000, |v1|
	v_fma_f32 v16, 0x3f317217, v1, -v15
	v_fmaak_f32 v14, v12, v14, 0xbd9e233f
	v_fmamk_f32 v16, v1, 0x3377d1cf, v16
	v_mul_f32_e32 v14, v12, v14
	v_add_f32_e32 v15, v15, v16
	v_mul_f32_e32 v13, v14, v13
	v_cndmask_b32_e64 v14, 0, 0x41b17218, vcc_lo
	v_cndmask_b32_e64 v1, v1, v15, s2
	v_fmac_f32_e32 v13, 0.5, v12
	v_sub_f32_e32 v1, v1, v14
	v_add_f32_e32 v12, v1, v13
.LBB153_1655:
	s_or_b32 exec_lo, exec_lo, s16
.LBB153_1656:
	s_andn2_saveexec_b32 s15, s15
	s_cbranch_execz .LBB153_1674
; %bb.1657:
	s_mov_b32 s16, exec_lo
                                        ; implicit-def: $vgpr12
                                        ; implicit-def: $vgpr13
                                        ; implicit-def: $vgpr1
	v_cmpx_ge_f32_e64 0x3f666666, |v10|
	s_xor_b32 s16, exec_lo, s16
	s_cbranch_execz .LBB153_1659
; %bb.1658:
	v_cmp_gt_f32_e64 s2, 0x800000, |v10|
	v_sub_f32_e64 v14, 1.0, |v10|
	v_cmp_gt_f32_e64 vcc_lo, 0x3f3b4a23, |v10|
	v_cndmask_b32_e64 v1, 0, 32, s2
	v_cndmask_b32_e64 v15, 0, 0x41b17218, s2
	v_ldexp_f32 v1, |v10|, v1
	v_log_f32_e32 v1, v1
	v_mul_f32_e32 v12, 0x3f317217, v1
	v_cmp_gt_f32_e64 s2, 0x7f800000, |v1|
	v_fma_f32 v13, 0x3f317217, v1, -v12
	v_fmamk_f32 v13, v1, 0x3377d1cf, v13
	v_add_f32_e32 v12, v12, v13
	v_add_f32_e64 v13, 0xbeec5b0c, |v10|
	v_cndmask_b32_e64 v1, v1, v12, s2
	v_cndmask_b32_e32 v12, v14, v13, vcc_lo
	v_cndmask_b32_e64 v13, 0, 1, vcc_lo
	v_cmp_gt_f32_e64 s2, 0x3e6d3309, |v10|
	v_sub_f32_e32 v14, v1, v15
	v_cndmask_b32_e64 v1, v12, |v10|, s2
	v_cndmask_b32_e64 v13, v13, 2, s2
	v_xor_b32_e32 v12, 0x80000000, v14
.LBB153_1659:
	s_andn2_saveexec_b32 s2, s16
	s_cbranch_execz .LBB153_1661
; %bb.1660:
	v_sub_f32_e64 v1, 2.0, |v10|
	v_add_f32_e64 v12, 0xbfbb16c3, |v10|
	v_cmp_gt_f32_e64 vcc_lo, 0x3fdda512, |v10|
	v_add_f32_e64 v13, |v10|, -1.0
	v_cndmask_b32_e32 v12, v1, v12, vcc_lo
	v_cndmask_b32_e64 v1, v1, 1.0, vcc_lo
	v_cmp_gt_f32_e64 vcc_lo, 0x3f9d70a4, |v10|
	v_cvt_i32_f32_e32 v14, v1
	v_cndmask_b32_e32 v1, v12, v13, vcc_lo
	v_mov_b32_e32 v12, 0
	v_cndmask_b32_e64 v13, v14, 2, vcc_lo
.LBB153_1661:
	s_or_b32 exec_lo, exec_lo, s2
	s_mov_b32 s2, exec_lo
	v_cmpx_lt_i32_e32 0, v13
	s_xor_b32 s2, exec_lo, s2
	s_cbranch_execz .LBB153_1669
; %bb.1662:
	s_mov_b32 s16, exec_lo
	v_cmpx_lt_i32_e32 1, v13
	s_xor_b32 s16, exec_lo, s16
	s_cbranch_execz .LBB153_1666
; %bb.1663:
	s_mov_b32 s17, exec_lo
	v_cmpx_eq_u32_e32 2, v13
	s_cbranch_execz .LBB153_1665
; %bb.1664:
	s_mov_b32 s18, 0x3b52d5db
	v_fmaak_f32 v13, s18, v1, 0x3dd572af
	s_mov_b32 s18, 0x3c5b3c5e
	v_fmaak_f32 v14, s18, v1, 0x3e6a7578
	v_fmaak_f32 v13, v1, v13, 0x3f44efdf
	;; [unrolled: 1-line block ×7, first 2 shown]
	v_fma_f32 v13, v1, v13, 1.0
	v_fmaak_f32 v14, v1, v14, 0xbd9e233f
	v_rcp_f32_e32 v13, v13
	v_mul_f32_e32 v14, v1, v14
	v_mul_f32_e32 v13, v14, v13
	v_fmac_f32_e32 v13, -0.5, v1
	v_add_f32_e32 v12, v12, v13
.LBB153_1665:
	s_or_b32 exec_lo, exec_lo, s17
                                        ; implicit-def: $vgpr1
.LBB153_1666:
	s_andn2_saveexec_b32 s16, s16
	s_cbranch_execz .LBB153_1668
; %bb.1667:
	v_mul_f32_e32 v13, v1, v1
	s_mov_b32 s17, 0xb9a3f927
	s_mov_b32 s18, 0x39afe9f7
	v_mul_f32_e32 v14, v1, v13
	v_fmaak_f32 v15, s17, v14, 0x3a66f867
	v_fmaak_f32 v16, s18, v14, 0xba0d3085
	s_mov_b32 s17, 0x39a57b6b
	v_fmaak_f32 v17, s17, v14, 0xbab7f476
	v_fmaak_f32 v15, v14, v15, 0xbb7177fe
	;; [unrolled: 1-line block ×9, first 2 shown]
	v_fmac_f32_e32 v15, v1, v16
	v_fmaak_f32 v1, v14, v17, 0x3ef7b95e
	v_fma_f32 v14, v14, -v15, 0xa2863e55
	v_fma_f32 v1, v13, v1, -v14
	v_add_f32_e32 v1, 0xbdf8cdce, v1
	v_add_f32_e32 v12, v12, v1
.LBB153_1668:
	s_or_b32 exec_lo, exec_lo, s16
                                        ; implicit-def: $vgpr13
                                        ; implicit-def: $vgpr1
.LBB153_1669:
	s_andn2_saveexec_b32 s2, s2
	s_cbranch_execz .LBB153_1673
; %bb.1670:
	s_mov_b32 s16, exec_lo
	v_cmpx_eq_u32_e32 0, v13
	s_cbranch_execz .LBB153_1672
; %bb.1671:
	v_mul_f32_e32 v13, v1, v1
	s_mov_b32 s17, 0x383c2c75
	v_fmaak_f32 v14, s17, v13, 0x38e28445
	s_mov_b32 s17, 0x37d383a2
	v_fmaak_f32 v15, s17, v13, 0x39679767
	v_fmaak_f32 v14, v13, v14, 0x3a05b634
	;; [unrolled: 1-line block ×9, first 2 shown]
	v_mul_f32_e32 v13, v13, v14
	v_fmac_f32_e32 v13, v1, v15
	v_fmac_f32_e32 v13, -0.5, v1
	v_add_f32_e32 v12, v12, v13
.LBB153_1672:
	s_or_b32 exec_lo, exec_lo, s16
.LBB153_1673:
	s_or_b32 exec_lo, exec_lo, s2
.LBB153_1674:
	s_or_b32 exec_lo, exec_lo, s15
.LBB153_1675:
	s_andn2_saveexec_b32 s2, s3
	s_cbranch_execz .LBB153_1677
; %bb.1676:
	v_cmp_gt_f32_e64 s3, 0x800000, |v10|
	s_mov_b32 s15, 0x3e8a8991
	v_fma_f32 v14, |v10|, s15, 0xbecd26ab
	v_cndmask_b32_e64 v1, 0, 32, s3
	v_ldexp_f32 v1, |v10|, v1
	v_log_f32_e32 v1, v1
	v_mul_f32_e32 v12, 0x3f317217, v1
	v_cmp_gt_f32_e64 vcc_lo, 0x7f800000, |v1|
	v_fma_f32 v13, 0x3f317217, v1, -v12
	v_fmamk_f32 v13, v1, 0x3377d1cf, v13
	v_add_f32_e32 v12, v12, v13
	v_fma_f32 v13, |v10|, v14, 0x3f528d33
	v_cndmask_b32_e32 v1, v1, v12, vcc_lo
	v_cndmask_b32_e64 v12, 0, 0x41b17218, s3
	v_fma_f32 v13, |v10|, v13, 0xbf13c468
	v_sub_f32_e32 v1, v1, v12
	v_fma_f32 v12, |v10|, v13, -v1
.LBB153_1677:
	s_or_b32 exec_lo, exec_lo, s2
	v_cmp_le_f16_e64 s2, 0, v8
	s_mov_b32 s3, exec_lo
	v_cmpx_nle_f16_e32 0, v8
	s_xor_b32 s15, exec_lo, s3
	s_cbranch_execz .LBB153_1681
; %bb.1678:
	v_cmp_gt_f32_e64 s3, 0x4b000000, |v10|
	v_cmp_lt_f32_e64 s16, 0x35000000, |v10|
	s_and_b32 s3, s3, s16
	s_and_saveexec_b32 s16, s3
	s_cbranch_execz .LBB153_1680
; %bb.1679:
	v_mul_f32_e64 v1, |v10|, 0.5
	v_cmp_gt_f32_e64 s3, |v10|, 1.0
	s_mov_b32 s17, 0x3d4be544
	v_xor_b32_e32 v0, v0, v10
	v_floor_f32_e32 v13, v1
	v_cmp_neq_f32_e32 vcc_lo, 0x7f800000, v1
	v_sub_f32_e32 v13, v1, v13
	v_min_f32_e32 v13, 0x3f7fffff, v13
	v_add_f32_e32 v13, v13, v13
	v_cndmask_b32_e32 v1, 0, v13, vcc_lo
	v_cndmask_b32_e64 v1, |v10|, v1, s3
	s_mov_b32 s3, 0x3e75aa41
	v_add_f32_e32 v13, v1, v1
	v_rndne_f32_e32 v13, v13
	v_fmac_f32_e32 v1, -0.5, v13
	v_cvt_i32_f32_e32 v13, v13
	v_mul_f32_e32 v14, v1, v1
	v_fmaak_f32 v15, s3, v14, 0xbf1f24be
	v_fmaak_f32 v16, s17, v14, 0x3e642e9d
	v_mul_f32_e32 v17, v1, v14
	v_fmaak_f32 v15, v14, v15, 0x40234736
	v_fmaak_f32 v16, v14, v16, 0xbfaad1da
	;; [unrolled: 1-line block ×4, first 2 shown]
	v_mul_f32_e32 v15, v17, v15
	v_fmaak_f32 v16, v14, v16, 0xc09de9e6
	v_and_b32_e32 v17, 1, v13
	v_lshlrev_b32_e32 v13, 30, v13
	v_fmamk_f32 v1, v1, 0x40490fdb, v15
	v_fma_f32 v14, v14, v16, 1.0
	v_cmp_eq_u32_e32 vcc_lo, 0, v17
	v_and_b32_e32 v13, 0x80000000, v13
	v_cndmask_b32_e32 v1, v14, v1, vcc_lo
	v_xor3_b32 v0, v0, v13, v1
	v_mul_f32_e32 v0, v10, v0
	v_frexp_mant_f32_e64 v1, |v0|
	v_frexp_exp_i32_f32_e32 v0, v0
	v_rcp_f32_e32 v1, v1
	v_sub_nc_u32_e32 v0, 2, v0
	v_mul_f32_e32 v1, 0x3f490fdb, v1
	v_ldexp_f32 v0, v1, v0
	v_cmp_gt_f32_e32 vcc_lo, 0x800000, v0
	v_cndmask_b32_e64 v1, 0, 32, vcc_lo
	v_ldexp_f32 v0, v0, v1
	v_log_f32_e32 v0, v0
	v_mul_f32_e32 v1, 0x3f317217, v0
	v_cmp_gt_f32_e64 s3, 0x7f800000, |v0|
	v_fma_f32 v13, 0x3f317217, v0, -v1
	v_fmamk_f32 v13, v0, 0x3377d1cf, v13
	v_add_f32_e32 v1, v1, v13
	v_floor_f32_e32 v13, v10
	v_cndmask_b32_e64 v0, v0, v1, s3
	v_cndmask_b32_e64 v1, 0, 0x41b17218, vcc_lo
	v_sub_f32_e32 v13, v10, v13
	v_sub_f32_e32 v0, v0, v1
	v_min_f32_e32 v1, 0x3f7fffff, v13
	v_sub_f32_e32 v0, v0, v12
	v_cmp_neq_f32_e32 vcc_lo, 0, v1
	v_cndmask_b32_e32 v12, 0x7f800000, v0, vcc_lo
.LBB153_1680:
	s_or_b32 exec_lo, exec_lo, s16
.LBB153_1681:
	s_andn2_saveexec_b32 s15, s15
; %bb.1682:
	v_cmp_eq_f16_e32 vcc_lo, 1.0, v8
	v_cmp_eq_f16_e64 s3, 2.0, v8
	s_or_b32 s3, vcc_lo, s3
	v_cndmask_b32_e64 v12, v12, 0, s3
; %bb.1683:
	s_or_b32 exec_lo, exec_lo, s15
	v_add_nc_u32_e32 v0, s13, v11
	s_cmp_lt_i32 s4, 11
	v_ashrrev_i32_e32 v1, 31, v0
	v_add_co_u32 v0, vcc_lo, s10, v0
	v_add_co_ci_u32_e64 v1, null, s11, v1, vcc_lo
	s_cbranch_scc1 .LBB153_1690
; %bb.1684:
	s_cmp_gt_i32 s4, 25
	s_mov_b32 s10, 0
	s_cbranch_scc0 .LBB153_1691
; %bb.1685:
	s_cmp_gt_i32 s4, 28
	s_cbranch_scc0 .LBB153_1692
; %bb.1686:
	s_cmp_gt_i32 s4, 43
	;; [unrolled: 3-line block ×3, first 2 shown]
	s_cbranch_scc0 .LBB153_1695
; %bb.1688:
	s_cmp_eq_u32 s4, 46
	s_mov_b32 s13, 0
	s_cbranch_scc0 .LBB153_1696
; %bb.1689:
	global_load_dword v11, v[0:1], off
	s_mov_b32 s3, 0
	s_mov_b32 s11, -1
	s_waitcnt vmcnt(0)
	v_lshlrev_b32_e32 v11, 16, v11
	v_cvt_f16_f32_e32 v11, v11
	s_branch .LBB153_1698
.LBB153_1690:
	s_mov_b32 s3, -1
	s_mov_b32 s11, 0
                                        ; implicit-def: $vgpr11
	s_branch .LBB153_1764
.LBB153_1691:
	s_mov_b32 s13, -1
	s_mov_b32 s11, 0
	s_mov_b32 s3, 0
                                        ; implicit-def: $vgpr11
	s_branch .LBB153_1727
.LBB153_1692:
	s_mov_b32 s13, -1
	s_mov_b32 s11, 0
	s_mov_b32 s3, 0
                                        ; implicit-def: $vgpr11
	s_branch .LBB153_1708
.LBB153_1693:
	s_mov_b32 s13, -1
	s_mov_b32 s11, 0
	s_mov_b32 s3, 0
                                        ; implicit-def: $vgpr11
	s_branch .LBB153_1703
.LBB153_1694:
	s_or_b32 s14, s14, exec_lo
	s_trap 2
	s_cbranch_execz .LBB153_1595
	s_branch .LBB153_1596
.LBB153_1695:
	s_mov_b32 s13, -1
	s_mov_b32 s11, 0
	s_mov_b32 s3, 0
	s_branch .LBB153_1697
.LBB153_1696:
	s_mov_b32 s3, -1
	s_mov_b32 s11, 0
.LBB153_1697:
                                        ; implicit-def: $vgpr11
.LBB153_1698:
	s_and_b32 vcc_lo, exec_lo, s13
	s_cbranch_vccz .LBB153_1702
; %bb.1699:
	s_cmp_eq_u32 s4, 44
	s_cbranch_scc0 .LBB153_1701
; %bb.1700:
	global_load_ubyte v11, v[0:1], off
	s_mov_b32 s3, 0
	s_mov_b32 s11, -1
	s_waitcnt vmcnt(0)
	v_lshlrev_b32_e32 v13, 23, v11
	v_cmp_ne_u32_e32 vcc_lo, 0xff, v11
	v_cvt_f16_f32_e32 v13, v13
	v_cndmask_b32_e32 v13, 0x7e00, v13, vcc_lo
	v_cmp_ne_u32_e32 vcc_lo, 0, v11
	v_cndmask_b32_e32 v11, 0, v13, vcc_lo
	s_branch .LBB153_1702
.LBB153_1701:
	s_mov_b32 s3, -1
                                        ; implicit-def: $vgpr11
.LBB153_1702:
	s_mov_b32 s13, 0
.LBB153_1703:
	s_and_b32 vcc_lo, exec_lo, s13
	s_cbranch_vccz .LBB153_1707
; %bb.1704:
	s_cmp_eq_u32 s4, 29
	s_cbranch_scc0 .LBB153_1706
; %bb.1705:
	global_load_dwordx2 v[13:14], v[0:1], off
	s_mov_b32 s3, 0
	s_mov_b32 s11, -1
	s_mov_b32 s13, 0
	s_waitcnt vmcnt(0)
	v_ffbh_u32_e32 v11, v14
	v_min_u32_e32 v11, 32, v11
	v_lshlrev_b64 v[13:14], v11, v[13:14]
	v_sub_nc_u32_e32 v11, 32, v11
	v_min_u32_e32 v13, 1, v13
	v_or_b32_e32 v13, v14, v13
	v_cvt_f32_u32_e32 v13, v13
	v_ldexp_f32 v11, v13, v11
	v_cvt_f16_f32_e32 v11, v11
	s_branch .LBB153_1708
.LBB153_1706:
	s_mov_b32 s3, -1
                                        ; implicit-def: $vgpr11
.LBB153_1707:
	s_mov_b32 s13, 0
.LBB153_1708:
	s_and_b32 vcc_lo, exec_lo, s13
	s_cbranch_vccz .LBB153_1726
; %bb.1709:
	s_cmp_lt_i32 s4, 27
	s_cbranch_scc1 .LBB153_1712
; %bb.1710:
	s_cmp_gt_i32 s4, 27
	s_cbranch_scc0 .LBB153_1713
; %bb.1711:
	global_load_dword v11, v[0:1], off
	s_mov_b32 s11, 0
	s_waitcnt vmcnt(0)
	v_cvt_f32_u32_e32 v11, v11
	v_cvt_f16_f32_e32 v11, v11
	s_branch .LBB153_1714
.LBB153_1712:
	s_mov_b32 s11, -1
                                        ; implicit-def: $vgpr11
	s_branch .LBB153_1717
.LBB153_1713:
	s_mov_b32 s11, -1
                                        ; implicit-def: $vgpr11
.LBB153_1714:
	s_andn2_b32 vcc_lo, exec_lo, s11
	s_cbranch_vccnz .LBB153_1716
; %bb.1715:
	global_load_ushort v11, v[0:1], off
	s_waitcnt vmcnt(0)
	v_cvt_f16_u16_e32 v11, v11
.LBB153_1716:
	s_mov_b32 s11, 0
.LBB153_1717:
	s_andn2_b32 vcc_lo, exec_lo, s11
	s_cbranch_vccnz .LBB153_1725
; %bb.1718:
	global_load_ubyte v13, v[0:1], off
	s_mov_b32 s11, 0
	s_mov_b32 s13, exec_lo
	s_waitcnt vmcnt(0)
	v_cmpx_lt_i16_e32 0x7f, v13
	s_xor_b32 s13, exec_lo, s13
	s_cbranch_execz .LBB153_1739
; %bb.1719:
	s_mov_b32 s11, -1
	s_mov_b32 s15, exec_lo
	v_cmpx_eq_u16_e32 0x80, v13
; %bb.1720:
	s_xor_b32 s11, exec_lo, -1
; %bb.1721:
	s_or_b32 exec_lo, exec_lo, s15
	s_and_b32 s11, s11, exec_lo
	s_or_saveexec_b32 s13, s13
	v_mov_b32_e32 v11, 0x7e00
	s_xor_b32 exec_lo, exec_lo, s13
	s_cbranch_execnz .LBB153_1740
.LBB153_1722:
	s_or_b32 exec_lo, exec_lo, s13
	s_and_saveexec_b32 s13, s11
	s_cbranch_execz .LBB153_1724
.LBB153_1723:
	v_and_b32_e32 v11, 0xffff, v13
	v_lshlrev_b32_e32 v13, 24, v13
	v_and_b32_e32 v14, 7, v11
	v_bfe_u32 v17, v11, 3, 4
	v_and_b32_e32 v13, 0x80000000, v13
	v_ffbh_u32_e32 v15, v14
	v_cmp_eq_u32_e32 vcc_lo, 0, v17
	v_min_u32_e32 v15, 32, v15
	v_subrev_nc_u32_e32 v16, 28, v15
	v_sub_nc_u32_e32 v15, 29, v15
	v_lshlrev_b32_e32 v11, v16, v11
	v_cndmask_b32_e32 v15, v17, v15, vcc_lo
	v_and_b32_e32 v11, 7, v11
	v_cndmask_b32_e32 v11, v14, v11, vcc_lo
	v_lshl_add_u32 v14, v15, 23, 0x3b800000
	v_lshlrev_b32_e32 v11, 20, v11
	v_or3_b32 v11, v13, v14, v11
	v_cvt_f16_f32_e32 v11, v11
.LBB153_1724:
	s_or_b32 exec_lo, exec_lo, s13
.LBB153_1725:
	s_mov_b32 s11, -1
.LBB153_1726:
	s_mov_b32 s13, 0
.LBB153_1727:
	s_and_b32 vcc_lo, exec_lo, s13
	s_cbranch_vccz .LBB153_1760
; %bb.1728:
	s_cmp_gt_i32 s4, 22
	s_cbranch_scc0 .LBB153_1738
; %bb.1729:
	s_cmp_lt_i32 s4, 24
	s_cbranch_scc1 .LBB153_1741
; %bb.1730:
	s_cmp_gt_i32 s4, 24
	s_cbranch_scc0 .LBB153_1742
; %bb.1731:
	global_load_ubyte v13, v[0:1], off
	s_mov_b32 s11, exec_lo
	s_waitcnt vmcnt(0)
	v_cmpx_lt_i16_e32 0x7f, v13
	s_xor_b32 s11, exec_lo, s11
	s_cbranch_execz .LBB153_1754
; %bb.1732:
	s_mov_b32 s10, -1
	s_mov_b32 s13, exec_lo
	v_cmpx_eq_u16_e32 0x80, v13
; %bb.1733:
	s_xor_b32 s10, exec_lo, -1
; %bb.1734:
	s_or_b32 exec_lo, exec_lo, s13
	s_and_b32 s10, s10, exec_lo
	s_or_saveexec_b32 s11, s11
	v_mov_b32_e32 v11, 0x7e00
	s_xor_b32 exec_lo, exec_lo, s11
	s_cbranch_execnz .LBB153_1755
.LBB153_1735:
	s_or_b32 exec_lo, exec_lo, s11
	s_and_saveexec_b32 s11, s10
	s_cbranch_execz .LBB153_1737
.LBB153_1736:
	v_and_b32_e32 v11, 0xffff, v13
	v_lshlrev_b32_e32 v13, 24, v13
	v_and_b32_e32 v14, 3, v11
	v_bfe_u32 v17, v11, 2, 5
	v_and_b32_e32 v13, 0x80000000, v13
	v_ffbh_u32_e32 v15, v14
	v_cmp_eq_u32_e32 vcc_lo, 0, v17
	v_min_u32_e32 v15, 32, v15
	v_subrev_nc_u32_e32 v16, 29, v15
	v_sub_nc_u32_e32 v15, 30, v15
	v_lshlrev_b32_e32 v11, v16, v11
	v_cndmask_b32_e32 v15, v17, v15, vcc_lo
	v_and_b32_e32 v11, 3, v11
	v_cndmask_b32_e32 v11, v14, v11, vcc_lo
	v_lshl_add_u32 v14, v15, 23, 0x37800000
	v_lshlrev_b32_e32 v11, 21, v11
	v_or3_b32 v11, v13, v14, v11
	v_cvt_f16_f32_e32 v11, v11
.LBB153_1737:
	s_or_b32 exec_lo, exec_lo, s11
	s_mov_b32 s10, 0
	s_branch .LBB153_1743
.LBB153_1738:
	s_mov_b32 s10, -1
                                        ; implicit-def: $vgpr11
	s_branch .LBB153_1749
.LBB153_1739:
	s_or_saveexec_b32 s13, s13
	v_mov_b32_e32 v11, 0x7e00
	s_xor_b32 exec_lo, exec_lo, s13
	s_cbranch_execz .LBB153_1722
.LBB153_1740:
	v_cmp_ne_u16_e32 vcc_lo, 0, v13
	v_mov_b32_e32 v11, v13
	s_andn2_b32 s11, s11, exec_lo
	s_and_b32 s15, vcc_lo, exec_lo
	s_or_b32 s11, s11, s15
	s_or_b32 exec_lo, exec_lo, s13
	s_and_saveexec_b32 s13, s11
	s_cbranch_execnz .LBB153_1723
	s_branch .LBB153_1724
.LBB153_1741:
	s_mov_b32 s10, -1
                                        ; implicit-def: $vgpr11
	s_branch .LBB153_1746
.LBB153_1742:
	s_mov_b32 s10, -1
                                        ; implicit-def: $vgpr11
.LBB153_1743:
	s_and_b32 vcc_lo, exec_lo, s10
	s_cbranch_vccz .LBB153_1745
; %bb.1744:
	global_load_ubyte v11, v[0:1], off
	s_waitcnt vmcnt(0)
	v_lshlrev_b32_e32 v11, 24, v11
	v_and_b32_e32 v13, 0x7f000000, v11
	v_ffbh_u32_e32 v14, v13
	v_add_nc_u32_e32 v16, 0x1000000, v13
	v_cmp_ne_u32_e32 vcc_lo, 0, v13
	v_min_u32_e32 v14, 32, v14
	v_sub_nc_u32_e64 v14, v14, 4 clamp
	v_lshlrev_b32_e32 v15, v14, v13
	v_lshlrev_b32_e32 v14, 23, v14
	v_lshrrev_b32_e32 v15, 4, v15
	v_sub_nc_u32_e32 v14, v15, v14
	v_ashrrev_i32_e32 v15, 8, v16
	v_add_nc_u32_e32 v14, 0x3c000000, v14
	v_and_or_b32 v14, 0x7f800000, v15, v14
	v_cndmask_b32_e32 v13, 0, v14, vcc_lo
	v_and_or_b32 v11, 0x80000000, v11, v13
	v_cvt_f16_f32_e32 v11, v11
.LBB153_1745:
	s_mov_b32 s10, 0
.LBB153_1746:
	s_andn2_b32 vcc_lo, exec_lo, s10
	s_cbranch_vccnz .LBB153_1748
; %bb.1747:
	global_load_ubyte v11, v[0:1], off
	s_waitcnt vmcnt(0)
	v_lshlrev_b32_e32 v13, 25, v11
	v_lshlrev_b16 v11, 8, v11
	v_lshrrev_b32_e32 v14, 4, v13
	v_and_or_b32 v15, 0x7f00, v11, 0.5
	v_cmp_gt_u32_e32 vcc_lo, 0x8000000, v13
	v_bfe_i32 v11, v11, 0, 16
	v_or_b32_e32 v14, 0x70000000, v14
	v_add_f32_e32 v15, -0.5, v15
	v_mul_f32_e32 v14, 0x7800000, v14
	v_cndmask_b32_e32 v13, v14, v15, vcc_lo
	v_and_or_b32 v11, 0x80000000, v11, v13
	v_cvt_f16_f32_e32 v11, v11
.LBB153_1748:
	s_mov_b32 s10, 0
	s_mov_b32 s11, -1
.LBB153_1749:
	s_andn2_b32 vcc_lo, exec_lo, s10
	s_mov_b32 s10, 0
	s_cbranch_vccnz .LBB153_1760
; %bb.1750:
	s_cmp_gt_i32 s4, 14
	s_cbranch_scc0 .LBB153_1753
; %bb.1751:
	s_cmp_eq_u32 s4, 15
	s_cbranch_scc0 .LBB153_1756
; %bb.1752:
	global_load_ushort v11, v[0:1], off
	s_mov_b32 s3, 0
	s_mov_b32 s11, -1
	s_waitcnt vmcnt(0)
	v_lshlrev_b32_e32 v11, 16, v11
	v_cvt_f16_f32_e32 v11, v11
	s_branch .LBB153_1758
.LBB153_1753:
	s_mov_b32 s10, -1
	s_branch .LBB153_1757
.LBB153_1754:
	s_or_saveexec_b32 s11, s11
	v_mov_b32_e32 v11, 0x7e00
	s_xor_b32 exec_lo, exec_lo, s11
	s_cbranch_execz .LBB153_1735
.LBB153_1755:
	v_cmp_ne_u16_e32 vcc_lo, 0, v13
	v_mov_b32_e32 v11, v13
	s_andn2_b32 s10, s10, exec_lo
	s_and_b32 s13, vcc_lo, exec_lo
	s_or_b32 s10, s10, s13
	s_or_b32 exec_lo, exec_lo, s11
	s_and_saveexec_b32 s11, s10
	s_cbranch_execnz .LBB153_1736
	s_branch .LBB153_1737
.LBB153_1756:
	s_mov_b32 s3, -1
.LBB153_1757:
                                        ; implicit-def: $vgpr11
.LBB153_1758:
	s_and_b32 vcc_lo, exec_lo, s10
	s_mov_b32 s10, 0
	s_cbranch_vccz .LBB153_1760
; %bb.1759:
	s_cmp_lg_u32 s4, 11
	s_mov_b32 s10, -1
	s_cselect_b32 s3, -1, 0
.LBB153_1760:
	s_and_b32 vcc_lo, exec_lo, s3
	s_cbranch_vccnz .LBB153_2331
; %bb.1761:
	s_andn2_b32 vcc_lo, exec_lo, s10
	s_cbranch_vccnz .LBB153_1763
.LBB153_1762:
	global_load_ubyte v11, v[0:1], off
	s_mov_b32 s11, -1
	s_waitcnt vmcnt(0)
	v_cmp_ne_u16_e32 vcc_lo, 0, v11
	v_cndmask_b32_e64 v11, 0, 0x3c00, vcc_lo
.LBB153_1763:
	s_mov_b32 s3, 0
.LBB153_1764:
	s_and_b32 vcc_lo, exec_lo, s3
	s_cbranch_vccz .LBB153_1813
; %bb.1765:
	s_cmp_lt_i32 s4, 5
	s_cbranch_scc1 .LBB153_1770
; %bb.1766:
	s_cmp_lt_i32 s4, 8
	s_cbranch_scc1 .LBB153_1771
	;; [unrolled: 3-line block ×3, first 2 shown]
; %bb.1768:
	s_cmp_gt_i32 s4, 9
	s_cbranch_scc0 .LBB153_1773
; %bb.1769:
	global_load_dwordx2 v[13:14], v[0:1], off
	s_mov_b32 s3, 0
	s_waitcnt vmcnt(0)
	v_and_or_b32 v11, 0x1ff, v14, v13
	v_lshrrev_b32_e32 v13, 8, v14
	v_bfe_u32 v15, v14, 20, 11
	v_cmp_ne_u32_e32 vcc_lo, 0, v11
	v_sub_nc_u32_e32 v16, 0x3f1, v15
	v_add_nc_u32_e32 v15, 0xfffffc10, v15
	v_cndmask_b32_e64 v11, 0, 1, vcc_lo
	v_and_or_b32 v11, 0xffe, v13, v11
	v_med3_i32 v13, v16, 0, 13
	v_or_b32_e32 v16, 0x1000, v11
	v_lshrrev_b32_e32 v17, v13, v16
	v_lshlrev_b32_e32 v13, v13, v17
	v_cmp_ne_u32_e32 vcc_lo, v13, v16
	v_lshl_or_b32 v16, v15, 12, v11
	v_cndmask_b32_e64 v13, 0, 1, vcc_lo
	v_cmp_gt_i32_e32 vcc_lo, 1, v15
	v_or_b32_e32 v13, v17, v13
	v_cndmask_b32_e32 v13, v16, v13, vcc_lo
	v_and_b32_e32 v16, 7, v13
	v_lshrrev_b32_e32 v13, 2, v13
	v_cmp_lt_i32_e32 vcc_lo, 5, v16
	v_cndmask_b32_e64 v17, 0, 1, vcc_lo
	v_cmp_eq_u32_e32 vcc_lo, 3, v16
	v_cndmask_b32_e64 v16, 0, 1, vcc_lo
	v_cmp_ne_u32_e32 vcc_lo, 0, v11
	v_or_b32_e32 v16, v16, v17
	v_mov_b32_e32 v17, 0x7e00
	v_add_nc_u32_e32 v13, v13, v16
	v_cndmask_b32_e32 v11, 0x7c00, v17, vcc_lo
	v_cmp_gt_i32_e32 vcc_lo, 31, v15
	v_cndmask_b32_e32 v13, 0x7c00, v13, vcc_lo
	v_cmp_eq_u32_e32 vcc_lo, 0x40f, v15
	v_cndmask_b32_e32 v11, v13, v11, vcc_lo
	v_lshrrev_b32_e32 v13, 16, v14
	v_and_or_b32 v11, 0x8000, v13, v11
	s_branch .LBB153_1774
.LBB153_1770:
	s_mov_b32 s3, -1
                                        ; implicit-def: $vgpr11
	s_branch .LBB153_1792
.LBB153_1771:
	s_mov_b32 s3, -1
                                        ; implicit-def: $vgpr11
	s_branch .LBB153_1780
.LBB153_1772:
	s_mov_b32 s3, -1
                                        ; implicit-def: $vgpr11
	s_branch .LBB153_1777
.LBB153_1773:
	s_mov_b32 s3, -1
                                        ; implicit-def: $vgpr11
.LBB153_1774:
	s_andn2_b32 vcc_lo, exec_lo, s3
	s_cbranch_vccnz .LBB153_1776
; %bb.1775:
	global_load_dword v11, v[0:1], off
	s_waitcnt vmcnt(0)
	v_cvt_f16_f32_e32 v11, v11
.LBB153_1776:
	s_mov_b32 s3, 0
.LBB153_1777:
	s_andn2_b32 vcc_lo, exec_lo, s3
	s_cbranch_vccnz .LBB153_1779
; %bb.1778:
	global_load_dword v11, v[0:1], off
.LBB153_1779:
	s_mov_b32 s3, 0
.LBB153_1780:
	s_andn2_b32 vcc_lo, exec_lo, s3
	s_cbranch_vccnz .LBB153_1791
; %bb.1781:
	s_cmp_lt_i32 s4, 6
	s_cbranch_scc1 .LBB153_1784
; %bb.1782:
	s_cmp_gt_i32 s4, 6
	s_cbranch_scc0 .LBB153_1785
; %bb.1783:
	global_load_dwordx2 v[13:14], v[0:1], off
	s_mov_b32 s3, 0
	s_waitcnt vmcnt(0)
	v_and_or_b32 v11, 0x1ff, v14, v13
	v_lshrrev_b32_e32 v13, 8, v14
	v_bfe_u32 v15, v14, 20, 11
	v_cmp_ne_u32_e32 vcc_lo, 0, v11
	v_sub_nc_u32_e32 v16, 0x3f1, v15
	v_add_nc_u32_e32 v15, 0xfffffc10, v15
	v_cndmask_b32_e64 v11, 0, 1, vcc_lo
	v_and_or_b32 v11, 0xffe, v13, v11
	v_med3_i32 v13, v16, 0, 13
	v_or_b32_e32 v16, 0x1000, v11
	v_lshrrev_b32_e32 v17, v13, v16
	v_lshlrev_b32_e32 v13, v13, v17
	v_cmp_ne_u32_e32 vcc_lo, v13, v16
	v_lshl_or_b32 v16, v15, 12, v11
	v_cndmask_b32_e64 v13, 0, 1, vcc_lo
	v_cmp_gt_i32_e32 vcc_lo, 1, v15
	v_or_b32_e32 v13, v17, v13
	v_cndmask_b32_e32 v13, v16, v13, vcc_lo
	v_and_b32_e32 v16, 7, v13
	v_lshrrev_b32_e32 v13, 2, v13
	v_cmp_lt_i32_e32 vcc_lo, 5, v16
	v_cndmask_b32_e64 v17, 0, 1, vcc_lo
	v_cmp_eq_u32_e32 vcc_lo, 3, v16
	v_cndmask_b32_e64 v16, 0, 1, vcc_lo
	v_cmp_ne_u32_e32 vcc_lo, 0, v11
	v_or_b32_e32 v16, v16, v17
	v_mov_b32_e32 v17, 0x7e00
	v_add_nc_u32_e32 v13, v13, v16
	v_cndmask_b32_e32 v11, 0x7c00, v17, vcc_lo
	v_cmp_gt_i32_e32 vcc_lo, 31, v15
	v_cndmask_b32_e32 v13, 0x7c00, v13, vcc_lo
	v_cmp_eq_u32_e32 vcc_lo, 0x40f, v15
	v_cndmask_b32_e32 v11, v13, v11, vcc_lo
	v_lshrrev_b32_e32 v13, 16, v14
	v_and_or_b32 v11, 0x8000, v13, v11
	s_branch .LBB153_1786
.LBB153_1784:
	s_mov_b32 s3, -1
                                        ; implicit-def: $vgpr11
	s_branch .LBB153_1789
.LBB153_1785:
	s_mov_b32 s3, -1
                                        ; implicit-def: $vgpr11
.LBB153_1786:
	s_andn2_b32 vcc_lo, exec_lo, s3
	s_cbranch_vccnz .LBB153_1788
; %bb.1787:
	global_load_dword v11, v[0:1], off
	s_waitcnt vmcnt(0)
	v_cvt_f16_f32_e32 v11, v11
.LBB153_1788:
	s_mov_b32 s3, 0
.LBB153_1789:
	s_andn2_b32 vcc_lo, exec_lo, s3
	s_cbranch_vccnz .LBB153_1791
; %bb.1790:
	global_load_ushort v11, v[0:1], off
.LBB153_1791:
	s_mov_b32 s3, 0
.LBB153_1792:
	s_andn2_b32 vcc_lo, exec_lo, s3
	s_cbranch_vccnz .LBB153_1812
; %bb.1793:
	s_cmp_lt_i32 s4, 2
	s_cbranch_scc1 .LBB153_1797
; %bb.1794:
	s_cmp_lt_i32 s4, 3
	s_cbranch_scc1 .LBB153_1798
; %bb.1795:
	s_cmp_gt_i32 s4, 3
	s_cbranch_scc0 .LBB153_1799
; %bb.1796:
	global_load_dwordx2 v[13:14], v[0:1], off
	s_mov_b32 s3, 0
	s_waitcnt vmcnt(0)
	v_xor_b32_e32 v11, v13, v14
	v_ffbh_i32_e32 v15, v14
	v_ashrrev_i32_e32 v11, 31, v11
	v_add_nc_u32_e32 v15, -1, v15
	v_add_nc_u32_e32 v11, 32, v11
	v_min_u32_e32 v11, v15, v11
	v_lshlrev_b64 v[13:14], v11, v[13:14]
	v_sub_nc_u32_e32 v11, 32, v11
	v_min_u32_e32 v13, 1, v13
	v_or_b32_e32 v13, v14, v13
	v_cvt_f32_i32_e32 v13, v13
	v_ldexp_f32 v11, v13, v11
	v_cvt_f16_f32_e32 v11, v11
	s_branch .LBB153_1800
.LBB153_1797:
	s_mov_b32 s3, -1
                                        ; implicit-def: $vgpr11
	s_branch .LBB153_1806
.LBB153_1798:
	s_mov_b32 s3, -1
                                        ; implicit-def: $vgpr11
	s_branch .LBB153_1803
.LBB153_1799:
	s_mov_b32 s3, -1
                                        ; implicit-def: $vgpr11
.LBB153_1800:
	s_andn2_b32 vcc_lo, exec_lo, s3
	s_cbranch_vccnz .LBB153_1802
; %bb.1801:
	global_load_dword v11, v[0:1], off
	s_waitcnt vmcnt(0)
	v_cvt_f32_i32_e32 v11, v11
	v_cvt_f16_f32_e32 v11, v11
.LBB153_1802:
	s_mov_b32 s3, 0
.LBB153_1803:
	s_andn2_b32 vcc_lo, exec_lo, s3
	s_cbranch_vccnz .LBB153_1805
; %bb.1804:
	global_load_ushort v11, v[0:1], off
	s_waitcnt vmcnt(0)
	v_cvt_f16_i16_e32 v11, v11
.LBB153_1805:
	s_mov_b32 s3, 0
.LBB153_1806:
	s_andn2_b32 vcc_lo, exec_lo, s3
	s_cbranch_vccnz .LBB153_1812
; %bb.1807:
	s_cmp_gt_i32 s4, 0
	s_mov_b32 s3, 0
	s_cbranch_scc0 .LBB153_1809
; %bb.1808:
	global_load_sbyte v11, v[0:1], off
	s_waitcnt vmcnt(0)
	v_cvt_f16_i16_e32 v11, v11
	s_branch .LBB153_1810
.LBB153_1809:
	s_mov_b32 s3, -1
                                        ; implicit-def: $vgpr11
.LBB153_1810:
	s_andn2_b32 vcc_lo, exec_lo, s3
	s_cbranch_vccnz .LBB153_1812
; %bb.1811:
	global_load_ubyte v0, v[0:1], off
	s_waitcnt vmcnt(0)
	v_cvt_f16_u16_e32 v11, v0
.LBB153_1812:
	s_mov_b32 s11, -1
.LBB153_1813:
	s_andn2_b32 vcc_lo, exec_lo, s11
	s_cbranch_vccnz .LBB153_2285
; %bb.1814:
	s_waitcnt vmcnt(0)
	v_cvt_f32_f16_e32 v13, v11
	s_mov_b32 s4, exec_lo
                                        ; implicit-def: $vgpr14
	v_and_b32_e32 v0, 0x7fffffff, v13
	v_cmpx_ngt_f32_e64 0x3c800000, |v13|
	s_xor_b32 s4, exec_lo, s4
	s_cbranch_execz .LBB153_1844
; %bb.1815:
	s_mov_b32 s10, exec_lo
                                        ; implicit-def: $vgpr14
	v_cmpx_nlt_f32_e64 |v13|, 2.0
	s_xor_b32 s10, exec_lo, s10
	s_cbranch_execz .LBB153_1825
; %bb.1816:
	v_cmp_ngt_f32_e64 s3, 0x41000000, |v13|
                                        ; implicit-def: $vgpr14
	s_and_saveexec_b32 s11, s3
	s_xor_b32 s3, exec_lo, s11
	s_cbranch_execz .LBB153_1822
; %bb.1817:
	v_cmp_ngt_f32_e64 s11, 0x5c800000, |v13|
                                        ; implicit-def: $vgpr14
	s_and_saveexec_b32 s13, s11
	s_xor_b32 s11, exec_lo, s13
	s_cbranch_execz .LBB153_1819
; %bb.1818:
	v_cmp_gt_f32_e64 s13, 0x800000, |v13|
	v_cndmask_b32_e64 v1, 0, 32, s13
	v_ldexp_f32 v1, |v13|, v1
	v_log_f32_e32 v1, v1
	v_mul_f32_e32 v14, 0x3f317217, v1
	v_cmp_gt_f32_e64 vcc_lo, 0x7f800000, |v1|
	v_fma_f32 v15, 0x3f317217, v1, -v14
	v_fmamk_f32 v15, v1, 0x3377d1cf, v15
	v_add_f32_e32 v14, v14, v15
	v_cndmask_b32_e32 v1, v1, v14, vcc_lo
	v_cndmask_b32_e64 v14, 0, 0x41b17218, s13
	v_sub_f32_e32 v1, v1, v14
	v_fma_f32 v14, |v13|, v1, -|v13|
.LBB153_1819:
	s_andn2_saveexec_b32 s11, s11
	s_cbranch_execz .LBB153_1821
; %bb.1820:
	v_cmp_gt_f32_e64 s13, 0x800000, |v13|
	v_rcp_f32_e64 v14, |v13|
	s_mov_b32 s15, 0xbad5c4e8
	v_cndmask_b32_e64 v1, 0, 32, s13
	v_ldexp_f32 v1, |v13|, v1
	v_mul_f32_e32 v15, v14, v14
	v_log_f32_e32 v1, v1
	v_fmaak_f32 v17, s15, v15, 0x3a5b3dd2
	v_fmaak_f32 v17, v15, v17, 0xba1c065c
	v_mul_f32_e32 v16, 0x3f317217, v1
	v_fmaak_f32 v17, v15, v17, 0x3a500cfd
	v_cmp_gt_f32_e64 vcc_lo, 0x7f800000, |v1|
	v_fma_f32 v18, 0x3f317217, v1, -v16
	v_fmaak_f32 v17, v15, v17, 0xbb360b61
	v_fmamk_f32 v18, v1, 0x3377d1cf, v18
	v_fmaak_f32 v15, v15, v17, 0x3daaaaab
	v_add_f32_e32 v16, v16, v18
	v_fmaak_f32 v14, v14, v15, 0x3ed67f1d
	v_add_f32_e64 v15, |v13|, -0.5
	v_cndmask_b32_e32 v1, v1, v16, vcc_lo
	v_cndmask_b32_e64 v16, 0, 0x41b17218, s13
	v_sub_f32_e32 v1, v1, v16
	v_add_f32_e32 v1, -1.0, v1
	v_fmac_f32_e32 v14, v15, v1
.LBB153_1821:
	s_or_b32 exec_lo, exec_lo, s11
.LBB153_1822:
	s_andn2_saveexec_b32 s11, s3
	s_cbranch_execz .LBB153_1824
; %bb.1823:
	v_cvt_i32_f32_e32 v1, v0
	s_mov_b32 s3, 0x36f5d7bd
	s_mov_b32 s13, 0x3805ff67
	v_cvt_f32_i32_e32 v14, v1
	v_cmp_lt_i32_e32 vcc_lo, 2, v1
	v_sub_f32_e64 v14, |v13|, v14
	v_add_f32_e32 v15, 2.0, v14
	v_add_f32_e32 v16, 0x40400000, v14
	v_add_f32_e32 v17, 4.0, v14
	v_add_f32_e32 v18, 0x40a00000, v14
	v_cndmask_b32_e32 v15, 1.0, v15, vcc_lo
	v_cmp_lt_i32_e32 vcc_lo, 3, v1
	v_cndmask_b32_e32 v16, 1.0, v16, vcc_lo
	v_cmp_lt_i32_e32 vcc_lo, 4, v1
	v_mul_f32_e32 v15, v15, v16
	v_cndmask_b32_e32 v17, 1.0, v17, vcc_lo
	v_cmp_lt_i32_e32 vcc_lo, 5, v1
	v_add_f32_e32 v16, 0x40c00000, v14
	v_mul_f32_e32 v15, v17, v15
	v_cndmask_b32_e32 v18, 1.0, v18, vcc_lo
	v_cmp_lt_i32_e32 vcc_lo, 6, v1
	v_fmaak_f32 v17, s13, v14, 0x3af135b4
	v_mul_f32_e32 v15, v18, v15
	v_cndmask_b32_e32 v1, 1.0, v16, vcc_lo
	v_mul_f32_e32 v1, v1, v15
	v_fmaak_f32 v15, s3, v14, 0x3a4beed6
	v_cmp_gt_f32_e32 vcc_lo, 0x800000, v1
	v_fmaak_f32 v15, v14, v15, 0x3c98bf54
	v_cndmask_b32_e64 v16, 0, 32, vcc_lo
	v_fmaak_f32 v15, v14, v15, 0x3e300f6e
	v_ldexp_f32 v1, v1, v16
	v_fmaak_f32 v16, v14, v17, 0x3cda40e4
	v_fmaak_f32 v15, v14, v15, 0x3f38d0c5
	v_log_f32_e32 v1, v1
	v_fmaak_f32 v16, v14, v16, 0x3e15dce6
	v_fmaak_f32 v15, v14, v15, 0x3fb22d3b
	;; [unrolled: 1-line block ×3, first 2 shown]
	v_fma_f32 v15, v14, v15, 1.0
	v_mul_f32_e32 v17, 0x3f317217, v1
	v_fmaak_f32 v16, v14, v16, 0x3e5c245a
	v_rcp_f32_e32 v15, v15
	v_cmp_gt_f32_e64 s3, 0x7f800000, |v1|
	v_fma_f32 v18, 0x3f317217, v1, -v17
	v_fmaak_f32 v16, v14, v16, 0xbd9e233f
	v_fmamk_f32 v18, v1, 0x3377d1cf, v18
	v_mul_f32_e32 v16, v14, v16
	v_add_f32_e32 v17, v17, v18
	v_mul_f32_e32 v15, v16, v15
	v_cndmask_b32_e64 v16, 0, 0x41b17218, vcc_lo
	v_cndmask_b32_e64 v1, v1, v17, s3
	v_fmac_f32_e32 v15, 0.5, v14
	v_sub_f32_e32 v1, v1, v16
	v_add_f32_e32 v14, v1, v15
.LBB153_1824:
	s_or_b32 exec_lo, exec_lo, s11
.LBB153_1825:
	s_andn2_saveexec_b32 s10, s10
	s_cbranch_execz .LBB153_1843
; %bb.1826:
	s_mov_b32 s11, exec_lo
                                        ; implicit-def: $vgpr14
                                        ; implicit-def: $vgpr15
                                        ; implicit-def: $vgpr1
	v_cmpx_ge_f32_e64 0x3f666666, |v13|
	s_xor_b32 s11, exec_lo, s11
	s_cbranch_execz .LBB153_1828
; %bb.1827:
	v_cmp_gt_f32_e64 s3, 0x800000, |v13|
	v_sub_f32_e64 v16, 1.0, |v13|
	v_cmp_gt_f32_e64 vcc_lo, 0x3f3b4a23, |v13|
	v_cndmask_b32_e64 v1, 0, 32, s3
	v_cndmask_b32_e64 v17, 0, 0x41b17218, s3
	v_ldexp_f32 v1, |v13|, v1
	v_log_f32_e32 v1, v1
	v_mul_f32_e32 v14, 0x3f317217, v1
	v_cmp_gt_f32_e64 s3, 0x7f800000, |v1|
	v_fma_f32 v15, 0x3f317217, v1, -v14
	v_fmamk_f32 v15, v1, 0x3377d1cf, v15
	v_add_f32_e32 v14, v14, v15
	v_add_f32_e64 v15, 0xbeec5b0c, |v13|
	v_cndmask_b32_e64 v1, v1, v14, s3
	v_cndmask_b32_e32 v14, v16, v15, vcc_lo
	v_cndmask_b32_e64 v15, 0, 1, vcc_lo
	v_cmp_gt_f32_e64 s3, 0x3e6d3309, |v13|
	v_sub_f32_e32 v16, v1, v17
	v_cndmask_b32_e64 v1, v14, |v13|, s3
	v_cndmask_b32_e64 v15, v15, 2, s3
	v_xor_b32_e32 v14, 0x80000000, v16
.LBB153_1828:
	s_andn2_saveexec_b32 s3, s11
	s_cbranch_execz .LBB153_1830
; %bb.1829:
	v_sub_f32_e64 v1, 2.0, |v13|
	v_add_f32_e64 v14, 0xbfbb16c3, |v13|
	v_cmp_gt_f32_e64 vcc_lo, 0x3fdda512, |v13|
	v_add_f32_e64 v15, |v13|, -1.0
	v_cndmask_b32_e32 v14, v1, v14, vcc_lo
	v_cndmask_b32_e64 v1, v1, 1.0, vcc_lo
	v_cmp_gt_f32_e64 vcc_lo, 0x3f9d70a4, |v13|
	v_cvt_i32_f32_e32 v16, v1
	v_cndmask_b32_e32 v1, v14, v15, vcc_lo
	v_mov_b32_e32 v14, 0
	v_cndmask_b32_e64 v15, v16, 2, vcc_lo
.LBB153_1830:
	s_or_b32 exec_lo, exec_lo, s3
	s_mov_b32 s3, exec_lo
	v_cmpx_lt_i32_e32 0, v15
	s_xor_b32 s3, exec_lo, s3
	s_cbranch_execz .LBB153_1838
; %bb.1831:
	s_mov_b32 s11, exec_lo
	v_cmpx_lt_i32_e32 1, v15
	s_xor_b32 s11, exec_lo, s11
	s_cbranch_execz .LBB153_1835
; %bb.1832:
	s_mov_b32 s13, exec_lo
	v_cmpx_eq_u32_e32 2, v15
	s_cbranch_execz .LBB153_1834
; %bb.1833:
	s_mov_b32 s15, 0x3b52d5db
	v_fmaak_f32 v15, s15, v1, 0x3dd572af
	s_mov_b32 s15, 0x3c5b3c5e
	v_fmaak_f32 v16, s15, v1, 0x3e6a7578
	v_fmaak_f32 v15, v1, v15, 0x3f44efdf
	v_fmaak_f32 v16, v1, v16, 0x3f7a4bb2
	v_fmaak_f32 v15, v1, v15, 0x4008392d
	v_fmaak_f32 v16, v1, v16, 0x3fba3ae7
	v_fmaak_f32 v15, v1, v15, 0x401d2ebe
	v_fmaak_f32 v16, v1, v16, 0x3f2200f4
	v_fma_f32 v15, v1, v15, 1.0
	v_fmaak_f32 v16, v1, v16, 0xbd9e233f
	v_rcp_f32_e32 v15, v15
	v_mul_f32_e32 v16, v1, v16
	v_mul_f32_e32 v15, v16, v15
	v_fmac_f32_e32 v15, -0.5, v1
	v_add_f32_e32 v14, v14, v15
.LBB153_1834:
	s_or_b32 exec_lo, exec_lo, s13
                                        ; implicit-def: $vgpr1
.LBB153_1835:
	s_andn2_saveexec_b32 s11, s11
	s_cbranch_execz .LBB153_1837
; %bb.1836:
	v_mul_f32_e32 v15, v1, v1
	s_mov_b32 s13, 0xb9a3f927
	s_mov_b32 s15, 0x39afe9f7
	v_mul_f32_e32 v16, v1, v15
	v_fmaak_f32 v17, s13, v16, 0x3a66f867
	v_fmaak_f32 v18, s15, v16, 0xba0d3085
	s_mov_b32 s13, 0x39a57b6b
	v_fmaak_f32 v19, s13, v16, 0xbab7f476
	v_fmaak_f32 v17, v16, v17, 0xbb7177fe
	;; [unrolled: 1-line block ×9, first 2 shown]
	v_fmac_f32_e32 v17, v1, v18
	v_fmaak_f32 v1, v16, v19, 0x3ef7b95e
	v_fma_f32 v16, v16, -v17, 0xa2863e55
	v_fma_f32 v1, v15, v1, -v16
	v_add_f32_e32 v1, 0xbdf8cdce, v1
	v_add_f32_e32 v14, v14, v1
.LBB153_1837:
	s_or_b32 exec_lo, exec_lo, s11
                                        ; implicit-def: $vgpr15
                                        ; implicit-def: $vgpr1
.LBB153_1838:
	s_andn2_saveexec_b32 s3, s3
	s_cbranch_execz .LBB153_1842
; %bb.1839:
	s_mov_b32 s11, exec_lo
	v_cmpx_eq_u32_e32 0, v15
	s_cbranch_execz .LBB153_1841
; %bb.1840:
	v_mul_f32_e32 v15, v1, v1
	s_mov_b32 s13, 0x383c2c75
	v_fmaak_f32 v16, s13, v15, 0x38e28445
	s_mov_b32 s13, 0x37d383a2
	v_fmaak_f32 v17, s13, v15, 0x39679767
	v_fmaak_f32 v16, v15, v16, 0x3a05b634
	;; [unrolled: 1-line block ×9, first 2 shown]
	v_mul_f32_e32 v15, v15, v16
	v_fmac_f32_e32 v15, v1, v17
	v_fmac_f32_e32 v15, -0.5, v1
	v_add_f32_e32 v14, v14, v15
.LBB153_1841:
	s_or_b32 exec_lo, exec_lo, s11
.LBB153_1842:
	s_or_b32 exec_lo, exec_lo, s3
.LBB153_1843:
	s_or_b32 exec_lo, exec_lo, s10
.LBB153_1844:
	s_andn2_saveexec_b32 s3, s4
	s_cbranch_execz .LBB153_1846
; %bb.1845:
	v_cmp_gt_f32_e64 s4, 0x800000, |v13|
	s_mov_b32 s10, 0x3e8a8991
	v_fma_f32 v16, |v13|, s10, 0xbecd26ab
	v_cndmask_b32_e64 v1, 0, 32, s4
	v_ldexp_f32 v1, |v13|, v1
	v_log_f32_e32 v1, v1
	v_mul_f32_e32 v14, 0x3f317217, v1
	v_cmp_gt_f32_e64 vcc_lo, 0x7f800000, |v1|
	v_fma_f32 v15, 0x3f317217, v1, -v14
	v_fmamk_f32 v15, v1, 0x3377d1cf, v15
	v_add_f32_e32 v14, v14, v15
	v_fma_f32 v15, |v13|, v16, 0x3f528d33
	v_cndmask_b32_e32 v1, v1, v14, vcc_lo
	v_cndmask_b32_e64 v14, 0, 0x41b17218, s4
	v_fma_f32 v15, |v13|, v15, 0xbf13c468
	v_sub_f32_e32 v1, v1, v14
	v_fma_f32 v14, |v13|, v15, -v1
.LBB153_1846:
	s_or_b32 exec_lo, exec_lo, s3
	v_cmp_le_f16_e64 s3, 0, v11
	s_mov_b32 s4, exec_lo
	v_cmpx_nle_f16_e32 0, v11
	s_xor_b32 s10, exec_lo, s4
	s_cbranch_execz .LBB153_1850
; %bb.1847:
	v_cmp_gt_f32_e64 s4, 0x4b000000, |v13|
	v_cmp_lt_f32_e64 s11, 0x35000000, |v13|
	s_and_b32 s4, s4, s11
	s_and_saveexec_b32 s11, s4
	s_cbranch_execz .LBB153_1849
; %bb.1848:
	v_mul_f32_e64 v1, |v13|, 0.5
	v_cmp_gt_f32_e64 s4, |v13|, 1.0
	s_mov_b32 s13, 0x3d4be544
	v_xor_b32_e32 v0, v0, v13
	v_floor_f32_e32 v15, v1
	v_cmp_neq_f32_e32 vcc_lo, 0x7f800000, v1
	v_sub_f32_e32 v15, v1, v15
	v_min_f32_e32 v15, 0x3f7fffff, v15
	v_add_f32_e32 v15, v15, v15
	v_cndmask_b32_e32 v1, 0, v15, vcc_lo
	v_cndmask_b32_e64 v1, |v13|, v1, s4
	s_mov_b32 s4, 0x3e75aa41
	v_add_f32_e32 v15, v1, v1
	v_rndne_f32_e32 v15, v15
	v_fmac_f32_e32 v1, -0.5, v15
	v_cvt_i32_f32_e32 v15, v15
	v_mul_f32_e32 v16, v1, v1
	v_fmaak_f32 v17, s4, v16, 0xbf1f24be
	v_fmaak_f32 v18, s13, v16, 0x3e642e9d
	v_mul_f32_e32 v19, v1, v16
	v_fmaak_f32 v17, v16, v17, 0x40234736
	v_fmaak_f32 v18, v16, v18, 0xbfaad1da
	;; [unrolled: 1-line block ×4, first 2 shown]
	v_mul_f32_e32 v17, v19, v17
	v_fmaak_f32 v18, v16, v18, 0xc09de9e6
	v_and_b32_e32 v19, 1, v15
	v_lshlrev_b32_e32 v15, 30, v15
	v_fmamk_f32 v1, v1, 0x40490fdb, v17
	v_fma_f32 v16, v16, v18, 1.0
	v_cmp_eq_u32_e32 vcc_lo, 0, v19
	v_and_b32_e32 v15, 0x80000000, v15
	v_cndmask_b32_e32 v1, v16, v1, vcc_lo
	v_xor3_b32 v0, v0, v15, v1
	v_mul_f32_e32 v0, v13, v0
	v_frexp_mant_f32_e64 v1, |v0|
	v_frexp_exp_i32_f32_e32 v0, v0
	v_rcp_f32_e32 v1, v1
	v_sub_nc_u32_e32 v0, 2, v0
	v_mul_f32_e32 v1, 0x3f490fdb, v1
	v_ldexp_f32 v0, v1, v0
	v_cmp_gt_f32_e32 vcc_lo, 0x800000, v0
	v_cndmask_b32_e64 v1, 0, 32, vcc_lo
	v_ldexp_f32 v0, v0, v1
	v_log_f32_e32 v0, v0
	v_mul_f32_e32 v1, 0x3f317217, v0
	v_cmp_gt_f32_e64 s4, 0x7f800000, |v0|
	v_fma_f32 v15, 0x3f317217, v0, -v1
	v_fmamk_f32 v15, v0, 0x3377d1cf, v15
	v_add_f32_e32 v1, v1, v15
	v_floor_f32_e32 v15, v13
	v_cndmask_b32_e64 v0, v0, v1, s4
	v_cndmask_b32_e64 v1, 0, 0x41b17218, vcc_lo
	v_sub_f32_e32 v15, v13, v15
	v_sub_f32_e32 v0, v0, v1
	v_min_f32_e32 v1, 0x3f7fffff, v15
	v_sub_f32_e32 v0, v0, v14
	v_cmp_neq_f32_e32 vcc_lo, 0, v1
	v_cndmask_b32_e32 v14, 0x7f800000, v0, vcc_lo
.LBB153_1849:
	s_or_b32 exec_lo, exec_lo, s11
.LBB153_1850:
	s_andn2_saveexec_b32 s10, s10
; %bb.1851:
	v_cmp_eq_f16_e32 vcc_lo, 1.0, v11
	v_cmp_eq_f16_e64 s4, 2.0, v11
	s_or_b32 s4, vcc_lo, s4
	v_cndmask_b32_e64 v14, v14, 0, s4
; %bb.1852:
	s_or_b32 exec_lo, exec_lo, s10
	v_cmp_gt_f32_e64 s4, 0x4b000000, |v4|
	v_mul_lo_u32 v2, s12, v2
	v_cvt_f16_f32_e32 v0, v6
	s_or_b32 vcc_lo, s0, s4
	v_cmp_class_f32_e64 s0, v4, 0x264
	v_cndmask_b32_e32 v0, 0x7c00, v0, vcc_lo
	s_and_b32 s4, s5, 0xff
	v_ashrrev_i32_e32 v1, 31, v2
	s_cmp_lt_i32 s4, 11
	v_cndmask_b32_e64 v4, v0, 0x7c00, s0
	v_add_co_u32 v0, vcc_lo, s8, v2
	v_add_co_ci_u32_e64 v1, null, s9, v1, vcc_lo
	v_cmp_u_f16_e32 vcc_lo, v3, v3
	v_cndmask_b32_e32 v3, v4, v3, vcc_lo
	s_cbranch_scc1 .LBB153_1930
; %bb.1853:
	s_and_b32 s5, 0xffff, s4
	s_mov_b32 s13, -1
	s_mov_b32 s10, 0
	s_cmp_gt_i32 s5, 25
	s_mov_b32 s11, 0
	s_mov_b32 s0, 0
	s_cbranch_scc0 .LBB153_1886
; %bb.1854:
	s_cmp_gt_i32 s5, 28
	s_cbranch_scc0 .LBB153_1869
; %bb.1855:
	s_cmp_gt_i32 s5, 43
	;; [unrolled: 3-line block ×3, first 2 shown]
	s_cbranch_scc0 .LBB153_1859
; %bb.1857:
	s_mov_b32 s0, -1
	s_mov_b32 s13, 0
	s_cmp_eq_u32 s5, 46
	s_cbranch_scc0 .LBB153_1859
; %bb.1858:
	v_cvt_f32_f16_e32 v4, v3
	v_cmp_o_f16_e32 vcc_lo, v3, v3
	s_mov_b32 s0, 0
	s_mov_b32 s11, -1
	v_bfe_u32 v6, v4, 16, 1
	v_add3_u32 v4, v4, v6, 0x7fff
	v_mov_b32_e32 v6, 0x7fc0
	v_cndmask_b32_sdwa v4, v6, v4, vcc_lo dst_sel:DWORD dst_unused:UNUSED_PAD src0_sel:DWORD src1_sel:WORD_1
	global_store_dword v[0:1], v4, off
.LBB153_1859:
	s_and_b32 vcc_lo, exec_lo, s13
	s_cbranch_vccz .LBB153_1864
; %bb.1860:
	s_cmp_eq_u32 s5, 44
	s_mov_b32 s0, -1
	s_cbranch_scc0 .LBB153_1864
; %bb.1861:
	v_cvt_f32_f16_e32 v4, v3
	v_mov_b32_e32 v6, 0xff
	s_mov_b32 s11, exec_lo
	v_bfe_u32 v15, v4, 23, 8
	v_cmpx_ne_u32_e32 0xff, v15
	s_cbranch_execz .LBB153_1863
; %bb.1862:
	v_and_b32_e32 v6, 0x400000, v4
	v_and_or_b32 v15, 0x3fffff, v4, v15
	v_lshrrev_b32_e32 v4, 23, v4
	v_cmp_ne_u32_e32 vcc_lo, 0, v6
	v_cmp_ne_u32_e64 s0, 0, v15
	s_and_b32 s0, vcc_lo, s0
	v_cndmask_b32_e64 v6, 0, 1, s0
	v_add_nc_u32_e32 v6, v4, v6
.LBB153_1863:
	s_or_b32 exec_lo, exec_lo, s11
	s_mov_b32 s0, 0
	s_mov_b32 s11, -1
	global_store_byte v[0:1], v6, off
.LBB153_1864:
	s_mov_b32 s13, 0
.LBB153_1865:
	s_and_b32 vcc_lo, exec_lo, s13
	s_cbranch_vccz .LBB153_1868
; %bb.1866:
	s_cmp_eq_u32 s5, 29
	s_mov_b32 s0, -1
	s_cbranch_scc0 .LBB153_1868
; %bb.1867:
	v_cvt_f32_f16_e32 v4, v3
	v_mov_b32_e32 v16, 0
	s_mov_b32 s0, 0
	s_mov_b32 s11, -1
	v_cvt_u32_f32_e32 v15, v4
	global_store_dwordx2 v[0:1], v[15:16], off
.LBB153_1868:
	s_mov_b32 s13, 0
.LBB153_1869:
	s_and_b32 vcc_lo, exec_lo, s13
	s_cbranch_vccz .LBB153_1885
; %bb.1870:
	s_cmp_lt_i32 s5, 27
	s_mov_b32 s11, -1
	s_cbranch_scc1 .LBB153_1876
; %bb.1871:
	s_cmp_gt_i32 s5, 27
	s_cbranch_scc0 .LBB153_1873
; %bb.1872:
	v_cvt_f32_f16_e32 v4, v3
	s_mov_b32 s11, 0
	v_cvt_u32_f32_e32 v4, v4
	global_store_dword v[0:1], v4, off
.LBB153_1873:
	s_andn2_b32 vcc_lo, exec_lo, s11
	s_cbranch_vccnz .LBB153_1875
; %bb.1874:
	v_cvt_u16_f16_e32 v4, v3
	global_store_short v[0:1], v4, off
.LBB153_1875:
	s_mov_b32 s11, 0
.LBB153_1876:
	s_andn2_b32 vcc_lo, exec_lo, s11
	s_cbranch_vccnz .LBB153_1884
; %bb.1877:
	v_cvt_f32_f16_e32 v4, v3
	v_mov_b32_e32 v15, 0x80
	s_mov_b32 s11, exec_lo
	v_and_b32_e32 v6, 0x7fffffff, v4
	v_cmpx_gt_u32_e32 0x43800000, v6
	s_cbranch_execz .LBB153_1883
; %bb.1878:
	v_cmp_lt_u32_e32 vcc_lo, 0x3bffffff, v6
	s_mov_b32 s13, 0
                                        ; implicit-def: $vgpr6
	s_and_saveexec_b32 s15, vcc_lo
	s_xor_b32 s15, exec_lo, s15
	s_cbranch_execz .LBB153_2332
; %bb.1879:
	v_bfe_u32 v6, v4, 20, 1
	s_mov_b32 s13, exec_lo
	v_add3_u32 v6, v4, v6, 0x487ffff
	v_lshrrev_b32_e32 v6, 20, v6
	s_andn2_saveexec_b32 s15, s15
	s_cbranch_execnz .LBB153_2333
.LBB153_1880:
	s_or_b32 exec_lo, exec_lo, s15
	v_mov_b32_e32 v15, 0
	s_and_saveexec_b32 s15, s13
.LBB153_1881:
	v_lshrrev_b32_e32 v4, 24, v4
	v_and_or_b32 v15, 0x80, v4, v6
.LBB153_1882:
	s_or_b32 exec_lo, exec_lo, s15
.LBB153_1883:
	s_or_b32 exec_lo, exec_lo, s11
	global_store_byte v[0:1], v15, off
.LBB153_1884:
	s_mov_b32 s11, -1
.LBB153_1885:
	s_mov_b32 s13, 0
.LBB153_1886:
	s_and_b32 vcc_lo, exec_lo, s13
	s_cbranch_vccz .LBB153_1926
; %bb.1887:
	s_cmp_gt_i32 s5, 22
	s_mov_b32 s10, -1
	s_cbranch_scc0 .LBB153_1919
; %bb.1888:
	s_cmp_lt_i32 s5, 24
	s_cbranch_scc1 .LBB153_1908
; %bb.1889:
	s_cmp_gt_i32 s5, 24
	s_cbranch_scc0 .LBB153_1897
; %bb.1890:
	v_cvt_f32_f16_e32 v4, v3
	v_mov_b32_e32 v15, 0x80
	s_mov_b32 s10, exec_lo
	v_and_b32_e32 v6, 0x7fffffff, v4
	v_cmpx_gt_u32_e32 0x47800000, v6
	s_cbranch_execz .LBB153_1896
; %bb.1891:
	v_cmp_lt_u32_e32 vcc_lo, 0x37ffffff, v6
	s_mov_b32 s11, 0
                                        ; implicit-def: $vgpr6
	s_and_saveexec_b32 s13, vcc_lo
	s_xor_b32 s13, exec_lo, s13
	s_cbranch_execz .LBB153_2335
; %bb.1892:
	v_bfe_u32 v6, v4, 21, 1
	s_mov_b32 s11, exec_lo
	v_add3_u32 v6, v4, v6, 0x88fffff
	v_lshrrev_b32_e32 v6, 21, v6
	s_andn2_saveexec_b32 s13, s13
	s_cbranch_execnz .LBB153_2336
.LBB153_1893:
	s_or_b32 exec_lo, exec_lo, s13
	v_mov_b32_e32 v15, 0
	s_and_saveexec_b32 s13, s11
.LBB153_1894:
	v_lshrrev_b32_e32 v4, 24, v4
	v_and_or_b32 v15, 0x80, v4, v6
.LBB153_1895:
	s_or_b32 exec_lo, exec_lo, s13
.LBB153_1896:
	s_or_b32 exec_lo, exec_lo, s10
	s_mov_b32 s10, 0
	global_store_byte v[0:1], v15, off
.LBB153_1897:
	s_and_b32 vcc_lo, exec_lo, s10
	s_cbranch_vccz .LBB153_1907
; %bb.1898:
	v_cvt_f32_f16_e32 v4, v3
	s_mov_b32 s10, exec_lo
                                        ; implicit-def: $vgpr6
	v_and_b32_e32 v15, 0x7fffffff, v4
	v_cmpx_gt_u32_e32 0x43f00000, v15
	s_xor_b32 s10, exec_lo, s10
	s_cbranch_execz .LBB153_1904
; %bb.1899:
	s_mov_b32 s11, exec_lo
                                        ; implicit-def: $vgpr6
	v_cmpx_lt_u32_e32 0x3c7fffff, v15
	s_xor_b32 s11, exec_lo, s11
; %bb.1900:
	v_bfe_u32 v6, v4, 20, 1
	v_add3_u32 v6, v4, v6, 0x407ffff
	v_and_b32_e32 v15, 0xff00000, v6
	v_lshrrev_b32_e32 v6, 20, v6
	v_cmp_ne_u32_e32 vcc_lo, 0x7f00000, v15
	v_cndmask_b32_e32 v6, 0x7e, v6, vcc_lo
; %bb.1901:
	s_andn2_saveexec_b32 s11, s11
; %bb.1902:
	v_add_f32_e64 v6, 0x46800000, |v4|
; %bb.1903:
	s_or_b32 exec_lo, exec_lo, s11
                                        ; implicit-def: $vgpr15
.LBB153_1904:
	s_andn2_saveexec_b32 s10, s10
; %bb.1905:
	v_mov_b32_e32 v6, 0x7f
	v_cmp_lt_u32_e32 vcc_lo, 0x7f800000, v15
	v_cndmask_b32_e32 v6, 0x7e, v6, vcc_lo
; %bb.1906:
	s_or_b32 exec_lo, exec_lo, s10
	v_lshrrev_b32_e32 v4, 24, v4
	v_and_or_b32 v4, 0x80, v4, v6
	global_store_byte v[0:1], v4, off
.LBB153_1907:
	s_mov_b32 s10, 0
.LBB153_1908:
	s_andn2_b32 vcc_lo, exec_lo, s10
	s_cbranch_vccnz .LBB153_1918
; %bb.1909:
	v_cvt_f32_f16_e32 v4, v3
	s_mov_b32 s10, exec_lo
                                        ; implicit-def: $vgpr6
	v_and_b32_e32 v15, 0x7fffffff, v4
	v_cmpx_gt_u32_e32 0x47800000, v15
	s_xor_b32 s10, exec_lo, s10
	s_cbranch_execz .LBB153_1915
; %bb.1910:
	s_mov_b32 s11, exec_lo
                                        ; implicit-def: $vgpr6
	v_cmpx_lt_u32_e32 0x387fffff, v15
	s_xor_b32 s11, exec_lo, s11
; %bb.1911:
	v_bfe_u32 v6, v4, 21, 1
	v_add3_u32 v6, v4, v6, 0x80fffff
	v_lshrrev_b32_e32 v6, 21, v6
; %bb.1912:
	s_andn2_saveexec_b32 s11, s11
; %bb.1913:
	v_add_f32_e64 v6, 0x43000000, |v4|
; %bb.1914:
	s_or_b32 exec_lo, exec_lo, s11
                                        ; implicit-def: $vgpr15
.LBB153_1915:
	s_andn2_saveexec_b32 s10, s10
; %bb.1916:
	v_mov_b32_e32 v6, 0x7f
	v_cmp_lt_u32_e32 vcc_lo, 0x7f800000, v15
	v_cndmask_b32_e32 v6, 0x7c, v6, vcc_lo
; %bb.1917:
	s_or_b32 exec_lo, exec_lo, s10
	v_lshrrev_b32_e32 v4, 24, v4
	v_and_or_b32 v4, 0x80, v4, v6
	global_store_byte v[0:1], v4, off
.LBB153_1918:
	s_mov_b32 s10, 0
	s_mov_b32 s11, -1
.LBB153_1919:
	s_andn2_b32 vcc_lo, exec_lo, s10
	s_mov_b32 s10, 0
	s_cbranch_vccnz .LBB153_1926
; %bb.1920:
	s_cmp_gt_i32 s5, 14
	s_mov_b32 s10, -1
	s_cbranch_scc0 .LBB153_1924
; %bb.1921:
	s_cmp_eq_u32 s5, 15
	s_mov_b32 s0, -1
	s_cbranch_scc0 .LBB153_1923
; %bb.1922:
	v_cvt_f32_f16_e32 v4, v3
	v_cmp_o_f16_e32 vcc_lo, v3, v3
	s_mov_b32 s0, 0
	s_mov_b32 s11, -1
	v_bfe_u32 v6, v4, 16, 1
	v_add3_u32 v4, v4, v6, 0x7fff
	v_mov_b32_e32 v6, 0x7fc0
	v_cndmask_b32_sdwa v4, v6, v4, vcc_lo dst_sel:DWORD dst_unused:UNUSED_PAD src0_sel:DWORD src1_sel:WORD_1
	global_store_short v[0:1], v4, off
.LBB153_1923:
	s_mov_b32 s10, 0
.LBB153_1924:
	s_and_b32 vcc_lo, exec_lo, s10
	s_mov_b32 s10, 0
	s_cbranch_vccz .LBB153_1926
; %bb.1925:
	s_cmp_lg_u32 s5, 11
	s_mov_b32 s10, -1
	s_cselect_b32 s0, -1, 0
.LBB153_1926:
	s_and_b32 vcc_lo, exec_lo, s0
	s_cbranch_vccnz .LBB153_2334
; %bb.1927:
	s_andn2_b32 vcc_lo, exec_lo, s10
	s_cbranch_vccnz .LBB153_1929
.LBB153_1928:
	v_cmp_neq_f16_e32 vcc_lo, 0, v3
	s_mov_b32 s11, -1
	v_cndmask_b32_e64 v4, 0, 1, vcc_lo
	global_store_byte v[0:1], v4, off
.LBB153_1929:
	s_mov_b32 s0, 0
	s_branch .LBB153_1931
.LBB153_1930:
	s_mov_b32 s0, -1
	s_mov_b32 s11, 0
.LBB153_1931:
	s_and_b32 vcc_lo, exec_lo, s0
	s_cbranch_vccz .LBB153_1970
; %bb.1932:
	s_and_b32 s0, 0xffff, s4
	s_mov_b32 s5, -1
	s_cmp_lt_i32 s0, 5
	s_cbranch_scc1 .LBB153_1953
; %bb.1933:
	s_cmp_lt_i32 s0, 8
	s_cbranch_scc1 .LBB153_1943
; %bb.1934:
	;; [unrolled: 3-line block ×3, first 2 shown]
	s_cmp_gt_i32 s0, 9
	s_cbranch_scc0 .LBB153_1937
; %bb.1936:
	v_cvt_f32_f16_e32 v4, v3
	v_mov_b32_e32 v17, 0
	s_mov_b32 s5, 0
	v_cvt_f64_f32_e32 v[15:16], v4
	v_mov_b32_e32 v18, v17
	global_store_dwordx4 v[0:1], v[15:18], off
.LBB153_1937:
	s_andn2_b32 vcc_lo, exec_lo, s5
	s_cbranch_vccnz .LBB153_1939
; %bb.1938:
	v_cvt_f32_f16_e32 v15, v3
	v_mov_b32_e32 v16, 0
	global_store_dwordx2 v[0:1], v[15:16], off
.LBB153_1939:
	s_mov_b32 s5, 0
.LBB153_1940:
	s_andn2_b32 vcc_lo, exec_lo, s5
	s_cbranch_vccnz .LBB153_1942
; %bb.1941:
	v_and_b32_e32 v4, 0xffff, v3
	global_store_dword v[0:1], v4, off
.LBB153_1942:
	s_mov_b32 s5, 0
.LBB153_1943:
	s_andn2_b32 vcc_lo, exec_lo, s5
	s_cbranch_vccnz .LBB153_1952
; %bb.1944:
	s_cmp_lt_i32 s0, 6
	s_mov_b32 s5, -1
	s_cbranch_scc1 .LBB153_1950
; %bb.1945:
	s_cmp_gt_i32 s0, 6
	s_cbranch_scc0 .LBB153_1947
; %bb.1946:
	v_cvt_f32_f16_e32 v4, v3
	s_mov_b32 s5, 0
	v_cvt_f64_f32_e32 v[15:16], v4
	global_store_dwordx2 v[0:1], v[15:16], off
.LBB153_1947:
	s_andn2_b32 vcc_lo, exec_lo, s5
	s_cbranch_vccnz .LBB153_1949
; %bb.1948:
	v_cvt_f32_f16_e32 v4, v3
	global_store_dword v[0:1], v4, off
.LBB153_1949:
	s_mov_b32 s5, 0
.LBB153_1950:
	s_andn2_b32 vcc_lo, exec_lo, s5
	s_cbranch_vccnz .LBB153_1952
; %bb.1951:
	global_store_short v[0:1], v3, off
.LBB153_1952:
	s_mov_b32 s5, 0
.LBB153_1953:
	s_andn2_b32 vcc_lo, exec_lo, s5
	s_cbranch_vccnz .LBB153_1969
; %bb.1954:
	s_cmp_lt_i32 s0, 2
	s_mov_b32 s5, -1
	s_cbranch_scc1 .LBB153_1964
; %bb.1955:
	s_cmp_lt_i32 s0, 3
	s_cbranch_scc1 .LBB153_1961
; %bb.1956:
	s_cmp_gt_i32 s0, 3
	s_cbranch_scc0 .LBB153_1958
; %bb.1957:
	v_cvt_f32_f16_e32 v4, v3
	s_mov_b32 s5, 0
	v_cvt_i32_f32_e32 v15, v4
	v_ashrrev_i32_e32 v16, 31, v15
	global_store_dwordx2 v[0:1], v[15:16], off
.LBB153_1958:
	s_andn2_b32 vcc_lo, exec_lo, s5
	s_cbranch_vccnz .LBB153_1960
; %bb.1959:
	v_cvt_f32_f16_e32 v4, v3
	v_cvt_i32_f32_e32 v4, v4
	global_store_dword v[0:1], v4, off
.LBB153_1960:
	s_mov_b32 s5, 0
.LBB153_1961:
	s_andn2_b32 vcc_lo, exec_lo, s5
	s_cbranch_vccnz .LBB153_1963
; %bb.1962:
	v_cvt_i16_f16_e32 v4, v3
	global_store_short v[0:1], v4, off
.LBB153_1963:
	s_mov_b32 s5, 0
.LBB153_1964:
	s_andn2_b32 vcc_lo, exec_lo, s5
	s_cbranch_vccnz .LBB153_1969
; %bb.1965:
	s_cmp_gt_i32 s0, 0
	s_mov_b32 s0, -1
	s_cbranch_scc0 .LBB153_1967
; %bb.1966:
	v_cvt_i16_f16_e32 v4, v3
	s_mov_b32 s0, 0
	global_store_byte v[0:1], v4, off
.LBB153_1967:
	s_andn2_b32 vcc_lo, exec_lo, s0
	s_cbranch_vccnz .LBB153_1969
; %bb.1968:
	v_cvt_f32_f16_e32 v3, v3
	v_cvt_i32_f32_e32 v3, v3
	global_store_byte v[0:1], v3, off
.LBB153_1969:
	s_mov_b32 s11, -1
.LBB153_1970:
	s_andn2_b32 vcc_lo, exec_lo, s11
	s_cbranch_vccnz .LBB153_2285
; %bb.1971:
	v_cmp_gt_f32_e64 s0, 0x4b000000, |v7|
	v_cvt_f16_f32_e32 v0, v9
	s_or_b32 vcc_lo, s1, s0
	s_lshl_b32 s1, s12, 7
	v_cndmask_b32_e32 v0, 0x7c00, v0, vcc_lo
	v_cmp_class_f32_e64 s0, v7, 0x264
	v_add_nc_u32_e32 v2, s1, v2
	v_cmp_u_f16_e32 vcc_lo, v5, v5
	s_cmp_lt_i32 s4, 11
	v_cndmask_b32_e64 v0, v0, 0x7c00, s0
	v_ashrrev_i32_e32 v1, 31, v2
	v_cndmask_b32_e32 v3, v0, v5, vcc_lo
	v_add_co_u32 v0, vcc_lo, s8, v2
	v_add_co_ci_u32_e64 v1, null, s9, v1, vcc_lo
	s_cbranch_scc1 .LBB153_2049
; %bb.1972:
	s_and_b32 s5, 0xffff, s4
	s_mov_b32 s12, -1
	s_mov_b32 s10, 0
	s_cmp_gt_i32 s5, 25
	s_mov_b32 s11, 0
	s_mov_b32 s0, 0
	s_cbranch_scc0 .LBB153_2005
; %bb.1973:
	s_cmp_gt_i32 s5, 28
	s_cbranch_scc0 .LBB153_1988
; %bb.1974:
	s_cmp_gt_i32 s5, 43
	;; [unrolled: 3-line block ×3, first 2 shown]
	s_cbranch_scc0 .LBB153_1978
; %bb.1976:
	s_mov_b32 s0, -1
	s_mov_b32 s12, 0
	s_cmp_eq_u32 s5, 46
	s_cbranch_scc0 .LBB153_1978
; %bb.1977:
	v_cvt_f32_f16_e32 v4, v3
	v_cmp_o_f16_e32 vcc_lo, v3, v3
	s_mov_b32 s0, 0
	s_mov_b32 s11, -1
	v_bfe_u32 v5, v4, 16, 1
	v_add3_u32 v4, v4, v5, 0x7fff
	v_mov_b32_e32 v5, 0x7fc0
	v_cndmask_b32_sdwa v4, v5, v4, vcc_lo dst_sel:DWORD dst_unused:UNUSED_PAD src0_sel:DWORD src1_sel:WORD_1
	global_store_dword v[0:1], v4, off
.LBB153_1978:
	s_and_b32 vcc_lo, exec_lo, s12
	s_cbranch_vccz .LBB153_1983
; %bb.1979:
	s_cmp_eq_u32 s5, 44
	s_mov_b32 s0, -1
	s_cbranch_scc0 .LBB153_1983
; %bb.1980:
	v_cvt_f32_f16_e32 v4, v3
	v_mov_b32_e32 v5, 0xff
	s_mov_b32 s11, exec_lo
	v_bfe_u32 v6, v4, 23, 8
	v_cmpx_ne_u32_e32 0xff, v6
	s_cbranch_execz .LBB153_1982
; %bb.1981:
	v_and_b32_e32 v5, 0x400000, v4
	v_and_or_b32 v6, 0x3fffff, v4, v6
	v_lshrrev_b32_e32 v4, 23, v4
	v_cmp_ne_u32_e32 vcc_lo, 0, v5
	v_cmp_ne_u32_e64 s0, 0, v6
	s_and_b32 s0, vcc_lo, s0
	v_cndmask_b32_e64 v5, 0, 1, s0
	v_add_nc_u32_e32 v5, v4, v5
.LBB153_1982:
	s_or_b32 exec_lo, exec_lo, s11
	s_mov_b32 s0, 0
	s_mov_b32 s11, -1
	global_store_byte v[0:1], v5, off
.LBB153_1983:
	s_mov_b32 s12, 0
.LBB153_1984:
	s_and_b32 vcc_lo, exec_lo, s12
	s_cbranch_vccz .LBB153_1987
; %bb.1985:
	s_cmp_eq_u32 s5, 29
	s_mov_b32 s0, -1
	s_cbranch_scc0 .LBB153_1987
; %bb.1986:
	v_cvt_f32_f16_e32 v4, v3
	v_mov_b32_e32 v5, 0
	s_mov_b32 s0, 0
	s_mov_b32 s11, -1
	v_cvt_u32_f32_e32 v4, v4
	global_store_dwordx2 v[0:1], v[4:5], off
.LBB153_1987:
	s_mov_b32 s12, 0
.LBB153_1988:
	s_and_b32 vcc_lo, exec_lo, s12
	s_cbranch_vccz .LBB153_2004
; %bb.1989:
	s_cmp_lt_i32 s5, 27
	s_mov_b32 s11, -1
	s_cbranch_scc1 .LBB153_1995
; %bb.1990:
	s_cmp_gt_i32 s5, 27
	s_cbranch_scc0 .LBB153_1992
; %bb.1991:
	v_cvt_f32_f16_e32 v4, v3
	s_mov_b32 s11, 0
	v_cvt_u32_f32_e32 v4, v4
	global_store_dword v[0:1], v4, off
.LBB153_1992:
	s_andn2_b32 vcc_lo, exec_lo, s11
	s_cbranch_vccnz .LBB153_1994
; %bb.1993:
	v_cvt_u16_f16_e32 v4, v3
	global_store_short v[0:1], v4, off
.LBB153_1994:
	s_mov_b32 s11, 0
.LBB153_1995:
	s_andn2_b32 vcc_lo, exec_lo, s11
	s_cbranch_vccnz .LBB153_2003
; %bb.1996:
	v_cvt_f32_f16_e32 v4, v3
	v_mov_b32_e32 v6, 0x80
	s_mov_b32 s11, exec_lo
	v_and_b32_e32 v5, 0x7fffffff, v4
	v_cmpx_gt_u32_e32 0x43800000, v5
	s_cbranch_execz .LBB153_2002
; %bb.1997:
	v_cmp_lt_u32_e32 vcc_lo, 0x3bffffff, v5
	s_mov_b32 s12, 0
                                        ; implicit-def: $vgpr5
	s_and_saveexec_b32 s13, vcc_lo
	s_xor_b32 s13, exec_lo, s13
	s_cbranch_execz .LBB153_2337
; %bb.1998:
	v_bfe_u32 v5, v4, 20, 1
	s_mov_b32 s12, exec_lo
	v_add3_u32 v5, v4, v5, 0x487ffff
	v_lshrrev_b32_e32 v5, 20, v5
	s_andn2_saveexec_b32 s13, s13
	s_cbranch_execnz .LBB153_2338
.LBB153_1999:
	s_or_b32 exec_lo, exec_lo, s13
	v_mov_b32_e32 v6, 0
	s_and_saveexec_b32 s13, s12
.LBB153_2000:
	v_lshrrev_b32_e32 v4, 24, v4
	v_and_or_b32 v6, 0x80, v4, v5
.LBB153_2001:
	s_or_b32 exec_lo, exec_lo, s13
.LBB153_2002:
	s_or_b32 exec_lo, exec_lo, s11
	global_store_byte v[0:1], v6, off
.LBB153_2003:
	s_mov_b32 s11, -1
.LBB153_2004:
	s_mov_b32 s12, 0
.LBB153_2005:
	s_and_b32 vcc_lo, exec_lo, s12
	s_cbranch_vccz .LBB153_2045
; %bb.2006:
	s_cmp_gt_i32 s5, 22
	s_mov_b32 s10, -1
	s_cbranch_scc0 .LBB153_2038
; %bb.2007:
	s_cmp_lt_i32 s5, 24
	s_cbranch_scc1 .LBB153_2027
; %bb.2008:
	s_cmp_gt_i32 s5, 24
	s_cbranch_scc0 .LBB153_2016
; %bb.2009:
	v_cvt_f32_f16_e32 v4, v3
	v_mov_b32_e32 v6, 0x80
	s_mov_b32 s10, exec_lo
	v_and_b32_e32 v5, 0x7fffffff, v4
	v_cmpx_gt_u32_e32 0x47800000, v5
	s_cbranch_execz .LBB153_2015
; %bb.2010:
	v_cmp_lt_u32_e32 vcc_lo, 0x37ffffff, v5
	s_mov_b32 s11, 0
                                        ; implicit-def: $vgpr5
	s_and_saveexec_b32 s12, vcc_lo
	s_xor_b32 s12, exec_lo, s12
	s_cbranch_execz .LBB153_2340
; %bb.2011:
	v_bfe_u32 v5, v4, 21, 1
	s_mov_b32 s11, exec_lo
	v_add3_u32 v5, v4, v5, 0x88fffff
	v_lshrrev_b32_e32 v5, 21, v5
	s_andn2_saveexec_b32 s12, s12
	s_cbranch_execnz .LBB153_2341
.LBB153_2012:
	s_or_b32 exec_lo, exec_lo, s12
	v_mov_b32_e32 v6, 0
	s_and_saveexec_b32 s12, s11
.LBB153_2013:
	v_lshrrev_b32_e32 v4, 24, v4
	v_and_or_b32 v6, 0x80, v4, v5
.LBB153_2014:
	s_or_b32 exec_lo, exec_lo, s12
.LBB153_2015:
	s_or_b32 exec_lo, exec_lo, s10
	s_mov_b32 s10, 0
	global_store_byte v[0:1], v6, off
.LBB153_2016:
	s_and_b32 vcc_lo, exec_lo, s10
	s_cbranch_vccz .LBB153_2026
; %bb.2017:
	v_cvt_f32_f16_e32 v4, v3
	s_mov_b32 s10, exec_lo
                                        ; implicit-def: $vgpr5
	v_and_b32_e32 v6, 0x7fffffff, v4
	v_cmpx_gt_u32_e32 0x43f00000, v6
	s_xor_b32 s10, exec_lo, s10
	s_cbranch_execz .LBB153_2023
; %bb.2018:
	s_mov_b32 s11, exec_lo
                                        ; implicit-def: $vgpr5
	v_cmpx_lt_u32_e32 0x3c7fffff, v6
	s_xor_b32 s11, exec_lo, s11
; %bb.2019:
	v_bfe_u32 v5, v4, 20, 1
	v_add3_u32 v5, v4, v5, 0x407ffff
	v_and_b32_e32 v6, 0xff00000, v5
	v_lshrrev_b32_e32 v5, 20, v5
	v_cmp_ne_u32_e32 vcc_lo, 0x7f00000, v6
	v_cndmask_b32_e32 v5, 0x7e, v5, vcc_lo
; %bb.2020:
	s_andn2_saveexec_b32 s11, s11
; %bb.2021:
	v_add_f32_e64 v5, 0x46800000, |v4|
; %bb.2022:
	s_or_b32 exec_lo, exec_lo, s11
                                        ; implicit-def: $vgpr6
.LBB153_2023:
	s_andn2_saveexec_b32 s10, s10
; %bb.2024:
	v_mov_b32_e32 v5, 0x7f
	v_cmp_lt_u32_e32 vcc_lo, 0x7f800000, v6
	v_cndmask_b32_e32 v5, 0x7e, v5, vcc_lo
; %bb.2025:
	s_or_b32 exec_lo, exec_lo, s10
	v_lshrrev_b32_e32 v4, 24, v4
	v_and_or_b32 v4, 0x80, v4, v5
	global_store_byte v[0:1], v4, off
.LBB153_2026:
	s_mov_b32 s10, 0
.LBB153_2027:
	s_andn2_b32 vcc_lo, exec_lo, s10
	s_cbranch_vccnz .LBB153_2037
; %bb.2028:
	v_cvt_f32_f16_e32 v4, v3
	s_mov_b32 s10, exec_lo
                                        ; implicit-def: $vgpr5
	v_and_b32_e32 v6, 0x7fffffff, v4
	v_cmpx_gt_u32_e32 0x47800000, v6
	s_xor_b32 s10, exec_lo, s10
	s_cbranch_execz .LBB153_2034
; %bb.2029:
	s_mov_b32 s11, exec_lo
                                        ; implicit-def: $vgpr5
	v_cmpx_lt_u32_e32 0x387fffff, v6
	s_xor_b32 s11, exec_lo, s11
; %bb.2030:
	v_bfe_u32 v5, v4, 21, 1
	v_add3_u32 v5, v4, v5, 0x80fffff
	v_lshrrev_b32_e32 v5, 21, v5
; %bb.2031:
	s_andn2_saveexec_b32 s11, s11
; %bb.2032:
	v_add_f32_e64 v5, 0x43000000, |v4|
; %bb.2033:
	s_or_b32 exec_lo, exec_lo, s11
                                        ; implicit-def: $vgpr6
.LBB153_2034:
	s_andn2_saveexec_b32 s10, s10
; %bb.2035:
	v_mov_b32_e32 v5, 0x7f
	v_cmp_lt_u32_e32 vcc_lo, 0x7f800000, v6
	v_cndmask_b32_e32 v5, 0x7c, v5, vcc_lo
; %bb.2036:
	s_or_b32 exec_lo, exec_lo, s10
	v_lshrrev_b32_e32 v4, 24, v4
	v_and_or_b32 v4, 0x80, v4, v5
	global_store_byte v[0:1], v4, off
.LBB153_2037:
	s_mov_b32 s10, 0
	s_mov_b32 s11, -1
.LBB153_2038:
	s_andn2_b32 vcc_lo, exec_lo, s10
	s_mov_b32 s10, 0
	s_cbranch_vccnz .LBB153_2045
; %bb.2039:
	s_cmp_gt_i32 s5, 14
	s_mov_b32 s10, -1
	s_cbranch_scc0 .LBB153_2043
; %bb.2040:
	s_cmp_eq_u32 s5, 15
	s_mov_b32 s0, -1
	s_cbranch_scc0 .LBB153_2042
; %bb.2041:
	v_cvt_f32_f16_e32 v4, v3
	v_cmp_o_f16_e32 vcc_lo, v3, v3
	s_mov_b32 s0, 0
	s_mov_b32 s11, -1
	v_bfe_u32 v5, v4, 16, 1
	v_add3_u32 v4, v4, v5, 0x7fff
	v_mov_b32_e32 v5, 0x7fc0
	v_cndmask_b32_sdwa v4, v5, v4, vcc_lo dst_sel:DWORD dst_unused:UNUSED_PAD src0_sel:DWORD src1_sel:WORD_1
	global_store_short v[0:1], v4, off
.LBB153_2042:
	s_mov_b32 s10, 0
.LBB153_2043:
	s_and_b32 vcc_lo, exec_lo, s10
	s_mov_b32 s10, 0
	s_cbranch_vccz .LBB153_2045
; %bb.2044:
	s_cmp_lg_u32 s5, 11
	s_mov_b32 s10, -1
	s_cselect_b32 s0, -1, 0
.LBB153_2045:
	s_and_b32 vcc_lo, exec_lo, s0
	s_cbranch_vccnz .LBB153_2339
; %bb.2046:
	s_andn2_b32 vcc_lo, exec_lo, s10
	s_cbranch_vccnz .LBB153_2048
.LBB153_2047:
	v_cmp_neq_f16_e32 vcc_lo, 0, v3
	s_mov_b32 s11, -1
	v_cndmask_b32_e64 v4, 0, 1, vcc_lo
	global_store_byte v[0:1], v4, off
.LBB153_2048:
	s_mov_b32 s0, 0
	s_branch .LBB153_2050
.LBB153_2049:
	s_mov_b32 s0, -1
	s_mov_b32 s11, 0
.LBB153_2050:
	s_and_b32 vcc_lo, exec_lo, s0
	s_cbranch_vccz .LBB153_2089
; %bb.2051:
	s_and_b32 s0, 0xffff, s4
	s_mov_b32 s5, -1
	s_cmp_lt_i32 s0, 5
	s_cbranch_scc1 .LBB153_2072
; %bb.2052:
	s_cmp_lt_i32 s0, 8
	s_cbranch_scc1 .LBB153_2062
; %bb.2053:
	;; [unrolled: 3-line block ×3, first 2 shown]
	s_cmp_gt_i32 s0, 9
	s_cbranch_scc0 .LBB153_2056
; %bb.2055:
	v_cvt_f32_f16_e32 v4, v3
	v_mov_b32_e32 v6, 0
	s_mov_b32 s5, 0
	v_cvt_f64_f32_e32 v[4:5], v4
	v_mov_b32_e32 v7, v6
	global_store_dwordx4 v[0:1], v[4:7], off
.LBB153_2056:
	s_andn2_b32 vcc_lo, exec_lo, s5
	s_cbranch_vccnz .LBB153_2058
; %bb.2057:
	v_cvt_f32_f16_e32 v4, v3
	v_mov_b32_e32 v5, 0
	global_store_dwordx2 v[0:1], v[4:5], off
.LBB153_2058:
	s_mov_b32 s5, 0
.LBB153_2059:
	s_andn2_b32 vcc_lo, exec_lo, s5
	s_cbranch_vccnz .LBB153_2061
; %bb.2060:
	v_and_b32_e32 v4, 0xffff, v3
	global_store_dword v[0:1], v4, off
.LBB153_2061:
	s_mov_b32 s5, 0
.LBB153_2062:
	s_andn2_b32 vcc_lo, exec_lo, s5
	s_cbranch_vccnz .LBB153_2071
; %bb.2063:
	s_cmp_lt_i32 s0, 6
	s_mov_b32 s5, -1
	s_cbranch_scc1 .LBB153_2069
; %bb.2064:
	s_cmp_gt_i32 s0, 6
	s_cbranch_scc0 .LBB153_2066
; %bb.2065:
	v_cvt_f32_f16_e32 v4, v3
	s_mov_b32 s5, 0
	v_cvt_f64_f32_e32 v[4:5], v4
	global_store_dwordx2 v[0:1], v[4:5], off
.LBB153_2066:
	s_andn2_b32 vcc_lo, exec_lo, s5
	s_cbranch_vccnz .LBB153_2068
; %bb.2067:
	v_cvt_f32_f16_e32 v4, v3
	global_store_dword v[0:1], v4, off
.LBB153_2068:
	s_mov_b32 s5, 0
.LBB153_2069:
	s_andn2_b32 vcc_lo, exec_lo, s5
	s_cbranch_vccnz .LBB153_2071
; %bb.2070:
	global_store_short v[0:1], v3, off
.LBB153_2071:
	s_mov_b32 s5, 0
.LBB153_2072:
	s_andn2_b32 vcc_lo, exec_lo, s5
	s_cbranch_vccnz .LBB153_2088
; %bb.2073:
	s_cmp_lt_i32 s0, 2
	s_mov_b32 s5, -1
	s_cbranch_scc1 .LBB153_2083
; %bb.2074:
	s_cmp_lt_i32 s0, 3
	s_cbranch_scc1 .LBB153_2080
; %bb.2075:
	s_cmp_gt_i32 s0, 3
	s_cbranch_scc0 .LBB153_2077
; %bb.2076:
	v_cvt_f32_f16_e32 v4, v3
	s_mov_b32 s5, 0
	v_cvt_i32_f32_e32 v4, v4
	v_ashrrev_i32_e32 v5, 31, v4
	global_store_dwordx2 v[0:1], v[4:5], off
.LBB153_2077:
	s_andn2_b32 vcc_lo, exec_lo, s5
	s_cbranch_vccnz .LBB153_2079
; %bb.2078:
	v_cvt_f32_f16_e32 v4, v3
	v_cvt_i32_f32_e32 v4, v4
	global_store_dword v[0:1], v4, off
.LBB153_2079:
	s_mov_b32 s5, 0
.LBB153_2080:
	s_andn2_b32 vcc_lo, exec_lo, s5
	s_cbranch_vccnz .LBB153_2082
; %bb.2081:
	v_cvt_i16_f16_e32 v4, v3
	global_store_short v[0:1], v4, off
.LBB153_2082:
	s_mov_b32 s5, 0
.LBB153_2083:
	s_andn2_b32 vcc_lo, exec_lo, s5
	s_cbranch_vccnz .LBB153_2088
; %bb.2084:
	s_cmp_gt_i32 s0, 0
	s_mov_b32 s0, -1
	s_cbranch_scc0 .LBB153_2086
; %bb.2085:
	v_cvt_i16_f16_e32 v4, v3
	s_mov_b32 s0, 0
	global_store_byte v[0:1], v4, off
.LBB153_2086:
	s_andn2_b32 vcc_lo, exec_lo, s0
	s_cbranch_vccnz .LBB153_2088
; %bb.2087:
	v_cvt_f32_f16_e32 v3, v3
	v_cvt_i32_f32_e32 v3, v3
	global_store_byte v[0:1], v3, off
.LBB153_2088:
	s_mov_b32 s11, -1
.LBB153_2089:
	s_andn2_b32 vcc_lo, exec_lo, s11
	s_cbranch_vccnz .LBB153_2285
; %bb.2090:
	v_cmp_gt_f32_e64 s0, 0x4b000000, |v10|
	v_cvt_f16_f32_e32 v0, v12
	v_add_nc_u32_e32 v2, s1, v2
	s_or_b32 vcc_lo, s2, s0
	v_cmp_class_f32_e64 s0, v10, 0x264
	v_cndmask_b32_e32 v0, 0x7c00, v0, vcc_lo
	v_cmp_u_f16_e32 vcc_lo, v8, v8
	v_ashrrev_i32_e32 v1, 31, v2
	s_cmp_lt_i32 s4, 11
	v_cndmask_b32_e64 v0, v0, 0x7c00, s0
	v_cndmask_b32_e32 v3, v0, v8, vcc_lo
	v_add_co_u32 v0, vcc_lo, s8, v2
	v_add_co_ci_u32_e64 v1, null, s9, v1, vcc_lo
	s_cbranch_scc1 .LBB153_2168
; %bb.2091:
	s_and_b32 s2, 0xffff, s4
	s_mov_b32 s11, -1
	s_mov_b32 s5, 0
	s_cmp_gt_i32 s2, 25
	s_mov_b32 s10, 0
	s_mov_b32 s0, 0
	s_cbranch_scc0 .LBB153_2124
; %bb.2092:
	s_cmp_gt_i32 s2, 28
	s_cbranch_scc0 .LBB153_2107
; %bb.2093:
	s_cmp_gt_i32 s2, 43
	;; [unrolled: 3-line block ×3, first 2 shown]
	s_cbranch_scc0 .LBB153_2097
; %bb.2095:
	s_mov_b32 s0, -1
	s_mov_b32 s11, 0
	s_cmp_eq_u32 s2, 46
	s_cbranch_scc0 .LBB153_2097
; %bb.2096:
	v_cvt_f32_f16_e32 v4, v3
	v_cmp_o_f16_e32 vcc_lo, v3, v3
	s_mov_b32 s0, 0
	s_mov_b32 s10, -1
	v_bfe_u32 v5, v4, 16, 1
	v_add3_u32 v4, v4, v5, 0x7fff
	v_mov_b32_e32 v5, 0x7fc0
	v_cndmask_b32_sdwa v4, v5, v4, vcc_lo dst_sel:DWORD dst_unused:UNUSED_PAD src0_sel:DWORD src1_sel:WORD_1
	global_store_dword v[0:1], v4, off
.LBB153_2097:
	s_and_b32 vcc_lo, exec_lo, s11
	s_cbranch_vccz .LBB153_2102
; %bb.2098:
	s_cmp_eq_u32 s2, 44
	s_mov_b32 s0, -1
	s_cbranch_scc0 .LBB153_2102
; %bb.2099:
	v_cvt_f32_f16_e32 v4, v3
	v_mov_b32_e32 v5, 0xff
	s_mov_b32 s10, exec_lo
	v_bfe_u32 v6, v4, 23, 8
	v_cmpx_ne_u32_e32 0xff, v6
	s_cbranch_execz .LBB153_2101
; %bb.2100:
	v_and_b32_e32 v5, 0x400000, v4
	v_and_or_b32 v6, 0x3fffff, v4, v6
	v_lshrrev_b32_e32 v4, 23, v4
	v_cmp_ne_u32_e32 vcc_lo, 0, v5
	v_cmp_ne_u32_e64 s0, 0, v6
	s_and_b32 s0, vcc_lo, s0
	v_cndmask_b32_e64 v5, 0, 1, s0
	v_add_nc_u32_e32 v5, v4, v5
.LBB153_2101:
	s_or_b32 exec_lo, exec_lo, s10
	s_mov_b32 s0, 0
	s_mov_b32 s10, -1
	global_store_byte v[0:1], v5, off
.LBB153_2102:
	s_mov_b32 s11, 0
.LBB153_2103:
	s_and_b32 vcc_lo, exec_lo, s11
	s_cbranch_vccz .LBB153_2106
; %bb.2104:
	s_cmp_eq_u32 s2, 29
	s_mov_b32 s0, -1
	s_cbranch_scc0 .LBB153_2106
; %bb.2105:
	v_cvt_f32_f16_e32 v4, v3
	v_mov_b32_e32 v5, 0
	s_mov_b32 s0, 0
	s_mov_b32 s10, -1
	v_cvt_u32_f32_e32 v4, v4
	global_store_dwordx2 v[0:1], v[4:5], off
.LBB153_2106:
	s_mov_b32 s11, 0
.LBB153_2107:
	s_and_b32 vcc_lo, exec_lo, s11
	s_cbranch_vccz .LBB153_2123
; %bb.2108:
	s_cmp_lt_i32 s2, 27
	s_mov_b32 s10, -1
	s_cbranch_scc1 .LBB153_2114
; %bb.2109:
	s_cmp_gt_i32 s2, 27
	s_cbranch_scc0 .LBB153_2111
; %bb.2110:
	v_cvt_f32_f16_e32 v4, v3
	s_mov_b32 s10, 0
	v_cvt_u32_f32_e32 v4, v4
	global_store_dword v[0:1], v4, off
.LBB153_2111:
	s_andn2_b32 vcc_lo, exec_lo, s10
	s_cbranch_vccnz .LBB153_2113
; %bb.2112:
	v_cvt_u16_f16_e32 v4, v3
	global_store_short v[0:1], v4, off
.LBB153_2113:
	s_mov_b32 s10, 0
.LBB153_2114:
	s_andn2_b32 vcc_lo, exec_lo, s10
	s_cbranch_vccnz .LBB153_2122
; %bb.2115:
	v_cvt_f32_f16_e32 v4, v3
	v_mov_b32_e32 v6, 0x80
	s_mov_b32 s10, exec_lo
	v_and_b32_e32 v5, 0x7fffffff, v4
	v_cmpx_gt_u32_e32 0x43800000, v5
	s_cbranch_execz .LBB153_2121
; %bb.2116:
	v_cmp_lt_u32_e32 vcc_lo, 0x3bffffff, v5
	s_mov_b32 s11, 0
                                        ; implicit-def: $vgpr5
	s_and_saveexec_b32 s12, vcc_lo
	s_xor_b32 s12, exec_lo, s12
	s_cbranch_execz .LBB153_2342
; %bb.2117:
	v_bfe_u32 v5, v4, 20, 1
	s_mov_b32 s11, exec_lo
	v_add3_u32 v5, v4, v5, 0x487ffff
	v_lshrrev_b32_e32 v5, 20, v5
	s_andn2_saveexec_b32 s12, s12
	s_cbranch_execnz .LBB153_2343
.LBB153_2118:
	s_or_b32 exec_lo, exec_lo, s12
	v_mov_b32_e32 v6, 0
	s_and_saveexec_b32 s12, s11
.LBB153_2119:
	v_lshrrev_b32_e32 v4, 24, v4
	v_and_or_b32 v6, 0x80, v4, v5
.LBB153_2120:
	s_or_b32 exec_lo, exec_lo, s12
.LBB153_2121:
	s_or_b32 exec_lo, exec_lo, s10
	global_store_byte v[0:1], v6, off
.LBB153_2122:
	s_mov_b32 s10, -1
.LBB153_2123:
	s_mov_b32 s11, 0
.LBB153_2124:
	s_and_b32 vcc_lo, exec_lo, s11
	s_cbranch_vccz .LBB153_2164
; %bb.2125:
	s_cmp_gt_i32 s2, 22
	s_mov_b32 s5, -1
	s_cbranch_scc0 .LBB153_2157
; %bb.2126:
	s_cmp_lt_i32 s2, 24
	s_cbranch_scc1 .LBB153_2146
; %bb.2127:
	s_cmp_gt_i32 s2, 24
	s_cbranch_scc0 .LBB153_2135
; %bb.2128:
	v_cvt_f32_f16_e32 v4, v3
	v_mov_b32_e32 v6, 0x80
	s_mov_b32 s5, exec_lo
	v_and_b32_e32 v5, 0x7fffffff, v4
	v_cmpx_gt_u32_e32 0x47800000, v5
	s_cbranch_execz .LBB153_2134
; %bb.2129:
	v_cmp_lt_u32_e32 vcc_lo, 0x37ffffff, v5
	s_mov_b32 s10, 0
                                        ; implicit-def: $vgpr5
	s_and_saveexec_b32 s11, vcc_lo
	s_xor_b32 s11, exec_lo, s11
	s_cbranch_execz .LBB153_2345
; %bb.2130:
	v_bfe_u32 v5, v4, 21, 1
	s_mov_b32 s10, exec_lo
	v_add3_u32 v5, v4, v5, 0x88fffff
	v_lshrrev_b32_e32 v5, 21, v5
	s_andn2_saveexec_b32 s11, s11
	s_cbranch_execnz .LBB153_2346
.LBB153_2131:
	s_or_b32 exec_lo, exec_lo, s11
	v_mov_b32_e32 v6, 0
	s_and_saveexec_b32 s11, s10
.LBB153_2132:
	v_lshrrev_b32_e32 v4, 24, v4
	v_and_or_b32 v6, 0x80, v4, v5
.LBB153_2133:
	s_or_b32 exec_lo, exec_lo, s11
.LBB153_2134:
	s_or_b32 exec_lo, exec_lo, s5
	s_mov_b32 s5, 0
	global_store_byte v[0:1], v6, off
.LBB153_2135:
	s_and_b32 vcc_lo, exec_lo, s5
	s_cbranch_vccz .LBB153_2145
; %bb.2136:
	v_cvt_f32_f16_e32 v4, v3
	s_mov_b32 s5, exec_lo
                                        ; implicit-def: $vgpr5
	v_and_b32_e32 v6, 0x7fffffff, v4
	v_cmpx_gt_u32_e32 0x43f00000, v6
	s_xor_b32 s5, exec_lo, s5
	s_cbranch_execz .LBB153_2142
; %bb.2137:
	s_mov_b32 s10, exec_lo
                                        ; implicit-def: $vgpr5
	v_cmpx_lt_u32_e32 0x3c7fffff, v6
	s_xor_b32 s10, exec_lo, s10
; %bb.2138:
	v_bfe_u32 v5, v4, 20, 1
	v_add3_u32 v5, v4, v5, 0x407ffff
	v_and_b32_e32 v6, 0xff00000, v5
	v_lshrrev_b32_e32 v5, 20, v5
	v_cmp_ne_u32_e32 vcc_lo, 0x7f00000, v6
	v_cndmask_b32_e32 v5, 0x7e, v5, vcc_lo
; %bb.2139:
	s_andn2_saveexec_b32 s10, s10
; %bb.2140:
	v_add_f32_e64 v5, 0x46800000, |v4|
; %bb.2141:
	s_or_b32 exec_lo, exec_lo, s10
                                        ; implicit-def: $vgpr6
.LBB153_2142:
	s_andn2_saveexec_b32 s5, s5
; %bb.2143:
	v_mov_b32_e32 v5, 0x7f
	v_cmp_lt_u32_e32 vcc_lo, 0x7f800000, v6
	v_cndmask_b32_e32 v5, 0x7e, v5, vcc_lo
; %bb.2144:
	s_or_b32 exec_lo, exec_lo, s5
	v_lshrrev_b32_e32 v4, 24, v4
	v_and_or_b32 v4, 0x80, v4, v5
	global_store_byte v[0:1], v4, off
.LBB153_2145:
	s_mov_b32 s5, 0
.LBB153_2146:
	s_andn2_b32 vcc_lo, exec_lo, s5
	s_cbranch_vccnz .LBB153_2156
; %bb.2147:
	v_cvt_f32_f16_e32 v4, v3
	s_mov_b32 s5, exec_lo
                                        ; implicit-def: $vgpr5
	v_and_b32_e32 v6, 0x7fffffff, v4
	v_cmpx_gt_u32_e32 0x47800000, v6
	s_xor_b32 s5, exec_lo, s5
	s_cbranch_execz .LBB153_2153
; %bb.2148:
	s_mov_b32 s10, exec_lo
                                        ; implicit-def: $vgpr5
	v_cmpx_lt_u32_e32 0x387fffff, v6
	s_xor_b32 s10, exec_lo, s10
; %bb.2149:
	v_bfe_u32 v5, v4, 21, 1
	v_add3_u32 v5, v4, v5, 0x80fffff
	v_lshrrev_b32_e32 v5, 21, v5
; %bb.2150:
	s_andn2_saveexec_b32 s10, s10
; %bb.2151:
	v_add_f32_e64 v5, 0x43000000, |v4|
; %bb.2152:
	s_or_b32 exec_lo, exec_lo, s10
                                        ; implicit-def: $vgpr6
.LBB153_2153:
	s_andn2_saveexec_b32 s5, s5
; %bb.2154:
	v_mov_b32_e32 v5, 0x7f
	v_cmp_lt_u32_e32 vcc_lo, 0x7f800000, v6
	v_cndmask_b32_e32 v5, 0x7c, v5, vcc_lo
; %bb.2155:
	s_or_b32 exec_lo, exec_lo, s5
	v_lshrrev_b32_e32 v4, 24, v4
	v_and_or_b32 v4, 0x80, v4, v5
	global_store_byte v[0:1], v4, off
.LBB153_2156:
	s_mov_b32 s5, 0
	s_mov_b32 s10, -1
.LBB153_2157:
	s_andn2_b32 vcc_lo, exec_lo, s5
	s_mov_b32 s5, 0
	s_cbranch_vccnz .LBB153_2164
; %bb.2158:
	s_cmp_gt_i32 s2, 14
	s_mov_b32 s5, -1
	s_cbranch_scc0 .LBB153_2162
; %bb.2159:
	s_cmp_eq_u32 s2, 15
	s_mov_b32 s0, -1
	s_cbranch_scc0 .LBB153_2161
; %bb.2160:
	v_cvt_f32_f16_e32 v4, v3
	v_cmp_o_f16_e32 vcc_lo, v3, v3
	s_mov_b32 s0, 0
	s_mov_b32 s10, -1
	v_bfe_u32 v5, v4, 16, 1
	v_add3_u32 v4, v4, v5, 0x7fff
	v_mov_b32_e32 v5, 0x7fc0
	v_cndmask_b32_sdwa v4, v5, v4, vcc_lo dst_sel:DWORD dst_unused:UNUSED_PAD src0_sel:DWORD src1_sel:WORD_1
	global_store_short v[0:1], v4, off
.LBB153_2161:
	s_mov_b32 s5, 0
.LBB153_2162:
	s_and_b32 vcc_lo, exec_lo, s5
	s_mov_b32 s5, 0
	s_cbranch_vccz .LBB153_2164
; %bb.2163:
	s_cmp_lg_u32 s2, 11
	s_mov_b32 s5, -1
	s_cselect_b32 s0, -1, 0
.LBB153_2164:
	s_and_b32 vcc_lo, exec_lo, s0
	s_cbranch_vccnz .LBB153_2344
; %bb.2165:
	s_andn2_b32 vcc_lo, exec_lo, s5
	s_cbranch_vccnz .LBB153_2167
.LBB153_2166:
	v_cmp_neq_f16_e32 vcc_lo, 0, v3
	s_mov_b32 s10, -1
	v_cndmask_b32_e64 v4, 0, 1, vcc_lo
	global_store_byte v[0:1], v4, off
.LBB153_2167:
	s_mov_b32 s0, 0
	s_branch .LBB153_2169
.LBB153_2168:
	s_mov_b32 s0, -1
	s_mov_b32 s10, 0
.LBB153_2169:
	s_and_b32 vcc_lo, exec_lo, s0
	s_cbranch_vccz .LBB153_2208
; %bb.2170:
	s_and_b32 s0, 0xffff, s4
	s_mov_b32 s2, -1
	s_cmp_lt_i32 s0, 5
	s_cbranch_scc1 .LBB153_2191
; %bb.2171:
	s_cmp_lt_i32 s0, 8
	s_cbranch_scc1 .LBB153_2181
; %bb.2172:
	;; [unrolled: 3-line block ×3, first 2 shown]
	s_cmp_gt_i32 s0, 9
	s_cbranch_scc0 .LBB153_2175
; %bb.2174:
	v_cvt_f32_f16_e32 v4, v3
	v_mov_b32_e32 v6, 0
	s_mov_b32 s2, 0
	v_cvt_f64_f32_e32 v[4:5], v4
	v_mov_b32_e32 v7, v6
	global_store_dwordx4 v[0:1], v[4:7], off
.LBB153_2175:
	s_andn2_b32 vcc_lo, exec_lo, s2
	s_cbranch_vccnz .LBB153_2177
; %bb.2176:
	v_cvt_f32_f16_e32 v4, v3
	v_mov_b32_e32 v5, 0
	global_store_dwordx2 v[0:1], v[4:5], off
.LBB153_2177:
	s_mov_b32 s2, 0
.LBB153_2178:
	s_andn2_b32 vcc_lo, exec_lo, s2
	s_cbranch_vccnz .LBB153_2180
; %bb.2179:
	v_and_b32_e32 v4, 0xffff, v3
	global_store_dword v[0:1], v4, off
.LBB153_2180:
	s_mov_b32 s2, 0
.LBB153_2181:
	s_andn2_b32 vcc_lo, exec_lo, s2
	s_cbranch_vccnz .LBB153_2190
; %bb.2182:
	s_cmp_lt_i32 s0, 6
	s_mov_b32 s2, -1
	s_cbranch_scc1 .LBB153_2188
; %bb.2183:
	s_cmp_gt_i32 s0, 6
	s_cbranch_scc0 .LBB153_2185
; %bb.2184:
	v_cvt_f32_f16_e32 v4, v3
	s_mov_b32 s2, 0
	v_cvt_f64_f32_e32 v[4:5], v4
	global_store_dwordx2 v[0:1], v[4:5], off
.LBB153_2185:
	s_andn2_b32 vcc_lo, exec_lo, s2
	s_cbranch_vccnz .LBB153_2187
; %bb.2186:
	v_cvt_f32_f16_e32 v4, v3
	global_store_dword v[0:1], v4, off
.LBB153_2187:
	s_mov_b32 s2, 0
.LBB153_2188:
	s_andn2_b32 vcc_lo, exec_lo, s2
	s_cbranch_vccnz .LBB153_2190
; %bb.2189:
	global_store_short v[0:1], v3, off
.LBB153_2190:
	s_mov_b32 s2, 0
.LBB153_2191:
	s_andn2_b32 vcc_lo, exec_lo, s2
	s_cbranch_vccnz .LBB153_2207
; %bb.2192:
	s_cmp_lt_i32 s0, 2
	s_mov_b32 s2, -1
	s_cbranch_scc1 .LBB153_2202
; %bb.2193:
	s_cmp_lt_i32 s0, 3
	s_cbranch_scc1 .LBB153_2199
; %bb.2194:
	s_cmp_gt_i32 s0, 3
	s_cbranch_scc0 .LBB153_2196
; %bb.2195:
	v_cvt_f32_f16_e32 v4, v3
	s_mov_b32 s2, 0
	v_cvt_i32_f32_e32 v4, v4
	v_ashrrev_i32_e32 v5, 31, v4
	global_store_dwordx2 v[0:1], v[4:5], off
.LBB153_2196:
	s_andn2_b32 vcc_lo, exec_lo, s2
	s_cbranch_vccnz .LBB153_2198
; %bb.2197:
	v_cvt_f32_f16_e32 v4, v3
	v_cvt_i32_f32_e32 v4, v4
	global_store_dword v[0:1], v4, off
.LBB153_2198:
	s_mov_b32 s2, 0
.LBB153_2199:
	s_andn2_b32 vcc_lo, exec_lo, s2
	s_cbranch_vccnz .LBB153_2201
; %bb.2200:
	v_cvt_i16_f16_e32 v4, v3
	global_store_short v[0:1], v4, off
.LBB153_2201:
	s_mov_b32 s2, 0
.LBB153_2202:
	s_andn2_b32 vcc_lo, exec_lo, s2
	s_cbranch_vccnz .LBB153_2207
; %bb.2203:
	s_cmp_gt_i32 s0, 0
	s_mov_b32 s0, -1
	s_cbranch_scc0 .LBB153_2205
; %bb.2204:
	v_cvt_i16_f16_e32 v4, v3
	s_mov_b32 s0, 0
	global_store_byte v[0:1], v4, off
.LBB153_2205:
	s_andn2_b32 vcc_lo, exec_lo, s0
	s_cbranch_vccnz .LBB153_2207
; %bb.2206:
	v_cvt_f32_f16_e32 v3, v3
	v_cvt_i32_f32_e32 v3, v3
	global_store_byte v[0:1], v3, off
.LBB153_2207:
	s_mov_b32 s10, -1
.LBB153_2208:
	s_andn2_b32 vcc_lo, exec_lo, s10
	s_cbranch_vccnz .LBB153_2285
; %bb.2209:
	v_cmp_gt_f32_e64 s0, 0x4b000000, |v13|
	v_cvt_f16_f32_e32 v0, v14
	v_add_nc_u32_e32 v1, s1, v2
	s_or_b32 vcc_lo, s3, s0
	v_cmp_class_f32_e64 s0, v13, 0x264
	v_cndmask_b32_e32 v0, 0x7c00, v0, vcc_lo
	v_cmp_u_f16_e32 vcc_lo, v11, v11
	v_ashrrev_i32_e32 v2, 31, v1
	s_cmp_lt_i32 s4, 11
	v_cndmask_b32_e64 v0, v0, 0x7c00, s0
	v_cndmask_b32_e32 v3, v0, v11, vcc_lo
	v_add_co_u32 v0, vcc_lo, s8, v1
	v_add_co_ci_u32_e64 v1, null, s9, v2, vcc_lo
	s_cbranch_scc1 .LBB153_2330
; %bb.2210:
	s_and_b32 s1, 0xffff, s4
	s_mov_b32 s3, -1
	s_mov_b32 s2, 0
	s_cmp_gt_i32 s1, 25
	s_mov_b32 s0, 0
	s_cbranch_scc0 .LBB153_2243
; %bb.2211:
	s_cmp_gt_i32 s1, 28
	s_cbranch_scc0 .LBB153_2227
; %bb.2212:
	s_cmp_gt_i32 s1, 43
	;; [unrolled: 3-line block ×3, first 2 shown]
	s_cbranch_scc0 .LBB153_2217
; %bb.2214:
	s_cmp_eq_u32 s1, 46
	s_mov_b32 s0, -1
	s_cbranch_scc0 .LBB153_2216
; %bb.2215:
	v_cvt_f32_f16_e32 v2, v3
	v_cmp_o_f16_e32 vcc_lo, v3, v3
	s_mov_b32 s0, 0
	v_bfe_u32 v4, v2, 16, 1
	v_add3_u32 v2, v2, v4, 0x7fff
	v_mov_b32_e32 v4, 0x7fc0
	v_cndmask_b32_sdwa v2, v4, v2, vcc_lo dst_sel:DWORD dst_unused:UNUSED_PAD src0_sel:DWORD src1_sel:WORD_1
	global_store_dword v[0:1], v2, off
.LBB153_2216:
	s_mov_b32 s3, 0
.LBB153_2217:
	s_and_b32 vcc_lo, exec_lo, s3
	s_cbranch_vccz .LBB153_2222
; %bb.2218:
	s_cmp_eq_u32 s1, 44
	s_mov_b32 s0, -1
	s_cbranch_scc0 .LBB153_2222
; %bb.2219:
	v_cvt_f32_f16_e32 v2, v3
	v_mov_b32_e32 v4, 0xff
	s_mov_b32 s3, exec_lo
	v_bfe_u32 v5, v2, 23, 8
	v_cmpx_ne_u32_e32 0xff, v5
	s_cbranch_execz .LBB153_2221
; %bb.2220:
	v_and_b32_e32 v4, 0x400000, v2
	v_and_or_b32 v5, 0x3fffff, v2, v5
	v_lshrrev_b32_e32 v2, 23, v2
	v_cmp_ne_u32_e32 vcc_lo, 0, v4
	v_cmp_ne_u32_e64 s0, 0, v5
	s_and_b32 s0, vcc_lo, s0
	v_cndmask_b32_e64 v4, 0, 1, s0
	v_add_nc_u32_e32 v4, v2, v4
.LBB153_2221:
	s_or_b32 exec_lo, exec_lo, s3
	s_mov_b32 s0, 0
	global_store_byte v[0:1], v4, off
.LBB153_2222:
	s_mov_b32 s3, 0
.LBB153_2223:
	s_and_b32 vcc_lo, exec_lo, s3
	s_cbranch_vccz .LBB153_2226
; %bb.2224:
	s_cmp_eq_u32 s1, 29
	s_mov_b32 s0, -1
	s_cbranch_scc0 .LBB153_2226
; %bb.2225:
	v_cvt_f32_f16_e32 v2, v3
	v_mov_b32_e32 v5, 0
	s_mov_b32 s0, 0
	v_cvt_u32_f32_e32 v4, v2
	global_store_dwordx2 v[0:1], v[4:5], off
.LBB153_2226:
	s_mov_b32 s3, 0
.LBB153_2227:
	s_and_b32 vcc_lo, exec_lo, s3
	s_cbranch_vccz .LBB153_2242
; %bb.2228:
	s_cmp_lt_i32 s1, 27
	s_mov_b32 s3, -1
	s_cbranch_scc1 .LBB153_2234
; %bb.2229:
	s_cmp_gt_i32 s1, 27
	s_cbranch_scc0 .LBB153_2231
; %bb.2230:
	v_cvt_f32_f16_e32 v2, v3
	s_mov_b32 s3, 0
	v_cvt_u32_f32_e32 v2, v2
	global_store_dword v[0:1], v2, off
.LBB153_2231:
	s_andn2_b32 vcc_lo, exec_lo, s3
	s_cbranch_vccnz .LBB153_2233
; %bb.2232:
	v_cvt_u16_f16_e32 v2, v3
	global_store_short v[0:1], v2, off
.LBB153_2233:
	s_mov_b32 s3, 0
.LBB153_2234:
	s_andn2_b32 vcc_lo, exec_lo, s3
	s_cbranch_vccnz .LBB153_2242
; %bb.2235:
	v_cvt_f32_f16_e32 v2, v3
	v_mov_b32_e32 v5, 0x80
	s_mov_b32 s3, exec_lo
	v_and_b32_e32 v4, 0x7fffffff, v2
	v_cmpx_gt_u32_e32 0x43800000, v4
	s_cbranch_execz .LBB153_2241
; %bb.2236:
	v_cmp_lt_u32_e32 vcc_lo, 0x3bffffff, v4
	s_mov_b32 s5, 0
                                        ; implicit-def: $vgpr4
	s_and_saveexec_b32 s8, vcc_lo
	s_xor_b32 s8, exec_lo, s8
	s_cbranch_execz .LBB153_2347
; %bb.2237:
	v_bfe_u32 v4, v2, 20, 1
	s_mov_b32 s5, exec_lo
	v_add3_u32 v4, v2, v4, 0x487ffff
	v_lshrrev_b32_e32 v4, 20, v4
	s_andn2_saveexec_b32 s8, s8
	s_cbranch_execnz .LBB153_2348
.LBB153_2238:
	s_or_b32 exec_lo, exec_lo, s8
	v_mov_b32_e32 v5, 0
	s_and_saveexec_b32 s8, s5
.LBB153_2239:
	v_lshrrev_b32_e32 v2, 24, v2
	v_and_or_b32 v5, 0x80, v2, v4
.LBB153_2240:
	s_or_b32 exec_lo, exec_lo, s8
.LBB153_2241:
	s_or_b32 exec_lo, exec_lo, s3
	global_store_byte v[0:1], v5, off
.LBB153_2242:
	s_mov_b32 s3, 0
.LBB153_2243:
	s_and_b32 vcc_lo, exec_lo, s3
	s_cbranch_vccz .LBB153_2283
; %bb.2244:
	s_cmp_gt_i32 s1, 22
	s_mov_b32 s2, -1
	s_cbranch_scc0 .LBB153_2276
; %bb.2245:
	s_cmp_lt_i32 s1, 24
	s_cbranch_scc1 .LBB153_2265
; %bb.2246:
	s_cmp_gt_i32 s1, 24
	s_cbranch_scc0 .LBB153_2254
; %bb.2247:
	v_cvt_f32_f16_e32 v2, v3
	v_mov_b32_e32 v5, 0x80
	s_mov_b32 s2, exec_lo
	v_and_b32_e32 v4, 0x7fffffff, v2
	v_cmpx_gt_u32_e32 0x47800000, v4
	s_cbranch_execz .LBB153_2253
; %bb.2248:
	v_cmp_lt_u32_e32 vcc_lo, 0x37ffffff, v4
	s_mov_b32 s3, 0
                                        ; implicit-def: $vgpr4
	s_and_saveexec_b32 s5, vcc_lo
	s_xor_b32 s5, exec_lo, s5
	s_cbranch_execz .LBB153_2350
; %bb.2249:
	v_bfe_u32 v4, v2, 21, 1
	s_mov_b32 s3, exec_lo
	v_add3_u32 v4, v2, v4, 0x88fffff
	v_lshrrev_b32_e32 v4, 21, v4
	s_andn2_saveexec_b32 s5, s5
	s_cbranch_execnz .LBB153_2351
.LBB153_2250:
	s_or_b32 exec_lo, exec_lo, s5
	v_mov_b32_e32 v5, 0
	s_and_saveexec_b32 s5, s3
.LBB153_2251:
	v_lshrrev_b32_e32 v2, 24, v2
	v_and_or_b32 v5, 0x80, v2, v4
.LBB153_2252:
	s_or_b32 exec_lo, exec_lo, s5
.LBB153_2253:
	s_or_b32 exec_lo, exec_lo, s2
	s_mov_b32 s2, 0
	global_store_byte v[0:1], v5, off
.LBB153_2254:
	s_and_b32 vcc_lo, exec_lo, s2
	s_cbranch_vccz .LBB153_2264
; %bb.2255:
	v_cvt_f32_f16_e32 v2, v3
	s_mov_b32 s2, exec_lo
                                        ; implicit-def: $vgpr4
	v_and_b32_e32 v5, 0x7fffffff, v2
	v_cmpx_gt_u32_e32 0x43f00000, v5
	s_xor_b32 s2, exec_lo, s2
	s_cbranch_execz .LBB153_2261
; %bb.2256:
	s_mov_b32 s3, exec_lo
                                        ; implicit-def: $vgpr4
	v_cmpx_lt_u32_e32 0x3c7fffff, v5
	s_xor_b32 s3, exec_lo, s3
; %bb.2257:
	v_bfe_u32 v4, v2, 20, 1
	v_add3_u32 v4, v2, v4, 0x407ffff
	v_and_b32_e32 v5, 0xff00000, v4
	v_lshrrev_b32_e32 v4, 20, v4
	v_cmp_ne_u32_e32 vcc_lo, 0x7f00000, v5
	v_cndmask_b32_e32 v4, 0x7e, v4, vcc_lo
; %bb.2258:
	s_andn2_saveexec_b32 s3, s3
; %bb.2259:
	v_add_f32_e64 v4, 0x46800000, |v2|
; %bb.2260:
	s_or_b32 exec_lo, exec_lo, s3
                                        ; implicit-def: $vgpr5
.LBB153_2261:
	s_andn2_saveexec_b32 s2, s2
; %bb.2262:
	v_mov_b32_e32 v4, 0x7f
	v_cmp_lt_u32_e32 vcc_lo, 0x7f800000, v5
	v_cndmask_b32_e32 v4, 0x7e, v4, vcc_lo
; %bb.2263:
	s_or_b32 exec_lo, exec_lo, s2
	v_lshrrev_b32_e32 v2, 24, v2
	v_and_or_b32 v2, 0x80, v2, v4
	global_store_byte v[0:1], v2, off
.LBB153_2264:
	s_mov_b32 s2, 0
.LBB153_2265:
	s_andn2_b32 vcc_lo, exec_lo, s2
	s_cbranch_vccnz .LBB153_2275
; %bb.2266:
	v_cvt_f32_f16_e32 v2, v3
	s_mov_b32 s2, exec_lo
                                        ; implicit-def: $vgpr4
	v_and_b32_e32 v5, 0x7fffffff, v2
	v_cmpx_gt_u32_e32 0x47800000, v5
	s_xor_b32 s2, exec_lo, s2
	s_cbranch_execz .LBB153_2272
; %bb.2267:
	s_mov_b32 s3, exec_lo
                                        ; implicit-def: $vgpr4
	v_cmpx_lt_u32_e32 0x387fffff, v5
	s_xor_b32 s3, exec_lo, s3
; %bb.2268:
	v_bfe_u32 v4, v2, 21, 1
	v_add3_u32 v4, v2, v4, 0x80fffff
	v_lshrrev_b32_e32 v4, 21, v4
; %bb.2269:
	s_andn2_saveexec_b32 s3, s3
; %bb.2270:
	v_add_f32_e64 v4, 0x43000000, |v2|
; %bb.2271:
	s_or_b32 exec_lo, exec_lo, s3
                                        ; implicit-def: $vgpr5
.LBB153_2272:
	s_andn2_saveexec_b32 s2, s2
; %bb.2273:
	v_mov_b32_e32 v4, 0x7f
	v_cmp_lt_u32_e32 vcc_lo, 0x7f800000, v5
	v_cndmask_b32_e32 v4, 0x7c, v4, vcc_lo
; %bb.2274:
	s_or_b32 exec_lo, exec_lo, s2
	v_lshrrev_b32_e32 v2, 24, v2
	v_and_or_b32 v2, 0x80, v2, v4
	global_store_byte v[0:1], v2, off
.LBB153_2275:
	s_mov_b32 s2, 0
.LBB153_2276:
	s_andn2_b32 vcc_lo, exec_lo, s2
	s_mov_b32 s2, 0
	s_cbranch_vccnz .LBB153_2283
; %bb.2277:
	s_cmp_gt_i32 s1, 14
	s_mov_b32 s2, -1
	s_cbranch_scc0 .LBB153_2281
; %bb.2278:
	s_cmp_eq_u32 s1, 15
	s_mov_b32 s0, -1
	s_cbranch_scc0 .LBB153_2280
; %bb.2279:
	v_cvt_f32_f16_e32 v2, v3
	v_cmp_o_f16_e32 vcc_lo, v3, v3
	s_mov_b32 s0, 0
	v_bfe_u32 v4, v2, 16, 1
	v_add3_u32 v2, v2, v4, 0x7fff
	v_mov_b32_e32 v4, 0x7fc0
	v_cndmask_b32_sdwa v2, v4, v2, vcc_lo dst_sel:DWORD dst_unused:UNUSED_PAD src0_sel:DWORD src1_sel:WORD_1
	global_store_short v[0:1], v2, off
.LBB153_2280:
	s_mov_b32 s2, 0
.LBB153_2281:
	s_and_b32 vcc_lo, exec_lo, s2
	s_mov_b32 s2, 0
	s_cbranch_vccz .LBB153_2283
; %bb.2282:
	s_cmp_lg_u32 s1, 11
	s_mov_b32 s2, -1
	s_cselect_b32 s0, -1, 0
.LBB153_2283:
	s_and_b32 vcc_lo, exec_lo, s0
	s_cbranch_vccnz .LBB153_2349
.LBB153_2284:
	s_mov_b32 s0, 0
	s_branch .LBB153_2286
.LBB153_2285:
	s_mov_b32 s0, 0
	s_mov_b32 s2, 0
                                        ; implicit-def: $sgpr4
                                        ; implicit-def: $vgpr0_vgpr1
                                        ; implicit-def: $vgpr3
.LBB153_2286:
	s_andn2_b32 s1, s6, exec_lo
	s_and_b32 s3, s14, exec_lo
	s_and_b32 s0, s0, exec_lo
	;; [unrolled: 1-line block ×3, first 2 shown]
	s_or_b32 s6, s1, s3
.LBB153_2287:
	s_or_b32 exec_lo, exec_lo, s7
	s_and_saveexec_b32 s1, s6
	s_cbranch_execz .LBB153_2290
; %bb.2288:
	; divergent unreachable
	s_or_b32 exec_lo, exec_lo, s1
	s_and_saveexec_b32 s1, s2
	s_xor_b32 s1, exec_lo, s1
	s_cbranch_execnz .LBB153_2291
.LBB153_2289:
	s_or_b32 exec_lo, exec_lo, s1
	s_and_saveexec_b32 s1, s0
	s_cbranch_execnz .LBB153_2292
	s_branch .LBB153_2329
.LBB153_2290:
	s_or_b32 exec_lo, exec_lo, s1
	s_and_saveexec_b32 s1, s2
	s_xor_b32 s1, exec_lo, s1
	s_cbranch_execz .LBB153_2289
.LBB153_2291:
	s_waitcnt vmcnt(0)
	v_cmp_neq_f16_e32 vcc_lo, 0, v3
	v_cndmask_b32_e64 v2, 0, 1, vcc_lo
	global_store_byte v[0:1], v2, off
	s_or_b32 exec_lo, exec_lo, s1
	s_and_saveexec_b32 s1, s0
	s_cbranch_execz .LBB153_2329
.LBB153_2292:
	s_sext_i32_i16 s1, s4
	s_mov_b32 s0, -1
	s_cmp_lt_i32 s1, 5
	s_cbranch_scc1 .LBB153_2313
; %bb.2293:
	s_cmp_lt_i32 s1, 8
	s_cbranch_scc1 .LBB153_2303
; %bb.2294:
	;; [unrolled: 3-line block ×3, first 2 shown]
	s_cmp_gt_i32 s1, 9
	s_cbranch_scc0 .LBB153_2297
; %bb.2296:
	s_waitcnt vmcnt(0)
	v_cvt_f32_f16_e32 v2, v3
	v_mov_b32_e32 v6, 0
	s_mov_b32 s0, 0
	v_cvt_f64_f32_e32 v[4:5], v2
	v_mov_b32_e32 v7, v6
	global_store_dwordx4 v[0:1], v[4:7], off
.LBB153_2297:
	s_andn2_b32 vcc_lo, exec_lo, s0
	s_cbranch_vccnz .LBB153_2299
; %bb.2298:
	s_waitcnt vmcnt(0)
	v_cvt_f32_f16_e32 v4, v3
	v_mov_b32_e32 v5, 0
	global_store_dwordx2 v[0:1], v[4:5], off
.LBB153_2299:
	s_mov_b32 s0, 0
.LBB153_2300:
	s_andn2_b32 vcc_lo, exec_lo, s0
	s_cbranch_vccnz .LBB153_2302
; %bb.2301:
	s_waitcnt vmcnt(0)
	v_and_b32_e32 v2, 0xffff, v3
	global_store_dword v[0:1], v2, off
.LBB153_2302:
	s_mov_b32 s0, 0
.LBB153_2303:
	s_andn2_b32 vcc_lo, exec_lo, s0
	s_cbranch_vccnz .LBB153_2312
; %bb.2304:
	s_sext_i32_i16 s1, s4
	s_mov_b32 s0, -1
	s_cmp_lt_i32 s1, 6
	s_cbranch_scc1 .LBB153_2310
; %bb.2305:
	s_cmp_gt_i32 s1, 6
	s_cbranch_scc0 .LBB153_2307
; %bb.2306:
	s_waitcnt vmcnt(0)
	v_cvt_f32_f16_e32 v2, v3
	s_mov_b32 s0, 0
	v_cvt_f64_f32_e32 v[4:5], v2
	global_store_dwordx2 v[0:1], v[4:5], off
.LBB153_2307:
	s_andn2_b32 vcc_lo, exec_lo, s0
	s_cbranch_vccnz .LBB153_2309
; %bb.2308:
	s_waitcnt vmcnt(0)
	v_cvt_f32_f16_e32 v2, v3
	global_store_dword v[0:1], v2, off
.LBB153_2309:
	s_mov_b32 s0, 0
.LBB153_2310:
	s_andn2_b32 vcc_lo, exec_lo, s0
	s_cbranch_vccnz .LBB153_2312
; %bb.2311:
	s_waitcnt vmcnt(0)
	global_store_short v[0:1], v3, off
.LBB153_2312:
	s_mov_b32 s0, 0
.LBB153_2313:
	s_andn2_b32 vcc_lo, exec_lo, s0
	s_cbranch_vccnz .LBB153_2329
; %bb.2314:
	s_sext_i32_i16 s1, s4
	s_mov_b32 s0, -1
	s_cmp_lt_i32 s1, 2
	s_cbranch_scc1 .LBB153_2324
; %bb.2315:
	s_cmp_lt_i32 s1, 3
	s_cbranch_scc1 .LBB153_2321
; %bb.2316:
	s_cmp_gt_i32 s1, 3
	s_cbranch_scc0 .LBB153_2318
; %bb.2317:
	s_waitcnt vmcnt(0)
	v_cvt_f32_f16_e32 v2, v3
	s_mov_b32 s0, 0
	v_cvt_i32_f32_e32 v4, v2
	v_ashrrev_i32_e32 v5, 31, v4
	global_store_dwordx2 v[0:1], v[4:5], off
.LBB153_2318:
	s_andn2_b32 vcc_lo, exec_lo, s0
	s_cbranch_vccnz .LBB153_2320
; %bb.2319:
	s_waitcnt vmcnt(0)
	v_cvt_f32_f16_e32 v2, v3
	v_cvt_i32_f32_e32 v2, v2
	global_store_dword v[0:1], v2, off
.LBB153_2320:
	s_mov_b32 s0, 0
.LBB153_2321:
	s_andn2_b32 vcc_lo, exec_lo, s0
	s_cbranch_vccnz .LBB153_2323
; %bb.2322:
	s_waitcnt vmcnt(0)
	v_cvt_i16_f16_e32 v2, v3
	global_store_short v[0:1], v2, off
.LBB153_2323:
	s_mov_b32 s0, 0
.LBB153_2324:
	s_andn2_b32 vcc_lo, exec_lo, s0
	s_cbranch_vccnz .LBB153_2329
; %bb.2325:
	s_sext_i32_i16 s0, s4
	s_cmp_gt_i32 s0, 0
	s_mov_b32 s0, -1
	s_cbranch_scc0 .LBB153_2327
; %bb.2326:
	s_waitcnt vmcnt(0)
	v_cvt_i16_f16_e32 v2, v3
	s_mov_b32 s0, 0
	global_store_byte v[0:1], v2, off
.LBB153_2327:
	s_andn2_b32 vcc_lo, exec_lo, s0
	s_cbranch_vccnz .LBB153_2329
; %bb.2328:
	s_waitcnt vmcnt(0)
	v_cvt_f32_f16_e32 v2, v3
	v_cvt_i32_f32_e32 v2, v2
	global_store_byte v[0:1], v2, off
	s_endpgm
.LBB153_2329:
	s_endpgm
.LBB153_2330:
	s_mov_b32 s2, 0
	s_mov_b32 s0, -1
	s_branch .LBB153_2286
.LBB153_2331:
	s_or_b32 s14, s14, exec_lo
	s_trap 2
	s_cbranch_execz .LBB153_1762
	s_branch .LBB153_1763
.LBB153_2332:
	s_andn2_saveexec_b32 s15, s15
	s_cbranch_execz .LBB153_1880
.LBB153_2333:
	v_add_f32_e64 v6, 0x46000000, |v4|
	s_andn2_b32 s13, s13, exec_lo
	v_and_b32_e32 v6, 0xff, v6
	v_cmp_ne_u32_e32 vcc_lo, 0, v6
	s_and_b32 s16, vcc_lo, exec_lo
	s_or_b32 s13, s13, s16
	s_or_b32 exec_lo, exec_lo, s15
	v_mov_b32_e32 v15, 0
	s_and_saveexec_b32 s15, s13
	s_cbranch_execnz .LBB153_1881
	s_branch .LBB153_1882
.LBB153_2334:
	s_or_b32 s14, s14, exec_lo
	s_trap 2
	s_cbranch_execz .LBB153_1928
	s_branch .LBB153_1929
.LBB153_2335:
	s_andn2_saveexec_b32 s13, s13
	s_cbranch_execz .LBB153_1893
.LBB153_2336:
	v_add_f32_e64 v6, 0x42800000, |v4|
	s_andn2_b32 s11, s11, exec_lo
	v_and_b32_e32 v6, 0xff, v6
	v_cmp_ne_u32_e32 vcc_lo, 0, v6
	s_and_b32 s15, vcc_lo, exec_lo
	s_or_b32 s11, s11, s15
	s_or_b32 exec_lo, exec_lo, s13
	v_mov_b32_e32 v15, 0
	s_and_saveexec_b32 s13, s11
	s_cbranch_execnz .LBB153_1894
	s_branch .LBB153_1895
.LBB153_2337:
	s_andn2_saveexec_b32 s13, s13
	s_cbranch_execz .LBB153_1999
.LBB153_2338:
	v_add_f32_e64 v5, 0x46000000, |v4|
	s_andn2_b32 s12, s12, exec_lo
	v_and_b32_e32 v5, 0xff, v5
	v_cmp_ne_u32_e32 vcc_lo, 0, v5
	s_and_b32 s15, vcc_lo, exec_lo
	s_or_b32 s12, s12, s15
	s_or_b32 exec_lo, exec_lo, s13
	v_mov_b32_e32 v6, 0
	s_and_saveexec_b32 s13, s12
	s_cbranch_execnz .LBB153_2000
	s_branch .LBB153_2001
.LBB153_2339:
	s_or_b32 s14, s14, exec_lo
	s_trap 2
	s_cbranch_execz .LBB153_2047
	s_branch .LBB153_2048
.LBB153_2340:
	s_andn2_saveexec_b32 s12, s12
	s_cbranch_execz .LBB153_2012
.LBB153_2341:
	v_add_f32_e64 v5, 0x42800000, |v4|
	s_andn2_b32 s11, s11, exec_lo
	v_and_b32_e32 v5, 0xff, v5
	v_cmp_ne_u32_e32 vcc_lo, 0, v5
	s_and_b32 s13, vcc_lo, exec_lo
	s_or_b32 s11, s11, s13
	s_or_b32 exec_lo, exec_lo, s12
	v_mov_b32_e32 v6, 0
	s_and_saveexec_b32 s12, s11
	s_cbranch_execnz .LBB153_2013
	s_branch .LBB153_2014
.LBB153_2342:
	s_andn2_saveexec_b32 s12, s12
	s_cbranch_execz .LBB153_2118
.LBB153_2343:
	v_add_f32_e64 v5, 0x46000000, |v4|
	s_andn2_b32 s11, s11, exec_lo
	v_and_b32_e32 v5, 0xff, v5
	v_cmp_ne_u32_e32 vcc_lo, 0, v5
	s_and_b32 s13, vcc_lo, exec_lo
	s_or_b32 s11, s11, s13
	s_or_b32 exec_lo, exec_lo, s12
	v_mov_b32_e32 v6, 0
	s_and_saveexec_b32 s12, s11
	s_cbranch_execnz .LBB153_2119
	s_branch .LBB153_2120
.LBB153_2344:
	s_or_b32 s14, s14, exec_lo
	s_trap 2
	s_cbranch_execz .LBB153_2166
	s_branch .LBB153_2167
.LBB153_2345:
	s_andn2_saveexec_b32 s11, s11
	s_cbranch_execz .LBB153_2131
.LBB153_2346:
	v_add_f32_e64 v5, 0x42800000, |v4|
	s_andn2_b32 s10, s10, exec_lo
	v_and_b32_e32 v5, 0xff, v5
	v_cmp_ne_u32_e32 vcc_lo, 0, v5
	s_and_b32 s12, vcc_lo, exec_lo
	s_or_b32 s10, s10, s12
	s_or_b32 exec_lo, exec_lo, s11
	v_mov_b32_e32 v6, 0
	s_and_saveexec_b32 s11, s10
	s_cbranch_execnz .LBB153_2132
	s_branch .LBB153_2133
.LBB153_2347:
	s_andn2_saveexec_b32 s8, s8
	s_cbranch_execz .LBB153_2238
.LBB153_2348:
	v_add_f32_e64 v4, 0x46000000, |v2|
	s_andn2_b32 s5, s5, exec_lo
	v_and_b32_e32 v4, 0xff, v4
	v_cmp_ne_u32_e32 vcc_lo, 0, v4
	s_and_b32 s9, vcc_lo, exec_lo
	s_or_b32 s5, s5, s9
	s_or_b32 exec_lo, exec_lo, s8
	v_mov_b32_e32 v5, 0
	s_and_saveexec_b32 s8, s5
	s_cbranch_execnz .LBB153_2239
	s_branch .LBB153_2240
.LBB153_2349:
	s_mov_b32 s2, 0
	s_or_b32 s14, s14, exec_lo
	s_trap 2
	s_branch .LBB153_2284
.LBB153_2350:
	s_andn2_saveexec_b32 s5, s5
	s_cbranch_execz .LBB153_2250
.LBB153_2351:
	v_add_f32_e64 v4, 0x42800000, |v2|
	s_andn2_b32 s3, s3, exec_lo
	v_and_b32_e32 v4, 0xff, v4
	v_cmp_ne_u32_e32 vcc_lo, 0, v4
	s_and_b32 s8, vcc_lo, exec_lo
	s_or_b32 s3, s3, s8
	s_or_b32 exec_lo, exec_lo, s5
	v_mov_b32_e32 v5, 0
	s_and_saveexec_b32 s5, s3
	s_cbranch_execnz .LBB153_2251
	s_branch .LBB153_2252
	.section	.rodata,"a",@progbits
	.p2align	6, 0x0
	.amdhsa_kernel _ZN2at6native32elementwise_kernel_manual_unrollILi128ELi4EZNS0_15gpu_kernel_implIZZZNS0_18lgamma_kernel_cudaERNS_18TensorIteratorBaseEENKUlvE_clEvENKUlvE1_clEvEUlN3c104HalfEE_EEvS4_RKT_EUlibE_EEviT1_
		.amdhsa_group_segment_fixed_size 0
		.amdhsa_private_segment_fixed_size 0
		.amdhsa_kernarg_size 40
		.amdhsa_user_sgpr_count 6
		.amdhsa_user_sgpr_private_segment_buffer 1
		.amdhsa_user_sgpr_dispatch_ptr 0
		.amdhsa_user_sgpr_queue_ptr 0
		.amdhsa_user_sgpr_kernarg_segment_ptr 1
		.amdhsa_user_sgpr_dispatch_id 0
		.amdhsa_user_sgpr_flat_scratch_init 0
		.amdhsa_user_sgpr_private_segment_size 0
		.amdhsa_wavefront_size32 1
		.amdhsa_uses_dynamic_stack 0
		.amdhsa_system_sgpr_private_segment_wavefront_offset 0
		.amdhsa_system_sgpr_workgroup_id_x 1
		.amdhsa_system_sgpr_workgroup_id_y 0
		.amdhsa_system_sgpr_workgroup_id_z 0
		.amdhsa_system_sgpr_workgroup_info 0
		.amdhsa_system_vgpr_workitem_id 0
		.amdhsa_next_free_vgpr 20
		.amdhsa_next_free_sgpr 26
		.amdhsa_reserve_vcc 1
		.amdhsa_reserve_flat_scratch 0
		.amdhsa_float_round_mode_32 0
		.amdhsa_float_round_mode_16_64 0
		.amdhsa_float_denorm_mode_32 3
		.amdhsa_float_denorm_mode_16_64 3
		.amdhsa_dx10_clamp 1
		.amdhsa_ieee_mode 1
		.amdhsa_fp16_overflow 0
		.amdhsa_workgroup_processor_mode 1
		.amdhsa_memory_ordered 1
		.amdhsa_forward_progress 1
		.amdhsa_shared_vgpr_count 0
		.amdhsa_exception_fp_ieee_invalid_op 0
		.amdhsa_exception_fp_denorm_src 0
		.amdhsa_exception_fp_ieee_div_zero 0
		.amdhsa_exception_fp_ieee_overflow 0
		.amdhsa_exception_fp_ieee_underflow 0
		.amdhsa_exception_fp_ieee_inexact 0
		.amdhsa_exception_int_div_zero 0
	.end_amdhsa_kernel
	.section	.text._ZN2at6native32elementwise_kernel_manual_unrollILi128ELi4EZNS0_15gpu_kernel_implIZZZNS0_18lgamma_kernel_cudaERNS_18TensorIteratorBaseEENKUlvE_clEvENKUlvE1_clEvEUlN3c104HalfEE_EEvS4_RKT_EUlibE_EEviT1_,"axG",@progbits,_ZN2at6native32elementwise_kernel_manual_unrollILi128ELi4EZNS0_15gpu_kernel_implIZZZNS0_18lgamma_kernel_cudaERNS_18TensorIteratorBaseEENKUlvE_clEvENKUlvE1_clEvEUlN3c104HalfEE_EEvS4_RKT_EUlibE_EEviT1_,comdat
.Lfunc_end153:
	.size	_ZN2at6native32elementwise_kernel_manual_unrollILi128ELi4EZNS0_15gpu_kernel_implIZZZNS0_18lgamma_kernel_cudaERNS_18TensorIteratorBaseEENKUlvE_clEvENKUlvE1_clEvEUlN3c104HalfEE_EEvS4_RKT_EUlibE_EEviT1_, .Lfunc_end153-_ZN2at6native32elementwise_kernel_manual_unrollILi128ELi4EZNS0_15gpu_kernel_implIZZZNS0_18lgamma_kernel_cudaERNS_18TensorIteratorBaseEENKUlvE_clEvENKUlvE1_clEvEUlN3c104HalfEE_EEvS4_RKT_EUlibE_EEviT1_
                                        ; -- End function
	.set _ZN2at6native32elementwise_kernel_manual_unrollILi128ELi4EZNS0_15gpu_kernel_implIZZZNS0_18lgamma_kernel_cudaERNS_18TensorIteratorBaseEENKUlvE_clEvENKUlvE1_clEvEUlN3c104HalfEE_EEvS4_RKT_EUlibE_EEviT1_.num_vgpr, 20
	.set _ZN2at6native32elementwise_kernel_manual_unrollILi128ELi4EZNS0_15gpu_kernel_implIZZZNS0_18lgamma_kernel_cudaERNS_18TensorIteratorBaseEENKUlvE_clEvENKUlvE1_clEvEUlN3c104HalfEE_EEvS4_RKT_EUlibE_EEviT1_.num_agpr, 0
	.set _ZN2at6native32elementwise_kernel_manual_unrollILi128ELi4EZNS0_15gpu_kernel_implIZZZNS0_18lgamma_kernel_cudaERNS_18TensorIteratorBaseEENKUlvE_clEvENKUlvE1_clEvEUlN3c104HalfEE_EEvS4_RKT_EUlibE_EEviT1_.numbered_sgpr, 26
	.set _ZN2at6native32elementwise_kernel_manual_unrollILi128ELi4EZNS0_15gpu_kernel_implIZZZNS0_18lgamma_kernel_cudaERNS_18TensorIteratorBaseEENKUlvE_clEvENKUlvE1_clEvEUlN3c104HalfEE_EEvS4_RKT_EUlibE_EEviT1_.num_named_barrier, 0
	.set _ZN2at6native32elementwise_kernel_manual_unrollILi128ELi4EZNS0_15gpu_kernel_implIZZZNS0_18lgamma_kernel_cudaERNS_18TensorIteratorBaseEENKUlvE_clEvENKUlvE1_clEvEUlN3c104HalfEE_EEvS4_RKT_EUlibE_EEviT1_.private_seg_size, 0
	.set _ZN2at6native32elementwise_kernel_manual_unrollILi128ELi4EZNS0_15gpu_kernel_implIZZZNS0_18lgamma_kernel_cudaERNS_18TensorIteratorBaseEENKUlvE_clEvENKUlvE1_clEvEUlN3c104HalfEE_EEvS4_RKT_EUlibE_EEviT1_.uses_vcc, 1
	.set _ZN2at6native32elementwise_kernel_manual_unrollILi128ELi4EZNS0_15gpu_kernel_implIZZZNS0_18lgamma_kernel_cudaERNS_18TensorIteratorBaseEENKUlvE_clEvENKUlvE1_clEvEUlN3c104HalfEE_EEvS4_RKT_EUlibE_EEviT1_.uses_flat_scratch, 0
	.set _ZN2at6native32elementwise_kernel_manual_unrollILi128ELi4EZNS0_15gpu_kernel_implIZZZNS0_18lgamma_kernel_cudaERNS_18TensorIteratorBaseEENKUlvE_clEvENKUlvE1_clEvEUlN3c104HalfEE_EEvS4_RKT_EUlibE_EEviT1_.has_dyn_sized_stack, 0
	.set _ZN2at6native32elementwise_kernel_manual_unrollILi128ELi4EZNS0_15gpu_kernel_implIZZZNS0_18lgamma_kernel_cudaERNS_18TensorIteratorBaseEENKUlvE_clEvENKUlvE1_clEvEUlN3c104HalfEE_EEvS4_RKT_EUlibE_EEviT1_.has_recursion, 0
	.set _ZN2at6native32elementwise_kernel_manual_unrollILi128ELi4EZNS0_15gpu_kernel_implIZZZNS0_18lgamma_kernel_cudaERNS_18TensorIteratorBaseEENKUlvE_clEvENKUlvE1_clEvEUlN3c104HalfEE_EEvS4_RKT_EUlibE_EEviT1_.has_indirect_call, 0
	.section	.AMDGPU.csdata,"",@progbits
; Kernel info:
; codeLenInByte = 52612
; TotalNumSgprs: 28
; NumVgprs: 20
; ScratchSize: 0
; MemoryBound: 0
; FloatMode: 240
; IeeeMode: 1
; LDSByteSize: 0 bytes/workgroup (compile time only)
; SGPRBlocks: 0
; VGPRBlocks: 2
; NumSGPRsForWavesPerEU: 28
; NumVGPRsForWavesPerEU: 20
; Occupancy: 16
; WaveLimiterHint : 0
; COMPUTE_PGM_RSRC2:SCRATCH_EN: 0
; COMPUTE_PGM_RSRC2:USER_SGPR: 6
; COMPUTE_PGM_RSRC2:TRAP_HANDLER: 0
; COMPUTE_PGM_RSRC2:TGID_X_EN: 1
; COMPUTE_PGM_RSRC2:TGID_Y_EN: 0
; COMPUTE_PGM_RSRC2:TGID_Z_EN: 0
; COMPUTE_PGM_RSRC2:TIDIG_COMP_CNT: 0
	.section	.text._ZN2at6native32elementwise_kernel_manual_unrollILi128ELi4EZNS0_15gpu_kernel_implIZZZNS0_18lgamma_kernel_cudaERNS_18TensorIteratorBaseEENKUlvE_clEvENKUlvE1_clEvEUlN3c104HalfEE_EEvS4_RKT_EUlibE0_EEviT1_,"axG",@progbits,_ZN2at6native32elementwise_kernel_manual_unrollILi128ELi4EZNS0_15gpu_kernel_implIZZZNS0_18lgamma_kernel_cudaERNS_18TensorIteratorBaseEENKUlvE_clEvENKUlvE1_clEvEUlN3c104HalfEE_EEvS4_RKT_EUlibE0_EEviT1_,comdat
	.globl	_ZN2at6native32elementwise_kernel_manual_unrollILi128ELi4EZNS0_15gpu_kernel_implIZZZNS0_18lgamma_kernel_cudaERNS_18TensorIteratorBaseEENKUlvE_clEvENKUlvE1_clEvEUlN3c104HalfEE_EEvS4_RKT_EUlibE0_EEviT1_ ; -- Begin function _ZN2at6native32elementwise_kernel_manual_unrollILi128ELi4EZNS0_15gpu_kernel_implIZZZNS0_18lgamma_kernel_cudaERNS_18TensorIteratorBaseEENKUlvE_clEvENKUlvE1_clEvEUlN3c104HalfEE_EEvS4_RKT_EUlibE0_EEviT1_
	.p2align	8
	.type	_ZN2at6native32elementwise_kernel_manual_unrollILi128ELi4EZNS0_15gpu_kernel_implIZZZNS0_18lgamma_kernel_cudaERNS_18TensorIteratorBaseEENKUlvE_clEvENKUlvE1_clEvEUlN3c104HalfEE_EEvS4_RKT_EUlibE0_EEviT1_,@function
_ZN2at6native32elementwise_kernel_manual_unrollILi128ELi4EZNS0_15gpu_kernel_implIZZZNS0_18lgamma_kernel_cudaERNS_18TensorIteratorBaseEENKUlvE_clEvENKUlvE1_clEvEUlN3c104HalfEE_EEvS4_RKT_EUlibE0_EEviT1_: ; @_ZN2at6native32elementwise_kernel_manual_unrollILi128ELi4EZNS0_15gpu_kernel_implIZZZNS0_18lgamma_kernel_cudaERNS_18TensorIteratorBaseEENKUlvE_clEvENKUlvE1_clEvEUlN3c104HalfEE_EEvS4_RKT_EUlibE0_EEviT1_
; %bb.0:
	s_clause 0x1
	s_load_dword s24, s[4:5], 0x8
	s_load_dword s33, s[4:5], 0x0
	v_lshl_or_b32 v8, s6, 9, v0
	s_add_u32 s2, s4, 8
	s_addc_u32 s3, s5, 0
	s_mov_b32 s1, -1
	s_mov_b32 s26, 0
	v_or_b32_e32 v15, 0x180, v8
	s_mov_b32 s12, 0
	s_mov_b32 s0, exec_lo
	s_waitcnt lgkmcnt(0)
	s_add_i32 s25, s24, -1
	s_cmp_gt_u32 s25, 1
	s_cselect_b32 s27, -1, 0
	v_cmpx_le_i32_e64 s33, v15
	s_xor_b32 s28, exec_lo, s0
	s_cbranch_execz .LBB154_1241
; %bb.1:
	v_mov_b32_e32 v0, 0
	s_clause 0x3
	s_load_dwordx4 s[16:19], s[2:3], 0x4
	s_load_dwordx2 s[6:7], s[2:3], 0x14
	s_load_dwordx4 s[12:15], s[2:3], 0xc4
	s_load_dwordx4 s[8:11], s[2:3], 0x148
	s_cmp_lg_u32 s24, 0
	s_mov_b32 s39, 0
	s_cselect_b32 s34, -1, 0
	global_load_ushort v0, v0, s[2:3] offset:345
	s_add_u32 s20, s2, 0xc4
	s_addc_u32 s21, s3, 0
	s_min_u32 s35, s25, 15
	s_cmp_gt_u32 s24, 1
	s_mov_b32 s37, 0
	s_cselect_b32 s31, -1, 0
	s_mov_b32 s36, 0
	s_mov_b32 s38, exec_lo
	s_waitcnt vmcnt(0)
	v_readfirstlane_b32 s29, v0
	s_and_b32 s0, 0xffff, s29
	s_lshr_b32 s30, s0, 8
	v_cmpx_gt_i32_e64 s33, v8
	s_cbranch_execz .LBB154_304
; %bb.2:
	s_andn2_b32 vcc_lo, exec_lo, s27
	s_cbranch_vccnz .LBB154_7
; %bb.3:
	s_andn2_b32 vcc_lo, exec_lo, s34
	s_cbranch_vccnz .LBB154_8
; %bb.4:
	s_add_i32 s37, s35, 1
	s_cmp_eq_u32 s25, 2
	s_cbranch_scc1 .LBB154_9
; %bb.5:
	v_mov_b32_e32 v2, 0
	v_mov_b32_e32 v0, 0
	;; [unrolled: 1-line block ×3, first 2 shown]
	s_and_b32 s36, s37, 28
	s_mov_b32 s40, 0
	s_mov_b64 s[0:1], s[2:3]
	s_mov_b64 s[22:23], s[20:21]
.LBB154_6:                              ; =>This Inner Loop Header: Depth=1
	s_clause 0x1
	s_load_dwordx8 s[44:51], s[0:1], 0x4
	s_load_dwordx4 s[60:63], s[0:1], 0x24
	s_load_dwordx8 s[52:59], s[22:23], 0x0
	s_add_u32 s0, s0, 48
	s_addc_u32 s1, s1, 0
	s_add_i32 s40, s40, 4
	s_add_u32 s22, s22, 32
	s_addc_u32 s23, s23, 0
	s_cmp_lg_u32 s36, s40
	s_waitcnt lgkmcnt(0)
	v_mul_hi_u32 v3, s45, v1
	v_add_nc_u32_e32 v3, v1, v3
	v_lshrrev_b32_e32 v3, s46, v3
	v_mul_hi_u32 v4, s48, v3
	v_mul_lo_u32 v6, v3, s44
	v_add_nc_u32_e32 v4, v3, v4
	v_sub_nc_u32_e32 v1, v1, v6
	v_lshrrev_b32_e32 v4, s49, v4
	v_mul_lo_u32 v6, v1, s52
	v_mul_lo_u32 v9, v1, s53
	v_mul_hi_u32 v5, s51, v4
	v_add_nc_u32_e32 v5, v4, v5
	v_lshrrev_b32_e32 v5, s60, v5
	v_mul_hi_u32 v7, s62, v5
	v_mul_lo_u32 v10, v5, s50
	v_add_nc_u32_e32 v1, v5, v7
	v_mul_lo_u32 v7, v4, s47
	v_sub_nc_u32_e32 v4, v4, v10
	v_lshrrev_b32_e32 v1, s63, v1
	v_mul_lo_u32 v10, v4, s56
	v_mul_lo_u32 v4, v4, s57
	v_sub_nc_u32_e32 v3, v3, v7
	v_mul_lo_u32 v11, v1, s61
	v_mul_lo_u32 v7, v3, s54
	;; [unrolled: 1-line block ×3, first 2 shown]
	v_sub_nc_u32_e32 v5, v5, v11
	v_add3_u32 v0, v6, v0, v7
	v_mul_lo_u32 v11, v5, s58
	v_mul_lo_u32 v5, v5, s59
	v_add3_u32 v2, v9, v2, v3
	v_add3_u32 v0, v10, v0, v11
	;; [unrolled: 1-line block ×3, first 2 shown]
	s_cbranch_scc1 .LBB154_6
	s_branch .LBB154_10
.LBB154_7:
                                        ; implicit-def: $vgpr0
                                        ; implicit-def: $vgpr2
	s_branch .LBB154_14
.LBB154_8:
	v_mov_b32_e32 v0, 0
	v_mov_b32_e32 v2, 0
	s_branch .LBB154_13
.LBB154_9:
	v_mov_b32_e32 v0, 0
	v_mov_b32_e32 v2, 0
	;; [unrolled: 1-line block ×3, first 2 shown]
.LBB154_10:
	s_and_b32 s37, s37, 3
	s_cmp_eq_u32 s37, 0
	s_cbranch_scc1 .LBB154_13
; %bb.11:
	s_lshl_b32 s0, s36, 3
	s_mul_i32 s22, s36, 12
	s_add_u32 s0, s2, s0
	s_addc_u32 s1, s3, 0
	s_add_u32 s0, s0, 0xc4
	s_addc_u32 s1, s1, 0
	;; [unrolled: 2-line block ×3, first 2 shown]
	.p2align	6
.LBB154_12:                             ; =>This Inner Loop Header: Depth=1
	s_clause 0x1
	s_load_dwordx2 s[40:41], s[22:23], 0x4
	s_load_dword s36, s[22:23], 0xc
	s_load_dwordx2 s[42:43], s[0:1], 0x0
	s_add_u32 s22, s22, 12
	s_addc_u32 s23, s23, 0
	s_add_u32 s0, s0, 8
	s_addc_u32 s1, s1, 0
	s_add_i32 s37, s37, -1
	s_cmp_lg_u32 s37, 0
	s_waitcnt lgkmcnt(0)
	v_mul_hi_u32 v3, s41, v1
	v_add_nc_u32_e32 v3, v1, v3
	v_lshrrev_b32_e32 v4, s36, v3
	v_mul_lo_u32 v3, v4, s40
	v_sub_nc_u32_e32 v3, v1, v3
	v_mad_u64_u32 v[0:1], null, v3, s42, v[0:1]
	v_mad_u64_u32 v[2:3], null, v3, s43, v[2:3]
	v_mov_b32_e32 v1, v4
	s_cbranch_scc1 .LBB154_12
.LBB154_13:
	s_cbranch_execnz .LBB154_16
.LBB154_14:
	s_waitcnt lgkmcnt(0)
	v_mul_hi_u32 v0, s17, v8
	s_andn2_b32 vcc_lo, exec_lo, s31
	v_add_nc_u32_e32 v0, v8, v0
	v_lshrrev_b32_e32 v1, s18, v0
	v_mul_lo_u32 v0, v1, s16
	v_sub_nc_u32_e32 v2, v8, v0
	v_mul_lo_u32 v0, v2, s12
	v_mul_lo_u32 v2, v2, s13
	s_cbranch_vccnz .LBB154_16
; %bb.15:
	v_mul_hi_u32 v3, s6, v1
	v_add_nc_u32_e32 v3, v1, v3
	v_lshrrev_b32_e32 v3, s7, v3
	v_mul_lo_u32 v3, v3, s19
	v_sub_nc_u32_e32 v3, v1, v3
	v_mad_u64_u32 v[0:1], null, v3, s14, v[0:1]
	v_mad_u64_u32 v[2:3], null, v3, s15, v[2:3]
.LBB154_16:
	s_waitcnt lgkmcnt(0)
	v_add_co_u32 v1, s0, s10, v2
	v_add_co_ci_u32_e64 v2, null, s11, 0, s0
	s_and_b32 s0, 0xffff, s30
	s_cmp_lt_i32 s0, 11
	s_cbranch_scc1 .LBB154_23
; %bb.17:
	s_cmp_gt_i32 s0, 25
	s_cbranch_scc0 .LBB154_70
; %bb.18:
	s_cmp_gt_i32 s0, 28
	s_cbranch_scc0 .LBB154_73
	;; [unrolled: 3-line block ×4, first 2 shown]
; %bb.21:
	s_cmp_eq_u32 s0, 46
	s_mov_b32 s23, 0
	s_cbranch_scc0 .LBB154_79
; %bb.22:
	global_load_dword v3, v[1:2], off
	s_mov_b32 s1, -1
	s_mov_b32 s22, 0
	s_waitcnt vmcnt(0)
	v_lshlrev_b32_e32 v3, 16, v3
	v_cvt_f16_f32_e32 v3, v3
	s_branch .LBB154_81
.LBB154_23:
	s_mov_b32 s22, 0
	s_mov_b32 s1, 0
                                        ; implicit-def: $vgpr3
	s_cbranch_execnz .LBB154_254
.LBB154_24:
	s_andn2_b32 vcc_lo, exec_lo, s1
	s_cbranch_vccnz .LBB154_301
.LBB154_25:
	s_waitcnt vmcnt(0)
	v_cvt_f32_f16_e32 v1, v3
	s_mov_b32 s1, exec_lo
                                        ; implicit-def: $vgpr4
	v_and_b32_e32 v2, 0x7fffffff, v1
	v_cmpx_ngt_f32_e64 0x3c800000, |v1|
	s_xor_b32 s1, exec_lo, s1
	s_cbranch_execz .LBB154_55
; %bb.26:
	s_mov_b32 s23, exec_lo
                                        ; implicit-def: $vgpr4
	v_cmpx_nlt_f32_e64 |v1|, 2.0
	s_xor_b32 s23, exec_lo, s23
	s_cbranch_execz .LBB154_36
; %bb.27:
	v_cmp_ngt_f32_e64 s0, 0x41000000, |v1|
                                        ; implicit-def: $vgpr4
	s_and_saveexec_b32 s36, s0
	s_xor_b32 s0, exec_lo, s36
	s_cbranch_execz .LBB154_33
; %bb.28:
	v_cmp_ngt_f32_e64 s36, 0x5c800000, |v1|
                                        ; implicit-def: $vgpr4
	s_and_saveexec_b32 s37, s36
	s_xor_b32 s36, exec_lo, s37
	s_cbranch_execz .LBB154_30
; %bb.29:
	v_cmp_gt_f32_e64 s37, 0x800000, |v1|
	v_cndmask_b32_e64 v4, 0, 32, s37
	v_ldexp_f32 v4, |v1|, v4
	v_log_f32_e32 v4, v4
	v_mul_f32_e32 v5, 0x3f317217, v4
	v_cmp_gt_f32_e64 vcc_lo, 0x7f800000, |v4|
	v_fma_f32 v6, 0x3f317217, v4, -v5
	v_fmamk_f32 v6, v4, 0x3377d1cf, v6
	v_add_f32_e32 v5, v5, v6
	v_cndmask_b32_e32 v4, v4, v5, vcc_lo
	v_cndmask_b32_e64 v5, 0, 0x41b17218, s37
	v_sub_f32_e32 v4, v4, v5
	v_fma_f32 v4, |v1|, v4, -|v1|
.LBB154_30:
	s_andn2_saveexec_b32 s36, s36
	s_cbranch_execz .LBB154_32
; %bb.31:
	v_cmp_gt_f32_e64 s37, 0x800000, |v1|
	v_rcp_f32_e64 v5, |v1|
	s_mov_b32 s40, 0xbad5c4e8
	v_cndmask_b32_e64 v4, 0, 32, s37
	v_ldexp_f32 v4, |v1|, v4
	v_mul_f32_e32 v6, v5, v5
	v_log_f32_e32 v4, v4
	v_fmaak_f32 v9, s40, v6, 0x3a5b3dd2
	v_fmaak_f32 v9, v6, v9, 0xba1c065c
	v_mul_f32_e32 v7, 0x3f317217, v4
	v_fmaak_f32 v9, v6, v9, 0x3a500cfd
	v_cmp_gt_f32_e64 vcc_lo, 0x7f800000, |v4|
	v_fma_f32 v10, 0x3f317217, v4, -v7
	v_fmaak_f32 v9, v6, v9, 0xbb360b61
	v_fmamk_f32 v10, v4, 0x3377d1cf, v10
	v_fmaak_f32 v6, v6, v9, 0x3daaaaab
	v_add_f32_e32 v7, v7, v10
	v_cndmask_b32_e32 v4, v4, v7, vcc_lo
	v_cndmask_b32_e64 v7, 0, 0x41b17218, s37
	v_sub_f32_e32 v7, v4, v7
	v_fmaak_f32 v4, v5, v6, 0x3ed67f1d
	v_add_f32_e64 v5, |v1|, -0.5
	v_add_f32_e32 v6, -1.0, v7
	v_fmac_f32_e32 v4, v5, v6
.LBB154_32:
	s_or_b32 exec_lo, exec_lo, s36
.LBB154_33:
	s_andn2_saveexec_b32 s36, s0
	s_cbranch_execz .LBB154_35
; %bb.34:
	v_cvt_i32_f32_e32 v4, v2
	s_mov_b32 s0, 0x36f5d7bd
	s_mov_b32 s37, 0x3805ff67
	v_cvt_f32_i32_e32 v5, v4
	v_cmp_lt_i32_e32 vcc_lo, 2, v4
	v_sub_f32_e64 v5, |v1|, v5
	v_add_f32_e32 v6, 2.0, v5
	v_add_f32_e32 v7, 0x40400000, v5
	v_add_f32_e32 v9, 4.0, v5
	v_add_f32_e32 v10, 0x40a00000, v5
	v_cndmask_b32_e32 v6, 1.0, v6, vcc_lo
	v_cmp_lt_i32_e32 vcc_lo, 3, v4
	v_cndmask_b32_e32 v7, 1.0, v7, vcc_lo
	v_cmp_lt_i32_e32 vcc_lo, 4, v4
	v_mul_f32_e32 v6, v6, v7
	v_cndmask_b32_e32 v9, 1.0, v9, vcc_lo
	v_cmp_lt_i32_e32 vcc_lo, 5, v4
	v_add_f32_e32 v7, 0x40c00000, v5
	v_mul_f32_e32 v6, v9, v6
	v_cndmask_b32_e32 v10, 1.0, v10, vcc_lo
	v_cmp_lt_i32_e32 vcc_lo, 6, v4
	v_fmaak_f32 v9, s37, v5, 0x3af135b4
	v_mul_f32_e32 v6, v10, v6
	v_cndmask_b32_e32 v4, 1.0, v7, vcc_lo
	v_mul_f32_e32 v4, v4, v6
	v_fmaak_f32 v6, s0, v5, 0x3a4beed6
	v_cmp_gt_f32_e32 vcc_lo, 0x800000, v4
	v_fmaak_f32 v6, v5, v6, 0x3c98bf54
	v_cndmask_b32_e64 v7, 0, 32, vcc_lo
	v_fmaak_f32 v6, v5, v6, 0x3e300f6e
	v_ldexp_f32 v4, v4, v7
	v_fmaak_f32 v7, v5, v9, 0x3cda40e4
	v_fmaak_f32 v6, v5, v6, 0x3f38d0c5
	v_log_f32_e32 v4, v4
	v_fmaak_f32 v7, v5, v7, 0x3e15dce6
	v_fmaak_f32 v6, v5, v6, 0x3fb22d3b
	;; [unrolled: 1-line block ×3, first 2 shown]
	v_fma_f32 v6, v5, v6, 1.0
	v_mul_f32_e32 v9, 0x3f317217, v4
	v_fmaak_f32 v7, v5, v7, 0x3e5c245a
	v_rcp_f32_e32 v6, v6
	v_cmp_gt_f32_e64 s0, 0x7f800000, |v4|
	v_fma_f32 v10, 0x3f317217, v4, -v9
	v_fmaak_f32 v7, v5, v7, 0xbd9e233f
	v_fmamk_f32 v10, v4, 0x3377d1cf, v10
	v_mul_f32_e32 v7, v5, v7
	v_add_f32_e32 v9, v9, v10
	v_mul_f32_e32 v6, v7, v6
	v_cndmask_b32_e64 v7, 0, 0x41b17218, vcc_lo
	v_cndmask_b32_e64 v4, v4, v9, s0
	v_fmac_f32_e32 v6, 0.5, v5
	v_sub_f32_e32 v4, v4, v7
	v_add_f32_e32 v4, v4, v6
.LBB154_35:
	s_or_b32 exec_lo, exec_lo, s36
.LBB154_36:
	s_andn2_saveexec_b32 s23, s23
	s_cbranch_execz .LBB154_54
; %bb.37:
	s_mov_b32 s36, exec_lo
                                        ; implicit-def: $vgpr4
                                        ; implicit-def: $vgpr6
                                        ; implicit-def: $vgpr5
	v_cmpx_ge_f32_e64 0x3f666666, |v1|
	s_xor_b32 s36, exec_lo, s36
	s_cbranch_execz .LBB154_39
; %bb.38:
	v_cmp_gt_f32_e64 s0, 0x800000, |v1|
	v_sub_f32_e64 v7, 1.0, |v1|
	v_cmp_gt_f32_e64 vcc_lo, 0x3f3b4a23, |v1|
	v_cndmask_b32_e64 v4, 0, 32, s0
	v_cndmask_b32_e64 v9, 0, 0x41b17218, s0
	v_ldexp_f32 v4, |v1|, v4
	v_log_f32_e32 v4, v4
	v_mul_f32_e32 v5, 0x3f317217, v4
	v_cmp_gt_f32_e64 s0, 0x7f800000, |v4|
	v_fma_f32 v6, 0x3f317217, v4, -v5
	v_fmamk_f32 v6, v4, 0x3377d1cf, v6
	v_add_f32_e32 v5, v5, v6
	v_add_f32_e64 v6, 0xbeec5b0c, |v1|
	v_cndmask_b32_e64 v4, v4, v5, s0
	v_cndmask_b32_e32 v5, v7, v6, vcc_lo
	v_cndmask_b32_e64 v6, 0, 1, vcc_lo
	v_cmp_gt_f32_e64 s0, 0x3e6d3309, |v1|
	v_sub_f32_e32 v4, v4, v9
	v_cndmask_b32_e64 v5, v5, |v1|, s0
	v_cndmask_b32_e64 v6, v6, 2, s0
	v_xor_b32_e32 v4, 0x80000000, v4
.LBB154_39:
	s_andn2_saveexec_b32 s0, s36
	s_cbranch_execz .LBB154_41
; %bb.40:
	v_sub_f32_e64 v4, 2.0, |v1|
	v_add_f32_e64 v5, 0xbfbb16c3, |v1|
	v_cmp_gt_f32_e64 vcc_lo, 0x3fdda512, |v1|
	v_add_f32_e64 v6, |v1|, -1.0
	v_cndmask_b32_e32 v5, v4, v5, vcc_lo
	v_cndmask_b32_e64 v4, v4, 1.0, vcc_lo
	v_cmp_gt_f32_e64 vcc_lo, 0x3f9d70a4, |v1|
	v_cvt_i32_f32_e32 v4, v4
	v_cndmask_b32_e32 v5, v5, v6, vcc_lo
	v_cndmask_b32_e64 v6, v4, 2, vcc_lo
	v_mov_b32_e32 v4, 0
.LBB154_41:
	s_or_b32 exec_lo, exec_lo, s0
	s_mov_b32 s0, exec_lo
	v_cmpx_lt_i32_e32 0, v6
	s_xor_b32 s0, exec_lo, s0
	s_cbranch_execz .LBB154_49
; %bb.42:
	s_mov_b32 s36, exec_lo
	v_cmpx_lt_i32_e32 1, v6
	s_xor_b32 s36, exec_lo, s36
	s_cbranch_execz .LBB154_46
; %bb.43:
	s_mov_b32 s37, exec_lo
	v_cmpx_eq_u32_e32 2, v6
	s_cbranch_execz .LBB154_45
; %bb.44:
	s_mov_b32 s40, 0x3b52d5db
	v_fmaak_f32 v6, s40, v5, 0x3dd572af
	s_mov_b32 s40, 0x3c5b3c5e
	v_fmaak_f32 v7, s40, v5, 0x3e6a7578
	v_fmaak_f32 v6, v5, v6, 0x3f44efdf
	v_fmaak_f32 v7, v5, v7, 0x3f7a4bb2
	v_fmaak_f32 v6, v5, v6, 0x4008392d
	v_fmaak_f32 v7, v5, v7, 0x3fba3ae7
	v_fmaak_f32 v6, v5, v6, 0x401d2ebe
	v_fmaak_f32 v7, v5, v7, 0x3f2200f4
	v_fma_f32 v6, v5, v6, 1.0
	v_fmaak_f32 v7, v5, v7, 0xbd9e233f
	v_rcp_f32_e32 v6, v6
	v_mul_f32_e32 v7, v5, v7
	v_mul_f32_e32 v6, v7, v6
	v_fmac_f32_e32 v6, -0.5, v5
	v_add_f32_e32 v4, v4, v6
.LBB154_45:
	s_or_b32 exec_lo, exec_lo, s37
                                        ; implicit-def: $vgpr5
.LBB154_46:
	s_andn2_saveexec_b32 s36, s36
	s_cbranch_execz .LBB154_48
; %bb.47:
	v_mul_f32_e32 v6, v5, v5
	s_mov_b32 s37, 0xb9a3f927
	s_mov_b32 s40, 0x39afe9f7
	v_mul_f32_e32 v7, v5, v6
	v_fmaak_f32 v9, s37, v7, 0x3a66f867
	v_fmaak_f32 v10, s40, v7, 0xba0d3085
	s_mov_b32 s37, 0x39a57b6b
	v_fmaak_f32 v11, s37, v7, 0xbab7f476
	v_fmaak_f32 v9, v7, v9, 0xbb7177fe
	;; [unrolled: 1-line block ×9, first 2 shown]
	v_fmac_f32_e32 v9, v5, v10
	v_fmaak_f32 v5, v7, v11, 0x3ef7b95e
	v_fma_f32 v7, v7, -v9, 0xa2863e55
	v_fma_f32 v5, v6, v5, -v7
	v_add_f32_e32 v5, 0xbdf8cdce, v5
	v_add_f32_e32 v4, v4, v5
.LBB154_48:
	s_or_b32 exec_lo, exec_lo, s36
                                        ; implicit-def: $vgpr6
                                        ; implicit-def: $vgpr5
.LBB154_49:
	s_andn2_saveexec_b32 s0, s0
	s_cbranch_execz .LBB154_53
; %bb.50:
	s_mov_b32 s36, exec_lo
	v_cmpx_eq_u32_e32 0, v6
	s_cbranch_execz .LBB154_52
; %bb.51:
	v_mul_f32_e32 v6, v5, v5
	s_mov_b32 s37, 0x383c2c75
	v_fmaak_f32 v7, s37, v6, 0x38e28445
	s_mov_b32 s37, 0x37d383a2
	v_fmaak_f32 v9, s37, v6, 0x39679767
	v_fmaak_f32 v7, v6, v7, 0x3a05b634
	;; [unrolled: 1-line block ×9, first 2 shown]
	v_mul_f32_e32 v6, v6, v7
	v_fmac_f32_e32 v6, v5, v9
	v_fmac_f32_e32 v6, -0.5, v5
	v_add_f32_e32 v4, v4, v6
.LBB154_52:
	s_or_b32 exec_lo, exec_lo, s36
.LBB154_53:
	s_or_b32 exec_lo, exec_lo, s0
.LBB154_54:
	s_or_b32 exec_lo, exec_lo, s23
.LBB154_55:
	s_andn2_saveexec_b32 s0, s1
	s_cbranch_execz .LBB154_57
; %bb.56:
	v_cmp_gt_f32_e64 s1, 0x800000, |v1|
	s_mov_b32 s23, 0x3e8a8991
	v_fma_f32 v7, |v1|, s23, 0xbecd26ab
	v_cndmask_b32_e64 v4, 0, 32, s1
	v_ldexp_f32 v4, |v1|, v4
	v_log_f32_e32 v4, v4
	v_mul_f32_e32 v5, 0x3f317217, v4
	v_cmp_gt_f32_e64 vcc_lo, 0x7f800000, |v4|
	v_fma_f32 v6, 0x3f317217, v4, -v5
	v_fmamk_f32 v6, v4, 0x3377d1cf, v6
	v_add_f32_e32 v5, v5, v6
	v_fma_f32 v6, |v1|, v7, 0x3f528d33
	v_cndmask_b32_e32 v4, v4, v5, vcc_lo
	v_cndmask_b32_e64 v5, 0, 0x41b17218, s1
	v_fma_f32 v6, |v1|, v6, 0xbf13c468
	v_sub_f32_e32 v4, v4, v5
	v_fma_f32 v4, |v1|, v6, -v4
.LBB154_57:
	s_or_b32 exec_lo, exec_lo, s0
	v_cmp_le_f16_e32 vcc_lo, 0, v3
	s_mov_b32 s1, exec_lo
	v_cmpx_nle_f16_e32 0, v3
	s_xor_b32 s23, exec_lo, s1
	s_cbranch_execz .LBB154_61
; %bb.58:
	v_cmp_gt_f32_e64 s0, 0x4b000000, |v1|
	v_cmp_lt_f32_e64 s1, 0x35000000, |v1|
	s_and_b32 s0, s0, s1
	s_and_saveexec_b32 s36, s0
	s_cbranch_execz .LBB154_60
; %bb.59:
	v_mul_f32_e64 v5, |v1|, 0.5
	s_mov_b32 s1, 0x3d4be544
	v_xor_b32_e32 v2, v2, v1
	v_floor_f32_e32 v6, v5
	v_cmp_neq_f32_e64 s0, 0x7f800000, v5
	v_sub_f32_e32 v6, v5, v6
	v_min_f32_e32 v6, 0x3f7fffff, v6
	v_add_f32_e32 v6, v6, v6
	v_cndmask_b32_e64 v5, 0, v6, s0
	v_cmp_gt_f32_e64 s0, |v1|, 1.0
	v_cndmask_b32_e64 v5, |v1|, v5, s0
	s_mov_b32 s0, 0x3e75aa41
	v_add_f32_e32 v6, v5, v5
	v_rndne_f32_e32 v6, v6
	v_fmac_f32_e32 v5, -0.5, v6
	v_cvt_i32_f32_e32 v6, v6
	v_mul_f32_e32 v7, v5, v5
	v_fmaak_f32 v9, s0, v7, 0xbf1f24be
	v_fmaak_f32 v10, s1, v7, 0x3e642e9d
	v_mul_f32_e32 v11, v5, v7
	v_fmaak_f32 v9, v7, v9, 0x40234736
	v_fmaak_f32 v10, v7, v10, 0xbfaad1da
	;; [unrolled: 1-line block ×4, first 2 shown]
	v_mul_f32_e32 v9, v11, v9
	v_fmaak_f32 v10, v7, v10, 0xc09de9e6
	v_and_b32_e32 v11, 1, v6
	v_lshlrev_b32_e32 v6, 30, v6
	v_fmamk_f32 v5, v5, 0x40490fdb, v9
	v_fma_f32 v7, v7, v10, 1.0
	v_cmp_eq_u32_e64 s0, 0, v11
	v_and_b32_e32 v6, 0x80000000, v6
	v_cndmask_b32_e64 v5, v7, v5, s0
	v_xor3_b32 v2, v2, v6, v5
	v_mul_f32_e32 v2, v1, v2
	v_frexp_mant_f32_e64 v5, |v2|
	v_frexp_exp_i32_f32_e32 v2, v2
	v_rcp_f32_e32 v5, v5
	v_sub_nc_u32_e32 v2, 2, v2
	v_mul_f32_e32 v5, 0x3f490fdb, v5
	v_ldexp_f32 v2, v5, v2
	v_cmp_gt_f32_e64 s0, 0x800000, v2
	v_cndmask_b32_e64 v5, 0, 32, s0
	v_ldexp_f32 v2, v2, v5
	v_log_f32_e32 v2, v2
	v_mul_f32_e32 v5, 0x3f317217, v2
	v_cmp_gt_f32_e64 s1, 0x7f800000, |v2|
	v_fma_f32 v6, 0x3f317217, v2, -v5
	v_fmamk_f32 v6, v2, 0x3377d1cf, v6
	v_add_f32_e32 v5, v5, v6
	v_floor_f32_e32 v6, v1
	v_cndmask_b32_e64 v2, v2, v5, s1
	v_cndmask_b32_e64 v5, 0, 0x41b17218, s0
	v_sub_f32_e32 v6, v1, v6
	v_sub_f32_e32 v2, v2, v5
	v_min_f32_e32 v5, 0x3f7fffff, v6
	v_sub_f32_e32 v2, v2, v4
	v_cmp_neq_f32_e64 s0, 0, v5
	v_cndmask_b32_e64 v4, 0x7f800000, v2, s0
.LBB154_60:
	s_or_b32 exec_lo, exec_lo, s36
.LBB154_61:
	s_andn2_saveexec_b32 s23, s23
; %bb.62:
	v_cmp_eq_f16_e64 s0, 1.0, v3
	v_cmp_eq_f16_e64 s1, 2.0, v3
	s_or_b32 s0, s0, s1
	v_cndmask_b32_e64 v4, v4, 0, s0
; %bb.63:
	s_or_b32 exec_lo, exec_lo, s23
	v_cmp_gt_f32_e64 s0, 0x4b000000, |v1|
	v_cvt_f16_f32_e32 v2, v4
	s_and_b32 s1, s29, 0xff
	s_or_b32 vcc_lo, vcc_lo, s0
	v_cmp_class_f32_e64 s0, v1, 0x264
	v_cndmask_b32_e32 v2, 0x7c00, v2, vcc_lo
	v_cmp_u_f16_e32 vcc_lo, v3, v3
	s_cmp_lt_i32 s1, 11
	v_cndmask_b32_e64 v2, v2, 0x7c00, s0
	v_add_co_u32 v0, s0, s8, v0
	v_add_co_ci_u32_e64 v1, null, s9, 0, s0
	v_cndmask_b32_e32 v2, v2, v3, vcc_lo
	s_cbranch_scc1 .LBB154_71
; %bb.64:
	s_and_b32 s23, 0xffff, s1
	s_cmp_gt_i32 s23, 25
	s_cbranch_scc0 .LBB154_74
; %bb.65:
	s_cmp_gt_i32 s23, 28
	s_cbranch_scc0 .LBB154_76
; %bb.66:
	;; [unrolled: 3-line block ×4, first 2 shown]
	s_mov_b32 s37, 0
	s_mov_b32 s0, -1
	s_cmp_eq_u32 s23, 46
	s_mov_b32 s36, 0
	s_cbranch_scc0 .LBB154_85
; %bb.69:
	v_cvt_f32_f16_e32 v3, v2
	v_cmp_o_f16_e32 vcc_lo, v2, v2
	s_mov_b32 s36, -1
	s_mov_b32 s0, 0
	v_bfe_u32 v4, v3, 16, 1
	v_add3_u32 v3, v3, v4, 0x7fff
	v_mov_b32_e32 v4, 0x7fc0
	v_cndmask_b32_sdwa v3, v4, v3, vcc_lo dst_sel:DWORD dst_unused:UNUSED_PAD src0_sel:DWORD src1_sel:WORD_1
	global_store_dword v[0:1], v3, off
	s_branch .LBB154_85
.LBB154_70:
	s_mov_b32 s22, 0
	s_mov_b32 s1, 0
                                        ; implicit-def: $vgpr3
	s_cbranch_execnz .LBB154_219
	s_branch .LBB154_253
.LBB154_71:
	s_mov_b32 s0, 0
	s_mov_b32 s36, 0
	s_cbranch_execnz .LBB154_154
.LBB154_72:
	s_andn2_b32 vcc_lo, exec_lo, s36
	s_cbranch_vccz .LBB154_192
	s_branch .LBB154_302
.LBB154_73:
	s_mov_b32 s23, -1
	s_mov_b32 s22, 0
	s_mov_b32 s1, 0
                                        ; implicit-def: $vgpr3
	s_branch .LBB154_200
.LBB154_74:
	s_mov_b32 s37, -1
	s_mov_b32 s0, 0
	s_mov_b32 s36, 0
	s_branch .LBB154_112
.LBB154_75:
	s_mov_b32 s23, -1
	s_mov_b32 s22, 0
	s_mov_b32 s1, 0
                                        ; implicit-def: $vgpr3
	s_branch .LBB154_195
.LBB154_76:
	s_mov_b32 s37, -1
	s_mov_b32 s0, 0
	s_mov_b32 s36, 0
	s_branch .LBB154_95
.LBB154_77:
	s_mov_b32 s23, -1
	s_mov_b32 s22, 0
	s_branch .LBB154_80
.LBB154_78:
	s_mov_b32 s37, -1
	s_mov_b32 s0, 0
	s_mov_b32 s36, 0
	s_branch .LBB154_91
.LBB154_79:
	s_mov_b32 s22, -1
.LBB154_80:
	s_mov_b32 s1, 0
                                        ; implicit-def: $vgpr3
.LBB154_81:
	s_and_b32 vcc_lo, exec_lo, s23
	s_cbranch_vccz .LBB154_194
; %bb.82:
	s_cmp_eq_u32 s0, 44
	s_cbranch_scc0 .LBB154_193
; %bb.83:
	global_load_ubyte v3, v[1:2], off
	s_mov_b32 s22, 0
	s_mov_b32 s1, -1
	s_waitcnt vmcnt(0)
	v_lshlrev_b32_e32 v4, 23, v3
	v_cmp_ne_u32_e32 vcc_lo, 0xff, v3
	v_cvt_f16_f32_e32 v4, v4
	v_cndmask_b32_e32 v4, 0x7e00, v4, vcc_lo
	v_cmp_ne_u32_e32 vcc_lo, 0, v3
	v_cndmask_b32_e32 v3, 0, v4, vcc_lo
	s_branch .LBB154_194
.LBB154_84:
	s_mov_b32 s37, -1
	s_mov_b32 s0, 0
	s_mov_b32 s36, 0
.LBB154_85:
	s_and_b32 vcc_lo, exec_lo, s37
	s_cbranch_vccz .LBB154_90
; %bb.86:
	s_cmp_eq_u32 s23, 44
	s_mov_b32 s0, -1
	s_cbranch_scc0 .LBB154_90
; %bb.87:
	v_cvt_f32_f16_e32 v3, v2
	v_mov_b32_e32 v4, 0xff
	s_mov_b32 s36, exec_lo
	v_bfe_u32 v5, v3, 23, 8
	v_cmpx_ne_u32_e32 0xff, v5
	s_cbranch_execz .LBB154_89
; %bb.88:
	v_and_b32_e32 v4, 0x400000, v3
	v_and_or_b32 v5, 0x3fffff, v3, v5
	v_lshrrev_b32_e32 v3, 23, v3
	v_cmp_ne_u32_e32 vcc_lo, 0, v4
	v_cmp_ne_u32_e64 s0, 0, v5
	s_and_b32 s0, vcc_lo, s0
	v_cndmask_b32_e64 v4, 0, 1, s0
	v_add_nc_u32_e32 v4, v3, v4
.LBB154_89:
	s_or_b32 exec_lo, exec_lo, s36
	s_mov_b32 s36, -1
	s_mov_b32 s0, 0
	global_store_byte v[0:1], v4, off
.LBB154_90:
	s_mov_b32 s37, 0
.LBB154_91:
	s_and_b32 vcc_lo, exec_lo, s37
	s_cbranch_vccz .LBB154_94
; %bb.92:
	s_cmp_eq_u32 s23, 29
	s_mov_b32 s0, -1
	s_cbranch_scc0 .LBB154_94
; %bb.93:
	v_cvt_f32_f16_e32 v3, v2
	v_mov_b32_e32 v4, 0
	s_mov_b32 s36, -1
	s_mov_b32 s0, 0
	s_mov_b32 s37, 0
	v_cvt_u32_f32_e32 v3, v3
	global_store_dwordx2 v[0:1], v[3:4], off
	s_branch .LBB154_95
.LBB154_94:
	s_mov_b32 s37, 0
.LBB154_95:
	s_and_b32 vcc_lo, exec_lo, s37
	s_cbranch_vccz .LBB154_111
; %bb.96:
	s_cmp_lt_i32 s23, 27
	s_mov_b32 s36, -1
	s_cbranch_scc1 .LBB154_102
; %bb.97:
	s_cmp_gt_i32 s23, 27
	s_cbranch_scc0 .LBB154_99
; %bb.98:
	v_cvt_f32_f16_e32 v3, v2
	s_mov_b32 s36, 0
	v_cvt_u32_f32_e32 v3, v3
	global_store_dword v[0:1], v3, off
.LBB154_99:
	s_andn2_b32 vcc_lo, exec_lo, s36
	s_cbranch_vccnz .LBB154_101
; %bb.100:
	v_cvt_u16_f16_e32 v3, v2
	global_store_short v[0:1], v3, off
.LBB154_101:
	s_mov_b32 s36, 0
.LBB154_102:
	s_andn2_b32 vcc_lo, exec_lo, s36
	s_cbranch_vccnz .LBB154_110
; %bb.103:
	v_cvt_f32_f16_e32 v3, v2
	v_mov_b32_e32 v5, 0x80
	s_mov_b32 s36, exec_lo
	v_and_b32_e32 v4, 0x7fffffff, v3
	v_cmpx_gt_u32_e32 0x43800000, v4
	s_cbranch_execz .LBB154_109
; %bb.104:
	v_cmp_lt_u32_e32 vcc_lo, 0x3bffffff, v4
	s_mov_b32 s37, 0
                                        ; implicit-def: $vgpr4
	s_and_saveexec_b32 s40, vcc_lo
	s_xor_b32 s40, exec_lo, s40
	s_cbranch_execz .LBB154_383
; %bb.105:
	v_bfe_u32 v4, v3, 20, 1
	s_mov_b32 s37, exec_lo
	v_add3_u32 v4, v3, v4, 0x487ffff
	v_lshrrev_b32_e32 v4, 20, v4
	s_andn2_saveexec_b32 s40, s40
	s_cbranch_execnz .LBB154_384
.LBB154_106:
	s_or_b32 exec_lo, exec_lo, s40
	v_mov_b32_e32 v5, 0
	s_and_saveexec_b32 s40, s37
.LBB154_107:
	v_lshrrev_b32_e32 v3, 24, v3
	v_and_or_b32 v5, 0x80, v3, v4
.LBB154_108:
	s_or_b32 exec_lo, exec_lo, s40
.LBB154_109:
	s_or_b32 exec_lo, exec_lo, s36
	global_store_byte v[0:1], v5, off
.LBB154_110:
	s_mov_b32 s36, -1
.LBB154_111:
	s_mov_b32 s37, 0
.LBB154_112:
	s_and_b32 vcc_lo, exec_lo, s37
	s_cbranch_vccz .LBB154_153
; %bb.113:
	s_cmp_gt_i32 s23, 22
	s_mov_b32 s37, -1
	s_cbranch_scc0 .LBB154_145
; %bb.114:
	s_cmp_lt_i32 s23, 24
	s_mov_b32 s36, -1
	s_cbranch_scc1 .LBB154_134
; %bb.115:
	s_cmp_gt_i32 s23, 24
	s_cbranch_scc0 .LBB154_123
; %bb.116:
	v_cvt_f32_f16_e32 v3, v2
	v_mov_b32_e32 v5, 0x80
	s_mov_b32 s36, exec_lo
	v_and_b32_e32 v4, 0x7fffffff, v3
	v_cmpx_gt_u32_e32 0x47800000, v4
	s_cbranch_execz .LBB154_122
; %bb.117:
	v_cmp_lt_u32_e32 vcc_lo, 0x37ffffff, v4
	s_mov_b32 s37, 0
                                        ; implicit-def: $vgpr4
	s_and_saveexec_b32 s40, vcc_lo
	s_xor_b32 s40, exec_lo, s40
	s_cbranch_execz .LBB154_387
; %bb.118:
	v_bfe_u32 v4, v3, 21, 1
	s_mov_b32 s37, exec_lo
	v_add3_u32 v4, v3, v4, 0x88fffff
	v_lshrrev_b32_e32 v4, 21, v4
	s_andn2_saveexec_b32 s40, s40
	s_cbranch_execnz .LBB154_388
.LBB154_119:
	s_or_b32 exec_lo, exec_lo, s40
	v_mov_b32_e32 v5, 0
	s_and_saveexec_b32 s40, s37
.LBB154_120:
	v_lshrrev_b32_e32 v3, 24, v3
	v_and_or_b32 v5, 0x80, v3, v4
.LBB154_121:
	s_or_b32 exec_lo, exec_lo, s40
.LBB154_122:
	s_or_b32 exec_lo, exec_lo, s36
	s_mov_b32 s36, 0
	global_store_byte v[0:1], v5, off
.LBB154_123:
	s_and_b32 vcc_lo, exec_lo, s36
	s_cbranch_vccz .LBB154_133
; %bb.124:
	v_cvt_f32_f16_e32 v3, v2
	s_mov_b32 s36, exec_lo
                                        ; implicit-def: $vgpr4
	v_and_b32_e32 v5, 0x7fffffff, v3
	v_cmpx_gt_u32_e32 0x43f00000, v5
	s_xor_b32 s36, exec_lo, s36
	s_cbranch_execz .LBB154_130
; %bb.125:
	s_mov_b32 s37, exec_lo
                                        ; implicit-def: $vgpr4
	v_cmpx_lt_u32_e32 0x3c7fffff, v5
	s_xor_b32 s37, exec_lo, s37
; %bb.126:
	v_bfe_u32 v4, v3, 20, 1
	v_add3_u32 v4, v3, v4, 0x407ffff
	v_and_b32_e32 v5, 0xff00000, v4
	v_lshrrev_b32_e32 v4, 20, v4
	v_cmp_ne_u32_e32 vcc_lo, 0x7f00000, v5
	v_cndmask_b32_e32 v4, 0x7e, v4, vcc_lo
; %bb.127:
	s_andn2_saveexec_b32 s37, s37
; %bb.128:
	v_add_f32_e64 v4, 0x46800000, |v3|
; %bb.129:
	s_or_b32 exec_lo, exec_lo, s37
                                        ; implicit-def: $vgpr5
.LBB154_130:
	s_andn2_saveexec_b32 s36, s36
; %bb.131:
	v_mov_b32_e32 v4, 0x7f
	v_cmp_lt_u32_e32 vcc_lo, 0x7f800000, v5
	v_cndmask_b32_e32 v4, 0x7e, v4, vcc_lo
; %bb.132:
	s_or_b32 exec_lo, exec_lo, s36
	v_lshrrev_b32_e32 v3, 24, v3
	v_and_or_b32 v3, 0x80, v3, v4
	global_store_byte v[0:1], v3, off
.LBB154_133:
	s_mov_b32 s36, 0
.LBB154_134:
	s_andn2_b32 vcc_lo, exec_lo, s36
	s_cbranch_vccnz .LBB154_144
; %bb.135:
	v_cvt_f32_f16_e32 v3, v2
	s_mov_b32 s36, exec_lo
                                        ; implicit-def: $vgpr4
	v_and_b32_e32 v5, 0x7fffffff, v3
	v_cmpx_gt_u32_e32 0x47800000, v5
	s_xor_b32 s36, exec_lo, s36
	s_cbranch_execz .LBB154_141
; %bb.136:
	s_mov_b32 s37, exec_lo
                                        ; implicit-def: $vgpr4
	v_cmpx_lt_u32_e32 0x387fffff, v5
	s_xor_b32 s37, exec_lo, s37
; %bb.137:
	v_bfe_u32 v4, v3, 21, 1
	v_add3_u32 v4, v3, v4, 0x80fffff
	v_lshrrev_b32_e32 v4, 21, v4
; %bb.138:
	s_andn2_saveexec_b32 s37, s37
; %bb.139:
	v_add_f32_e64 v4, 0x43000000, |v3|
; %bb.140:
	s_or_b32 exec_lo, exec_lo, s37
                                        ; implicit-def: $vgpr5
.LBB154_141:
	s_andn2_saveexec_b32 s36, s36
; %bb.142:
	v_mov_b32_e32 v4, 0x7f
	v_cmp_lt_u32_e32 vcc_lo, 0x7f800000, v5
	v_cndmask_b32_e32 v4, 0x7c, v4, vcc_lo
; %bb.143:
	s_or_b32 exec_lo, exec_lo, s36
	v_lshrrev_b32_e32 v3, 24, v3
	v_and_or_b32 v3, 0x80, v3, v4
	global_store_byte v[0:1], v3, off
.LBB154_144:
	s_mov_b32 s37, 0
	s_mov_b32 s36, -1
.LBB154_145:
	s_andn2_b32 vcc_lo, exec_lo, s37
	s_cbranch_vccnz .LBB154_153
; %bb.146:
	s_cmp_gt_i32 s23, 14
	s_mov_b32 s37, -1
	s_cbranch_scc0 .LBB154_150
; %bb.147:
	s_cmp_eq_u32 s23, 15
	s_mov_b32 s0, -1
	s_cbranch_scc0 .LBB154_149
; %bb.148:
	v_cvt_f32_f16_e32 v3, v2
	v_cmp_o_f16_e32 vcc_lo, v2, v2
	s_mov_b32 s36, -1
	s_mov_b32 s0, 0
	v_bfe_u32 v4, v3, 16, 1
	v_add3_u32 v3, v3, v4, 0x7fff
	v_mov_b32_e32 v4, 0x7fc0
	v_cndmask_b32_sdwa v3, v4, v3, vcc_lo dst_sel:DWORD dst_unused:UNUSED_PAD src0_sel:DWORD src1_sel:WORD_1
	global_store_short v[0:1], v3, off
.LBB154_149:
	s_mov_b32 s37, 0
.LBB154_150:
	s_and_b32 vcc_lo, exec_lo, s37
	s_cbranch_vccz .LBB154_153
; %bb.151:
	s_cmp_eq_u32 s23, 11
	s_mov_b32 s0, -1
	s_cbranch_scc0 .LBB154_153
; %bb.152:
	v_cmp_neq_f16_e32 vcc_lo, 0, v2
	s_mov_b32 s0, 0
	s_mov_b32 s36, -1
	v_cndmask_b32_e64 v3, 0, 1, vcc_lo
	global_store_byte v[0:1], v3, off
.LBB154_153:
	s_branch .LBB154_72
.LBB154_154:
	s_and_b32 s1, 0xffff, s1
	s_mov_b32 s23, -1
	s_cmp_lt_i32 s1, 5
	s_cbranch_scc1 .LBB154_175
; %bb.155:
	s_cmp_lt_i32 s1, 8
	s_cbranch_scc1 .LBB154_165
; %bb.156:
	s_cmp_lt_i32 s1, 9
	s_cbranch_scc1 .LBB154_162
; %bb.157:
	s_cmp_gt_i32 s1, 9
	s_cbranch_scc0 .LBB154_159
; %bb.158:
	v_cvt_f32_f16_e32 v3, v2
	v_mov_b32_e32 v5, 0
	s_mov_b32 s23, 0
	v_cvt_f64_f32_e32 v[3:4], v3
	v_mov_b32_e32 v6, v5
	global_store_dwordx4 v[0:1], v[3:6], off
.LBB154_159:
	s_andn2_b32 vcc_lo, exec_lo, s23
	s_cbranch_vccnz .LBB154_161
; %bb.160:
	v_cvt_f32_f16_e32 v3, v2
	v_mov_b32_e32 v4, 0
	global_store_dwordx2 v[0:1], v[3:4], off
.LBB154_161:
	s_mov_b32 s23, 0
.LBB154_162:
	s_andn2_b32 vcc_lo, exec_lo, s23
	s_cbranch_vccnz .LBB154_164
; %bb.163:
	v_and_b32_e32 v3, 0xffff, v2
	global_store_dword v[0:1], v3, off
.LBB154_164:
	s_mov_b32 s23, 0
.LBB154_165:
	s_andn2_b32 vcc_lo, exec_lo, s23
	s_cbranch_vccnz .LBB154_174
; %bb.166:
	s_cmp_lt_i32 s1, 6
	s_mov_b32 s23, -1
	s_cbranch_scc1 .LBB154_172
; %bb.167:
	s_cmp_gt_i32 s1, 6
	s_cbranch_scc0 .LBB154_169
; %bb.168:
	v_cvt_f32_f16_e32 v3, v2
	s_mov_b32 s23, 0
	v_cvt_f64_f32_e32 v[3:4], v3
	global_store_dwordx2 v[0:1], v[3:4], off
.LBB154_169:
	s_andn2_b32 vcc_lo, exec_lo, s23
	s_cbranch_vccnz .LBB154_171
; %bb.170:
	v_cvt_f32_f16_e32 v3, v2
	global_store_dword v[0:1], v3, off
.LBB154_171:
	s_mov_b32 s23, 0
.LBB154_172:
	s_andn2_b32 vcc_lo, exec_lo, s23
	s_cbranch_vccnz .LBB154_174
; %bb.173:
	global_store_short v[0:1], v2, off
.LBB154_174:
	s_mov_b32 s23, 0
.LBB154_175:
	s_andn2_b32 vcc_lo, exec_lo, s23
	s_cbranch_vccnz .LBB154_191
; %bb.176:
	s_cmp_lt_i32 s1, 2
	s_mov_b32 s23, -1
	s_cbranch_scc1 .LBB154_186
; %bb.177:
	s_cmp_lt_i32 s1, 3
	s_cbranch_scc1 .LBB154_183
; %bb.178:
	s_cmp_gt_i32 s1, 3
	s_cbranch_scc0 .LBB154_180
; %bb.179:
	v_cvt_f32_f16_e32 v3, v2
	s_mov_b32 s23, 0
	v_cvt_i32_f32_e32 v3, v3
	v_ashrrev_i32_e32 v4, 31, v3
	global_store_dwordx2 v[0:1], v[3:4], off
.LBB154_180:
	s_andn2_b32 vcc_lo, exec_lo, s23
	s_cbranch_vccnz .LBB154_182
; %bb.181:
	v_cvt_f32_f16_e32 v3, v2
	v_cvt_i32_f32_e32 v3, v3
	global_store_dword v[0:1], v3, off
.LBB154_182:
	s_mov_b32 s23, 0
.LBB154_183:
	s_andn2_b32 vcc_lo, exec_lo, s23
	s_cbranch_vccnz .LBB154_185
; %bb.184:
	v_cvt_i16_f16_e32 v3, v2
	global_store_short v[0:1], v3, off
.LBB154_185:
	s_mov_b32 s23, 0
.LBB154_186:
	s_andn2_b32 vcc_lo, exec_lo, s23
	s_cbranch_vccnz .LBB154_191
; %bb.187:
	s_cmp_gt_i32 s1, 0
	s_mov_b32 s1, -1
	s_cbranch_scc0 .LBB154_189
; %bb.188:
	v_cvt_i16_f16_e32 v3, v2
	s_mov_b32 s1, 0
	global_store_byte v[0:1], v3, off
.LBB154_189:
	s_andn2_b32 vcc_lo, exec_lo, s1
	s_cbranch_vccnz .LBB154_191
; %bb.190:
	v_cvt_f32_f16_e32 v2, v2
	v_cvt_i32_f32_e32 v2, v2
	global_store_byte v[0:1], v2, off
.LBB154_191:
.LBB154_192:
	v_add_nc_u32_e32 v8, 0x80, v8
	s_mov_b32 s1, -1
	s_branch .LBB154_303
.LBB154_193:
	s_mov_b32 s22, -1
                                        ; implicit-def: $vgpr3
.LBB154_194:
	s_mov_b32 s23, 0
.LBB154_195:
	s_and_b32 vcc_lo, exec_lo, s23
	s_cbranch_vccz .LBB154_199
; %bb.196:
	s_cmp_eq_u32 s0, 29
	s_cbranch_scc0 .LBB154_198
; %bb.197:
	global_load_dwordx2 v[3:4], v[1:2], off
	s_mov_b32 s1, -1
	s_mov_b32 s22, 0
	s_mov_b32 s23, 0
	s_waitcnt vmcnt(0)
	v_ffbh_u32_e32 v5, v4
	v_min_u32_e32 v5, 32, v5
	v_lshlrev_b64 v[3:4], v5, v[3:4]
	v_min_u32_e32 v3, 1, v3
	v_or_b32_e32 v3, v4, v3
	v_sub_nc_u32_e32 v4, 32, v5
	v_cvt_f32_u32_e32 v3, v3
	v_ldexp_f32 v3, v3, v4
	v_cvt_f16_f32_e32 v3, v3
	s_branch .LBB154_200
.LBB154_198:
	s_mov_b32 s22, -1
                                        ; implicit-def: $vgpr3
.LBB154_199:
	s_mov_b32 s23, 0
.LBB154_200:
	s_and_b32 vcc_lo, exec_lo, s23
	s_cbranch_vccz .LBB154_218
; %bb.201:
	s_cmp_lt_i32 s0, 27
	s_cbranch_scc1 .LBB154_204
; %bb.202:
	s_cmp_gt_i32 s0, 27
	s_cbranch_scc0 .LBB154_205
; %bb.203:
	global_load_dword v3, v[1:2], off
	s_mov_b32 s1, 0
	s_waitcnt vmcnt(0)
	v_cvt_f32_u32_e32 v3, v3
	v_cvt_f16_f32_e32 v3, v3
	s_branch .LBB154_206
.LBB154_204:
	s_mov_b32 s1, -1
                                        ; implicit-def: $vgpr3
	s_branch .LBB154_209
.LBB154_205:
	s_mov_b32 s1, -1
                                        ; implicit-def: $vgpr3
.LBB154_206:
	s_andn2_b32 vcc_lo, exec_lo, s1
	s_cbranch_vccnz .LBB154_208
; %bb.207:
	global_load_ushort v3, v[1:2], off
	s_waitcnt vmcnt(0)
	v_cvt_f16_u16_e32 v3, v3
.LBB154_208:
	s_mov_b32 s1, 0
.LBB154_209:
	s_andn2_b32 vcc_lo, exec_lo, s1
	s_cbranch_vccnz .LBB154_217
; %bb.210:
	global_load_ubyte v4, v[1:2], off
	s_mov_b32 s1, 0
	s_mov_b32 s23, exec_lo
	s_waitcnt vmcnt(0)
	v_cmpx_lt_i16_e32 0x7f, v4
	s_xor_b32 s23, exec_lo, s23
	s_cbranch_execz .LBB154_230
; %bb.211:
	s_mov_b32 s1, -1
	s_mov_b32 s36, exec_lo
	v_cmpx_eq_u16_e32 0x80, v4
; %bb.212:
	s_xor_b32 s1, exec_lo, -1
; %bb.213:
	s_or_b32 exec_lo, exec_lo, s36
	s_and_b32 s1, s1, exec_lo
	s_or_saveexec_b32 s23, s23
	v_mov_b32_e32 v3, 0x7e00
	s_xor_b32 exec_lo, exec_lo, s23
	s_cbranch_execnz .LBB154_231
.LBB154_214:
	s_or_b32 exec_lo, exec_lo, s23
	s_and_saveexec_b32 s23, s1
	s_cbranch_execz .LBB154_216
.LBB154_215:
	v_and_b32_e32 v3, 0xffff, v4
	v_lshlrev_b32_e32 v4, 24, v4
	v_and_b32_e32 v5, 7, v3
	v_bfe_u32 v9, v3, 3, 4
	v_and_b32_e32 v4, 0x80000000, v4
	v_ffbh_u32_e32 v6, v5
	v_cmp_eq_u32_e32 vcc_lo, 0, v9
	v_min_u32_e32 v6, 32, v6
	v_subrev_nc_u32_e32 v7, 28, v6
	v_sub_nc_u32_e32 v6, 29, v6
	v_lshlrev_b32_e32 v3, v7, v3
	v_cndmask_b32_e32 v6, v9, v6, vcc_lo
	v_and_b32_e32 v3, 7, v3
	v_cndmask_b32_e32 v3, v5, v3, vcc_lo
	v_lshl_add_u32 v5, v6, 23, 0x3b800000
	v_lshlrev_b32_e32 v3, 20, v3
	v_or3_b32 v3, v4, v5, v3
	v_cvt_f16_f32_e32 v3, v3
.LBB154_216:
	s_or_b32 exec_lo, exec_lo, s23
.LBB154_217:
	s_mov_b32 s1, -1
.LBB154_218:
	s_branch .LBB154_253
.LBB154_219:
	s_cmp_gt_i32 s0, 22
	s_cbranch_scc0 .LBB154_229
; %bb.220:
	s_cmp_lt_i32 s0, 24
	s_cbranch_scc1 .LBB154_232
; %bb.221:
	s_cmp_gt_i32 s0, 24
	s_cbranch_scc0 .LBB154_233
; %bb.222:
	global_load_ubyte v4, v[1:2], off
	s_mov_b32 s1, 0
	s_mov_b32 s23, exec_lo
	s_waitcnt vmcnt(0)
	v_cmpx_lt_i16_e32 0x7f, v4
	s_xor_b32 s23, exec_lo, s23
	s_cbranch_execz .LBB154_245
; %bb.223:
	s_mov_b32 s1, -1
	s_mov_b32 s36, exec_lo
	v_cmpx_eq_u16_e32 0x80, v4
; %bb.224:
	s_xor_b32 s1, exec_lo, -1
; %bb.225:
	s_or_b32 exec_lo, exec_lo, s36
	s_and_b32 s1, s1, exec_lo
	s_or_saveexec_b32 s23, s23
	v_mov_b32_e32 v3, 0x7e00
	s_xor_b32 exec_lo, exec_lo, s23
	s_cbranch_execnz .LBB154_246
.LBB154_226:
	s_or_b32 exec_lo, exec_lo, s23
	s_and_saveexec_b32 s23, s1
	s_cbranch_execz .LBB154_228
.LBB154_227:
	v_and_b32_e32 v3, 0xffff, v4
	v_lshlrev_b32_e32 v4, 24, v4
	v_and_b32_e32 v5, 3, v3
	v_bfe_u32 v9, v3, 2, 5
	v_and_b32_e32 v4, 0x80000000, v4
	v_ffbh_u32_e32 v6, v5
	v_cmp_eq_u32_e32 vcc_lo, 0, v9
	v_min_u32_e32 v6, 32, v6
	v_subrev_nc_u32_e32 v7, 29, v6
	v_sub_nc_u32_e32 v6, 30, v6
	v_lshlrev_b32_e32 v3, v7, v3
	v_cndmask_b32_e32 v6, v9, v6, vcc_lo
	v_and_b32_e32 v3, 3, v3
	v_cndmask_b32_e32 v3, v5, v3, vcc_lo
	v_lshl_add_u32 v5, v6, 23, 0x37800000
	v_lshlrev_b32_e32 v3, 21, v3
	v_or3_b32 v3, v4, v5, v3
	v_cvt_f16_f32_e32 v3, v3
.LBB154_228:
	s_or_b32 exec_lo, exec_lo, s23
	s_mov_b32 s1, 0
	s_branch .LBB154_234
.LBB154_229:
	s_mov_b32 s23, -1
                                        ; implicit-def: $vgpr3
	s_branch .LBB154_240
.LBB154_230:
	s_or_saveexec_b32 s23, s23
	v_mov_b32_e32 v3, 0x7e00
	s_xor_b32 exec_lo, exec_lo, s23
	s_cbranch_execz .LBB154_214
.LBB154_231:
	v_cmp_ne_u16_e32 vcc_lo, 0, v4
	v_mov_b32_e32 v3, v4
	s_andn2_b32 s1, s1, exec_lo
	s_and_b32 s36, vcc_lo, exec_lo
	s_or_b32 s1, s1, s36
	s_or_b32 exec_lo, exec_lo, s23
	s_and_saveexec_b32 s23, s1
	s_cbranch_execnz .LBB154_215
	s_branch .LBB154_216
.LBB154_232:
	s_mov_b32 s1, -1
                                        ; implicit-def: $vgpr3
	s_branch .LBB154_237
.LBB154_233:
	s_mov_b32 s1, -1
                                        ; implicit-def: $vgpr3
.LBB154_234:
	s_and_b32 vcc_lo, exec_lo, s1
	s_cbranch_vccz .LBB154_236
; %bb.235:
	global_load_ubyte v3, v[1:2], off
	s_waitcnt vmcnt(0)
	v_lshlrev_b32_e32 v3, 24, v3
	v_and_b32_e32 v4, 0x7f000000, v3
	v_ffbh_u32_e32 v5, v4
	v_add_nc_u32_e32 v7, 0x1000000, v4
	v_cmp_ne_u32_e32 vcc_lo, 0, v4
	v_min_u32_e32 v5, 32, v5
	v_sub_nc_u32_e64 v5, v5, 4 clamp
	v_lshlrev_b32_e32 v6, v5, v4
	v_lshlrev_b32_e32 v5, 23, v5
	v_lshrrev_b32_e32 v6, 4, v6
	v_sub_nc_u32_e32 v5, v6, v5
	v_ashrrev_i32_e32 v6, 8, v7
	v_add_nc_u32_e32 v5, 0x3c000000, v5
	v_and_or_b32 v5, 0x7f800000, v6, v5
	v_cndmask_b32_e32 v4, 0, v5, vcc_lo
	v_and_or_b32 v3, 0x80000000, v3, v4
	v_cvt_f16_f32_e32 v3, v3
.LBB154_236:
	s_mov_b32 s1, 0
.LBB154_237:
	s_andn2_b32 vcc_lo, exec_lo, s1
	s_cbranch_vccnz .LBB154_239
; %bb.238:
	global_load_ubyte v3, v[1:2], off
	s_waitcnt vmcnt(0)
	v_lshlrev_b32_e32 v4, 25, v3
	v_lshlrev_b16 v3, 8, v3
	v_lshrrev_b32_e32 v5, 4, v4
	v_and_or_b32 v6, 0x7f00, v3, 0.5
	v_cmp_gt_u32_e32 vcc_lo, 0x8000000, v4
	v_bfe_i32 v3, v3, 0, 16
	v_or_b32_e32 v5, 0x70000000, v5
	v_add_f32_e32 v6, -0.5, v6
	v_mul_f32_e32 v5, 0x7800000, v5
	v_cndmask_b32_e32 v4, v5, v6, vcc_lo
	v_and_or_b32 v3, 0x80000000, v3, v4
	v_cvt_f16_f32_e32 v3, v3
.LBB154_239:
	s_mov_b32 s23, 0
	s_mov_b32 s1, -1
.LBB154_240:
	s_andn2_b32 vcc_lo, exec_lo, s23
	s_cbranch_vccnz .LBB154_253
; %bb.241:
	s_cmp_gt_i32 s0, 14
	s_cbranch_scc0 .LBB154_244
; %bb.242:
	s_cmp_eq_u32 s0, 15
	s_cbranch_scc0 .LBB154_247
; %bb.243:
	global_load_ushort v3, v[1:2], off
	s_mov_b32 s1, -1
	s_mov_b32 s22, 0
	s_waitcnt vmcnt(0)
	v_lshlrev_b32_e32 v3, 16, v3
	v_cvt_f16_f32_e32 v3, v3
	s_branch .LBB154_248
.LBB154_244:
	s_mov_b32 s23, -1
                                        ; implicit-def: $vgpr3
	s_branch .LBB154_249
.LBB154_245:
	s_or_saveexec_b32 s23, s23
	v_mov_b32_e32 v3, 0x7e00
	s_xor_b32 exec_lo, exec_lo, s23
	s_cbranch_execz .LBB154_226
.LBB154_246:
	v_cmp_ne_u16_e32 vcc_lo, 0, v4
	v_mov_b32_e32 v3, v4
	s_andn2_b32 s1, s1, exec_lo
	s_and_b32 s36, vcc_lo, exec_lo
	s_or_b32 s1, s1, s36
	s_or_b32 exec_lo, exec_lo, s23
	s_and_saveexec_b32 s23, s1
	s_cbranch_execnz .LBB154_227
	s_branch .LBB154_228
.LBB154_247:
	s_mov_b32 s22, -1
                                        ; implicit-def: $vgpr3
.LBB154_248:
	s_mov_b32 s23, 0
.LBB154_249:
	s_and_b32 vcc_lo, exec_lo, s23
	s_cbranch_vccz .LBB154_253
; %bb.250:
	s_cmp_eq_u32 s0, 11
	s_cbranch_scc0 .LBB154_252
; %bb.251:
	global_load_ubyte v3, v[1:2], off
	s_mov_b32 s22, 0
	s_mov_b32 s1, -1
	s_waitcnt vmcnt(0)
	v_cmp_ne_u16_e32 vcc_lo, 0, v3
	v_cndmask_b32_e64 v3, 0, 0x3c00, vcc_lo
	s_branch .LBB154_253
.LBB154_252:
	s_mov_b32 s22, -1
                                        ; implicit-def: $vgpr3
.LBB154_253:
	s_branch .LBB154_24
.LBB154_254:
	s_cmp_lt_i32 s0, 5
	s_cbranch_scc1 .LBB154_259
; %bb.255:
	s_cmp_lt_i32 s0, 8
	s_cbranch_scc1 .LBB154_260
; %bb.256:
	;; [unrolled: 3-line block ×3, first 2 shown]
	s_cmp_gt_i32 s0, 9
	s_cbranch_scc0 .LBB154_262
; %bb.258:
	global_load_dwordx2 v[3:4], v[1:2], off
	s_mov_b32 s1, 0
	s_waitcnt vmcnt(0)
	v_and_or_b32 v3, 0x1ff, v4, v3
	v_lshrrev_b32_e32 v5, 8, v4
	v_bfe_u32 v6, v4, 20, 11
	v_lshrrev_b32_e32 v4, 16, v4
	v_cmp_ne_u32_e32 vcc_lo, 0, v3
	v_sub_nc_u32_e32 v7, 0x3f1, v6
	v_add_nc_u32_e32 v6, 0xfffffc10, v6
	v_cndmask_b32_e64 v3, 0, 1, vcc_lo
	v_and_or_b32 v3, 0xffe, v5, v3
	v_med3_i32 v5, v7, 0, 13
	v_or_b32_e32 v7, 0x1000, v3
	v_lshrrev_b32_e32 v9, v5, v7
	v_lshlrev_b32_e32 v5, v5, v9
	v_cmp_ne_u32_e32 vcc_lo, v5, v7
	v_lshl_or_b32 v7, v6, 12, v3
	v_cndmask_b32_e64 v5, 0, 1, vcc_lo
	v_cmp_gt_i32_e32 vcc_lo, 1, v6
	v_or_b32_e32 v5, v9, v5
	v_cndmask_b32_e32 v5, v7, v5, vcc_lo
	v_and_b32_e32 v7, 7, v5
	v_lshrrev_b32_e32 v5, 2, v5
	v_cmp_lt_i32_e32 vcc_lo, 5, v7
	v_cndmask_b32_e64 v9, 0, 1, vcc_lo
	v_cmp_eq_u32_e32 vcc_lo, 3, v7
	v_cndmask_b32_e64 v7, 0, 1, vcc_lo
	v_cmp_ne_u32_e32 vcc_lo, 0, v3
	v_or_b32_e32 v7, v7, v9
	v_mov_b32_e32 v9, 0x7e00
	v_add_nc_u32_e32 v5, v5, v7
	v_cndmask_b32_e32 v3, 0x7c00, v9, vcc_lo
	v_cmp_gt_i32_e32 vcc_lo, 31, v6
	v_cndmask_b32_e32 v5, 0x7c00, v5, vcc_lo
	v_cmp_eq_u32_e32 vcc_lo, 0x40f, v6
	v_cndmask_b32_e32 v3, v5, v3, vcc_lo
	v_and_or_b32 v3, 0x8000, v4, v3
	s_branch .LBB154_263
.LBB154_259:
                                        ; implicit-def: $vgpr3
	s_branch .LBB154_281
.LBB154_260:
	s_mov_b32 s1, -1
                                        ; implicit-def: $vgpr3
	s_branch .LBB154_269
.LBB154_261:
	s_mov_b32 s1, -1
                                        ; implicit-def: $vgpr3
	s_branch .LBB154_266
.LBB154_262:
	s_mov_b32 s1, -1
                                        ; implicit-def: $vgpr3
.LBB154_263:
	s_andn2_b32 vcc_lo, exec_lo, s1
	s_cbranch_vccnz .LBB154_265
; %bb.264:
	global_load_dword v3, v[1:2], off
	s_waitcnt vmcnt(0)
	v_cvt_f16_f32_e32 v3, v3
.LBB154_265:
	s_mov_b32 s1, 0
.LBB154_266:
	s_andn2_b32 vcc_lo, exec_lo, s1
	s_cbranch_vccnz .LBB154_268
; %bb.267:
	global_load_dword v3, v[1:2], off
.LBB154_268:
	s_mov_b32 s1, 0
.LBB154_269:
	s_andn2_b32 vcc_lo, exec_lo, s1
	s_cbranch_vccnz .LBB154_280
; %bb.270:
	s_cmp_lt_i32 s0, 6
	s_cbranch_scc1 .LBB154_273
; %bb.271:
	s_cmp_gt_i32 s0, 6
	s_cbranch_scc0 .LBB154_274
; %bb.272:
	global_load_dwordx2 v[3:4], v[1:2], off
	s_mov_b32 s1, 0
	s_waitcnt vmcnt(0)
	v_and_or_b32 v3, 0x1ff, v4, v3
	v_lshrrev_b32_e32 v5, 8, v4
	v_bfe_u32 v6, v4, 20, 11
	v_lshrrev_b32_e32 v4, 16, v4
	v_cmp_ne_u32_e32 vcc_lo, 0, v3
	v_sub_nc_u32_e32 v7, 0x3f1, v6
	v_add_nc_u32_e32 v6, 0xfffffc10, v6
	v_cndmask_b32_e64 v3, 0, 1, vcc_lo
	v_and_or_b32 v3, 0xffe, v5, v3
	v_med3_i32 v5, v7, 0, 13
	v_or_b32_e32 v7, 0x1000, v3
	v_lshrrev_b32_e32 v9, v5, v7
	v_lshlrev_b32_e32 v5, v5, v9
	v_cmp_ne_u32_e32 vcc_lo, v5, v7
	v_lshl_or_b32 v7, v6, 12, v3
	v_cndmask_b32_e64 v5, 0, 1, vcc_lo
	v_cmp_gt_i32_e32 vcc_lo, 1, v6
	v_or_b32_e32 v5, v9, v5
	v_cndmask_b32_e32 v5, v7, v5, vcc_lo
	v_and_b32_e32 v7, 7, v5
	v_lshrrev_b32_e32 v5, 2, v5
	v_cmp_lt_i32_e32 vcc_lo, 5, v7
	v_cndmask_b32_e64 v9, 0, 1, vcc_lo
	v_cmp_eq_u32_e32 vcc_lo, 3, v7
	v_cndmask_b32_e64 v7, 0, 1, vcc_lo
	v_cmp_ne_u32_e32 vcc_lo, 0, v3
	v_or_b32_e32 v7, v7, v9
	v_mov_b32_e32 v9, 0x7e00
	v_add_nc_u32_e32 v5, v5, v7
	v_cndmask_b32_e32 v3, 0x7c00, v9, vcc_lo
	v_cmp_gt_i32_e32 vcc_lo, 31, v6
	v_cndmask_b32_e32 v5, 0x7c00, v5, vcc_lo
	v_cmp_eq_u32_e32 vcc_lo, 0x40f, v6
	v_cndmask_b32_e32 v3, v5, v3, vcc_lo
	v_and_or_b32 v3, 0x8000, v4, v3
	s_branch .LBB154_275
.LBB154_273:
	s_mov_b32 s1, -1
                                        ; implicit-def: $vgpr3
	s_branch .LBB154_278
.LBB154_274:
	s_mov_b32 s1, -1
                                        ; implicit-def: $vgpr3
.LBB154_275:
	s_andn2_b32 vcc_lo, exec_lo, s1
	s_cbranch_vccnz .LBB154_277
; %bb.276:
	global_load_dword v3, v[1:2], off
	s_waitcnt vmcnt(0)
	v_cvt_f16_f32_e32 v3, v3
.LBB154_277:
	s_mov_b32 s1, 0
.LBB154_278:
	s_andn2_b32 vcc_lo, exec_lo, s1
	s_cbranch_vccnz .LBB154_280
; %bb.279:
	global_load_ushort v3, v[1:2], off
.LBB154_280:
	s_cbranch_execnz .LBB154_300
.LBB154_281:
	s_cmp_lt_i32 s0, 2
	s_cbranch_scc1 .LBB154_285
; %bb.282:
	s_cmp_lt_i32 s0, 3
	s_cbranch_scc1 .LBB154_286
; %bb.283:
	s_cmp_gt_i32 s0, 3
	s_cbranch_scc0 .LBB154_287
; %bb.284:
	global_load_dwordx2 v[3:4], v[1:2], off
	s_mov_b32 s1, 0
	s_waitcnt vmcnt(0)
	v_xor_b32_e32 v5, v3, v4
	v_ffbh_i32_e32 v6, v4
	v_ashrrev_i32_e32 v5, 31, v5
	v_add_nc_u32_e32 v6, -1, v6
	v_add_nc_u32_e32 v5, 32, v5
	v_min_u32_e32 v5, v6, v5
	v_lshlrev_b64 v[3:4], v5, v[3:4]
	v_min_u32_e32 v3, 1, v3
	v_or_b32_e32 v3, v4, v3
	v_sub_nc_u32_e32 v4, 32, v5
	v_cvt_f32_i32_e32 v3, v3
	v_ldexp_f32 v3, v3, v4
	v_cvt_f16_f32_e32 v3, v3
	s_branch .LBB154_288
.LBB154_285:
	s_mov_b32 s1, -1
                                        ; implicit-def: $vgpr3
	s_branch .LBB154_294
.LBB154_286:
	s_mov_b32 s1, -1
                                        ; implicit-def: $vgpr3
	s_branch .LBB154_291
.LBB154_287:
	s_mov_b32 s1, -1
                                        ; implicit-def: $vgpr3
.LBB154_288:
	s_andn2_b32 vcc_lo, exec_lo, s1
	s_cbranch_vccnz .LBB154_290
; %bb.289:
	global_load_dword v3, v[1:2], off
	s_waitcnt vmcnt(0)
	v_cvt_f32_i32_e32 v3, v3
	v_cvt_f16_f32_e32 v3, v3
.LBB154_290:
	s_mov_b32 s1, 0
.LBB154_291:
	s_andn2_b32 vcc_lo, exec_lo, s1
	s_cbranch_vccnz .LBB154_293
; %bb.292:
	global_load_ushort v3, v[1:2], off
	s_waitcnt vmcnt(0)
	v_cvt_f16_i16_e32 v3, v3
.LBB154_293:
	s_mov_b32 s1, 0
.LBB154_294:
	s_andn2_b32 vcc_lo, exec_lo, s1
	s_cbranch_vccnz .LBB154_300
; %bb.295:
	s_cmp_gt_i32 s0, 0
	s_mov_b32 s0, 0
	s_cbranch_scc0 .LBB154_297
; %bb.296:
	global_load_sbyte v3, v[1:2], off
	s_waitcnt vmcnt(0)
	v_cvt_f16_i16_e32 v3, v3
	s_branch .LBB154_298
.LBB154_297:
	s_mov_b32 s0, -1
                                        ; implicit-def: $vgpr3
.LBB154_298:
	s_andn2_b32 vcc_lo, exec_lo, s0
	s_cbranch_vccnz .LBB154_300
; %bb.299:
	global_load_ubyte v1, v[1:2], off
	s_waitcnt vmcnt(0)
	v_cvt_f16_u16_e32 v3, v1
.LBB154_300:
	s_branch .LBB154_25
.LBB154_301:
	s_mov_b32 s0, 0
.LBB154_302:
	s_mov_b32 s1, 0
                                        ; implicit-def: $vgpr8
.LBB154_303:
	s_and_b32 s36, s0, exec_lo
	s_and_b32 s37, s22, exec_lo
	s_orn2_b32 s1, s1, exec_lo
.LBB154_304:
	s_or_b32 exec_lo, exec_lo, s38
	s_mov_b32 s22, 0
	s_mov_b32 s0, 0
                                        ; implicit-def: $vgpr1_vgpr2
                                        ; implicit-def: $vgpr0
                                        ; implicit-def: $vgpr3
	s_and_saveexec_b32 s38, s1
	s_cbranch_execz .LBB154_311
; %bb.305:
	s_mov_b32 s0, -1
	s_mov_b32 s39, s37
	s_mov_b32 s40, s36
	s_mov_b32 s41, exec_lo
	v_cmpx_gt_i32_e64 s33, v8
	s_cbranch_execz .LBB154_619
; %bb.306:
	s_andn2_b32 vcc_lo, exec_lo, s27
	s_cbranch_vccnz .LBB154_314
; %bb.307:
	s_andn2_b32 vcc_lo, exec_lo, s34
	s_cbranch_vccnz .LBB154_315
; %bb.308:
	s_add_i32 s40, s35, 1
	s_cmp_eq_u32 s25, 2
	s_cbranch_scc1 .LBB154_316
; %bb.309:
	v_mov_b32_e32 v2, 0
	v_mov_b32_e32 v0, 0
	;; [unrolled: 1-line block ×3, first 2 shown]
	s_and_b32 s39, s40, 28
	s_mov_b32 s42, 0
	s_mov_b64 s[0:1], s[2:3]
	s_mov_b64 s[22:23], s[20:21]
.LBB154_310:                            ; =>This Inner Loop Header: Depth=1
	s_clause 0x1
	s_load_dwordx8 s[44:51], s[0:1], 0x4
	s_load_dwordx4 s[60:63], s[0:1], 0x24
	s_load_dwordx8 s[52:59], s[22:23], 0x0
	s_add_u32 s0, s0, 48
	s_addc_u32 s1, s1, 0
	s_add_i32 s42, s42, 4
	s_add_u32 s22, s22, 32
	s_addc_u32 s23, s23, 0
	s_cmp_eq_u32 s39, s42
	s_waitcnt vmcnt(0) lgkmcnt(0)
	v_mul_hi_u32 v3, s45, v1
	v_add_nc_u32_e32 v3, v1, v3
	v_lshrrev_b32_e32 v3, s46, v3
	v_mul_hi_u32 v4, s48, v3
	v_mul_lo_u32 v6, v3, s44
	v_add_nc_u32_e32 v4, v3, v4
	v_sub_nc_u32_e32 v1, v1, v6
	v_lshrrev_b32_e32 v4, s49, v4
	v_mul_lo_u32 v6, v1, s52
	v_mul_lo_u32 v9, v1, s53
	v_mul_hi_u32 v5, s51, v4
	v_add_nc_u32_e32 v5, v4, v5
	v_lshrrev_b32_e32 v5, s60, v5
	v_mul_hi_u32 v7, s62, v5
	v_mul_lo_u32 v10, v5, s50
	v_add_nc_u32_e32 v1, v5, v7
	v_mul_lo_u32 v7, v4, s47
	v_sub_nc_u32_e32 v4, v4, v10
	v_lshrrev_b32_e32 v1, s63, v1
	v_mul_lo_u32 v10, v4, s56
	v_mul_lo_u32 v4, v4, s57
	v_sub_nc_u32_e32 v3, v3, v7
	v_mul_lo_u32 v11, v1, s61
	v_mul_lo_u32 v7, v3, s54
	;; [unrolled: 1-line block ×3, first 2 shown]
	v_sub_nc_u32_e32 v5, v5, v11
	v_add3_u32 v0, v6, v0, v7
	v_mul_lo_u32 v11, v5, s58
	v_mul_lo_u32 v5, v5, s59
	v_add3_u32 v2, v9, v2, v3
	v_add3_u32 v0, v10, v0, v11
	v_add3_u32 v2, v4, v2, v5
	s_cbranch_scc0 .LBB154_310
	s_branch .LBB154_317
.LBB154_311:
	s_or_b32 exec_lo, exec_lo, s38
	s_waitcnt lgkmcnt(0)
	s_mov_b32 s6, 0
	s_and_saveexec_b32 s1, s37
	s_cbranch_execnz .LBB154_1035
.LBB154_312:
	s_or_b32 exec_lo, exec_lo, s1
	s_and_saveexec_b32 s1, s39
	s_xor_b32 s1, exec_lo, s1
	s_cbranch_execz .LBB154_1036
.LBB154_313:
	global_load_ubyte v3, v[1:2], off
	s_or_b32 s0, s0, exec_lo
	s_waitcnt vmcnt(0)
	v_cmp_ne_u16_e32 vcc_lo, 0, v3
	v_cndmask_b32_e64 v3, 0, 0x3c00, vcc_lo
	s_or_b32 exec_lo, exec_lo, s1
	s_and_saveexec_b32 s1, s22
	s_cbranch_execz .LBB154_1082
	s_branch .LBB154_1037
.LBB154_314:
                                        ; implicit-def: $vgpr0
                                        ; implicit-def: $vgpr2
	s_andn2_b32 vcc_lo, exec_lo, s0
	s_cbranch_vccz .LBB154_321
	s_branch .LBB154_323
.LBB154_315:
	v_mov_b32_e32 v0, 0
	v_mov_b32_e32 v2, 0
	s_branch .LBB154_320
.LBB154_316:
	v_mov_b32_e32 v0, 0
	v_mov_b32_e32 v2, 0
	;; [unrolled: 1-line block ×3, first 2 shown]
	s_mov_b32 s39, 0
.LBB154_317:
	s_and_b32 s40, s40, 3
	s_cmp_eq_u32 s40, 0
	s_cbranch_scc1 .LBB154_320
; %bb.318:
	s_lshl_b32 s0, s39, 3
	s_mul_i32 s22, s39, 12
	s_add_u32 s0, s2, s0
	s_addc_u32 s1, s3, 0
	s_add_u32 s0, s0, 0xc4
	s_addc_u32 s1, s1, 0
	;; [unrolled: 2-line block ×3, first 2 shown]
	.p2align	6
.LBB154_319:                            ; =>This Inner Loop Header: Depth=1
	s_clause 0x1
	s_load_dwordx2 s[42:43], s[22:23], 0x4
	s_load_dword s39, s[22:23], 0xc
	s_load_dwordx2 s[44:45], s[0:1], 0x0
	s_add_u32 s22, s22, 12
	s_addc_u32 s23, s23, 0
	s_add_u32 s0, s0, 8
	s_addc_u32 s1, s1, 0
	s_add_i32 s40, s40, -1
	s_cmp_lg_u32 s40, 0
	s_waitcnt vmcnt(0) lgkmcnt(0)
	v_mul_hi_u32 v3, s43, v1
	v_add_nc_u32_e32 v3, v1, v3
	v_lshrrev_b32_e32 v4, s39, v3
	v_mul_lo_u32 v3, v4, s42
	v_sub_nc_u32_e32 v3, v1, v3
	v_mad_u64_u32 v[0:1], null, v3, s44, v[0:1]
	v_mad_u64_u32 v[2:3], null, v3, s45, v[2:3]
	v_mov_b32_e32 v1, v4
	s_cbranch_scc1 .LBB154_319
.LBB154_320:
	s_cbranch_execnz .LBB154_323
.LBB154_321:
	s_waitcnt lgkmcnt(0)
	v_mul_hi_u32 v0, s17, v8
	s_andn2_b32 vcc_lo, exec_lo, s31
	v_add_nc_u32_e32 v0, v8, v0
	v_lshrrev_b32_e32 v1, s18, v0
	v_mul_lo_u32 v0, v1, s16
	v_sub_nc_u32_e32 v2, v8, v0
	v_mul_lo_u32 v0, v2, s12
	v_mul_lo_u32 v2, v2, s13
	s_cbranch_vccnz .LBB154_323
; %bb.322:
	s_waitcnt vmcnt(0)
	v_mul_hi_u32 v3, s6, v1
	v_add_nc_u32_e32 v3, v1, v3
	v_lshrrev_b32_e32 v3, s7, v3
	v_mul_lo_u32 v3, v3, s19
	v_sub_nc_u32_e32 v3, v1, v3
	v_mad_u64_u32 v[0:1], null, v3, s14, v[0:1]
	v_mad_u64_u32 v[2:3], null, v3, s15, v[2:3]
.LBB154_323:
	s_waitcnt lgkmcnt(0)
	v_add_co_u32 v1, s0, s10, v2
	v_add_co_ci_u32_e64 v2, null, s11, 0, s0
	s_and_b32 s0, 0xffff, s30
	s_cmp_lt_i32 s0, 11
	s_cbranch_scc1 .LBB154_330
; %bb.324:
	s_cmp_gt_i32 s0, 25
	s_cbranch_scc0 .LBB154_377
; %bb.325:
	s_cmp_gt_i32 s0, 28
	s_cbranch_scc0 .LBB154_379
	;; [unrolled: 3-line block ×4, first 2 shown]
; %bb.328:
	s_cmp_eq_u32 s0, 46
	s_mov_b32 s23, 0
	s_cbranch_scc0 .LBB154_389
; %bb.329:
	global_load_dword v3, v[1:2], off
	s_mov_b32 s1, -1
	s_mov_b32 s22, 0
	s_waitcnt vmcnt(0)
	v_lshlrev_b32_e32 v3, 16, v3
	v_cvt_f16_f32_e32 v3, v3
	s_branch .LBB154_391
.LBB154_330:
	s_mov_b32 s1, 0
	s_mov_b32 s22, s37
                                        ; implicit-def: $vgpr3
	s_cbranch_execnz .LBB154_568
.LBB154_331:
	s_andn2_b32 vcc_lo, exec_lo, s1
	s_cbranch_vccnz .LBB154_616
.LBB154_332:
	s_waitcnt vmcnt(0)
	v_cvt_f32_f16_e32 v1, v3
	s_mov_b32 s1, exec_lo
                                        ; implicit-def: $vgpr4
	v_and_b32_e32 v2, 0x7fffffff, v1
	v_cmpx_ngt_f32_e64 0x3c800000, |v1|
	s_xor_b32 s1, exec_lo, s1
	s_cbranch_execz .LBB154_362
; %bb.333:
	s_mov_b32 s23, exec_lo
                                        ; implicit-def: $vgpr4
	v_cmpx_nlt_f32_e64 |v1|, 2.0
	s_xor_b32 s23, exec_lo, s23
	s_cbranch_execz .LBB154_343
; %bb.334:
	v_cmp_ngt_f32_e64 s0, 0x41000000, |v1|
                                        ; implicit-def: $vgpr4
	s_and_saveexec_b32 s39, s0
	s_xor_b32 s0, exec_lo, s39
	s_cbranch_execz .LBB154_340
; %bb.335:
	v_cmp_ngt_f32_e64 s39, 0x5c800000, |v1|
                                        ; implicit-def: $vgpr4
	s_and_saveexec_b32 s40, s39
	s_xor_b32 s39, exec_lo, s40
	s_cbranch_execz .LBB154_337
; %bb.336:
	v_cmp_gt_f32_e64 s40, 0x800000, |v1|
	v_cndmask_b32_e64 v4, 0, 32, s40
	v_ldexp_f32 v4, |v1|, v4
	v_log_f32_e32 v4, v4
	v_mul_f32_e32 v5, 0x3f317217, v4
	v_cmp_gt_f32_e64 vcc_lo, 0x7f800000, |v4|
	v_fma_f32 v6, 0x3f317217, v4, -v5
	v_fmamk_f32 v6, v4, 0x3377d1cf, v6
	v_add_f32_e32 v5, v5, v6
	v_cndmask_b32_e32 v4, v4, v5, vcc_lo
	v_cndmask_b32_e64 v5, 0, 0x41b17218, s40
	v_sub_f32_e32 v4, v4, v5
	v_fma_f32 v4, |v1|, v4, -|v1|
.LBB154_337:
	s_andn2_saveexec_b32 s39, s39
	s_cbranch_execz .LBB154_339
; %bb.338:
	v_cmp_gt_f32_e64 s40, 0x800000, |v1|
	v_rcp_f32_e64 v5, |v1|
	s_mov_b32 s42, 0xbad5c4e8
	v_cndmask_b32_e64 v4, 0, 32, s40
	v_ldexp_f32 v4, |v1|, v4
	v_mul_f32_e32 v6, v5, v5
	v_log_f32_e32 v4, v4
	v_fmaak_f32 v9, s42, v6, 0x3a5b3dd2
	v_fmaak_f32 v9, v6, v9, 0xba1c065c
	v_mul_f32_e32 v7, 0x3f317217, v4
	v_fmaak_f32 v9, v6, v9, 0x3a500cfd
	v_cmp_gt_f32_e64 vcc_lo, 0x7f800000, |v4|
	v_fma_f32 v10, 0x3f317217, v4, -v7
	v_fmaak_f32 v9, v6, v9, 0xbb360b61
	v_fmamk_f32 v10, v4, 0x3377d1cf, v10
	v_fmaak_f32 v6, v6, v9, 0x3daaaaab
	v_add_f32_e32 v7, v7, v10
	v_cndmask_b32_e32 v4, v4, v7, vcc_lo
	v_cndmask_b32_e64 v7, 0, 0x41b17218, s40
	v_sub_f32_e32 v7, v4, v7
	v_fmaak_f32 v4, v5, v6, 0x3ed67f1d
	v_add_f32_e64 v5, |v1|, -0.5
	v_add_f32_e32 v6, -1.0, v7
	v_fmac_f32_e32 v4, v5, v6
.LBB154_339:
	s_or_b32 exec_lo, exec_lo, s39
.LBB154_340:
	s_andn2_saveexec_b32 s39, s0
	s_cbranch_execz .LBB154_342
; %bb.341:
	v_cvt_i32_f32_e32 v4, v2
	s_mov_b32 s0, 0x36f5d7bd
	s_mov_b32 s40, 0x3805ff67
	v_cvt_f32_i32_e32 v5, v4
	v_cmp_lt_i32_e32 vcc_lo, 2, v4
	v_sub_f32_e64 v5, |v1|, v5
	v_add_f32_e32 v6, 2.0, v5
	v_add_f32_e32 v7, 0x40400000, v5
	v_add_f32_e32 v9, 4.0, v5
	v_add_f32_e32 v10, 0x40a00000, v5
	v_cndmask_b32_e32 v6, 1.0, v6, vcc_lo
	v_cmp_lt_i32_e32 vcc_lo, 3, v4
	v_cndmask_b32_e32 v7, 1.0, v7, vcc_lo
	v_cmp_lt_i32_e32 vcc_lo, 4, v4
	v_mul_f32_e32 v6, v6, v7
	v_cndmask_b32_e32 v9, 1.0, v9, vcc_lo
	v_cmp_lt_i32_e32 vcc_lo, 5, v4
	v_add_f32_e32 v7, 0x40c00000, v5
	v_mul_f32_e32 v6, v9, v6
	v_cndmask_b32_e32 v10, 1.0, v10, vcc_lo
	v_cmp_lt_i32_e32 vcc_lo, 6, v4
	v_fmaak_f32 v9, s40, v5, 0x3af135b4
	v_mul_f32_e32 v6, v10, v6
	v_cndmask_b32_e32 v4, 1.0, v7, vcc_lo
	v_mul_f32_e32 v4, v4, v6
	v_fmaak_f32 v6, s0, v5, 0x3a4beed6
	v_cmp_gt_f32_e32 vcc_lo, 0x800000, v4
	v_fmaak_f32 v6, v5, v6, 0x3c98bf54
	v_cndmask_b32_e64 v7, 0, 32, vcc_lo
	v_fmaak_f32 v6, v5, v6, 0x3e300f6e
	v_ldexp_f32 v4, v4, v7
	v_fmaak_f32 v7, v5, v9, 0x3cda40e4
	v_fmaak_f32 v6, v5, v6, 0x3f38d0c5
	v_log_f32_e32 v4, v4
	v_fmaak_f32 v7, v5, v7, 0x3e15dce6
	v_fmaak_f32 v6, v5, v6, 0x3fb22d3b
	;; [unrolled: 1-line block ×3, first 2 shown]
	v_fma_f32 v6, v5, v6, 1.0
	v_mul_f32_e32 v9, 0x3f317217, v4
	v_fmaak_f32 v7, v5, v7, 0x3e5c245a
	v_rcp_f32_e32 v6, v6
	v_cmp_gt_f32_e64 s0, 0x7f800000, |v4|
	v_fma_f32 v10, 0x3f317217, v4, -v9
	v_fmaak_f32 v7, v5, v7, 0xbd9e233f
	v_fmamk_f32 v10, v4, 0x3377d1cf, v10
	v_mul_f32_e32 v7, v5, v7
	v_add_f32_e32 v9, v9, v10
	v_mul_f32_e32 v6, v7, v6
	v_cndmask_b32_e64 v7, 0, 0x41b17218, vcc_lo
	v_cndmask_b32_e64 v4, v4, v9, s0
	v_fmac_f32_e32 v6, 0.5, v5
	v_sub_f32_e32 v4, v4, v7
	v_add_f32_e32 v4, v4, v6
.LBB154_342:
	s_or_b32 exec_lo, exec_lo, s39
.LBB154_343:
	s_andn2_saveexec_b32 s23, s23
	s_cbranch_execz .LBB154_361
; %bb.344:
	s_mov_b32 s39, exec_lo
                                        ; implicit-def: $vgpr4
                                        ; implicit-def: $vgpr6
                                        ; implicit-def: $vgpr5
	v_cmpx_ge_f32_e64 0x3f666666, |v1|
	s_xor_b32 s39, exec_lo, s39
	s_cbranch_execz .LBB154_346
; %bb.345:
	v_cmp_gt_f32_e64 s0, 0x800000, |v1|
	v_sub_f32_e64 v7, 1.0, |v1|
	v_cmp_gt_f32_e64 vcc_lo, 0x3f3b4a23, |v1|
	v_cndmask_b32_e64 v4, 0, 32, s0
	v_cndmask_b32_e64 v9, 0, 0x41b17218, s0
	v_ldexp_f32 v4, |v1|, v4
	v_log_f32_e32 v4, v4
	v_mul_f32_e32 v5, 0x3f317217, v4
	v_cmp_gt_f32_e64 s0, 0x7f800000, |v4|
	v_fma_f32 v6, 0x3f317217, v4, -v5
	v_fmamk_f32 v6, v4, 0x3377d1cf, v6
	v_add_f32_e32 v5, v5, v6
	v_add_f32_e64 v6, 0xbeec5b0c, |v1|
	v_cndmask_b32_e64 v4, v4, v5, s0
	v_cndmask_b32_e32 v5, v7, v6, vcc_lo
	v_cndmask_b32_e64 v6, 0, 1, vcc_lo
	v_cmp_gt_f32_e64 s0, 0x3e6d3309, |v1|
	v_sub_f32_e32 v4, v4, v9
	v_cndmask_b32_e64 v5, v5, |v1|, s0
	v_cndmask_b32_e64 v6, v6, 2, s0
	v_xor_b32_e32 v4, 0x80000000, v4
.LBB154_346:
	s_andn2_saveexec_b32 s0, s39
	s_cbranch_execz .LBB154_348
; %bb.347:
	v_sub_f32_e64 v4, 2.0, |v1|
	v_add_f32_e64 v5, 0xbfbb16c3, |v1|
	v_cmp_gt_f32_e64 vcc_lo, 0x3fdda512, |v1|
	v_add_f32_e64 v6, |v1|, -1.0
	v_cndmask_b32_e32 v5, v4, v5, vcc_lo
	v_cndmask_b32_e64 v4, v4, 1.0, vcc_lo
	v_cmp_gt_f32_e64 vcc_lo, 0x3f9d70a4, |v1|
	v_cvt_i32_f32_e32 v4, v4
	v_cndmask_b32_e32 v5, v5, v6, vcc_lo
	v_cndmask_b32_e64 v6, v4, 2, vcc_lo
	v_mov_b32_e32 v4, 0
.LBB154_348:
	s_or_b32 exec_lo, exec_lo, s0
	s_mov_b32 s0, exec_lo
	v_cmpx_lt_i32_e32 0, v6
	s_xor_b32 s0, exec_lo, s0
	s_cbranch_execz .LBB154_356
; %bb.349:
	s_mov_b32 s39, exec_lo
	v_cmpx_lt_i32_e32 1, v6
	s_xor_b32 s39, exec_lo, s39
	s_cbranch_execz .LBB154_353
; %bb.350:
	s_mov_b32 s40, exec_lo
	v_cmpx_eq_u32_e32 2, v6
	s_cbranch_execz .LBB154_352
; %bb.351:
	s_mov_b32 s42, 0x3b52d5db
	v_fmaak_f32 v6, s42, v5, 0x3dd572af
	s_mov_b32 s42, 0x3c5b3c5e
	v_fmaak_f32 v7, s42, v5, 0x3e6a7578
	v_fmaak_f32 v6, v5, v6, 0x3f44efdf
	;; [unrolled: 1-line block ×7, first 2 shown]
	v_fma_f32 v6, v5, v6, 1.0
	v_fmaak_f32 v7, v5, v7, 0xbd9e233f
	v_rcp_f32_e32 v6, v6
	v_mul_f32_e32 v7, v5, v7
	v_mul_f32_e32 v6, v7, v6
	v_fmac_f32_e32 v6, -0.5, v5
	v_add_f32_e32 v4, v4, v6
.LBB154_352:
	s_or_b32 exec_lo, exec_lo, s40
                                        ; implicit-def: $vgpr5
.LBB154_353:
	s_andn2_saveexec_b32 s39, s39
	s_cbranch_execz .LBB154_355
; %bb.354:
	v_mul_f32_e32 v6, v5, v5
	s_mov_b32 s40, 0xb9a3f927
	s_mov_b32 s42, 0x39afe9f7
	v_mul_f32_e32 v7, v5, v6
	v_fmaak_f32 v9, s40, v7, 0x3a66f867
	v_fmaak_f32 v10, s42, v7, 0xba0d3085
	s_mov_b32 s40, 0x39a57b6b
	v_fmaak_f32 v11, s40, v7, 0xbab7f476
	v_fmaak_f32 v9, v7, v9, 0xbb7177fe
	;; [unrolled: 1-line block ×9, first 2 shown]
	v_fmac_f32_e32 v9, v5, v10
	v_fmaak_f32 v5, v7, v11, 0x3ef7b95e
	v_fma_f32 v7, v7, -v9, 0xa2863e55
	v_fma_f32 v5, v6, v5, -v7
	v_add_f32_e32 v5, 0xbdf8cdce, v5
	v_add_f32_e32 v4, v4, v5
.LBB154_355:
	s_or_b32 exec_lo, exec_lo, s39
                                        ; implicit-def: $vgpr6
                                        ; implicit-def: $vgpr5
.LBB154_356:
	s_andn2_saveexec_b32 s0, s0
	s_cbranch_execz .LBB154_360
; %bb.357:
	s_mov_b32 s39, exec_lo
	v_cmpx_eq_u32_e32 0, v6
	s_cbranch_execz .LBB154_359
; %bb.358:
	v_mul_f32_e32 v6, v5, v5
	s_mov_b32 s40, 0x383c2c75
	v_fmaak_f32 v7, s40, v6, 0x38e28445
	s_mov_b32 s40, 0x37d383a2
	v_fmaak_f32 v9, s40, v6, 0x39679767
	v_fmaak_f32 v7, v6, v7, 0x3a05b634
	;; [unrolled: 1-line block ×9, first 2 shown]
	v_mul_f32_e32 v6, v6, v7
	v_fmac_f32_e32 v6, v5, v9
	v_fmac_f32_e32 v6, -0.5, v5
	v_add_f32_e32 v4, v4, v6
.LBB154_359:
	s_or_b32 exec_lo, exec_lo, s39
.LBB154_360:
	s_or_b32 exec_lo, exec_lo, s0
.LBB154_361:
	s_or_b32 exec_lo, exec_lo, s23
.LBB154_362:
	s_andn2_saveexec_b32 s0, s1
	s_cbranch_execz .LBB154_364
; %bb.363:
	v_cmp_gt_f32_e64 s1, 0x800000, |v1|
	s_mov_b32 s23, 0x3e8a8991
	v_fma_f32 v7, |v1|, s23, 0xbecd26ab
	v_cndmask_b32_e64 v4, 0, 32, s1
	v_ldexp_f32 v4, |v1|, v4
	v_log_f32_e32 v4, v4
	v_mul_f32_e32 v5, 0x3f317217, v4
	v_cmp_gt_f32_e64 vcc_lo, 0x7f800000, |v4|
	v_fma_f32 v6, 0x3f317217, v4, -v5
	v_fmamk_f32 v6, v4, 0x3377d1cf, v6
	v_add_f32_e32 v5, v5, v6
	v_fma_f32 v6, |v1|, v7, 0x3f528d33
	v_cndmask_b32_e32 v4, v4, v5, vcc_lo
	v_cndmask_b32_e64 v5, 0, 0x41b17218, s1
	v_fma_f32 v6, |v1|, v6, 0xbf13c468
	v_sub_f32_e32 v4, v4, v5
	v_fma_f32 v4, |v1|, v6, -v4
.LBB154_364:
	s_or_b32 exec_lo, exec_lo, s0
	v_cmp_le_f16_e32 vcc_lo, 0, v3
	s_mov_b32 s1, exec_lo
	v_cmpx_nle_f16_e32 0, v3
	s_xor_b32 s23, exec_lo, s1
	s_cbranch_execz .LBB154_368
; %bb.365:
	v_cmp_gt_f32_e64 s0, 0x4b000000, |v1|
	v_cmp_lt_f32_e64 s1, 0x35000000, |v1|
	s_and_b32 s0, s0, s1
	s_and_saveexec_b32 s39, s0
	s_cbranch_execz .LBB154_367
; %bb.366:
	v_mul_f32_e64 v5, |v1|, 0.5
	s_mov_b32 s1, 0x3d4be544
	v_xor_b32_e32 v2, v2, v1
	v_floor_f32_e32 v6, v5
	v_cmp_neq_f32_e64 s0, 0x7f800000, v5
	v_sub_f32_e32 v6, v5, v6
	v_min_f32_e32 v6, 0x3f7fffff, v6
	v_add_f32_e32 v6, v6, v6
	v_cndmask_b32_e64 v5, 0, v6, s0
	v_cmp_gt_f32_e64 s0, |v1|, 1.0
	v_cndmask_b32_e64 v5, |v1|, v5, s0
	s_mov_b32 s0, 0x3e75aa41
	v_add_f32_e32 v6, v5, v5
	v_rndne_f32_e32 v6, v6
	v_fmac_f32_e32 v5, -0.5, v6
	v_cvt_i32_f32_e32 v6, v6
	v_mul_f32_e32 v7, v5, v5
	v_fmaak_f32 v9, s0, v7, 0xbf1f24be
	v_fmaak_f32 v10, s1, v7, 0x3e642e9d
	v_mul_f32_e32 v11, v5, v7
	v_fmaak_f32 v9, v7, v9, 0x40234736
	v_fmaak_f32 v10, v7, v10, 0xbfaad1da
	;; [unrolled: 1-line block ×4, first 2 shown]
	v_mul_f32_e32 v9, v11, v9
	v_fmaak_f32 v10, v7, v10, 0xc09de9e6
	v_and_b32_e32 v11, 1, v6
	v_lshlrev_b32_e32 v6, 30, v6
	v_fmamk_f32 v5, v5, 0x40490fdb, v9
	v_fma_f32 v7, v7, v10, 1.0
	v_cmp_eq_u32_e64 s0, 0, v11
	v_and_b32_e32 v6, 0x80000000, v6
	v_cndmask_b32_e64 v5, v7, v5, s0
	v_xor3_b32 v2, v2, v6, v5
	v_mul_f32_e32 v2, v1, v2
	v_frexp_mant_f32_e64 v5, |v2|
	v_frexp_exp_i32_f32_e32 v2, v2
	v_rcp_f32_e32 v5, v5
	v_sub_nc_u32_e32 v2, 2, v2
	v_mul_f32_e32 v5, 0x3f490fdb, v5
	v_ldexp_f32 v2, v5, v2
	v_cmp_gt_f32_e64 s0, 0x800000, v2
	v_cndmask_b32_e64 v5, 0, 32, s0
	v_ldexp_f32 v2, v2, v5
	v_log_f32_e32 v2, v2
	v_mul_f32_e32 v5, 0x3f317217, v2
	v_cmp_gt_f32_e64 s1, 0x7f800000, |v2|
	v_fma_f32 v6, 0x3f317217, v2, -v5
	v_fmamk_f32 v6, v2, 0x3377d1cf, v6
	v_add_f32_e32 v5, v5, v6
	v_floor_f32_e32 v6, v1
	v_cndmask_b32_e64 v2, v2, v5, s1
	v_cndmask_b32_e64 v5, 0, 0x41b17218, s0
	v_sub_f32_e32 v6, v1, v6
	v_sub_f32_e32 v2, v2, v5
	v_min_f32_e32 v5, 0x3f7fffff, v6
	v_sub_f32_e32 v2, v2, v4
	v_cmp_neq_f32_e64 s0, 0, v5
	v_cndmask_b32_e64 v4, 0x7f800000, v2, s0
.LBB154_367:
	s_or_b32 exec_lo, exec_lo, s39
.LBB154_368:
	s_andn2_saveexec_b32 s23, s23
; %bb.369:
	v_cmp_eq_f16_e64 s0, 1.0, v3
	v_cmp_eq_f16_e64 s1, 2.0, v3
	s_or_b32 s0, s0, s1
	v_cndmask_b32_e64 v4, v4, 0, s0
; %bb.370:
	s_or_b32 exec_lo, exec_lo, s23
	v_cmp_gt_f32_e64 s0, 0x4b000000, |v1|
	v_cvt_f16_f32_e32 v2, v4
	s_and_b32 s1, s29, 0xff
	s_or_b32 vcc_lo, vcc_lo, s0
	v_cmp_class_f32_e64 s0, v1, 0x264
	v_cndmask_b32_e32 v2, 0x7c00, v2, vcc_lo
	v_cmp_u_f16_e32 vcc_lo, v3, v3
	s_cmp_lt_i32 s1, 11
	v_cndmask_b32_e64 v2, v2, 0x7c00, s0
	v_add_co_u32 v0, s0, s8, v0
	v_add_co_ci_u32_e64 v1, null, s9, 0, s0
	v_cndmask_b32_e32 v2, v2, v3, vcc_lo
	s_cbranch_scc1 .LBB154_378
; %bb.371:
	s_and_b32 s23, 0xffff, s1
	s_cmp_gt_i32 s23, 25
	s_cbranch_scc0 .LBB154_380
; %bb.372:
	s_cmp_gt_i32 s23, 28
	s_cbranch_scc0 .LBB154_382
; %bb.373:
	;; [unrolled: 3-line block ×4, first 2 shown]
	s_mov_b32 s40, 0
	s_mov_b32 s0, -1
	s_cmp_eq_u32 s23, 46
	s_mov_b32 s39, 0
	s_cbranch_scc0 .LBB154_395
; %bb.376:
	v_cvt_f32_f16_e32 v3, v2
	v_cmp_o_f16_e32 vcc_lo, v2, v2
	s_mov_b32 s39, -1
	s_mov_b32 s0, 0
	v_bfe_u32 v4, v3, 16, 1
	v_add3_u32 v3, v3, v4, 0x7fff
	v_mov_b32_e32 v4, 0x7fc0
	v_cndmask_b32_sdwa v3, v4, v3, vcc_lo dst_sel:DWORD dst_unused:UNUSED_PAD src0_sel:DWORD src1_sel:WORD_1
	global_store_dword v[0:1], v3, off
	s_branch .LBB154_395
.LBB154_377:
	s_mov_b32 s23, -1
	s_mov_b32 s1, 0
	s_mov_b32 s22, s37
                                        ; implicit-def: $vgpr3
	s_branch .LBB154_532
.LBB154_378:
	s_mov_b32 s23, -1
	s_mov_b32 s39, 0
	s_mov_b32 s0, s36
	s_branch .LBB154_464
.LBB154_379:
	s_mov_b32 s23, -1
	s_mov_b32 s1, 0
	s_mov_b32 s22, s37
                                        ; implicit-def: $vgpr3
	s_branch .LBB154_513
.LBB154_380:
	s_mov_b32 s40, -1
	s_mov_b32 s39, 0
	s_mov_b32 s0, s36
	s_branch .LBB154_422
.LBB154_381:
	s_mov_b32 s23, -1
	s_mov_b32 s1, 0
	s_mov_b32 s22, s37
                                        ; implicit-def: $vgpr3
	s_branch .LBB154_508
.LBB154_382:
	s_mov_b32 s40, -1
	s_mov_b32 s39, 0
	s_mov_b32 s0, s36
	s_branch .LBB154_405
.LBB154_383:
	s_andn2_saveexec_b32 s40, s40
	s_cbranch_execz .LBB154_106
.LBB154_384:
	v_add_f32_e64 v4, 0x46000000, |v3|
	s_andn2_b32 s37, s37, exec_lo
	v_and_b32_e32 v4, 0xff, v4
	v_cmp_ne_u32_e32 vcc_lo, 0, v4
	s_and_b32 s41, vcc_lo, exec_lo
	s_or_b32 s37, s37, s41
	s_or_b32 exec_lo, exec_lo, s40
	v_mov_b32_e32 v5, 0
	s_and_saveexec_b32 s40, s37
	s_cbranch_execnz .LBB154_107
	s_branch .LBB154_108
.LBB154_385:
	s_mov_b32 s23, -1
	s_mov_b32 s1, 0
	s_mov_b32 s22, s37
	s_branch .LBB154_390
.LBB154_386:
	s_mov_b32 s40, -1
	s_mov_b32 s39, 0
	s_mov_b32 s0, s36
	s_branch .LBB154_401
.LBB154_387:
	s_andn2_saveexec_b32 s40, s40
	s_cbranch_execz .LBB154_119
.LBB154_388:
	v_add_f32_e64 v4, 0x42800000, |v3|
	s_andn2_b32 s37, s37, exec_lo
	v_and_b32_e32 v4, 0xff, v4
	v_cmp_ne_u32_e32 vcc_lo, 0, v4
	s_and_b32 s41, vcc_lo, exec_lo
	s_or_b32 s37, s37, s41
	s_or_b32 exec_lo, exec_lo, s40
	v_mov_b32_e32 v5, 0
	s_and_saveexec_b32 s40, s37
	s_cbranch_execnz .LBB154_120
	s_branch .LBB154_121
.LBB154_389:
	s_mov_b32 s22, -1
	s_mov_b32 s1, 0
.LBB154_390:
                                        ; implicit-def: $vgpr3
.LBB154_391:
	s_and_b32 vcc_lo, exec_lo, s23
	s_cbranch_vccz .LBB154_507
; %bb.392:
	s_cmp_eq_u32 s0, 44
	s_cbranch_scc0 .LBB154_506
; %bb.393:
	global_load_ubyte v3, v[1:2], off
	s_mov_b32 s22, 0
	s_mov_b32 s1, -1
	s_waitcnt vmcnt(0)
	v_lshlrev_b32_e32 v4, 23, v3
	v_cmp_ne_u32_e32 vcc_lo, 0xff, v3
	v_cvt_f16_f32_e32 v4, v4
	v_cndmask_b32_e32 v4, 0x7e00, v4, vcc_lo
	v_cmp_ne_u32_e32 vcc_lo, 0, v3
	v_cndmask_b32_e32 v3, 0, v4, vcc_lo
	s_branch .LBB154_507
.LBB154_394:
	s_mov_b32 s40, -1
	s_mov_b32 s39, 0
	s_mov_b32 s0, s36
.LBB154_395:
	s_and_b32 vcc_lo, exec_lo, s40
	s_cbranch_vccz .LBB154_400
; %bb.396:
	s_cmp_eq_u32 s23, 44
	s_mov_b32 s0, -1
	s_cbranch_scc0 .LBB154_400
; %bb.397:
	v_cvt_f32_f16_e32 v3, v2
	v_mov_b32_e32 v4, 0xff
	s_mov_b32 s39, exec_lo
	v_bfe_u32 v5, v3, 23, 8
	v_cmpx_ne_u32_e32 0xff, v5
	s_cbranch_execz .LBB154_399
; %bb.398:
	v_and_b32_e32 v4, 0x400000, v3
	v_and_or_b32 v5, 0x3fffff, v3, v5
	v_lshrrev_b32_e32 v3, 23, v3
	v_cmp_ne_u32_e32 vcc_lo, 0, v4
	v_cmp_ne_u32_e64 s0, 0, v5
	s_and_b32 s0, vcc_lo, s0
	v_cndmask_b32_e64 v4, 0, 1, s0
	v_add_nc_u32_e32 v4, v3, v4
.LBB154_399:
	s_or_b32 exec_lo, exec_lo, s39
	s_mov_b32 s39, -1
	s_mov_b32 s0, 0
	global_store_byte v[0:1], v4, off
.LBB154_400:
	s_mov_b32 s40, 0
.LBB154_401:
	s_and_b32 vcc_lo, exec_lo, s40
	s_cbranch_vccz .LBB154_404
; %bb.402:
	s_cmp_eq_u32 s23, 29
	s_mov_b32 s0, -1
	s_cbranch_scc0 .LBB154_404
; %bb.403:
	v_cvt_f32_f16_e32 v3, v2
	v_mov_b32_e32 v4, 0
	s_mov_b32 s39, -1
	s_mov_b32 s0, 0
	s_mov_b32 s40, 0
	v_cvt_u32_f32_e32 v3, v3
	global_store_dwordx2 v[0:1], v[3:4], off
	s_branch .LBB154_405
.LBB154_404:
	s_mov_b32 s40, 0
.LBB154_405:
	s_and_b32 vcc_lo, exec_lo, s40
	s_cbranch_vccz .LBB154_421
; %bb.406:
	s_cmp_lt_i32 s23, 27
	s_mov_b32 s39, -1
	s_cbranch_scc1 .LBB154_412
; %bb.407:
	s_cmp_gt_i32 s23, 27
	s_cbranch_scc0 .LBB154_409
; %bb.408:
	v_cvt_f32_f16_e32 v3, v2
	s_mov_b32 s39, 0
	v_cvt_u32_f32_e32 v3, v3
	global_store_dword v[0:1], v3, off
.LBB154_409:
	s_andn2_b32 vcc_lo, exec_lo, s39
	s_cbranch_vccnz .LBB154_411
; %bb.410:
	v_cvt_u16_f16_e32 v3, v2
	global_store_short v[0:1], v3, off
.LBB154_411:
	s_mov_b32 s39, 0
.LBB154_412:
	s_andn2_b32 vcc_lo, exec_lo, s39
	s_cbranch_vccnz .LBB154_420
; %bb.413:
	v_cvt_f32_f16_e32 v3, v2
	v_mov_b32_e32 v5, 0x80
	s_mov_b32 s39, exec_lo
	v_and_b32_e32 v4, 0x7fffffff, v3
	v_cmpx_gt_u32_e32 0x43800000, v4
	s_cbranch_execz .LBB154_419
; %bb.414:
	v_cmp_lt_u32_e32 vcc_lo, 0x3bffffff, v4
	s_mov_b32 s40, 0
                                        ; implicit-def: $vgpr4
	s_and_saveexec_b32 s42, vcc_lo
	s_xor_b32 s42, exec_lo, s42
	s_cbranch_execz .LBB154_647
; %bb.415:
	v_bfe_u32 v4, v3, 20, 1
	s_mov_b32 s40, exec_lo
	v_add3_u32 v4, v3, v4, 0x487ffff
	v_lshrrev_b32_e32 v4, 20, v4
	s_andn2_saveexec_b32 s42, s42
	s_cbranch_execnz .LBB154_648
.LBB154_416:
	s_or_b32 exec_lo, exec_lo, s42
	v_mov_b32_e32 v5, 0
	s_and_saveexec_b32 s42, s40
.LBB154_417:
	v_lshrrev_b32_e32 v3, 24, v3
	v_and_or_b32 v5, 0x80, v3, v4
.LBB154_418:
	s_or_b32 exec_lo, exec_lo, s42
.LBB154_419:
	s_or_b32 exec_lo, exec_lo, s39
	global_store_byte v[0:1], v5, off
.LBB154_420:
	s_mov_b32 s39, -1
.LBB154_421:
	s_mov_b32 s40, 0
.LBB154_422:
	s_and_b32 vcc_lo, exec_lo, s40
	s_cbranch_vccz .LBB154_463
; %bb.423:
	s_cmp_gt_i32 s23, 22
	s_mov_b32 s40, -1
	s_cbranch_scc0 .LBB154_455
; %bb.424:
	s_cmp_lt_i32 s23, 24
	s_mov_b32 s39, -1
	s_cbranch_scc1 .LBB154_444
; %bb.425:
	s_cmp_gt_i32 s23, 24
	s_cbranch_scc0 .LBB154_433
; %bb.426:
	v_cvt_f32_f16_e32 v3, v2
	v_mov_b32_e32 v5, 0x80
	s_mov_b32 s39, exec_lo
	v_and_b32_e32 v4, 0x7fffffff, v3
	v_cmpx_gt_u32_e32 0x47800000, v4
	s_cbranch_execz .LBB154_432
; %bb.427:
	v_cmp_lt_u32_e32 vcc_lo, 0x37ffffff, v4
	s_mov_b32 s40, 0
                                        ; implicit-def: $vgpr4
	s_and_saveexec_b32 s42, vcc_lo
	s_xor_b32 s42, exec_lo, s42
	s_cbranch_execz .LBB154_650
; %bb.428:
	v_bfe_u32 v4, v3, 21, 1
	s_mov_b32 s40, exec_lo
	v_add3_u32 v4, v3, v4, 0x88fffff
	v_lshrrev_b32_e32 v4, 21, v4
	s_andn2_saveexec_b32 s42, s42
	s_cbranch_execnz .LBB154_651
.LBB154_429:
	s_or_b32 exec_lo, exec_lo, s42
	v_mov_b32_e32 v5, 0
	s_and_saveexec_b32 s42, s40
.LBB154_430:
	v_lshrrev_b32_e32 v3, 24, v3
	v_and_or_b32 v5, 0x80, v3, v4
.LBB154_431:
	s_or_b32 exec_lo, exec_lo, s42
.LBB154_432:
	s_or_b32 exec_lo, exec_lo, s39
	s_mov_b32 s39, 0
	global_store_byte v[0:1], v5, off
.LBB154_433:
	s_and_b32 vcc_lo, exec_lo, s39
	s_cbranch_vccz .LBB154_443
; %bb.434:
	v_cvt_f32_f16_e32 v3, v2
	s_mov_b32 s39, exec_lo
                                        ; implicit-def: $vgpr4
	v_and_b32_e32 v5, 0x7fffffff, v3
	v_cmpx_gt_u32_e32 0x43f00000, v5
	s_xor_b32 s39, exec_lo, s39
	s_cbranch_execz .LBB154_440
; %bb.435:
	s_mov_b32 s40, exec_lo
                                        ; implicit-def: $vgpr4
	v_cmpx_lt_u32_e32 0x3c7fffff, v5
	s_xor_b32 s40, exec_lo, s40
; %bb.436:
	v_bfe_u32 v4, v3, 20, 1
	v_add3_u32 v4, v3, v4, 0x407ffff
	v_and_b32_e32 v5, 0xff00000, v4
	v_lshrrev_b32_e32 v4, 20, v4
	v_cmp_ne_u32_e32 vcc_lo, 0x7f00000, v5
	v_cndmask_b32_e32 v4, 0x7e, v4, vcc_lo
; %bb.437:
	s_andn2_saveexec_b32 s40, s40
; %bb.438:
	v_add_f32_e64 v4, 0x46800000, |v3|
; %bb.439:
	s_or_b32 exec_lo, exec_lo, s40
                                        ; implicit-def: $vgpr5
.LBB154_440:
	s_andn2_saveexec_b32 s39, s39
; %bb.441:
	v_mov_b32_e32 v4, 0x7f
	v_cmp_lt_u32_e32 vcc_lo, 0x7f800000, v5
	v_cndmask_b32_e32 v4, 0x7e, v4, vcc_lo
; %bb.442:
	s_or_b32 exec_lo, exec_lo, s39
	v_lshrrev_b32_e32 v3, 24, v3
	v_and_or_b32 v3, 0x80, v3, v4
	global_store_byte v[0:1], v3, off
.LBB154_443:
	s_mov_b32 s39, 0
.LBB154_444:
	s_andn2_b32 vcc_lo, exec_lo, s39
	s_cbranch_vccnz .LBB154_454
; %bb.445:
	v_cvt_f32_f16_e32 v3, v2
	s_mov_b32 s39, exec_lo
                                        ; implicit-def: $vgpr4
	v_and_b32_e32 v5, 0x7fffffff, v3
	v_cmpx_gt_u32_e32 0x47800000, v5
	s_xor_b32 s39, exec_lo, s39
	s_cbranch_execz .LBB154_451
; %bb.446:
	s_mov_b32 s40, exec_lo
                                        ; implicit-def: $vgpr4
	v_cmpx_lt_u32_e32 0x387fffff, v5
	s_xor_b32 s40, exec_lo, s40
; %bb.447:
	v_bfe_u32 v4, v3, 21, 1
	v_add3_u32 v4, v3, v4, 0x80fffff
	v_lshrrev_b32_e32 v4, 21, v4
; %bb.448:
	s_andn2_saveexec_b32 s40, s40
; %bb.449:
	v_add_f32_e64 v4, 0x43000000, |v3|
; %bb.450:
	s_or_b32 exec_lo, exec_lo, s40
                                        ; implicit-def: $vgpr5
.LBB154_451:
	s_andn2_saveexec_b32 s39, s39
; %bb.452:
	v_mov_b32_e32 v4, 0x7f
	v_cmp_lt_u32_e32 vcc_lo, 0x7f800000, v5
	v_cndmask_b32_e32 v4, 0x7c, v4, vcc_lo
; %bb.453:
	s_or_b32 exec_lo, exec_lo, s39
	v_lshrrev_b32_e32 v3, 24, v3
	v_and_or_b32 v3, 0x80, v3, v4
	global_store_byte v[0:1], v3, off
.LBB154_454:
	s_mov_b32 s40, 0
	s_mov_b32 s39, -1
.LBB154_455:
	s_andn2_b32 vcc_lo, exec_lo, s40
	s_cbranch_vccnz .LBB154_463
; %bb.456:
	s_cmp_gt_i32 s23, 14
	s_mov_b32 s40, -1
	s_cbranch_scc0 .LBB154_460
; %bb.457:
	s_cmp_eq_u32 s23, 15
	s_mov_b32 s0, -1
	s_cbranch_scc0 .LBB154_459
; %bb.458:
	v_cvt_f32_f16_e32 v3, v2
	v_cmp_o_f16_e32 vcc_lo, v2, v2
	s_mov_b32 s39, -1
	s_mov_b32 s0, 0
	v_bfe_u32 v4, v3, 16, 1
	v_add3_u32 v3, v3, v4, 0x7fff
	v_mov_b32_e32 v4, 0x7fc0
	v_cndmask_b32_sdwa v3, v4, v3, vcc_lo dst_sel:DWORD dst_unused:UNUSED_PAD src0_sel:DWORD src1_sel:WORD_1
	global_store_short v[0:1], v3, off
.LBB154_459:
	s_mov_b32 s40, 0
.LBB154_460:
	s_and_b32 vcc_lo, exec_lo, s40
	s_cbranch_vccz .LBB154_463
; %bb.461:
	s_cmp_eq_u32 s23, 11
	s_mov_b32 s0, -1
	s_cbranch_scc0 .LBB154_463
; %bb.462:
	v_cmp_neq_f16_e32 vcc_lo, 0, v2
	s_mov_b32 s0, 0
	s_mov_b32 s39, -1
	v_cndmask_b32_e64 v3, 0, 1, vcc_lo
	global_store_byte v[0:1], v3, off
.LBB154_463:
	s_mov_b32 s23, 0
.LBB154_464:
	s_and_b32 vcc_lo, exec_lo, s23
	s_cbranch_vccz .LBB154_503
; %bb.465:
	s_and_b32 s1, 0xffff, s1
	s_mov_b32 s23, -1
	s_cmp_lt_i32 s1, 5
	s_cbranch_scc1 .LBB154_486
; %bb.466:
	s_cmp_lt_i32 s1, 8
	s_cbranch_scc1 .LBB154_476
; %bb.467:
	;; [unrolled: 3-line block ×3, first 2 shown]
	s_cmp_gt_i32 s1, 9
	s_cbranch_scc0 .LBB154_470
; %bb.469:
	v_cvt_f32_f16_e32 v3, v2
	v_mov_b32_e32 v5, 0
	s_mov_b32 s23, 0
	v_cvt_f64_f32_e32 v[3:4], v3
	v_mov_b32_e32 v6, v5
	global_store_dwordx4 v[0:1], v[3:6], off
.LBB154_470:
	s_andn2_b32 vcc_lo, exec_lo, s23
	s_cbranch_vccnz .LBB154_472
; %bb.471:
	v_cvt_f32_f16_e32 v3, v2
	v_mov_b32_e32 v4, 0
	global_store_dwordx2 v[0:1], v[3:4], off
.LBB154_472:
	s_mov_b32 s23, 0
.LBB154_473:
	s_andn2_b32 vcc_lo, exec_lo, s23
	s_cbranch_vccnz .LBB154_475
; %bb.474:
	v_and_b32_e32 v3, 0xffff, v2
	global_store_dword v[0:1], v3, off
.LBB154_475:
	s_mov_b32 s23, 0
.LBB154_476:
	s_andn2_b32 vcc_lo, exec_lo, s23
	s_cbranch_vccnz .LBB154_485
; %bb.477:
	s_cmp_lt_i32 s1, 6
	s_mov_b32 s23, -1
	s_cbranch_scc1 .LBB154_483
; %bb.478:
	s_cmp_gt_i32 s1, 6
	s_cbranch_scc0 .LBB154_480
; %bb.479:
	v_cvt_f32_f16_e32 v3, v2
	s_mov_b32 s23, 0
	v_cvt_f64_f32_e32 v[3:4], v3
	global_store_dwordx2 v[0:1], v[3:4], off
.LBB154_480:
	s_andn2_b32 vcc_lo, exec_lo, s23
	s_cbranch_vccnz .LBB154_482
; %bb.481:
	v_cvt_f32_f16_e32 v3, v2
	global_store_dword v[0:1], v3, off
.LBB154_482:
	s_mov_b32 s23, 0
.LBB154_483:
	s_andn2_b32 vcc_lo, exec_lo, s23
	s_cbranch_vccnz .LBB154_485
; %bb.484:
	global_store_short v[0:1], v2, off
.LBB154_485:
	s_mov_b32 s23, 0
.LBB154_486:
	s_andn2_b32 vcc_lo, exec_lo, s23
	s_cbranch_vccnz .LBB154_502
; %bb.487:
	s_cmp_lt_i32 s1, 2
	s_mov_b32 s23, -1
	s_cbranch_scc1 .LBB154_497
; %bb.488:
	s_cmp_lt_i32 s1, 3
	s_cbranch_scc1 .LBB154_494
; %bb.489:
	s_cmp_gt_i32 s1, 3
	s_cbranch_scc0 .LBB154_491
; %bb.490:
	v_cvt_f32_f16_e32 v3, v2
	s_mov_b32 s23, 0
	v_cvt_i32_f32_e32 v3, v3
	v_ashrrev_i32_e32 v4, 31, v3
	global_store_dwordx2 v[0:1], v[3:4], off
.LBB154_491:
	s_andn2_b32 vcc_lo, exec_lo, s23
	s_cbranch_vccnz .LBB154_493
; %bb.492:
	v_cvt_f32_f16_e32 v3, v2
	v_cvt_i32_f32_e32 v3, v3
	global_store_dword v[0:1], v3, off
.LBB154_493:
	s_mov_b32 s23, 0
.LBB154_494:
	s_andn2_b32 vcc_lo, exec_lo, s23
	s_cbranch_vccnz .LBB154_496
; %bb.495:
	v_cvt_i16_f16_e32 v3, v2
	global_store_short v[0:1], v3, off
.LBB154_496:
	s_mov_b32 s23, 0
.LBB154_497:
	s_andn2_b32 vcc_lo, exec_lo, s23
	s_cbranch_vccnz .LBB154_502
; %bb.498:
	s_cmp_gt_i32 s1, 0
	s_mov_b32 s1, -1
	s_cbranch_scc0 .LBB154_500
; %bb.499:
	v_cvt_i16_f16_e32 v3, v2
	s_mov_b32 s1, 0
	global_store_byte v[0:1], v3, off
.LBB154_500:
	s_andn2_b32 vcc_lo, exec_lo, s1
	s_cbranch_vccnz .LBB154_502
; %bb.501:
	v_cvt_f32_f16_e32 v2, v2
	v_cvt_i32_f32_e32 v2, v2
	global_store_byte v[0:1], v2, off
.LBB154_502:
	s_mov_b32 s39, -1
.LBB154_503:
	s_andn2_b32 vcc_lo, exec_lo, s39
	s_cbranch_vccnz .LBB154_505
; %bb.504:
	v_add_nc_u32_e32 v8, 0x80, v8
	s_mov_b32 s1, -1
	s_branch .LBB154_618
.LBB154_505:
	s_mov_b32 s1, 0
	s_branch .LBB154_617
.LBB154_506:
	s_mov_b32 s22, -1
                                        ; implicit-def: $vgpr3
.LBB154_507:
	s_mov_b32 s23, 0
.LBB154_508:
	s_and_b32 vcc_lo, exec_lo, s23
	s_cbranch_vccz .LBB154_512
; %bb.509:
	s_cmp_eq_u32 s0, 29
	s_cbranch_scc0 .LBB154_511
; %bb.510:
	global_load_dwordx2 v[3:4], v[1:2], off
	s_mov_b32 s1, -1
	s_mov_b32 s22, 0
	s_mov_b32 s23, 0
	s_waitcnt vmcnt(0)
	v_ffbh_u32_e32 v5, v4
	v_min_u32_e32 v5, 32, v5
	v_lshlrev_b64 v[3:4], v5, v[3:4]
	v_min_u32_e32 v3, 1, v3
	v_or_b32_e32 v3, v4, v3
	v_sub_nc_u32_e32 v4, 32, v5
	v_cvt_f32_u32_e32 v3, v3
	v_ldexp_f32 v3, v3, v4
	v_cvt_f16_f32_e32 v3, v3
	s_branch .LBB154_513
.LBB154_511:
	s_mov_b32 s22, -1
                                        ; implicit-def: $vgpr3
.LBB154_512:
	s_mov_b32 s23, 0
.LBB154_513:
	s_and_b32 vcc_lo, exec_lo, s23
	s_cbranch_vccz .LBB154_531
; %bb.514:
	s_cmp_lt_i32 s0, 27
	s_cbranch_scc1 .LBB154_517
; %bb.515:
	s_cmp_gt_i32 s0, 27
	s_cbranch_scc0 .LBB154_518
; %bb.516:
	global_load_dword v3, v[1:2], off
	s_mov_b32 s1, 0
	s_waitcnt vmcnt(0)
	v_cvt_f32_u32_e32 v3, v3
	v_cvt_f16_f32_e32 v3, v3
	s_branch .LBB154_519
.LBB154_517:
	s_mov_b32 s1, -1
                                        ; implicit-def: $vgpr3
	s_branch .LBB154_522
.LBB154_518:
	s_mov_b32 s1, -1
                                        ; implicit-def: $vgpr3
.LBB154_519:
	s_andn2_b32 vcc_lo, exec_lo, s1
	s_cbranch_vccnz .LBB154_521
; %bb.520:
	global_load_ushort v3, v[1:2], off
	s_waitcnt vmcnt(0)
	v_cvt_f16_u16_e32 v3, v3
.LBB154_521:
	s_mov_b32 s1, 0
.LBB154_522:
	s_andn2_b32 vcc_lo, exec_lo, s1
	s_cbranch_vccnz .LBB154_530
; %bb.523:
	global_load_ubyte v4, v[1:2], off
	s_mov_b32 s1, 0
	s_mov_b32 s23, exec_lo
	s_waitcnt vmcnt(0)
	v_cmpx_lt_i16_e32 0x7f, v4
	s_xor_b32 s23, exec_lo, s23
	s_cbranch_execz .LBB154_544
; %bb.524:
	s_mov_b32 s1, -1
	s_mov_b32 s39, exec_lo
	v_cmpx_eq_u16_e32 0x80, v4
; %bb.525:
	s_xor_b32 s1, exec_lo, -1
; %bb.526:
	s_or_b32 exec_lo, exec_lo, s39
	s_and_b32 s1, s1, exec_lo
	s_or_saveexec_b32 s23, s23
	v_mov_b32_e32 v3, 0x7e00
	s_xor_b32 exec_lo, exec_lo, s23
	s_cbranch_execnz .LBB154_545
.LBB154_527:
	s_or_b32 exec_lo, exec_lo, s23
	s_and_saveexec_b32 s23, s1
	s_cbranch_execz .LBB154_529
.LBB154_528:
	v_and_b32_e32 v3, 0xffff, v4
	v_lshlrev_b32_e32 v4, 24, v4
	v_and_b32_e32 v5, 7, v3
	v_bfe_u32 v9, v3, 3, 4
	v_and_b32_e32 v4, 0x80000000, v4
	v_ffbh_u32_e32 v6, v5
	v_cmp_eq_u32_e32 vcc_lo, 0, v9
	v_min_u32_e32 v6, 32, v6
	v_subrev_nc_u32_e32 v7, 28, v6
	v_sub_nc_u32_e32 v6, 29, v6
	v_lshlrev_b32_e32 v3, v7, v3
	v_cndmask_b32_e32 v6, v9, v6, vcc_lo
	v_and_b32_e32 v3, 7, v3
	v_cndmask_b32_e32 v3, v5, v3, vcc_lo
	v_lshl_add_u32 v5, v6, 23, 0x3b800000
	v_lshlrev_b32_e32 v3, 20, v3
	v_or3_b32 v3, v4, v5, v3
	v_cvt_f16_f32_e32 v3, v3
.LBB154_529:
	s_or_b32 exec_lo, exec_lo, s23
.LBB154_530:
	s_mov_b32 s1, -1
.LBB154_531:
	s_mov_b32 s23, 0
.LBB154_532:
	s_and_b32 vcc_lo, exec_lo, s23
	s_cbranch_vccz .LBB154_567
; %bb.533:
	s_cmp_gt_i32 s0, 22
	s_cbranch_scc0 .LBB154_543
; %bb.534:
	s_cmp_lt_i32 s0, 24
	s_cbranch_scc1 .LBB154_546
; %bb.535:
	s_cmp_gt_i32 s0, 24
	s_cbranch_scc0 .LBB154_547
; %bb.536:
	global_load_ubyte v4, v[1:2], off
	s_mov_b32 s1, 0
	s_mov_b32 s23, exec_lo
	s_waitcnt vmcnt(0)
	v_cmpx_lt_i16_e32 0x7f, v4
	s_xor_b32 s23, exec_lo, s23
	s_cbranch_execz .LBB154_559
; %bb.537:
	s_mov_b32 s1, -1
	s_mov_b32 s39, exec_lo
	v_cmpx_eq_u16_e32 0x80, v4
; %bb.538:
	s_xor_b32 s1, exec_lo, -1
; %bb.539:
	s_or_b32 exec_lo, exec_lo, s39
	s_and_b32 s1, s1, exec_lo
	s_or_saveexec_b32 s23, s23
	v_mov_b32_e32 v3, 0x7e00
	s_xor_b32 exec_lo, exec_lo, s23
	s_cbranch_execnz .LBB154_560
.LBB154_540:
	s_or_b32 exec_lo, exec_lo, s23
	s_and_saveexec_b32 s23, s1
	s_cbranch_execz .LBB154_542
.LBB154_541:
	v_and_b32_e32 v3, 0xffff, v4
	v_lshlrev_b32_e32 v4, 24, v4
	v_and_b32_e32 v5, 3, v3
	v_bfe_u32 v9, v3, 2, 5
	v_and_b32_e32 v4, 0x80000000, v4
	v_ffbh_u32_e32 v6, v5
	v_cmp_eq_u32_e32 vcc_lo, 0, v9
	v_min_u32_e32 v6, 32, v6
	v_subrev_nc_u32_e32 v7, 29, v6
	v_sub_nc_u32_e32 v6, 30, v6
	v_lshlrev_b32_e32 v3, v7, v3
	v_cndmask_b32_e32 v6, v9, v6, vcc_lo
	v_and_b32_e32 v3, 3, v3
	v_cndmask_b32_e32 v3, v5, v3, vcc_lo
	v_lshl_add_u32 v5, v6, 23, 0x37800000
	v_lshlrev_b32_e32 v3, 21, v3
	v_or3_b32 v3, v4, v5, v3
	v_cvt_f16_f32_e32 v3, v3
.LBB154_542:
	s_or_b32 exec_lo, exec_lo, s23
	s_mov_b32 s1, 0
	s_branch .LBB154_548
.LBB154_543:
	s_mov_b32 s23, -1
                                        ; implicit-def: $vgpr3
	s_branch .LBB154_554
.LBB154_544:
	s_or_saveexec_b32 s23, s23
	v_mov_b32_e32 v3, 0x7e00
	s_xor_b32 exec_lo, exec_lo, s23
	s_cbranch_execz .LBB154_527
.LBB154_545:
	v_cmp_ne_u16_e32 vcc_lo, 0, v4
	v_mov_b32_e32 v3, v4
	s_andn2_b32 s1, s1, exec_lo
	s_and_b32 s39, vcc_lo, exec_lo
	s_or_b32 s1, s1, s39
	s_or_b32 exec_lo, exec_lo, s23
	s_and_saveexec_b32 s23, s1
	s_cbranch_execnz .LBB154_528
	s_branch .LBB154_529
.LBB154_546:
	s_mov_b32 s1, -1
                                        ; implicit-def: $vgpr3
	s_branch .LBB154_551
.LBB154_547:
	s_mov_b32 s1, -1
                                        ; implicit-def: $vgpr3
.LBB154_548:
	s_and_b32 vcc_lo, exec_lo, s1
	s_cbranch_vccz .LBB154_550
; %bb.549:
	global_load_ubyte v3, v[1:2], off
	s_waitcnt vmcnt(0)
	v_lshlrev_b32_e32 v3, 24, v3
	v_and_b32_e32 v4, 0x7f000000, v3
	v_ffbh_u32_e32 v5, v4
	v_add_nc_u32_e32 v7, 0x1000000, v4
	v_cmp_ne_u32_e32 vcc_lo, 0, v4
	v_min_u32_e32 v5, 32, v5
	v_sub_nc_u32_e64 v5, v5, 4 clamp
	v_lshlrev_b32_e32 v6, v5, v4
	v_lshlrev_b32_e32 v5, 23, v5
	v_lshrrev_b32_e32 v6, 4, v6
	v_sub_nc_u32_e32 v5, v6, v5
	v_ashrrev_i32_e32 v6, 8, v7
	v_add_nc_u32_e32 v5, 0x3c000000, v5
	v_and_or_b32 v5, 0x7f800000, v6, v5
	v_cndmask_b32_e32 v4, 0, v5, vcc_lo
	v_and_or_b32 v3, 0x80000000, v3, v4
	v_cvt_f16_f32_e32 v3, v3
.LBB154_550:
	s_mov_b32 s1, 0
.LBB154_551:
	s_andn2_b32 vcc_lo, exec_lo, s1
	s_cbranch_vccnz .LBB154_553
; %bb.552:
	global_load_ubyte v3, v[1:2], off
	s_waitcnt vmcnt(0)
	v_lshlrev_b32_e32 v4, 25, v3
	v_lshlrev_b16 v3, 8, v3
	v_lshrrev_b32_e32 v5, 4, v4
	v_and_or_b32 v6, 0x7f00, v3, 0.5
	v_cmp_gt_u32_e32 vcc_lo, 0x8000000, v4
	v_bfe_i32 v3, v3, 0, 16
	v_or_b32_e32 v5, 0x70000000, v5
	v_add_f32_e32 v6, -0.5, v6
	v_mul_f32_e32 v5, 0x7800000, v5
	v_cndmask_b32_e32 v4, v5, v6, vcc_lo
	v_and_or_b32 v3, 0x80000000, v3, v4
	v_cvt_f16_f32_e32 v3, v3
.LBB154_553:
	s_mov_b32 s23, 0
	s_mov_b32 s1, -1
.LBB154_554:
	s_andn2_b32 vcc_lo, exec_lo, s23
	s_cbranch_vccnz .LBB154_567
; %bb.555:
	s_cmp_gt_i32 s0, 14
	s_cbranch_scc0 .LBB154_558
; %bb.556:
	s_cmp_eq_u32 s0, 15
	s_cbranch_scc0 .LBB154_561
; %bb.557:
	global_load_ushort v3, v[1:2], off
	s_mov_b32 s1, -1
	s_mov_b32 s22, 0
	s_waitcnt vmcnt(0)
	v_lshlrev_b32_e32 v3, 16, v3
	v_cvt_f16_f32_e32 v3, v3
	s_branch .LBB154_562
.LBB154_558:
	s_mov_b32 s23, -1
                                        ; implicit-def: $vgpr3
	s_branch .LBB154_563
.LBB154_559:
	s_or_saveexec_b32 s23, s23
	v_mov_b32_e32 v3, 0x7e00
	s_xor_b32 exec_lo, exec_lo, s23
	s_cbranch_execz .LBB154_540
.LBB154_560:
	v_cmp_ne_u16_e32 vcc_lo, 0, v4
	v_mov_b32_e32 v3, v4
	s_andn2_b32 s1, s1, exec_lo
	s_and_b32 s39, vcc_lo, exec_lo
	s_or_b32 s1, s1, s39
	s_or_b32 exec_lo, exec_lo, s23
	s_and_saveexec_b32 s23, s1
	s_cbranch_execnz .LBB154_541
	s_branch .LBB154_542
.LBB154_561:
	s_mov_b32 s22, -1
                                        ; implicit-def: $vgpr3
.LBB154_562:
	s_mov_b32 s23, 0
.LBB154_563:
	s_and_b32 vcc_lo, exec_lo, s23
	s_cbranch_vccz .LBB154_567
; %bb.564:
	s_cmp_eq_u32 s0, 11
	s_cbranch_scc0 .LBB154_566
; %bb.565:
	global_load_ubyte v3, v[1:2], off
	s_mov_b32 s22, 0
	s_mov_b32 s1, -1
	s_waitcnt vmcnt(0)
	v_cmp_ne_u16_e32 vcc_lo, 0, v3
	v_cndmask_b32_e64 v3, 0, 0x3c00, vcc_lo
	s_branch .LBB154_567
.LBB154_566:
	s_mov_b32 s22, -1
                                        ; implicit-def: $vgpr3
.LBB154_567:
	s_branch .LBB154_331
.LBB154_568:
	s_cmp_lt_i32 s0, 5
	s_cbranch_scc1 .LBB154_573
; %bb.569:
	s_cmp_lt_i32 s0, 8
	s_cbranch_scc1 .LBB154_574
; %bb.570:
	;; [unrolled: 3-line block ×3, first 2 shown]
	s_cmp_gt_i32 s0, 9
	s_cbranch_scc0 .LBB154_576
; %bb.572:
	global_load_dwordx2 v[3:4], v[1:2], off
	s_mov_b32 s1, 0
	s_waitcnt vmcnt(0)
	v_and_or_b32 v3, 0x1ff, v4, v3
	v_lshrrev_b32_e32 v5, 8, v4
	v_bfe_u32 v6, v4, 20, 11
	v_lshrrev_b32_e32 v4, 16, v4
	v_cmp_ne_u32_e32 vcc_lo, 0, v3
	v_sub_nc_u32_e32 v7, 0x3f1, v6
	v_add_nc_u32_e32 v6, 0xfffffc10, v6
	v_cndmask_b32_e64 v3, 0, 1, vcc_lo
	v_and_or_b32 v3, 0xffe, v5, v3
	v_med3_i32 v5, v7, 0, 13
	v_or_b32_e32 v7, 0x1000, v3
	v_lshrrev_b32_e32 v9, v5, v7
	v_lshlrev_b32_e32 v5, v5, v9
	v_cmp_ne_u32_e32 vcc_lo, v5, v7
	v_lshl_or_b32 v7, v6, 12, v3
	v_cndmask_b32_e64 v5, 0, 1, vcc_lo
	v_cmp_gt_i32_e32 vcc_lo, 1, v6
	v_or_b32_e32 v5, v9, v5
	v_cndmask_b32_e32 v5, v7, v5, vcc_lo
	v_and_b32_e32 v7, 7, v5
	v_lshrrev_b32_e32 v5, 2, v5
	v_cmp_lt_i32_e32 vcc_lo, 5, v7
	v_cndmask_b32_e64 v9, 0, 1, vcc_lo
	v_cmp_eq_u32_e32 vcc_lo, 3, v7
	v_cndmask_b32_e64 v7, 0, 1, vcc_lo
	v_cmp_ne_u32_e32 vcc_lo, 0, v3
	v_or_b32_e32 v7, v7, v9
	v_mov_b32_e32 v9, 0x7e00
	v_add_nc_u32_e32 v5, v5, v7
	v_cndmask_b32_e32 v3, 0x7c00, v9, vcc_lo
	v_cmp_gt_i32_e32 vcc_lo, 31, v6
	v_cndmask_b32_e32 v5, 0x7c00, v5, vcc_lo
	v_cmp_eq_u32_e32 vcc_lo, 0x40f, v6
	v_cndmask_b32_e32 v3, v5, v3, vcc_lo
	v_and_or_b32 v3, 0x8000, v4, v3
	s_branch .LBB154_577
.LBB154_573:
	s_mov_b32 s1, -1
                                        ; implicit-def: $vgpr3
	s_branch .LBB154_595
.LBB154_574:
	s_mov_b32 s1, -1
                                        ; implicit-def: $vgpr3
	s_branch .LBB154_583
.LBB154_575:
	s_mov_b32 s1, -1
                                        ; implicit-def: $vgpr3
	s_branch .LBB154_580
.LBB154_576:
	s_mov_b32 s1, -1
                                        ; implicit-def: $vgpr3
.LBB154_577:
	s_andn2_b32 vcc_lo, exec_lo, s1
	s_cbranch_vccnz .LBB154_579
; %bb.578:
	global_load_dword v3, v[1:2], off
	s_waitcnt vmcnt(0)
	v_cvt_f16_f32_e32 v3, v3
.LBB154_579:
	s_mov_b32 s1, 0
.LBB154_580:
	s_andn2_b32 vcc_lo, exec_lo, s1
	s_cbranch_vccnz .LBB154_582
; %bb.581:
	global_load_dword v3, v[1:2], off
.LBB154_582:
	s_mov_b32 s1, 0
.LBB154_583:
	s_andn2_b32 vcc_lo, exec_lo, s1
	s_cbranch_vccnz .LBB154_594
; %bb.584:
	s_cmp_lt_i32 s0, 6
	s_cbranch_scc1 .LBB154_587
; %bb.585:
	s_cmp_gt_i32 s0, 6
	s_cbranch_scc0 .LBB154_588
; %bb.586:
	global_load_dwordx2 v[3:4], v[1:2], off
	s_mov_b32 s1, 0
	s_waitcnt vmcnt(0)
	v_and_or_b32 v3, 0x1ff, v4, v3
	v_lshrrev_b32_e32 v5, 8, v4
	v_bfe_u32 v6, v4, 20, 11
	v_lshrrev_b32_e32 v4, 16, v4
	v_cmp_ne_u32_e32 vcc_lo, 0, v3
	v_sub_nc_u32_e32 v7, 0x3f1, v6
	v_add_nc_u32_e32 v6, 0xfffffc10, v6
	v_cndmask_b32_e64 v3, 0, 1, vcc_lo
	v_and_or_b32 v3, 0xffe, v5, v3
	v_med3_i32 v5, v7, 0, 13
	v_or_b32_e32 v7, 0x1000, v3
	v_lshrrev_b32_e32 v9, v5, v7
	v_lshlrev_b32_e32 v5, v5, v9
	v_cmp_ne_u32_e32 vcc_lo, v5, v7
	v_lshl_or_b32 v7, v6, 12, v3
	v_cndmask_b32_e64 v5, 0, 1, vcc_lo
	v_cmp_gt_i32_e32 vcc_lo, 1, v6
	v_or_b32_e32 v5, v9, v5
	v_cndmask_b32_e32 v5, v7, v5, vcc_lo
	v_and_b32_e32 v7, 7, v5
	v_lshrrev_b32_e32 v5, 2, v5
	v_cmp_lt_i32_e32 vcc_lo, 5, v7
	v_cndmask_b32_e64 v9, 0, 1, vcc_lo
	v_cmp_eq_u32_e32 vcc_lo, 3, v7
	v_cndmask_b32_e64 v7, 0, 1, vcc_lo
	v_cmp_ne_u32_e32 vcc_lo, 0, v3
	v_or_b32_e32 v7, v7, v9
	v_mov_b32_e32 v9, 0x7e00
	v_add_nc_u32_e32 v5, v5, v7
	v_cndmask_b32_e32 v3, 0x7c00, v9, vcc_lo
	v_cmp_gt_i32_e32 vcc_lo, 31, v6
	v_cndmask_b32_e32 v5, 0x7c00, v5, vcc_lo
	v_cmp_eq_u32_e32 vcc_lo, 0x40f, v6
	v_cndmask_b32_e32 v3, v5, v3, vcc_lo
	v_and_or_b32 v3, 0x8000, v4, v3
	s_branch .LBB154_589
.LBB154_587:
	s_mov_b32 s1, -1
                                        ; implicit-def: $vgpr3
	s_branch .LBB154_592
.LBB154_588:
	s_mov_b32 s1, -1
                                        ; implicit-def: $vgpr3
.LBB154_589:
	s_andn2_b32 vcc_lo, exec_lo, s1
	s_cbranch_vccnz .LBB154_591
; %bb.590:
	global_load_dword v3, v[1:2], off
	s_waitcnt vmcnt(0)
	v_cvt_f16_f32_e32 v3, v3
.LBB154_591:
	s_mov_b32 s1, 0
.LBB154_592:
	s_andn2_b32 vcc_lo, exec_lo, s1
	s_cbranch_vccnz .LBB154_594
; %bb.593:
	global_load_ushort v3, v[1:2], off
.LBB154_594:
	s_mov_b32 s1, 0
.LBB154_595:
	s_andn2_b32 vcc_lo, exec_lo, s1
	s_cbranch_vccnz .LBB154_615
; %bb.596:
	s_cmp_lt_i32 s0, 2
	s_cbranch_scc1 .LBB154_600
; %bb.597:
	s_cmp_lt_i32 s0, 3
	s_cbranch_scc1 .LBB154_601
; %bb.598:
	s_cmp_gt_i32 s0, 3
	s_cbranch_scc0 .LBB154_602
; %bb.599:
	global_load_dwordx2 v[3:4], v[1:2], off
	s_mov_b32 s1, 0
	s_waitcnt vmcnt(0)
	v_xor_b32_e32 v5, v3, v4
	v_ffbh_i32_e32 v6, v4
	v_ashrrev_i32_e32 v5, 31, v5
	v_add_nc_u32_e32 v6, -1, v6
	v_add_nc_u32_e32 v5, 32, v5
	v_min_u32_e32 v5, v6, v5
	v_lshlrev_b64 v[3:4], v5, v[3:4]
	v_min_u32_e32 v3, 1, v3
	v_or_b32_e32 v3, v4, v3
	v_sub_nc_u32_e32 v4, 32, v5
	v_cvt_f32_i32_e32 v3, v3
	v_ldexp_f32 v3, v3, v4
	v_cvt_f16_f32_e32 v3, v3
	s_branch .LBB154_603
.LBB154_600:
	s_mov_b32 s1, -1
                                        ; implicit-def: $vgpr3
	s_branch .LBB154_609
.LBB154_601:
	s_mov_b32 s1, -1
                                        ; implicit-def: $vgpr3
	s_branch .LBB154_606
.LBB154_602:
	s_mov_b32 s1, -1
                                        ; implicit-def: $vgpr3
.LBB154_603:
	s_andn2_b32 vcc_lo, exec_lo, s1
	s_cbranch_vccnz .LBB154_605
; %bb.604:
	global_load_dword v3, v[1:2], off
	s_waitcnt vmcnt(0)
	v_cvt_f32_i32_e32 v3, v3
	v_cvt_f16_f32_e32 v3, v3
.LBB154_605:
	s_mov_b32 s1, 0
.LBB154_606:
	s_andn2_b32 vcc_lo, exec_lo, s1
	s_cbranch_vccnz .LBB154_608
; %bb.607:
	global_load_ushort v3, v[1:2], off
	s_waitcnt vmcnt(0)
	v_cvt_f16_i16_e32 v3, v3
.LBB154_608:
	s_mov_b32 s1, 0
.LBB154_609:
	s_andn2_b32 vcc_lo, exec_lo, s1
	s_cbranch_vccnz .LBB154_615
; %bb.610:
	s_cmp_gt_i32 s0, 0
	s_mov_b32 s0, 0
	s_cbranch_scc0 .LBB154_612
; %bb.611:
	global_load_sbyte v3, v[1:2], off
	s_waitcnt vmcnt(0)
	v_cvt_f16_i16_e32 v3, v3
	s_branch .LBB154_613
.LBB154_612:
	s_mov_b32 s0, -1
                                        ; implicit-def: $vgpr3
.LBB154_613:
	s_andn2_b32 vcc_lo, exec_lo, s0
	s_cbranch_vccnz .LBB154_615
; %bb.614:
	global_load_ubyte v1, v[1:2], off
	s_waitcnt vmcnt(0)
	v_cvt_f16_u16_e32 v3, v1
.LBB154_615:
	s_branch .LBB154_332
.LBB154_616:
	s_mov_b32 s1, 0
	s_mov_b32 s0, s36
.LBB154_617:
                                        ; implicit-def: $vgpr8
.LBB154_618:
	s_andn2_b32 s23, s36, exec_lo
	s_and_b32 s0, s0, exec_lo
	s_andn2_b32 s39, s37, exec_lo
	s_and_b32 s22, s22, exec_lo
	s_or_b32 s40, s23, s0
	s_or_b32 s39, s39, s22
	s_orn2_b32 s0, s1, exec_lo
.LBB154_619:
	s_or_b32 exec_lo, exec_lo, s41
	s_mov_b32 s1, 0
	s_mov_b32 s23, 0
	;; [unrolled: 1-line block ×3, first 2 shown]
                                        ; implicit-def: $vgpr1_vgpr2
                                        ; implicit-def: $vgpr0
                                        ; implicit-def: $vgpr3
	s_and_saveexec_b32 s41, s0
	s_cbranch_execz .LBB154_1034
; %bb.620:
	s_mov_b32 s44, -1
	s_mov_b32 s22, s39
	s_mov_b32 s23, s40
	s_mov_b32 s42, exec_lo
	v_cmpx_gt_i32_e64 s33, v8
	s_cbranch_execz .LBB154_933
; %bb.621:
	s_andn2_b32 vcc_lo, exec_lo, s27
	s_cbranch_vccnz .LBB154_626
; %bb.622:
	s_andn2_b32 vcc_lo, exec_lo, s34
	s_cbranch_vccnz .LBB154_627
; %bb.623:
	s_add_i32 s44, s35, 1
	s_cmp_eq_u32 s25, 2
	s_cbranch_scc1 .LBB154_628
; %bb.624:
	v_mov_b32_e32 v2, 0
	v_mov_b32_e32 v0, 0
	;; [unrolled: 1-line block ×3, first 2 shown]
	s_and_b32 s43, s44, 28
	s_mov_b32 s45, 0
	s_mov_b64 s[0:1], s[2:3]
	s_mov_b64 s[22:23], s[20:21]
.LBB154_625:                            ; =>This Inner Loop Header: Depth=1
	s_clause 0x1
	s_load_dwordx8 s[48:55], s[0:1], 0x4
	s_load_dwordx4 s[64:67], s[0:1], 0x24
	s_load_dwordx8 s[56:63], s[22:23], 0x0
	s_add_u32 s0, s0, 48
	s_addc_u32 s1, s1, 0
	s_add_i32 s45, s45, 4
	s_add_u32 s22, s22, 32
	s_addc_u32 s23, s23, 0
	s_cmp_eq_u32 s43, s45
	s_waitcnt vmcnt(0) lgkmcnt(0)
	v_mul_hi_u32 v3, s49, v1
	v_add_nc_u32_e32 v3, v1, v3
	v_lshrrev_b32_e32 v3, s50, v3
	v_mul_hi_u32 v4, s52, v3
	v_mul_lo_u32 v6, v3, s48
	v_add_nc_u32_e32 v4, v3, v4
	v_sub_nc_u32_e32 v1, v1, v6
	v_lshrrev_b32_e32 v4, s53, v4
	v_mul_lo_u32 v6, v1, s56
	v_mul_lo_u32 v9, v1, s57
	v_mul_hi_u32 v5, s55, v4
	v_add_nc_u32_e32 v5, v4, v5
	v_lshrrev_b32_e32 v5, s64, v5
	v_mul_hi_u32 v7, s66, v5
	v_mul_lo_u32 v10, v5, s54
	v_add_nc_u32_e32 v1, v5, v7
	v_mul_lo_u32 v7, v4, s51
	v_sub_nc_u32_e32 v4, v4, v10
	v_lshrrev_b32_e32 v1, s67, v1
	v_mul_lo_u32 v10, v4, s60
	v_mul_lo_u32 v4, v4, s61
	v_sub_nc_u32_e32 v3, v3, v7
	v_mul_lo_u32 v11, v1, s65
	v_mul_lo_u32 v7, v3, s58
	;; [unrolled: 1-line block ×3, first 2 shown]
	v_sub_nc_u32_e32 v5, v5, v11
	v_add3_u32 v0, v6, v0, v7
	v_mul_lo_u32 v11, v5, s62
	v_mul_lo_u32 v5, v5, s63
	v_add3_u32 v2, v9, v2, v3
	v_add3_u32 v0, v10, v0, v11
	;; [unrolled: 1-line block ×3, first 2 shown]
	s_cbranch_scc0 .LBB154_625
	s_branch .LBB154_629
.LBB154_626:
	s_mov_b32 s0, -1
                                        ; implicit-def: $vgpr0
                                        ; implicit-def: $vgpr2
	s_branch .LBB154_633
.LBB154_627:
	v_mov_b32_e32 v0, 0
	v_mov_b32_e32 v2, 0
	s_branch .LBB154_632
.LBB154_628:
	v_mov_b32_e32 v0, 0
	v_mov_b32_e32 v2, 0
	;; [unrolled: 1-line block ×3, first 2 shown]
	s_mov_b32 s43, 0
.LBB154_629:
	s_and_b32 s44, s44, 3
	s_cmp_eq_u32 s44, 0
	s_cbranch_scc1 .LBB154_632
; %bb.630:
	s_lshl_b32 s0, s43, 3
	s_mul_i32 s22, s43, 12
	s_add_u32 s0, s2, s0
	s_addc_u32 s1, s3, 0
	s_add_u32 s0, s0, 0xc4
	s_addc_u32 s1, s1, 0
	;; [unrolled: 2-line block ×3, first 2 shown]
	.p2align	6
.LBB154_631:                            ; =>This Inner Loop Header: Depth=1
	s_clause 0x1
	s_load_dwordx2 s[46:47], s[22:23], 0x4
	s_load_dword s43, s[22:23], 0xc
	s_load_dwordx2 s[48:49], s[0:1], 0x0
	s_add_u32 s22, s22, 12
	s_addc_u32 s23, s23, 0
	s_add_u32 s0, s0, 8
	s_addc_u32 s1, s1, 0
	s_add_i32 s44, s44, -1
	s_cmp_lg_u32 s44, 0
	s_waitcnt vmcnt(0) lgkmcnt(0)
	v_mul_hi_u32 v3, s47, v1
	v_add_nc_u32_e32 v3, v1, v3
	v_lshrrev_b32_e32 v4, s43, v3
	v_mul_lo_u32 v3, v4, s46
	v_sub_nc_u32_e32 v3, v1, v3
	v_mad_u64_u32 v[0:1], null, v3, s48, v[0:1]
	v_mad_u64_u32 v[2:3], null, v3, s49, v[2:3]
	v_mov_b32_e32 v1, v4
	s_cbranch_scc1 .LBB154_631
.LBB154_632:
	s_mov_b32 s0, 0
.LBB154_633:
	s_andn2_b32 vcc_lo, exec_lo, s0
	s_cbranch_vccnz .LBB154_636
; %bb.634:
	s_waitcnt lgkmcnt(0)
	v_mul_hi_u32 v0, s17, v8
	s_andn2_b32 vcc_lo, exec_lo, s31
	v_add_nc_u32_e32 v0, v8, v0
	v_lshrrev_b32_e32 v1, s18, v0
	v_mul_lo_u32 v0, v1, s16
	v_sub_nc_u32_e32 v2, v8, v0
	v_mul_lo_u32 v0, v2, s12
	v_mul_lo_u32 v2, v2, s13
	s_cbranch_vccnz .LBB154_636
; %bb.635:
	s_waitcnt vmcnt(0)
	v_mul_hi_u32 v3, s6, v1
	v_add_nc_u32_e32 v3, v1, v3
	v_lshrrev_b32_e32 v3, s7, v3
	v_mul_lo_u32 v3, v3, s19
	v_sub_nc_u32_e32 v3, v1, v3
	v_mad_u64_u32 v[0:1], null, v3, s14, v[0:1]
	v_mad_u64_u32 v[2:3], null, v3, s15, v[2:3]
.LBB154_636:
	s_waitcnt lgkmcnt(0)
	v_add_co_u32 v1, s0, s10, v2
	v_add_co_ci_u32_e64 v2, null, s11, 0, s0
	s_and_b32 s0, 0xffff, s30
	s_cmp_lt_i32 s0, 11
	s_cbranch_scc1 .LBB154_643
; %bb.637:
	s_cmp_gt_i32 s0, 25
	s_cbranch_scc0 .LBB154_644
; %bb.638:
	s_cmp_gt_i32 s0, 28
	s_cbranch_scc0 .LBB154_645
	;; [unrolled: 3-line block ×4, first 2 shown]
; %bb.641:
	s_cmp_eq_u32 s0, 46
	s_mov_b32 s23, 0
	s_cbranch_scc0 .LBB154_652
; %bb.642:
	global_load_dword v3, v[1:2], off
	s_mov_b32 s1, -1
	s_mov_b32 s22, 0
	s_waitcnt vmcnt(0)
	v_lshlrev_b32_e32 v3, 16, v3
	v_cvt_f16_f32_e32 v3, v3
	s_branch .LBB154_654
.LBB154_643:
	s_mov_b32 s23, -1
	s_mov_b32 s1, 0
	s_mov_b32 s22, s39
                                        ; implicit-def: $vgpr3
	s_branch .LBB154_719
.LBB154_644:
	s_mov_b32 s23, -1
	s_mov_b32 s1, 0
	s_mov_b32 s22, s39
                                        ; implicit-def: $vgpr3
	s_branch .LBB154_683
.LBB154_645:
	s_mov_b32 s23, -1
	s_mov_b32 s1, 0
	s_mov_b32 s22, s39
                                        ; implicit-def: $vgpr3
	s_branch .LBB154_664
.LBB154_646:
	s_mov_b32 s23, -1
	s_mov_b32 s1, 0
	s_mov_b32 s22, s39
                                        ; implicit-def: $vgpr3
	s_branch .LBB154_659
.LBB154_647:
	s_andn2_saveexec_b32 s42, s42
	s_cbranch_execz .LBB154_416
.LBB154_648:
	v_add_f32_e64 v4, 0x46000000, |v3|
	s_andn2_b32 s40, s40, exec_lo
	v_and_b32_e32 v4, 0xff, v4
	v_cmp_ne_u32_e32 vcc_lo, 0, v4
	s_and_b32 s43, vcc_lo, exec_lo
	s_or_b32 s40, s40, s43
	s_or_b32 exec_lo, exec_lo, s42
	v_mov_b32_e32 v5, 0
	s_and_saveexec_b32 s42, s40
	s_cbranch_execnz .LBB154_417
	s_branch .LBB154_418
.LBB154_649:
	s_mov_b32 s23, -1
	s_mov_b32 s1, 0
	s_mov_b32 s22, s39
	s_branch .LBB154_653
.LBB154_650:
	s_andn2_saveexec_b32 s42, s42
	s_cbranch_execz .LBB154_429
.LBB154_651:
	v_add_f32_e64 v4, 0x42800000, |v3|
	s_andn2_b32 s40, s40, exec_lo
	v_and_b32_e32 v4, 0xff, v4
	v_cmp_ne_u32_e32 vcc_lo, 0, v4
	s_and_b32 s43, vcc_lo, exec_lo
	s_or_b32 s40, s40, s43
	s_or_b32 exec_lo, exec_lo, s42
	v_mov_b32_e32 v5, 0
	s_and_saveexec_b32 s42, s40
	s_cbranch_execnz .LBB154_430
	s_branch .LBB154_431
.LBB154_652:
	s_mov_b32 s22, -1
	s_mov_b32 s1, 0
.LBB154_653:
                                        ; implicit-def: $vgpr3
.LBB154_654:
	s_and_b32 vcc_lo, exec_lo, s23
	s_cbranch_vccz .LBB154_658
; %bb.655:
	s_cmp_eq_u32 s0, 44
	s_cbranch_scc0 .LBB154_657
; %bb.656:
	global_load_ubyte v3, v[1:2], off
	s_mov_b32 s22, 0
	s_mov_b32 s1, -1
	s_waitcnt vmcnt(0)
	v_lshlrev_b32_e32 v4, 23, v3
	v_cmp_ne_u32_e32 vcc_lo, 0xff, v3
	v_cvt_f16_f32_e32 v4, v4
	v_cndmask_b32_e32 v4, 0x7e00, v4, vcc_lo
	v_cmp_ne_u32_e32 vcc_lo, 0, v3
	v_cndmask_b32_e32 v3, 0, v4, vcc_lo
	s_branch .LBB154_658
.LBB154_657:
	s_mov_b32 s22, -1
                                        ; implicit-def: $vgpr3
.LBB154_658:
	s_mov_b32 s23, 0
.LBB154_659:
	s_and_b32 vcc_lo, exec_lo, s23
	s_cbranch_vccz .LBB154_663
; %bb.660:
	s_cmp_eq_u32 s0, 29
	s_cbranch_scc0 .LBB154_662
; %bb.661:
	global_load_dwordx2 v[3:4], v[1:2], off
	s_mov_b32 s1, -1
	s_mov_b32 s22, 0
	s_mov_b32 s23, 0
	s_waitcnt vmcnt(0)
	v_ffbh_u32_e32 v5, v4
	v_min_u32_e32 v5, 32, v5
	v_lshlrev_b64 v[3:4], v5, v[3:4]
	v_min_u32_e32 v3, 1, v3
	v_or_b32_e32 v3, v4, v3
	v_sub_nc_u32_e32 v4, 32, v5
	v_cvt_f32_u32_e32 v3, v3
	v_ldexp_f32 v3, v3, v4
	v_cvt_f16_f32_e32 v3, v3
	s_branch .LBB154_664
.LBB154_662:
	s_mov_b32 s22, -1
                                        ; implicit-def: $vgpr3
.LBB154_663:
	s_mov_b32 s23, 0
.LBB154_664:
	s_and_b32 vcc_lo, exec_lo, s23
	s_cbranch_vccz .LBB154_682
; %bb.665:
	s_cmp_lt_i32 s0, 27
	s_cbranch_scc1 .LBB154_668
; %bb.666:
	s_cmp_gt_i32 s0, 27
	s_cbranch_scc0 .LBB154_669
; %bb.667:
	global_load_dword v3, v[1:2], off
	s_mov_b32 s1, 0
	s_waitcnt vmcnt(0)
	v_cvt_f32_u32_e32 v3, v3
	v_cvt_f16_f32_e32 v3, v3
	s_branch .LBB154_670
.LBB154_668:
	s_mov_b32 s1, -1
                                        ; implicit-def: $vgpr3
	s_branch .LBB154_673
.LBB154_669:
	s_mov_b32 s1, -1
                                        ; implicit-def: $vgpr3
.LBB154_670:
	s_andn2_b32 vcc_lo, exec_lo, s1
	s_cbranch_vccnz .LBB154_672
; %bb.671:
	global_load_ushort v3, v[1:2], off
	s_waitcnt vmcnt(0)
	v_cvt_f16_u16_e32 v3, v3
.LBB154_672:
	s_mov_b32 s1, 0
.LBB154_673:
	s_andn2_b32 vcc_lo, exec_lo, s1
	s_cbranch_vccnz .LBB154_681
; %bb.674:
	global_load_ubyte v4, v[1:2], off
	s_mov_b32 s1, 0
	s_mov_b32 s23, exec_lo
	s_waitcnt vmcnt(0)
	v_cmpx_lt_i16_e32 0x7f, v4
	s_xor_b32 s23, exec_lo, s23
	s_cbranch_execz .LBB154_695
; %bb.675:
	s_mov_b32 s1, -1
	s_mov_b32 s43, exec_lo
	v_cmpx_eq_u16_e32 0x80, v4
; %bb.676:
	s_xor_b32 s1, exec_lo, -1
; %bb.677:
	s_or_b32 exec_lo, exec_lo, s43
	s_and_b32 s1, s1, exec_lo
	s_or_saveexec_b32 s23, s23
	v_mov_b32_e32 v3, 0x7e00
	s_xor_b32 exec_lo, exec_lo, s23
	s_cbranch_execnz .LBB154_696
.LBB154_678:
	s_or_b32 exec_lo, exec_lo, s23
	s_and_saveexec_b32 s23, s1
	s_cbranch_execz .LBB154_680
.LBB154_679:
	v_and_b32_e32 v3, 0xffff, v4
	v_lshlrev_b32_e32 v4, 24, v4
	v_and_b32_e32 v5, 7, v3
	v_bfe_u32 v9, v3, 3, 4
	v_and_b32_e32 v4, 0x80000000, v4
	v_ffbh_u32_e32 v6, v5
	v_cmp_eq_u32_e32 vcc_lo, 0, v9
	v_min_u32_e32 v6, 32, v6
	v_subrev_nc_u32_e32 v7, 28, v6
	v_sub_nc_u32_e32 v6, 29, v6
	v_lshlrev_b32_e32 v3, v7, v3
	v_cndmask_b32_e32 v6, v9, v6, vcc_lo
	v_and_b32_e32 v3, 7, v3
	v_cndmask_b32_e32 v3, v5, v3, vcc_lo
	v_lshl_add_u32 v5, v6, 23, 0x3b800000
	v_lshlrev_b32_e32 v3, 20, v3
	v_or3_b32 v3, v4, v5, v3
	v_cvt_f16_f32_e32 v3, v3
.LBB154_680:
	s_or_b32 exec_lo, exec_lo, s23
.LBB154_681:
	s_mov_b32 s1, -1
.LBB154_682:
	s_mov_b32 s23, 0
.LBB154_683:
	s_and_b32 vcc_lo, exec_lo, s23
	s_cbranch_vccz .LBB154_718
; %bb.684:
	s_cmp_gt_i32 s0, 22
	s_cbranch_scc0 .LBB154_694
; %bb.685:
	s_cmp_lt_i32 s0, 24
	s_cbranch_scc1 .LBB154_697
; %bb.686:
	s_cmp_gt_i32 s0, 24
	s_cbranch_scc0 .LBB154_698
; %bb.687:
	global_load_ubyte v4, v[1:2], off
	s_mov_b32 s1, 0
	s_mov_b32 s23, exec_lo
	s_waitcnt vmcnt(0)
	v_cmpx_lt_i16_e32 0x7f, v4
	s_xor_b32 s23, exec_lo, s23
	s_cbranch_execz .LBB154_710
; %bb.688:
	s_mov_b32 s1, -1
	s_mov_b32 s43, exec_lo
	v_cmpx_eq_u16_e32 0x80, v4
; %bb.689:
	s_xor_b32 s1, exec_lo, -1
; %bb.690:
	s_or_b32 exec_lo, exec_lo, s43
	s_and_b32 s1, s1, exec_lo
	s_or_saveexec_b32 s23, s23
	v_mov_b32_e32 v3, 0x7e00
	s_xor_b32 exec_lo, exec_lo, s23
	s_cbranch_execnz .LBB154_711
.LBB154_691:
	s_or_b32 exec_lo, exec_lo, s23
	s_and_saveexec_b32 s23, s1
	s_cbranch_execz .LBB154_693
.LBB154_692:
	v_and_b32_e32 v3, 0xffff, v4
	v_lshlrev_b32_e32 v4, 24, v4
	v_and_b32_e32 v5, 3, v3
	v_bfe_u32 v9, v3, 2, 5
	v_and_b32_e32 v4, 0x80000000, v4
	v_ffbh_u32_e32 v6, v5
	v_cmp_eq_u32_e32 vcc_lo, 0, v9
	v_min_u32_e32 v6, 32, v6
	v_subrev_nc_u32_e32 v7, 29, v6
	v_sub_nc_u32_e32 v6, 30, v6
	v_lshlrev_b32_e32 v3, v7, v3
	v_cndmask_b32_e32 v6, v9, v6, vcc_lo
	v_and_b32_e32 v3, 3, v3
	v_cndmask_b32_e32 v3, v5, v3, vcc_lo
	v_lshl_add_u32 v5, v6, 23, 0x37800000
	v_lshlrev_b32_e32 v3, 21, v3
	v_or3_b32 v3, v4, v5, v3
	v_cvt_f16_f32_e32 v3, v3
.LBB154_693:
	s_or_b32 exec_lo, exec_lo, s23
	s_mov_b32 s1, 0
	s_branch .LBB154_699
.LBB154_694:
	s_mov_b32 s23, -1
                                        ; implicit-def: $vgpr3
	s_branch .LBB154_705
.LBB154_695:
	s_or_saveexec_b32 s23, s23
	v_mov_b32_e32 v3, 0x7e00
	s_xor_b32 exec_lo, exec_lo, s23
	s_cbranch_execz .LBB154_678
.LBB154_696:
	v_cmp_ne_u16_e32 vcc_lo, 0, v4
	v_mov_b32_e32 v3, v4
	s_andn2_b32 s1, s1, exec_lo
	s_and_b32 s43, vcc_lo, exec_lo
	s_or_b32 s1, s1, s43
	s_or_b32 exec_lo, exec_lo, s23
	s_and_saveexec_b32 s23, s1
	s_cbranch_execnz .LBB154_679
	s_branch .LBB154_680
.LBB154_697:
	s_mov_b32 s1, -1
                                        ; implicit-def: $vgpr3
	s_branch .LBB154_702
.LBB154_698:
	s_mov_b32 s1, -1
                                        ; implicit-def: $vgpr3
.LBB154_699:
	s_and_b32 vcc_lo, exec_lo, s1
	s_cbranch_vccz .LBB154_701
; %bb.700:
	global_load_ubyte v3, v[1:2], off
	s_waitcnt vmcnt(0)
	v_lshlrev_b32_e32 v3, 24, v3
	v_and_b32_e32 v4, 0x7f000000, v3
	v_ffbh_u32_e32 v5, v4
	v_add_nc_u32_e32 v7, 0x1000000, v4
	v_cmp_ne_u32_e32 vcc_lo, 0, v4
	v_min_u32_e32 v5, 32, v5
	v_sub_nc_u32_e64 v5, v5, 4 clamp
	v_lshlrev_b32_e32 v6, v5, v4
	v_lshlrev_b32_e32 v5, 23, v5
	v_lshrrev_b32_e32 v6, 4, v6
	v_sub_nc_u32_e32 v5, v6, v5
	v_ashrrev_i32_e32 v6, 8, v7
	v_add_nc_u32_e32 v5, 0x3c000000, v5
	v_and_or_b32 v5, 0x7f800000, v6, v5
	v_cndmask_b32_e32 v4, 0, v5, vcc_lo
	v_and_or_b32 v3, 0x80000000, v3, v4
	v_cvt_f16_f32_e32 v3, v3
.LBB154_701:
	s_mov_b32 s1, 0
.LBB154_702:
	s_andn2_b32 vcc_lo, exec_lo, s1
	s_cbranch_vccnz .LBB154_704
; %bb.703:
	global_load_ubyte v3, v[1:2], off
	s_waitcnt vmcnt(0)
	v_lshlrev_b32_e32 v4, 25, v3
	v_lshlrev_b16 v3, 8, v3
	v_lshrrev_b32_e32 v5, 4, v4
	v_and_or_b32 v6, 0x7f00, v3, 0.5
	v_cmp_gt_u32_e32 vcc_lo, 0x8000000, v4
	v_bfe_i32 v3, v3, 0, 16
	v_or_b32_e32 v5, 0x70000000, v5
	v_add_f32_e32 v6, -0.5, v6
	v_mul_f32_e32 v5, 0x7800000, v5
	v_cndmask_b32_e32 v4, v5, v6, vcc_lo
	v_and_or_b32 v3, 0x80000000, v3, v4
	v_cvt_f16_f32_e32 v3, v3
.LBB154_704:
	s_mov_b32 s23, 0
	s_mov_b32 s1, -1
.LBB154_705:
	s_andn2_b32 vcc_lo, exec_lo, s23
	s_cbranch_vccnz .LBB154_718
; %bb.706:
	s_cmp_gt_i32 s0, 14
	s_cbranch_scc0 .LBB154_709
; %bb.707:
	s_cmp_eq_u32 s0, 15
	s_cbranch_scc0 .LBB154_712
; %bb.708:
	global_load_ushort v3, v[1:2], off
	s_mov_b32 s1, -1
	s_mov_b32 s22, 0
	s_waitcnt vmcnt(0)
	v_lshlrev_b32_e32 v3, 16, v3
	v_cvt_f16_f32_e32 v3, v3
	s_branch .LBB154_713
.LBB154_709:
	s_mov_b32 s23, -1
                                        ; implicit-def: $vgpr3
	s_branch .LBB154_714
.LBB154_710:
	s_or_saveexec_b32 s23, s23
	v_mov_b32_e32 v3, 0x7e00
	s_xor_b32 exec_lo, exec_lo, s23
	s_cbranch_execz .LBB154_691
.LBB154_711:
	v_cmp_ne_u16_e32 vcc_lo, 0, v4
	v_mov_b32_e32 v3, v4
	s_andn2_b32 s1, s1, exec_lo
	s_and_b32 s43, vcc_lo, exec_lo
	s_or_b32 s1, s1, s43
	s_or_b32 exec_lo, exec_lo, s23
	s_and_saveexec_b32 s23, s1
	s_cbranch_execnz .LBB154_692
	s_branch .LBB154_693
.LBB154_712:
	s_mov_b32 s22, -1
                                        ; implicit-def: $vgpr3
.LBB154_713:
	s_mov_b32 s23, 0
.LBB154_714:
	s_and_b32 vcc_lo, exec_lo, s23
	s_cbranch_vccz .LBB154_718
; %bb.715:
	s_cmp_eq_u32 s0, 11
	s_cbranch_scc0 .LBB154_717
; %bb.716:
	global_load_ubyte v3, v[1:2], off
	s_mov_b32 s22, 0
	s_mov_b32 s1, -1
	s_waitcnt vmcnt(0)
	v_cmp_ne_u16_e32 vcc_lo, 0, v3
	v_cndmask_b32_e64 v3, 0, 0x3c00, vcc_lo
	s_branch .LBB154_718
.LBB154_717:
	s_mov_b32 s22, -1
                                        ; implicit-def: $vgpr3
.LBB154_718:
	s_mov_b32 s23, 0
.LBB154_719:
	s_and_b32 vcc_lo, exec_lo, s23
	s_cbranch_vccz .LBB154_768
; %bb.720:
	s_cmp_lt_i32 s0, 5
	s_cbranch_scc1 .LBB154_725
; %bb.721:
	s_cmp_lt_i32 s0, 8
	s_cbranch_scc1 .LBB154_726
	;; [unrolled: 3-line block ×3, first 2 shown]
; %bb.723:
	s_cmp_gt_i32 s0, 9
	s_cbranch_scc0 .LBB154_728
; %bb.724:
	global_load_dwordx2 v[3:4], v[1:2], off
	s_mov_b32 s1, 0
	s_waitcnt vmcnt(0)
	v_and_or_b32 v3, 0x1ff, v4, v3
	v_lshrrev_b32_e32 v5, 8, v4
	v_bfe_u32 v6, v4, 20, 11
	v_lshrrev_b32_e32 v4, 16, v4
	v_cmp_ne_u32_e32 vcc_lo, 0, v3
	v_sub_nc_u32_e32 v7, 0x3f1, v6
	v_add_nc_u32_e32 v6, 0xfffffc10, v6
	v_cndmask_b32_e64 v3, 0, 1, vcc_lo
	v_and_or_b32 v3, 0xffe, v5, v3
	v_med3_i32 v5, v7, 0, 13
	v_or_b32_e32 v7, 0x1000, v3
	v_lshrrev_b32_e32 v9, v5, v7
	v_lshlrev_b32_e32 v5, v5, v9
	v_cmp_ne_u32_e32 vcc_lo, v5, v7
	v_lshl_or_b32 v7, v6, 12, v3
	v_cndmask_b32_e64 v5, 0, 1, vcc_lo
	v_cmp_gt_i32_e32 vcc_lo, 1, v6
	v_or_b32_e32 v5, v9, v5
	v_cndmask_b32_e32 v5, v7, v5, vcc_lo
	v_and_b32_e32 v7, 7, v5
	v_lshrrev_b32_e32 v5, 2, v5
	v_cmp_lt_i32_e32 vcc_lo, 5, v7
	v_cndmask_b32_e64 v9, 0, 1, vcc_lo
	v_cmp_eq_u32_e32 vcc_lo, 3, v7
	v_cndmask_b32_e64 v7, 0, 1, vcc_lo
	v_cmp_ne_u32_e32 vcc_lo, 0, v3
	v_or_b32_e32 v7, v7, v9
	v_mov_b32_e32 v9, 0x7e00
	v_add_nc_u32_e32 v5, v5, v7
	v_cndmask_b32_e32 v3, 0x7c00, v9, vcc_lo
	v_cmp_gt_i32_e32 vcc_lo, 31, v6
	v_cndmask_b32_e32 v5, 0x7c00, v5, vcc_lo
	v_cmp_eq_u32_e32 vcc_lo, 0x40f, v6
	v_cndmask_b32_e32 v3, v5, v3, vcc_lo
	v_and_or_b32 v3, 0x8000, v4, v3
	s_branch .LBB154_729
.LBB154_725:
	s_mov_b32 s1, -1
                                        ; implicit-def: $vgpr3
	s_branch .LBB154_747
.LBB154_726:
	s_mov_b32 s1, -1
                                        ; implicit-def: $vgpr3
	s_branch .LBB154_735
.LBB154_727:
	s_mov_b32 s1, -1
                                        ; implicit-def: $vgpr3
	s_branch .LBB154_732
.LBB154_728:
	s_mov_b32 s1, -1
                                        ; implicit-def: $vgpr3
.LBB154_729:
	s_andn2_b32 vcc_lo, exec_lo, s1
	s_cbranch_vccnz .LBB154_731
; %bb.730:
	global_load_dword v3, v[1:2], off
	s_waitcnt vmcnt(0)
	v_cvt_f16_f32_e32 v3, v3
.LBB154_731:
	s_mov_b32 s1, 0
.LBB154_732:
	s_andn2_b32 vcc_lo, exec_lo, s1
	s_cbranch_vccnz .LBB154_734
; %bb.733:
	global_load_dword v3, v[1:2], off
.LBB154_734:
	s_mov_b32 s1, 0
.LBB154_735:
	s_andn2_b32 vcc_lo, exec_lo, s1
	s_cbranch_vccnz .LBB154_746
; %bb.736:
	s_cmp_lt_i32 s0, 6
	s_cbranch_scc1 .LBB154_739
; %bb.737:
	s_cmp_gt_i32 s0, 6
	s_cbranch_scc0 .LBB154_740
; %bb.738:
	global_load_dwordx2 v[3:4], v[1:2], off
	s_mov_b32 s1, 0
	s_waitcnt vmcnt(0)
	v_and_or_b32 v3, 0x1ff, v4, v3
	v_lshrrev_b32_e32 v5, 8, v4
	v_bfe_u32 v6, v4, 20, 11
	v_lshrrev_b32_e32 v4, 16, v4
	v_cmp_ne_u32_e32 vcc_lo, 0, v3
	v_sub_nc_u32_e32 v7, 0x3f1, v6
	v_add_nc_u32_e32 v6, 0xfffffc10, v6
	v_cndmask_b32_e64 v3, 0, 1, vcc_lo
	v_and_or_b32 v3, 0xffe, v5, v3
	v_med3_i32 v5, v7, 0, 13
	v_or_b32_e32 v7, 0x1000, v3
	v_lshrrev_b32_e32 v9, v5, v7
	v_lshlrev_b32_e32 v5, v5, v9
	v_cmp_ne_u32_e32 vcc_lo, v5, v7
	v_lshl_or_b32 v7, v6, 12, v3
	v_cndmask_b32_e64 v5, 0, 1, vcc_lo
	v_cmp_gt_i32_e32 vcc_lo, 1, v6
	v_or_b32_e32 v5, v9, v5
	v_cndmask_b32_e32 v5, v7, v5, vcc_lo
	v_and_b32_e32 v7, 7, v5
	v_lshrrev_b32_e32 v5, 2, v5
	v_cmp_lt_i32_e32 vcc_lo, 5, v7
	v_cndmask_b32_e64 v9, 0, 1, vcc_lo
	v_cmp_eq_u32_e32 vcc_lo, 3, v7
	v_cndmask_b32_e64 v7, 0, 1, vcc_lo
	v_cmp_ne_u32_e32 vcc_lo, 0, v3
	v_or_b32_e32 v7, v7, v9
	v_mov_b32_e32 v9, 0x7e00
	v_add_nc_u32_e32 v5, v5, v7
	v_cndmask_b32_e32 v3, 0x7c00, v9, vcc_lo
	v_cmp_gt_i32_e32 vcc_lo, 31, v6
	v_cndmask_b32_e32 v5, 0x7c00, v5, vcc_lo
	v_cmp_eq_u32_e32 vcc_lo, 0x40f, v6
	v_cndmask_b32_e32 v3, v5, v3, vcc_lo
	v_and_or_b32 v3, 0x8000, v4, v3
	s_branch .LBB154_741
.LBB154_739:
	s_mov_b32 s1, -1
                                        ; implicit-def: $vgpr3
	s_branch .LBB154_744
.LBB154_740:
	s_mov_b32 s1, -1
                                        ; implicit-def: $vgpr3
.LBB154_741:
	s_andn2_b32 vcc_lo, exec_lo, s1
	s_cbranch_vccnz .LBB154_743
; %bb.742:
	global_load_dword v3, v[1:2], off
	s_waitcnt vmcnt(0)
	v_cvt_f16_f32_e32 v3, v3
.LBB154_743:
	s_mov_b32 s1, 0
.LBB154_744:
	s_andn2_b32 vcc_lo, exec_lo, s1
	s_cbranch_vccnz .LBB154_746
; %bb.745:
	global_load_ushort v3, v[1:2], off
.LBB154_746:
	s_mov_b32 s1, 0
.LBB154_747:
	s_andn2_b32 vcc_lo, exec_lo, s1
	s_cbranch_vccnz .LBB154_767
; %bb.748:
	s_cmp_lt_i32 s0, 2
	s_cbranch_scc1 .LBB154_752
; %bb.749:
	s_cmp_lt_i32 s0, 3
	s_cbranch_scc1 .LBB154_753
; %bb.750:
	s_cmp_gt_i32 s0, 3
	s_cbranch_scc0 .LBB154_754
; %bb.751:
	global_load_dwordx2 v[3:4], v[1:2], off
	s_mov_b32 s1, 0
	s_waitcnt vmcnt(0)
	v_xor_b32_e32 v5, v3, v4
	v_ffbh_i32_e32 v6, v4
	v_ashrrev_i32_e32 v5, 31, v5
	v_add_nc_u32_e32 v6, -1, v6
	v_add_nc_u32_e32 v5, 32, v5
	v_min_u32_e32 v5, v6, v5
	v_lshlrev_b64 v[3:4], v5, v[3:4]
	v_min_u32_e32 v3, 1, v3
	v_or_b32_e32 v3, v4, v3
	v_sub_nc_u32_e32 v4, 32, v5
	v_cvt_f32_i32_e32 v3, v3
	v_ldexp_f32 v3, v3, v4
	v_cvt_f16_f32_e32 v3, v3
	s_branch .LBB154_755
.LBB154_752:
	s_mov_b32 s1, -1
                                        ; implicit-def: $vgpr3
	s_branch .LBB154_761
.LBB154_753:
	s_mov_b32 s1, -1
                                        ; implicit-def: $vgpr3
	s_branch .LBB154_758
.LBB154_754:
	s_mov_b32 s1, -1
                                        ; implicit-def: $vgpr3
.LBB154_755:
	s_andn2_b32 vcc_lo, exec_lo, s1
	s_cbranch_vccnz .LBB154_757
; %bb.756:
	global_load_dword v3, v[1:2], off
	s_waitcnt vmcnt(0)
	v_cvt_f32_i32_e32 v3, v3
	v_cvt_f16_f32_e32 v3, v3
.LBB154_757:
	s_mov_b32 s1, 0
.LBB154_758:
	s_andn2_b32 vcc_lo, exec_lo, s1
	s_cbranch_vccnz .LBB154_760
; %bb.759:
	global_load_ushort v3, v[1:2], off
	s_waitcnt vmcnt(0)
	v_cvt_f16_i16_e32 v3, v3
.LBB154_760:
	s_mov_b32 s1, 0
.LBB154_761:
	s_andn2_b32 vcc_lo, exec_lo, s1
	s_cbranch_vccnz .LBB154_767
; %bb.762:
	s_cmp_gt_i32 s0, 0
	s_mov_b32 s0, 0
	s_cbranch_scc0 .LBB154_764
; %bb.763:
	global_load_sbyte v3, v[1:2], off
	s_waitcnt vmcnt(0)
	v_cvt_f16_i16_e32 v3, v3
	s_branch .LBB154_765
.LBB154_764:
	s_mov_b32 s0, -1
                                        ; implicit-def: $vgpr3
.LBB154_765:
	s_andn2_b32 vcc_lo, exec_lo, s0
	s_cbranch_vccnz .LBB154_767
; %bb.766:
	global_load_ubyte v1, v[1:2], off
	s_waitcnt vmcnt(0)
	v_cvt_f16_u16_e32 v3, v1
.LBB154_767:
	s_mov_b32 s1, -1
.LBB154_768:
	s_andn2_b32 vcc_lo, exec_lo, s1
	s_cbranch_vccnz .LBB154_814
; %bb.769:
	s_waitcnt vmcnt(0)
	v_cvt_f32_f16_e32 v1, v3
	s_mov_b32 s1, exec_lo
                                        ; implicit-def: $vgpr4
	v_and_b32_e32 v2, 0x7fffffff, v1
	v_cmpx_ngt_f32_e64 0x3c800000, |v1|
	s_xor_b32 s1, exec_lo, s1
	s_cbranch_execz .LBB154_799
; %bb.770:
	s_mov_b32 s23, exec_lo
                                        ; implicit-def: $vgpr4
	v_cmpx_nlt_f32_e64 |v1|, 2.0
	s_xor_b32 s23, exec_lo, s23
	s_cbranch_execz .LBB154_780
; %bb.771:
	v_cmp_ngt_f32_e64 s0, 0x41000000, |v1|
                                        ; implicit-def: $vgpr4
	s_and_saveexec_b32 s43, s0
	s_xor_b32 s0, exec_lo, s43
	s_cbranch_execz .LBB154_777
; %bb.772:
	v_cmp_ngt_f32_e64 s43, 0x5c800000, |v1|
                                        ; implicit-def: $vgpr4
	s_and_saveexec_b32 s44, s43
	s_xor_b32 s43, exec_lo, s44
	s_cbranch_execz .LBB154_774
; %bb.773:
	v_cmp_gt_f32_e64 s44, 0x800000, |v1|
	v_cndmask_b32_e64 v4, 0, 32, s44
	v_ldexp_f32 v4, |v1|, v4
	v_log_f32_e32 v4, v4
	v_mul_f32_e32 v5, 0x3f317217, v4
	v_cmp_gt_f32_e64 vcc_lo, 0x7f800000, |v4|
	v_fma_f32 v6, 0x3f317217, v4, -v5
	v_fmamk_f32 v6, v4, 0x3377d1cf, v6
	v_add_f32_e32 v5, v5, v6
	v_cndmask_b32_e32 v4, v4, v5, vcc_lo
	v_cndmask_b32_e64 v5, 0, 0x41b17218, s44
	v_sub_f32_e32 v4, v4, v5
	v_fma_f32 v4, |v1|, v4, -|v1|
.LBB154_774:
	s_andn2_saveexec_b32 s43, s43
	s_cbranch_execz .LBB154_776
; %bb.775:
	v_cmp_gt_f32_e64 s44, 0x800000, |v1|
	v_rcp_f32_e64 v5, |v1|
	s_mov_b32 s45, 0xbad5c4e8
	v_cndmask_b32_e64 v4, 0, 32, s44
	v_ldexp_f32 v4, |v1|, v4
	v_mul_f32_e32 v6, v5, v5
	v_log_f32_e32 v4, v4
	v_fmaak_f32 v9, s45, v6, 0x3a5b3dd2
	v_fmaak_f32 v9, v6, v9, 0xba1c065c
	v_mul_f32_e32 v7, 0x3f317217, v4
	v_fmaak_f32 v9, v6, v9, 0x3a500cfd
	v_cmp_gt_f32_e64 vcc_lo, 0x7f800000, |v4|
	v_fma_f32 v10, 0x3f317217, v4, -v7
	v_fmaak_f32 v9, v6, v9, 0xbb360b61
	v_fmamk_f32 v10, v4, 0x3377d1cf, v10
	v_fmaak_f32 v6, v6, v9, 0x3daaaaab
	v_add_f32_e32 v7, v7, v10
	v_cndmask_b32_e32 v4, v4, v7, vcc_lo
	v_cndmask_b32_e64 v7, 0, 0x41b17218, s44
	v_sub_f32_e32 v7, v4, v7
	v_fmaak_f32 v4, v5, v6, 0x3ed67f1d
	v_add_f32_e64 v5, |v1|, -0.5
	v_add_f32_e32 v6, -1.0, v7
	v_fmac_f32_e32 v4, v5, v6
.LBB154_776:
	s_or_b32 exec_lo, exec_lo, s43
.LBB154_777:
	s_andn2_saveexec_b32 s43, s0
	s_cbranch_execz .LBB154_779
; %bb.778:
	v_cvt_i32_f32_e32 v4, v2
	s_mov_b32 s0, 0x36f5d7bd
	s_mov_b32 s44, 0x3805ff67
	v_cvt_f32_i32_e32 v5, v4
	v_cmp_lt_i32_e32 vcc_lo, 2, v4
	v_sub_f32_e64 v5, |v1|, v5
	v_add_f32_e32 v6, 2.0, v5
	v_add_f32_e32 v7, 0x40400000, v5
	v_add_f32_e32 v9, 4.0, v5
	v_add_f32_e32 v10, 0x40a00000, v5
	v_cndmask_b32_e32 v6, 1.0, v6, vcc_lo
	v_cmp_lt_i32_e32 vcc_lo, 3, v4
	v_cndmask_b32_e32 v7, 1.0, v7, vcc_lo
	v_cmp_lt_i32_e32 vcc_lo, 4, v4
	v_mul_f32_e32 v6, v6, v7
	v_cndmask_b32_e32 v9, 1.0, v9, vcc_lo
	v_cmp_lt_i32_e32 vcc_lo, 5, v4
	v_add_f32_e32 v7, 0x40c00000, v5
	v_mul_f32_e32 v6, v9, v6
	v_cndmask_b32_e32 v10, 1.0, v10, vcc_lo
	v_cmp_lt_i32_e32 vcc_lo, 6, v4
	v_fmaak_f32 v9, s44, v5, 0x3af135b4
	v_mul_f32_e32 v6, v10, v6
	v_cndmask_b32_e32 v4, 1.0, v7, vcc_lo
	v_mul_f32_e32 v4, v4, v6
	v_fmaak_f32 v6, s0, v5, 0x3a4beed6
	v_cmp_gt_f32_e32 vcc_lo, 0x800000, v4
	v_fmaak_f32 v6, v5, v6, 0x3c98bf54
	v_cndmask_b32_e64 v7, 0, 32, vcc_lo
	v_fmaak_f32 v6, v5, v6, 0x3e300f6e
	v_ldexp_f32 v4, v4, v7
	v_fmaak_f32 v7, v5, v9, 0x3cda40e4
	v_fmaak_f32 v6, v5, v6, 0x3f38d0c5
	v_log_f32_e32 v4, v4
	v_fmaak_f32 v7, v5, v7, 0x3e15dce6
	v_fmaak_f32 v6, v5, v6, 0x3fb22d3b
	v_fmaak_f32 v7, v5, v7, 0x3ea6cc7a
	v_fma_f32 v6, v5, v6, 1.0
	v_mul_f32_e32 v9, 0x3f317217, v4
	v_fmaak_f32 v7, v5, v7, 0x3e5c245a
	v_rcp_f32_e32 v6, v6
	v_cmp_gt_f32_e64 s0, 0x7f800000, |v4|
	v_fma_f32 v10, 0x3f317217, v4, -v9
	v_fmaak_f32 v7, v5, v7, 0xbd9e233f
	v_fmamk_f32 v10, v4, 0x3377d1cf, v10
	v_mul_f32_e32 v7, v5, v7
	v_add_f32_e32 v9, v9, v10
	v_mul_f32_e32 v6, v7, v6
	v_cndmask_b32_e64 v7, 0, 0x41b17218, vcc_lo
	v_cndmask_b32_e64 v4, v4, v9, s0
	v_fmac_f32_e32 v6, 0.5, v5
	v_sub_f32_e32 v4, v4, v7
	v_add_f32_e32 v4, v4, v6
.LBB154_779:
	s_or_b32 exec_lo, exec_lo, s43
.LBB154_780:
	s_andn2_saveexec_b32 s23, s23
	s_cbranch_execz .LBB154_798
; %bb.781:
	s_mov_b32 s43, exec_lo
                                        ; implicit-def: $vgpr4
                                        ; implicit-def: $vgpr6
                                        ; implicit-def: $vgpr5
	v_cmpx_ge_f32_e64 0x3f666666, |v1|
	s_xor_b32 s43, exec_lo, s43
	s_cbranch_execz .LBB154_783
; %bb.782:
	v_cmp_gt_f32_e64 s0, 0x800000, |v1|
	v_sub_f32_e64 v7, 1.0, |v1|
	v_cmp_gt_f32_e64 vcc_lo, 0x3f3b4a23, |v1|
	v_cndmask_b32_e64 v4, 0, 32, s0
	v_cndmask_b32_e64 v9, 0, 0x41b17218, s0
	v_ldexp_f32 v4, |v1|, v4
	v_log_f32_e32 v4, v4
	v_mul_f32_e32 v5, 0x3f317217, v4
	v_cmp_gt_f32_e64 s0, 0x7f800000, |v4|
	v_fma_f32 v6, 0x3f317217, v4, -v5
	v_fmamk_f32 v6, v4, 0x3377d1cf, v6
	v_add_f32_e32 v5, v5, v6
	v_add_f32_e64 v6, 0xbeec5b0c, |v1|
	v_cndmask_b32_e64 v4, v4, v5, s0
	v_cndmask_b32_e32 v5, v7, v6, vcc_lo
	v_cndmask_b32_e64 v6, 0, 1, vcc_lo
	v_cmp_gt_f32_e64 s0, 0x3e6d3309, |v1|
	v_sub_f32_e32 v4, v4, v9
	v_cndmask_b32_e64 v5, v5, |v1|, s0
	v_cndmask_b32_e64 v6, v6, 2, s0
	v_xor_b32_e32 v4, 0x80000000, v4
.LBB154_783:
	s_andn2_saveexec_b32 s0, s43
	s_cbranch_execz .LBB154_785
; %bb.784:
	v_sub_f32_e64 v4, 2.0, |v1|
	v_add_f32_e64 v5, 0xbfbb16c3, |v1|
	v_cmp_gt_f32_e64 vcc_lo, 0x3fdda512, |v1|
	v_add_f32_e64 v6, |v1|, -1.0
	v_cndmask_b32_e32 v5, v4, v5, vcc_lo
	v_cndmask_b32_e64 v4, v4, 1.0, vcc_lo
	v_cmp_gt_f32_e64 vcc_lo, 0x3f9d70a4, |v1|
	v_cvt_i32_f32_e32 v4, v4
	v_cndmask_b32_e32 v5, v5, v6, vcc_lo
	v_cndmask_b32_e64 v6, v4, 2, vcc_lo
	v_mov_b32_e32 v4, 0
.LBB154_785:
	s_or_b32 exec_lo, exec_lo, s0
	s_mov_b32 s0, exec_lo
	v_cmpx_lt_i32_e32 0, v6
	s_xor_b32 s0, exec_lo, s0
	s_cbranch_execz .LBB154_793
; %bb.786:
	s_mov_b32 s43, exec_lo
	v_cmpx_lt_i32_e32 1, v6
	s_xor_b32 s43, exec_lo, s43
	s_cbranch_execz .LBB154_790
; %bb.787:
	s_mov_b32 s44, exec_lo
	v_cmpx_eq_u32_e32 2, v6
	s_cbranch_execz .LBB154_789
; %bb.788:
	s_mov_b32 s45, 0x3b52d5db
	v_fmaak_f32 v6, s45, v5, 0x3dd572af
	s_mov_b32 s45, 0x3c5b3c5e
	v_fmaak_f32 v7, s45, v5, 0x3e6a7578
	v_fmaak_f32 v6, v5, v6, 0x3f44efdf
	;; [unrolled: 1-line block ×7, first 2 shown]
	v_fma_f32 v6, v5, v6, 1.0
	v_fmaak_f32 v7, v5, v7, 0xbd9e233f
	v_rcp_f32_e32 v6, v6
	v_mul_f32_e32 v7, v5, v7
	v_mul_f32_e32 v6, v7, v6
	v_fmac_f32_e32 v6, -0.5, v5
	v_add_f32_e32 v4, v4, v6
.LBB154_789:
	s_or_b32 exec_lo, exec_lo, s44
                                        ; implicit-def: $vgpr5
.LBB154_790:
	s_andn2_saveexec_b32 s43, s43
	s_cbranch_execz .LBB154_792
; %bb.791:
	v_mul_f32_e32 v6, v5, v5
	s_mov_b32 s44, 0xb9a3f927
	s_mov_b32 s45, 0x39afe9f7
	v_mul_f32_e32 v7, v5, v6
	v_fmaak_f32 v9, s44, v7, 0x3a66f867
	v_fmaak_f32 v10, s45, v7, 0xba0d3085
	s_mov_b32 s44, 0x39a57b6b
	v_fmaak_f32 v11, s44, v7, 0xbab7f476
	v_fmaak_f32 v9, v7, v9, 0xbb7177fe
	v_fmaak_f32 v10, v7, v10, 0x3b141699
	v_fmaak_f32 v11, v7, v11, 0x3bc7e707
	v_fmaak_f32 v9, v7, v9, 0x3c93373d
	v_fmaak_f32 v10, v7, v10, 0xbc28fcfe
	v_fmaak_f32 v11, v7, v11, 0xbd064d47
	v_fmaak_f32 v9, v7, v9, 0xbe17213c
	v_fmaak_f32 v10, v7, v10, 0x3d845a15
	v_fmac_f32_e32 v9, v5, v10
	v_fmaak_f32 v5, v7, v11, 0x3ef7b95e
	v_fma_f32 v7, v7, -v9, 0xa2863e55
	v_fma_f32 v5, v6, v5, -v7
	v_add_f32_e32 v5, 0xbdf8cdce, v5
	v_add_f32_e32 v4, v4, v5
.LBB154_792:
	s_or_b32 exec_lo, exec_lo, s43
                                        ; implicit-def: $vgpr6
                                        ; implicit-def: $vgpr5
.LBB154_793:
	s_andn2_saveexec_b32 s0, s0
	s_cbranch_execz .LBB154_797
; %bb.794:
	s_mov_b32 s43, exec_lo
	v_cmpx_eq_u32_e32 0, v6
	s_cbranch_execz .LBB154_796
; %bb.795:
	v_mul_f32_e32 v6, v5, v5
	s_mov_b32 s44, 0x383c2c75
	v_fmaak_f32 v7, s44, v6, 0x38e28445
	s_mov_b32 s44, 0x37d383a2
	v_fmaak_f32 v9, s44, v6, 0x39679767
	v_fmaak_f32 v7, v6, v7, 0x3a05b634
	;; [unrolled: 1-line block ×9, first 2 shown]
	v_mul_f32_e32 v6, v6, v7
	v_fmac_f32_e32 v6, v5, v9
	v_fmac_f32_e32 v6, -0.5, v5
	v_add_f32_e32 v4, v4, v6
.LBB154_796:
	s_or_b32 exec_lo, exec_lo, s43
.LBB154_797:
	s_or_b32 exec_lo, exec_lo, s0
.LBB154_798:
	s_or_b32 exec_lo, exec_lo, s23
.LBB154_799:
	s_andn2_saveexec_b32 s0, s1
	s_cbranch_execz .LBB154_801
; %bb.800:
	v_cmp_gt_f32_e64 s1, 0x800000, |v1|
	s_mov_b32 s23, 0x3e8a8991
	v_fma_f32 v7, |v1|, s23, 0xbecd26ab
	v_cndmask_b32_e64 v4, 0, 32, s1
	v_ldexp_f32 v4, |v1|, v4
	v_log_f32_e32 v4, v4
	v_mul_f32_e32 v5, 0x3f317217, v4
	v_cmp_gt_f32_e64 vcc_lo, 0x7f800000, |v4|
	v_fma_f32 v6, 0x3f317217, v4, -v5
	v_fmamk_f32 v6, v4, 0x3377d1cf, v6
	v_add_f32_e32 v5, v5, v6
	v_fma_f32 v6, |v1|, v7, 0x3f528d33
	v_cndmask_b32_e32 v4, v4, v5, vcc_lo
	v_cndmask_b32_e64 v5, 0, 0x41b17218, s1
	v_fma_f32 v6, |v1|, v6, 0xbf13c468
	v_sub_f32_e32 v4, v4, v5
	v_fma_f32 v4, |v1|, v6, -v4
.LBB154_801:
	s_or_b32 exec_lo, exec_lo, s0
	v_cmp_le_f16_e32 vcc_lo, 0, v3
	s_mov_b32 s1, exec_lo
	v_cmpx_nle_f16_e32 0, v3
	s_xor_b32 s23, exec_lo, s1
	s_cbranch_execz .LBB154_805
; %bb.802:
	v_cmp_gt_f32_e64 s0, 0x4b000000, |v1|
	v_cmp_lt_f32_e64 s1, 0x35000000, |v1|
	s_and_b32 s0, s0, s1
	s_and_saveexec_b32 s43, s0
	s_cbranch_execz .LBB154_804
; %bb.803:
	v_mul_f32_e64 v5, |v1|, 0.5
	s_mov_b32 s1, 0x3d4be544
	v_xor_b32_e32 v2, v2, v1
	v_floor_f32_e32 v6, v5
	v_cmp_neq_f32_e64 s0, 0x7f800000, v5
	v_sub_f32_e32 v6, v5, v6
	v_min_f32_e32 v6, 0x3f7fffff, v6
	v_add_f32_e32 v6, v6, v6
	v_cndmask_b32_e64 v5, 0, v6, s0
	v_cmp_gt_f32_e64 s0, |v1|, 1.0
	v_cndmask_b32_e64 v5, |v1|, v5, s0
	s_mov_b32 s0, 0x3e75aa41
	v_add_f32_e32 v6, v5, v5
	v_rndne_f32_e32 v6, v6
	v_fmac_f32_e32 v5, -0.5, v6
	v_cvt_i32_f32_e32 v6, v6
	v_mul_f32_e32 v7, v5, v5
	v_fmaak_f32 v9, s0, v7, 0xbf1f24be
	v_fmaak_f32 v10, s1, v7, 0x3e642e9d
	v_mul_f32_e32 v11, v5, v7
	v_fmaak_f32 v9, v7, v9, 0x40234736
	v_fmaak_f32 v10, v7, v10, 0xbfaad1da
	;; [unrolled: 1-line block ×4, first 2 shown]
	v_mul_f32_e32 v9, v11, v9
	v_fmaak_f32 v10, v7, v10, 0xc09de9e6
	v_and_b32_e32 v11, 1, v6
	v_lshlrev_b32_e32 v6, 30, v6
	v_fmamk_f32 v5, v5, 0x40490fdb, v9
	v_fma_f32 v7, v7, v10, 1.0
	v_cmp_eq_u32_e64 s0, 0, v11
	v_and_b32_e32 v6, 0x80000000, v6
	v_cndmask_b32_e64 v5, v7, v5, s0
	v_xor3_b32 v2, v2, v6, v5
	v_mul_f32_e32 v2, v1, v2
	v_frexp_mant_f32_e64 v5, |v2|
	v_frexp_exp_i32_f32_e32 v2, v2
	v_rcp_f32_e32 v5, v5
	v_sub_nc_u32_e32 v2, 2, v2
	v_mul_f32_e32 v5, 0x3f490fdb, v5
	v_ldexp_f32 v2, v5, v2
	v_cmp_gt_f32_e64 s0, 0x800000, v2
	v_cndmask_b32_e64 v5, 0, 32, s0
	v_ldexp_f32 v2, v2, v5
	v_log_f32_e32 v2, v2
	v_mul_f32_e32 v5, 0x3f317217, v2
	v_cmp_gt_f32_e64 s1, 0x7f800000, |v2|
	v_fma_f32 v6, 0x3f317217, v2, -v5
	v_fmamk_f32 v6, v2, 0x3377d1cf, v6
	v_add_f32_e32 v5, v5, v6
	v_floor_f32_e32 v6, v1
	v_cndmask_b32_e64 v2, v2, v5, s1
	v_cndmask_b32_e64 v5, 0, 0x41b17218, s0
	v_sub_f32_e32 v6, v1, v6
	v_sub_f32_e32 v2, v2, v5
	v_min_f32_e32 v5, 0x3f7fffff, v6
	v_sub_f32_e32 v2, v2, v4
	v_cmp_neq_f32_e64 s0, 0, v5
	v_cndmask_b32_e64 v4, 0x7f800000, v2, s0
.LBB154_804:
	s_or_b32 exec_lo, exec_lo, s43
.LBB154_805:
	s_andn2_saveexec_b32 s23, s23
; %bb.806:
	v_cmp_eq_f16_e64 s0, 1.0, v3
	v_cmp_eq_f16_e64 s1, 2.0, v3
	s_or_b32 s0, s0, s1
	v_cndmask_b32_e64 v4, v4, 0, s0
; %bb.807:
	s_or_b32 exec_lo, exec_lo, s23
	v_cmp_gt_f32_e64 s0, 0x4b000000, |v1|
	v_cvt_f16_f32_e32 v2, v4
	s_and_b32 s1, s29, 0xff
	s_or_b32 vcc_lo, vcc_lo, s0
	v_cmp_class_f32_e64 s0, v1, 0x264
	v_cndmask_b32_e32 v2, 0x7c00, v2, vcc_lo
	v_cmp_u_f16_e32 vcc_lo, v3, v3
	s_cmp_lt_i32 s1, 11
	v_cndmask_b32_e64 v2, v2, 0x7c00, s0
	v_add_co_u32 v0, s0, s8, v0
	v_add_co_ci_u32_e64 v1, null, s9, 0, s0
	v_cndmask_b32_e32 v2, v2, v3, vcc_lo
	s_cbranch_scc1 .LBB154_815
; %bb.808:
	s_and_b32 s23, 0xffff, s1
	s_cmp_gt_i32 s23, 25
	s_cbranch_scc0 .LBB154_816
; %bb.809:
	s_cmp_gt_i32 s23, 28
	s_cbranch_scc0 .LBB154_817
; %bb.810:
	;; [unrolled: 3-line block ×4, first 2 shown]
	s_mov_b32 s44, 0
	s_mov_b32 s0, -1
	s_cmp_eq_u32 s23, 46
	s_mov_b32 s43, 0
	s_cbranch_scc0 .LBB154_820
; %bb.813:
	v_cvt_f32_f16_e32 v3, v2
	v_cmp_o_f16_e32 vcc_lo, v2, v2
	s_mov_b32 s43, -1
	s_mov_b32 s0, 0
	v_bfe_u32 v4, v3, 16, 1
	v_add3_u32 v3, v3, v4, 0x7fff
	v_mov_b32_e32 v4, 0x7fc0
	v_cndmask_b32_sdwa v3, v4, v3, vcc_lo dst_sel:DWORD dst_unused:UNUSED_PAD src0_sel:DWORD src1_sel:WORD_1
	global_store_dword v[0:1], v3, off
	s_branch .LBB154_820
.LBB154_814:
	s_mov_b32 s1, 0
	s_mov_b32 s0, s40
	s_branch .LBB154_931
.LBB154_815:
	s_mov_b32 s23, -1
	s_mov_b32 s43, 0
	s_mov_b32 s0, s40
	s_branch .LBB154_889
.LBB154_816:
	s_mov_b32 s44, -1
	s_mov_b32 s43, 0
	s_mov_b32 s0, s40
	s_branch .LBB154_847
.LBB154_817:
	s_mov_b32 s44, -1
	s_mov_b32 s43, 0
	s_mov_b32 s0, s40
	s_branch .LBB154_830
.LBB154_818:
	s_mov_b32 s44, -1
	s_mov_b32 s43, 0
	s_mov_b32 s0, s40
	s_branch .LBB154_826
.LBB154_819:
	s_mov_b32 s44, -1
	s_mov_b32 s43, 0
	s_mov_b32 s0, s40
.LBB154_820:
	s_and_b32 vcc_lo, exec_lo, s44
	s_cbranch_vccz .LBB154_825
; %bb.821:
	s_cmp_eq_u32 s23, 44
	s_mov_b32 s0, -1
	s_cbranch_scc0 .LBB154_825
; %bb.822:
	v_cvt_f32_f16_e32 v3, v2
	v_mov_b32_e32 v4, 0xff
	s_mov_b32 s43, exec_lo
	v_bfe_u32 v5, v3, 23, 8
	v_cmpx_ne_u32_e32 0xff, v5
	s_cbranch_execz .LBB154_824
; %bb.823:
	v_and_b32_e32 v4, 0x400000, v3
	v_and_or_b32 v5, 0x3fffff, v3, v5
	v_lshrrev_b32_e32 v3, 23, v3
	v_cmp_ne_u32_e32 vcc_lo, 0, v4
	v_cmp_ne_u32_e64 s0, 0, v5
	s_and_b32 s0, vcc_lo, s0
	v_cndmask_b32_e64 v4, 0, 1, s0
	v_add_nc_u32_e32 v4, v3, v4
.LBB154_824:
	s_or_b32 exec_lo, exec_lo, s43
	s_mov_b32 s43, -1
	s_mov_b32 s0, 0
	global_store_byte v[0:1], v4, off
.LBB154_825:
	s_mov_b32 s44, 0
.LBB154_826:
	s_and_b32 vcc_lo, exec_lo, s44
	s_cbranch_vccz .LBB154_829
; %bb.827:
	s_cmp_eq_u32 s23, 29
	s_mov_b32 s0, -1
	s_cbranch_scc0 .LBB154_829
; %bb.828:
	v_cvt_f32_f16_e32 v3, v2
	v_mov_b32_e32 v4, 0
	s_mov_b32 s43, -1
	s_mov_b32 s0, 0
	s_mov_b32 s44, 0
	v_cvt_u32_f32_e32 v3, v3
	global_store_dwordx2 v[0:1], v[3:4], off
	s_branch .LBB154_830
.LBB154_829:
	s_mov_b32 s44, 0
.LBB154_830:
	s_and_b32 vcc_lo, exec_lo, s44
	s_cbranch_vccz .LBB154_846
; %bb.831:
	s_cmp_lt_i32 s23, 27
	s_mov_b32 s43, -1
	s_cbranch_scc1 .LBB154_837
; %bb.832:
	s_cmp_gt_i32 s23, 27
	s_cbranch_scc0 .LBB154_834
; %bb.833:
	v_cvt_f32_f16_e32 v3, v2
	s_mov_b32 s43, 0
	v_cvt_u32_f32_e32 v3, v3
	global_store_dword v[0:1], v3, off
.LBB154_834:
	s_andn2_b32 vcc_lo, exec_lo, s43
	s_cbranch_vccnz .LBB154_836
; %bb.835:
	v_cvt_u16_f16_e32 v3, v2
	global_store_short v[0:1], v3, off
.LBB154_836:
	s_mov_b32 s43, 0
.LBB154_837:
	s_andn2_b32 vcc_lo, exec_lo, s43
	s_cbranch_vccnz .LBB154_845
; %bb.838:
	v_cvt_f32_f16_e32 v3, v2
	v_mov_b32_e32 v5, 0x80
	s_mov_b32 s43, exec_lo
	v_and_b32_e32 v4, 0x7fffffff, v3
	v_cmpx_gt_u32_e32 0x43800000, v4
	s_cbranch_execz .LBB154_844
; %bb.839:
	v_cmp_lt_u32_e32 vcc_lo, 0x3bffffff, v4
	s_mov_b32 s44, 0
                                        ; implicit-def: $vgpr4
	s_and_saveexec_b32 s45, vcc_lo
	s_xor_b32 s45, exec_lo, s45
	s_cbranch_execz .LBB154_961
; %bb.840:
	v_bfe_u32 v4, v3, 20, 1
	s_mov_b32 s44, exec_lo
	v_add3_u32 v4, v3, v4, 0x487ffff
	v_lshrrev_b32_e32 v4, 20, v4
	s_andn2_saveexec_b32 s45, s45
	s_cbranch_execnz .LBB154_962
.LBB154_841:
	s_or_b32 exec_lo, exec_lo, s45
	v_mov_b32_e32 v5, 0
	s_and_saveexec_b32 s45, s44
.LBB154_842:
	v_lshrrev_b32_e32 v3, 24, v3
	v_and_or_b32 v5, 0x80, v3, v4
.LBB154_843:
	s_or_b32 exec_lo, exec_lo, s45
.LBB154_844:
	s_or_b32 exec_lo, exec_lo, s43
	global_store_byte v[0:1], v5, off
.LBB154_845:
	s_mov_b32 s43, -1
.LBB154_846:
	s_mov_b32 s44, 0
.LBB154_847:
	s_and_b32 vcc_lo, exec_lo, s44
	s_cbranch_vccz .LBB154_888
; %bb.848:
	s_cmp_gt_i32 s23, 22
	s_mov_b32 s44, -1
	s_cbranch_scc0 .LBB154_880
; %bb.849:
	s_cmp_lt_i32 s23, 24
	s_mov_b32 s43, -1
	s_cbranch_scc1 .LBB154_869
; %bb.850:
	s_cmp_gt_i32 s23, 24
	s_cbranch_scc0 .LBB154_858
; %bb.851:
	v_cvt_f32_f16_e32 v3, v2
	v_mov_b32_e32 v5, 0x80
	s_mov_b32 s43, exec_lo
	v_and_b32_e32 v4, 0x7fffffff, v3
	v_cmpx_gt_u32_e32 0x47800000, v4
	s_cbranch_execz .LBB154_857
; %bb.852:
	v_cmp_lt_u32_e32 vcc_lo, 0x37ffffff, v4
	s_mov_b32 s44, 0
                                        ; implicit-def: $vgpr4
	s_and_saveexec_b32 s45, vcc_lo
	s_xor_b32 s45, exec_lo, s45
	s_cbranch_execz .LBB154_964
; %bb.853:
	v_bfe_u32 v4, v3, 21, 1
	s_mov_b32 s44, exec_lo
	v_add3_u32 v4, v3, v4, 0x88fffff
	v_lshrrev_b32_e32 v4, 21, v4
	s_andn2_saveexec_b32 s45, s45
	s_cbranch_execnz .LBB154_965
.LBB154_854:
	s_or_b32 exec_lo, exec_lo, s45
	v_mov_b32_e32 v5, 0
	s_and_saveexec_b32 s45, s44
.LBB154_855:
	v_lshrrev_b32_e32 v3, 24, v3
	v_and_or_b32 v5, 0x80, v3, v4
.LBB154_856:
	s_or_b32 exec_lo, exec_lo, s45
.LBB154_857:
	s_or_b32 exec_lo, exec_lo, s43
	s_mov_b32 s43, 0
	global_store_byte v[0:1], v5, off
.LBB154_858:
	s_and_b32 vcc_lo, exec_lo, s43
	s_cbranch_vccz .LBB154_868
; %bb.859:
	v_cvt_f32_f16_e32 v3, v2
	s_mov_b32 s43, exec_lo
                                        ; implicit-def: $vgpr4
	v_and_b32_e32 v5, 0x7fffffff, v3
	v_cmpx_gt_u32_e32 0x43f00000, v5
	s_xor_b32 s43, exec_lo, s43
	s_cbranch_execz .LBB154_865
; %bb.860:
	s_mov_b32 s44, exec_lo
                                        ; implicit-def: $vgpr4
	v_cmpx_lt_u32_e32 0x3c7fffff, v5
	s_xor_b32 s44, exec_lo, s44
; %bb.861:
	v_bfe_u32 v4, v3, 20, 1
	v_add3_u32 v4, v3, v4, 0x407ffff
	v_and_b32_e32 v5, 0xff00000, v4
	v_lshrrev_b32_e32 v4, 20, v4
	v_cmp_ne_u32_e32 vcc_lo, 0x7f00000, v5
	v_cndmask_b32_e32 v4, 0x7e, v4, vcc_lo
; %bb.862:
	s_andn2_saveexec_b32 s44, s44
; %bb.863:
	v_add_f32_e64 v4, 0x46800000, |v3|
; %bb.864:
	s_or_b32 exec_lo, exec_lo, s44
                                        ; implicit-def: $vgpr5
.LBB154_865:
	s_andn2_saveexec_b32 s43, s43
; %bb.866:
	v_mov_b32_e32 v4, 0x7f
	v_cmp_lt_u32_e32 vcc_lo, 0x7f800000, v5
	v_cndmask_b32_e32 v4, 0x7e, v4, vcc_lo
; %bb.867:
	s_or_b32 exec_lo, exec_lo, s43
	v_lshrrev_b32_e32 v3, 24, v3
	v_and_or_b32 v3, 0x80, v3, v4
	global_store_byte v[0:1], v3, off
.LBB154_868:
	s_mov_b32 s43, 0
.LBB154_869:
	s_andn2_b32 vcc_lo, exec_lo, s43
	s_cbranch_vccnz .LBB154_879
; %bb.870:
	v_cvt_f32_f16_e32 v3, v2
	s_mov_b32 s43, exec_lo
                                        ; implicit-def: $vgpr4
	v_and_b32_e32 v5, 0x7fffffff, v3
	v_cmpx_gt_u32_e32 0x47800000, v5
	s_xor_b32 s43, exec_lo, s43
	s_cbranch_execz .LBB154_876
; %bb.871:
	s_mov_b32 s44, exec_lo
                                        ; implicit-def: $vgpr4
	v_cmpx_lt_u32_e32 0x387fffff, v5
	s_xor_b32 s44, exec_lo, s44
; %bb.872:
	v_bfe_u32 v4, v3, 21, 1
	v_add3_u32 v4, v3, v4, 0x80fffff
	v_lshrrev_b32_e32 v4, 21, v4
; %bb.873:
	s_andn2_saveexec_b32 s44, s44
; %bb.874:
	v_add_f32_e64 v4, 0x43000000, |v3|
; %bb.875:
	s_or_b32 exec_lo, exec_lo, s44
                                        ; implicit-def: $vgpr5
.LBB154_876:
	s_andn2_saveexec_b32 s43, s43
; %bb.877:
	v_mov_b32_e32 v4, 0x7f
	v_cmp_lt_u32_e32 vcc_lo, 0x7f800000, v5
	v_cndmask_b32_e32 v4, 0x7c, v4, vcc_lo
; %bb.878:
	s_or_b32 exec_lo, exec_lo, s43
	v_lshrrev_b32_e32 v3, 24, v3
	v_and_or_b32 v3, 0x80, v3, v4
	global_store_byte v[0:1], v3, off
.LBB154_879:
	s_mov_b32 s44, 0
	s_mov_b32 s43, -1
.LBB154_880:
	s_andn2_b32 vcc_lo, exec_lo, s44
	s_cbranch_vccnz .LBB154_888
; %bb.881:
	s_cmp_gt_i32 s23, 14
	s_mov_b32 s44, -1
	s_cbranch_scc0 .LBB154_885
; %bb.882:
	s_cmp_eq_u32 s23, 15
	s_mov_b32 s0, -1
	s_cbranch_scc0 .LBB154_884
; %bb.883:
	v_cvt_f32_f16_e32 v3, v2
	v_cmp_o_f16_e32 vcc_lo, v2, v2
	s_mov_b32 s43, -1
	s_mov_b32 s0, 0
	v_bfe_u32 v4, v3, 16, 1
	v_add3_u32 v3, v3, v4, 0x7fff
	v_mov_b32_e32 v4, 0x7fc0
	v_cndmask_b32_sdwa v3, v4, v3, vcc_lo dst_sel:DWORD dst_unused:UNUSED_PAD src0_sel:DWORD src1_sel:WORD_1
	global_store_short v[0:1], v3, off
.LBB154_884:
	s_mov_b32 s44, 0
.LBB154_885:
	s_and_b32 vcc_lo, exec_lo, s44
	s_cbranch_vccz .LBB154_888
; %bb.886:
	s_cmp_eq_u32 s23, 11
	s_mov_b32 s0, -1
	s_cbranch_scc0 .LBB154_888
; %bb.887:
	v_cmp_neq_f16_e32 vcc_lo, 0, v2
	s_mov_b32 s0, 0
	s_mov_b32 s43, -1
	v_cndmask_b32_e64 v3, 0, 1, vcc_lo
	global_store_byte v[0:1], v3, off
.LBB154_888:
	s_mov_b32 s23, 0
.LBB154_889:
	s_and_b32 vcc_lo, exec_lo, s23
	s_cbranch_vccz .LBB154_928
; %bb.890:
	s_and_b32 s1, 0xffff, s1
	s_mov_b32 s23, -1
	s_cmp_lt_i32 s1, 5
	s_cbranch_scc1 .LBB154_911
; %bb.891:
	s_cmp_lt_i32 s1, 8
	s_cbranch_scc1 .LBB154_901
; %bb.892:
	;; [unrolled: 3-line block ×3, first 2 shown]
	s_cmp_gt_i32 s1, 9
	s_cbranch_scc0 .LBB154_895
; %bb.894:
	v_cvt_f32_f16_e32 v3, v2
	v_mov_b32_e32 v5, 0
	s_mov_b32 s23, 0
	v_cvt_f64_f32_e32 v[3:4], v3
	v_mov_b32_e32 v6, v5
	global_store_dwordx4 v[0:1], v[3:6], off
.LBB154_895:
	s_andn2_b32 vcc_lo, exec_lo, s23
	s_cbranch_vccnz .LBB154_897
; %bb.896:
	v_cvt_f32_f16_e32 v3, v2
	v_mov_b32_e32 v4, 0
	global_store_dwordx2 v[0:1], v[3:4], off
.LBB154_897:
	s_mov_b32 s23, 0
.LBB154_898:
	s_andn2_b32 vcc_lo, exec_lo, s23
	s_cbranch_vccnz .LBB154_900
; %bb.899:
	v_and_b32_e32 v3, 0xffff, v2
	global_store_dword v[0:1], v3, off
.LBB154_900:
	s_mov_b32 s23, 0
.LBB154_901:
	s_andn2_b32 vcc_lo, exec_lo, s23
	s_cbranch_vccnz .LBB154_910
; %bb.902:
	s_cmp_lt_i32 s1, 6
	s_mov_b32 s23, -1
	s_cbranch_scc1 .LBB154_908
; %bb.903:
	s_cmp_gt_i32 s1, 6
	s_cbranch_scc0 .LBB154_905
; %bb.904:
	v_cvt_f32_f16_e32 v3, v2
	s_mov_b32 s23, 0
	v_cvt_f64_f32_e32 v[3:4], v3
	global_store_dwordx2 v[0:1], v[3:4], off
.LBB154_905:
	s_andn2_b32 vcc_lo, exec_lo, s23
	s_cbranch_vccnz .LBB154_907
; %bb.906:
	v_cvt_f32_f16_e32 v3, v2
	global_store_dword v[0:1], v3, off
.LBB154_907:
	s_mov_b32 s23, 0
.LBB154_908:
	s_andn2_b32 vcc_lo, exec_lo, s23
	s_cbranch_vccnz .LBB154_910
; %bb.909:
	global_store_short v[0:1], v2, off
.LBB154_910:
	s_mov_b32 s23, 0
.LBB154_911:
	s_andn2_b32 vcc_lo, exec_lo, s23
	s_cbranch_vccnz .LBB154_927
; %bb.912:
	s_cmp_lt_i32 s1, 2
	s_mov_b32 s23, -1
	s_cbranch_scc1 .LBB154_922
; %bb.913:
	s_cmp_lt_i32 s1, 3
	s_cbranch_scc1 .LBB154_919
; %bb.914:
	s_cmp_gt_i32 s1, 3
	s_cbranch_scc0 .LBB154_916
; %bb.915:
	v_cvt_f32_f16_e32 v3, v2
	s_mov_b32 s23, 0
	v_cvt_i32_f32_e32 v3, v3
	v_ashrrev_i32_e32 v4, 31, v3
	global_store_dwordx2 v[0:1], v[3:4], off
.LBB154_916:
	s_andn2_b32 vcc_lo, exec_lo, s23
	s_cbranch_vccnz .LBB154_918
; %bb.917:
	v_cvt_f32_f16_e32 v3, v2
	v_cvt_i32_f32_e32 v3, v3
	global_store_dword v[0:1], v3, off
.LBB154_918:
	s_mov_b32 s23, 0
.LBB154_919:
	s_andn2_b32 vcc_lo, exec_lo, s23
	s_cbranch_vccnz .LBB154_921
; %bb.920:
	v_cvt_i16_f16_e32 v3, v2
	global_store_short v[0:1], v3, off
.LBB154_921:
	s_mov_b32 s23, 0
.LBB154_922:
	s_andn2_b32 vcc_lo, exec_lo, s23
	s_cbranch_vccnz .LBB154_927
; %bb.923:
	s_cmp_gt_i32 s1, 0
	s_mov_b32 s1, -1
	s_cbranch_scc0 .LBB154_925
; %bb.924:
	v_cvt_i16_f16_e32 v3, v2
	s_mov_b32 s1, 0
	global_store_byte v[0:1], v3, off
.LBB154_925:
	s_andn2_b32 vcc_lo, exec_lo, s1
	s_cbranch_vccnz .LBB154_927
; %bb.926:
	v_cvt_f32_f16_e32 v2, v2
	v_cvt_i32_f32_e32 v2, v2
	global_store_byte v[0:1], v2, off
.LBB154_927:
	s_mov_b32 s43, -1
.LBB154_928:
	s_andn2_b32 vcc_lo, exec_lo, s43
	s_cbranch_vccnz .LBB154_930
; %bb.929:
	v_add_nc_u32_e32 v8, 0x80, v8
	s_mov_b32 s1, -1
	s_branch .LBB154_932
.LBB154_930:
	s_mov_b32 s1, 0
.LBB154_931:
                                        ; implicit-def: $vgpr8
.LBB154_932:
	s_andn2_b32 s23, s40, exec_lo
	s_and_b32 s0, s0, exec_lo
	s_andn2_b32 s43, s39, exec_lo
	s_and_b32 s22, s22, exec_lo
	s_or_b32 s23, s23, s0
	s_or_b32 s22, s43, s22
	s_orn2_b32 s44, s1, exec_lo
.LBB154_933:
	s_or_b32 exec_lo, exec_lo, s42
	s_mov_b32 s0, 0
	s_mov_b32 s1, 0
	;; [unrolled: 1-line block ×3, first 2 shown]
                                        ; implicit-def: $vgpr1_vgpr2
                                        ; implicit-def: $vgpr0
                                        ; implicit-def: $vgpr3
	s_and_saveexec_b32 s42, s44
	s_cbranch_execz .LBB154_1033
; %bb.934:
	v_cmp_gt_i32_e32 vcc_lo, s33, v8
	s_mov_b32 s45, s22
	s_mov_b32 s44, 0
                                        ; implicit-def: $vgpr1_vgpr2
                                        ; implicit-def: $vgpr0
                                        ; implicit-def: $vgpr3
	s_and_saveexec_b32 s33, vcc_lo
	s_cbranch_execz .LBB154_1032
; %bb.935:
	s_andn2_b32 vcc_lo, exec_lo, s27
	s_cbranch_vccnz .LBB154_940
; %bb.936:
	s_andn2_b32 vcc_lo, exec_lo, s34
	s_cbranch_vccnz .LBB154_941
; %bb.937:
	s_add_i32 s35, s35, 1
	s_cmp_eq_u32 s25, 2
	s_cbranch_scc1 .LBB154_942
; %bb.938:
	v_mov_b32_e32 v2, 0
	v_mov_b32_e32 v0, 0
	v_mov_b32_e32 v1, v8
	s_and_b32 s34, s35, 28
	s_mov_b64 s[0:1], s[2:3]
.LBB154_939:                            ; =>This Inner Loop Header: Depth=1
	s_clause 0x1
	s_load_dwordx8 s[44:51], s[0:1], 0x4
	s_load_dwordx4 s[60:63], s[0:1], 0x24
	s_load_dwordx8 s[52:59], s[20:21], 0x0
	s_add_u32 s0, s0, 48
	s_addc_u32 s1, s1, 0
	s_add_i32 s43, s43, 4
	s_add_u32 s20, s20, 32
	s_addc_u32 s21, s21, 0
	s_cmp_eq_u32 s34, s43
	s_waitcnt vmcnt(0) lgkmcnt(0)
	v_mul_hi_u32 v3, s45, v1
	v_add_nc_u32_e32 v3, v1, v3
	v_lshrrev_b32_e32 v3, s46, v3
	v_mul_hi_u32 v4, s48, v3
	v_mul_lo_u32 v6, v3, s44
	v_add_nc_u32_e32 v4, v3, v4
	v_sub_nc_u32_e32 v1, v1, v6
	v_lshrrev_b32_e32 v4, s49, v4
	v_mul_lo_u32 v6, v1, s52
	v_mul_lo_u32 v9, v1, s53
	v_mul_hi_u32 v5, s51, v4
	v_add_nc_u32_e32 v5, v4, v5
	v_lshrrev_b32_e32 v5, s60, v5
	v_mul_hi_u32 v7, s62, v5
	v_mul_lo_u32 v10, v5, s50
	v_add_nc_u32_e32 v1, v5, v7
	v_mul_lo_u32 v7, v4, s47
	v_sub_nc_u32_e32 v4, v4, v10
	v_lshrrev_b32_e32 v1, s63, v1
	v_mul_lo_u32 v10, v4, s56
	v_mul_lo_u32 v4, v4, s57
	v_sub_nc_u32_e32 v3, v3, v7
	v_mul_lo_u32 v11, v1, s61
	v_mul_lo_u32 v7, v3, s54
	v_mul_lo_u32 v3, v3, s55
	v_sub_nc_u32_e32 v5, v5, v11
	v_add3_u32 v0, v6, v0, v7
	v_mul_lo_u32 v11, v5, s58
	v_mul_lo_u32 v5, v5, s59
	v_add3_u32 v2, v9, v2, v3
	v_add3_u32 v0, v10, v0, v11
	;; [unrolled: 1-line block ×3, first 2 shown]
	s_cbranch_scc0 .LBB154_939
	s_branch .LBB154_943
.LBB154_940:
	s_mov_b32 s0, -1
                                        ; implicit-def: $vgpr0
                                        ; implicit-def: $vgpr2
	s_branch .LBB154_947
.LBB154_941:
	v_mov_b32_e32 v0, 0
	v_mov_b32_e32 v2, 0
	s_branch .LBB154_946
.LBB154_942:
	v_mov_b32_e32 v0, 0
	v_mov_b32_e32 v2, 0
	;; [unrolled: 1-line block ×3, first 2 shown]
	s_mov_b32 s34, 0
.LBB154_943:
	s_and_b32 s35, s35, 3
	s_cmp_eq_u32 s35, 0
	s_cbranch_scc1 .LBB154_946
; %bb.944:
	s_lshl_b32 s0, s34, 3
	s_mul_i32 s20, s34, 12
	s_add_u32 s0, s2, s0
	s_addc_u32 s1, s3, 0
	s_add_u32 s0, s0, 0xc4
	s_addc_u32 s1, s1, 0
	s_add_u32 s20, s2, s20
	s_addc_u32 s21, s3, 0
.LBB154_945:                            ; =>This Inner Loop Header: Depth=1
	s_clause 0x1
	s_load_dwordx2 s[44:45], s[20:21], 0x4
	s_load_dword s34, s[20:21], 0xc
	s_load_dwordx2 s[46:47], s[0:1], 0x0
	s_add_u32 s20, s20, 12
	s_addc_u32 s21, s21, 0
	s_add_u32 s0, s0, 8
	s_addc_u32 s1, s1, 0
	s_add_i32 s35, s35, -1
	s_cmp_lg_u32 s35, 0
	s_waitcnt vmcnt(0) lgkmcnt(0)
	v_mul_hi_u32 v3, s45, v1
	v_add_nc_u32_e32 v3, v1, v3
	v_lshrrev_b32_e32 v4, s34, v3
	v_mul_lo_u32 v3, v4, s44
	v_sub_nc_u32_e32 v3, v1, v3
	v_mad_u64_u32 v[0:1], null, v3, s46, v[0:1]
	v_mad_u64_u32 v[2:3], null, v3, s47, v[2:3]
	v_mov_b32_e32 v1, v4
	s_cbranch_scc1 .LBB154_945
.LBB154_946:
	s_mov_b32 s0, 0
.LBB154_947:
	s_andn2_b32 vcc_lo, exec_lo, s0
	s_cbranch_vccnz .LBB154_950
; %bb.948:
	s_waitcnt lgkmcnt(0)
	v_mul_hi_u32 v0, s17, v8
	s_andn2_b32 vcc_lo, exec_lo, s31
	v_add_nc_u32_e32 v0, v8, v0
	v_lshrrev_b32_e32 v1, s18, v0
	v_mul_lo_u32 v0, v1, s16
	v_sub_nc_u32_e32 v2, v8, v0
	v_mul_lo_u32 v0, v2, s12
	v_mul_lo_u32 v2, v2, s13
	s_cbranch_vccnz .LBB154_950
; %bb.949:
	s_waitcnt vmcnt(0)
	v_mul_hi_u32 v3, s6, v1
	v_add_nc_u32_e32 v3, v1, v3
	v_lshrrev_b32_e32 v3, s7, v3
	v_mul_lo_u32 v3, v3, s19
	v_sub_nc_u32_e32 v3, v1, v3
	v_mad_u64_u32 v[0:1], null, v3, s14, v[0:1]
	v_mad_u64_u32 v[2:3], null, v3, s15, v[2:3]
.LBB154_950:
	s_waitcnt lgkmcnt(0)
	v_add_co_u32 v1, s0, s10, v2
	v_add_co_ci_u32_e64 v2, null, s11, 0, s0
	s_and_b32 s0, 0xffff, s30
	s_cmp_lt_i32 s0, 11
	s_cbranch_scc1 .LBB154_957
; %bb.951:
	s_cmp_gt_i32 s0, 25
	s_mov_b32 s6, 0
	s_cbranch_scc0 .LBB154_958
; %bb.952:
	s_cmp_gt_i32 s0, 28
	s_cbranch_scc0 .LBB154_959
; %bb.953:
	s_cmp_gt_i32 s0, 43
	;; [unrolled: 3-line block ×3, first 2 shown]
	s_cbranch_scc0 .LBB154_963
; %bb.955:
	s_cmp_eq_u32 s0, 46
	s_mov_b32 s10, 0
	s_cbranch_scc0 .LBB154_966
; %bb.956:
	global_load_dword v3, v[1:2], off
	s_mov_b32 s1, 0
	s_mov_b32 s7, -1
	s_waitcnt vmcnt(0)
	v_lshlrev_b32_e32 v3, 16, v3
	v_cvt_f16_f32_e32 v3, v3
	s_branch .LBB154_968
.LBB154_957:
	s_mov_b32 s0, -1
	s_mov_b32 s7, 0
	s_mov_b32 s6, 0
	;; [unrolled: 1-line block ×3, first 2 shown]
                                        ; implicit-def: $vgpr3
	s_branch .LBB154_1031
.LBB154_958:
	s_mov_b32 s10, -1
	s_mov_b32 s7, 0
	s_mov_b32 s1, s22
                                        ; implicit-def: $vgpr3
	s_branch .LBB154_997
.LBB154_959:
	s_mov_b32 s10, -1
	s_mov_b32 s7, 0
	s_mov_b32 s1, s22
                                        ; implicit-def: $vgpr3
	s_branch .LBB154_978
.LBB154_960:
	s_mov_b32 s10, -1
	s_mov_b32 s7, 0
	s_mov_b32 s1, s22
                                        ; implicit-def: $vgpr3
	s_branch .LBB154_973
.LBB154_961:
	s_andn2_saveexec_b32 s45, s45
	s_cbranch_execz .LBB154_841
.LBB154_962:
	v_add_f32_e64 v4, 0x46000000, |v3|
	s_andn2_b32 s44, s44, exec_lo
	v_and_b32_e32 v4, 0xff, v4
	v_cmp_ne_u32_e32 vcc_lo, 0, v4
	s_and_b32 s46, vcc_lo, exec_lo
	s_or_b32 s44, s44, s46
	s_or_b32 exec_lo, exec_lo, s45
	v_mov_b32_e32 v5, 0
	s_and_saveexec_b32 s45, s44
	s_cbranch_execnz .LBB154_842
	s_branch .LBB154_843
.LBB154_963:
	s_mov_b32 s10, -1
	s_mov_b32 s7, 0
	s_mov_b32 s1, s22
	s_branch .LBB154_967
.LBB154_964:
	s_andn2_saveexec_b32 s45, s45
	s_cbranch_execz .LBB154_854
.LBB154_965:
	v_add_f32_e64 v4, 0x42800000, |v3|
	s_andn2_b32 s44, s44, exec_lo
	v_and_b32_e32 v4, 0xff, v4
	v_cmp_ne_u32_e32 vcc_lo, 0, v4
	s_and_b32 s46, vcc_lo, exec_lo
	s_or_b32 s44, s44, s46
	s_or_b32 exec_lo, exec_lo, s45
	v_mov_b32_e32 v5, 0
	s_and_saveexec_b32 s45, s44
	s_cbranch_execnz .LBB154_855
	s_branch .LBB154_856
.LBB154_966:
	s_mov_b32 s1, -1
	s_mov_b32 s7, 0
.LBB154_967:
                                        ; implicit-def: $vgpr3
.LBB154_968:
	s_and_b32 vcc_lo, exec_lo, s10
	s_cbranch_vccz .LBB154_972
; %bb.969:
	s_cmp_eq_u32 s0, 44
	s_cbranch_scc0 .LBB154_971
; %bb.970:
	global_load_ubyte v3, v[1:2], off
	s_mov_b32 s1, 0
	s_mov_b32 s7, -1
	s_waitcnt vmcnt(0)
	v_lshlrev_b32_e32 v4, 23, v3
	v_cmp_ne_u32_e32 vcc_lo, 0xff, v3
	v_cvt_f16_f32_e32 v4, v4
	v_cndmask_b32_e32 v4, 0x7e00, v4, vcc_lo
	v_cmp_ne_u32_e32 vcc_lo, 0, v3
	v_cndmask_b32_e32 v3, 0, v4, vcc_lo
	s_branch .LBB154_972
.LBB154_971:
	s_mov_b32 s1, -1
                                        ; implicit-def: $vgpr3
.LBB154_972:
	s_mov_b32 s10, 0
.LBB154_973:
	s_and_b32 vcc_lo, exec_lo, s10
	s_cbranch_vccz .LBB154_977
; %bb.974:
	s_cmp_eq_u32 s0, 29
	s_cbranch_scc0 .LBB154_976
; %bb.975:
	global_load_dwordx2 v[3:4], v[1:2], off
	s_mov_b32 s1, 0
	s_mov_b32 s7, -1
	s_mov_b32 s10, 0
	s_waitcnt vmcnt(0)
	v_ffbh_u32_e32 v5, v4
	v_min_u32_e32 v5, 32, v5
	v_lshlrev_b64 v[3:4], v5, v[3:4]
	v_min_u32_e32 v3, 1, v3
	v_or_b32_e32 v3, v4, v3
	v_sub_nc_u32_e32 v4, 32, v5
	v_cvt_f32_u32_e32 v3, v3
	v_ldexp_f32 v3, v3, v4
	v_cvt_f16_f32_e32 v3, v3
	s_branch .LBB154_978
.LBB154_976:
	s_mov_b32 s1, -1
                                        ; implicit-def: $vgpr3
.LBB154_977:
	s_mov_b32 s10, 0
.LBB154_978:
	s_and_b32 vcc_lo, exec_lo, s10
	s_cbranch_vccz .LBB154_996
; %bb.979:
	s_cmp_lt_i32 s0, 27
	s_cbranch_scc1 .LBB154_982
; %bb.980:
	s_cmp_gt_i32 s0, 27
	s_cbranch_scc0 .LBB154_983
; %bb.981:
	global_load_dword v3, v[1:2], off
	s_mov_b32 s7, 0
	s_waitcnt vmcnt(0)
	v_cvt_f32_u32_e32 v3, v3
	v_cvt_f16_f32_e32 v3, v3
	s_branch .LBB154_984
.LBB154_982:
	s_mov_b32 s7, -1
                                        ; implicit-def: $vgpr3
	s_branch .LBB154_987
.LBB154_983:
	s_mov_b32 s7, -1
                                        ; implicit-def: $vgpr3
.LBB154_984:
	s_andn2_b32 vcc_lo, exec_lo, s7
	s_cbranch_vccnz .LBB154_986
; %bb.985:
	global_load_ushort v3, v[1:2], off
	s_waitcnt vmcnt(0)
	v_cvt_f16_u16_e32 v3, v3
.LBB154_986:
	s_mov_b32 s7, 0
.LBB154_987:
	s_andn2_b32 vcc_lo, exec_lo, s7
	s_cbranch_vccnz .LBB154_995
; %bb.988:
	global_load_ubyte v4, v[1:2], off
	s_mov_b32 s7, 0
	s_mov_b32 s10, exec_lo
	s_waitcnt vmcnt(0)
	v_cmpx_lt_i16_e32 0x7f, v4
	s_xor_b32 s10, exec_lo, s10
	s_cbranch_execz .LBB154_1009
; %bb.989:
	s_mov_b32 s7, -1
	s_mov_b32 s11, exec_lo
	v_cmpx_eq_u16_e32 0x80, v4
; %bb.990:
	s_xor_b32 s7, exec_lo, -1
; %bb.991:
	s_or_b32 exec_lo, exec_lo, s11
	s_and_b32 s7, s7, exec_lo
	s_or_saveexec_b32 s10, s10
	v_mov_b32_e32 v3, 0x7e00
	s_xor_b32 exec_lo, exec_lo, s10
	s_cbranch_execnz .LBB154_1010
.LBB154_992:
	s_or_b32 exec_lo, exec_lo, s10
	s_and_saveexec_b32 s10, s7
	s_cbranch_execz .LBB154_994
.LBB154_993:
	v_and_b32_e32 v3, 0xffff, v4
	v_lshlrev_b32_e32 v4, 24, v4
	v_and_b32_e32 v5, 7, v3
	v_bfe_u32 v8, v3, 3, 4
	v_and_b32_e32 v4, 0x80000000, v4
	v_ffbh_u32_e32 v6, v5
	v_cmp_eq_u32_e32 vcc_lo, 0, v8
	v_min_u32_e32 v6, 32, v6
	v_subrev_nc_u32_e32 v7, 28, v6
	v_sub_nc_u32_e32 v6, 29, v6
	v_lshlrev_b32_e32 v3, v7, v3
	v_cndmask_b32_e32 v6, v8, v6, vcc_lo
	v_and_b32_e32 v3, 7, v3
	v_cndmask_b32_e32 v3, v5, v3, vcc_lo
	v_lshl_add_u32 v5, v6, 23, 0x3b800000
	v_lshlrev_b32_e32 v3, 20, v3
	v_or3_b32 v3, v4, v5, v3
	v_cvt_f16_f32_e32 v3, v3
.LBB154_994:
	s_or_b32 exec_lo, exec_lo, s10
.LBB154_995:
	s_mov_b32 s7, -1
.LBB154_996:
	s_mov_b32 s10, 0
.LBB154_997:
	s_and_b32 vcc_lo, exec_lo, s10
	s_cbranch_vccz .LBB154_1030
; %bb.998:
	s_cmp_gt_i32 s0, 22
	s_cbranch_scc0 .LBB154_1008
; %bb.999:
	s_cmp_lt_i32 s0, 24
	s_cbranch_scc1 .LBB154_1011
; %bb.1000:
	s_cmp_gt_i32 s0, 24
	s_cbranch_scc0 .LBB154_1012
; %bb.1001:
	global_load_ubyte v4, v[1:2], off
	s_mov_b32 s7, exec_lo
	s_waitcnt vmcnt(0)
	v_cmpx_lt_i16_e32 0x7f, v4
	s_xor_b32 s7, exec_lo, s7
	s_cbranch_execz .LBB154_1024
; %bb.1002:
	s_mov_b32 s6, -1
	s_mov_b32 s10, exec_lo
	v_cmpx_eq_u16_e32 0x80, v4
; %bb.1003:
	s_xor_b32 s6, exec_lo, -1
; %bb.1004:
	s_or_b32 exec_lo, exec_lo, s10
	s_and_b32 s6, s6, exec_lo
	s_or_saveexec_b32 s7, s7
	v_mov_b32_e32 v3, 0x7e00
	s_xor_b32 exec_lo, exec_lo, s7
	s_cbranch_execnz .LBB154_1025
.LBB154_1005:
	s_or_b32 exec_lo, exec_lo, s7
	s_and_saveexec_b32 s7, s6
	s_cbranch_execz .LBB154_1007
.LBB154_1006:
	v_and_b32_e32 v3, 0xffff, v4
	v_lshlrev_b32_e32 v4, 24, v4
	v_and_b32_e32 v5, 3, v3
	v_bfe_u32 v8, v3, 2, 5
	v_and_b32_e32 v4, 0x80000000, v4
	v_ffbh_u32_e32 v6, v5
	v_cmp_eq_u32_e32 vcc_lo, 0, v8
	v_min_u32_e32 v6, 32, v6
	v_subrev_nc_u32_e32 v7, 29, v6
	v_sub_nc_u32_e32 v6, 30, v6
	v_lshlrev_b32_e32 v3, v7, v3
	v_cndmask_b32_e32 v6, v8, v6, vcc_lo
	v_and_b32_e32 v3, 3, v3
	v_cndmask_b32_e32 v3, v5, v3, vcc_lo
	v_lshl_add_u32 v5, v6, 23, 0x37800000
	v_lshlrev_b32_e32 v3, 21, v3
	v_or3_b32 v3, v4, v5, v3
	v_cvt_f16_f32_e32 v3, v3
.LBB154_1007:
	s_or_b32 exec_lo, exec_lo, s7
	s_mov_b32 s6, 0
	s_branch .LBB154_1013
.LBB154_1008:
	s_mov_b32 s6, -1
                                        ; implicit-def: $vgpr3
	s_branch .LBB154_1019
.LBB154_1009:
	s_or_saveexec_b32 s10, s10
	v_mov_b32_e32 v3, 0x7e00
	s_xor_b32 exec_lo, exec_lo, s10
	s_cbranch_execz .LBB154_992
.LBB154_1010:
	v_cmp_ne_u16_e32 vcc_lo, 0, v4
	v_mov_b32_e32 v3, v4
	s_andn2_b32 s7, s7, exec_lo
	s_and_b32 s11, vcc_lo, exec_lo
	s_or_b32 s7, s7, s11
	s_or_b32 exec_lo, exec_lo, s10
	s_and_saveexec_b32 s10, s7
	s_cbranch_execnz .LBB154_993
	s_branch .LBB154_994
.LBB154_1011:
	s_mov_b32 s6, -1
                                        ; implicit-def: $vgpr3
	s_branch .LBB154_1016
.LBB154_1012:
	s_mov_b32 s6, -1
                                        ; implicit-def: $vgpr3
.LBB154_1013:
	s_and_b32 vcc_lo, exec_lo, s6
	s_cbranch_vccz .LBB154_1015
; %bb.1014:
	global_load_ubyte v3, v[1:2], off
	s_waitcnt vmcnt(0)
	v_lshlrev_b32_e32 v3, 24, v3
	v_and_b32_e32 v4, 0x7f000000, v3
	v_ffbh_u32_e32 v5, v4
	v_add_nc_u32_e32 v7, 0x1000000, v4
	v_cmp_ne_u32_e32 vcc_lo, 0, v4
	v_min_u32_e32 v5, 32, v5
	v_sub_nc_u32_e64 v5, v5, 4 clamp
	v_lshlrev_b32_e32 v6, v5, v4
	v_lshlrev_b32_e32 v5, 23, v5
	v_lshrrev_b32_e32 v6, 4, v6
	v_sub_nc_u32_e32 v5, v6, v5
	v_ashrrev_i32_e32 v6, 8, v7
	v_add_nc_u32_e32 v5, 0x3c000000, v5
	v_and_or_b32 v5, 0x7f800000, v6, v5
	v_cndmask_b32_e32 v4, 0, v5, vcc_lo
	v_and_or_b32 v3, 0x80000000, v3, v4
	v_cvt_f16_f32_e32 v3, v3
.LBB154_1015:
	s_mov_b32 s6, 0
.LBB154_1016:
	s_andn2_b32 vcc_lo, exec_lo, s6
	s_cbranch_vccnz .LBB154_1018
; %bb.1017:
	global_load_ubyte v3, v[1:2], off
	s_waitcnt vmcnt(0)
	v_lshlrev_b32_e32 v4, 25, v3
	v_lshlrev_b16 v3, 8, v3
	v_lshrrev_b32_e32 v5, 4, v4
	v_and_or_b32 v6, 0x7f00, v3, 0.5
	v_cmp_gt_u32_e32 vcc_lo, 0x8000000, v4
	v_bfe_i32 v3, v3, 0, 16
	v_or_b32_e32 v5, 0x70000000, v5
	v_add_f32_e32 v6, -0.5, v6
	v_mul_f32_e32 v5, 0x7800000, v5
	v_cndmask_b32_e32 v4, v5, v6, vcc_lo
	v_and_or_b32 v3, 0x80000000, v3, v4
	v_cvt_f16_f32_e32 v3, v3
.LBB154_1018:
	s_mov_b32 s6, 0
	s_mov_b32 s7, -1
.LBB154_1019:
	s_andn2_b32 vcc_lo, exec_lo, s6
	s_mov_b32 s6, 0
	s_cbranch_vccnz .LBB154_1030
; %bb.1020:
	s_cmp_gt_i32 s0, 14
	s_cbranch_scc0 .LBB154_1023
; %bb.1021:
	s_cmp_eq_u32 s0, 15
	s_cbranch_scc0 .LBB154_1026
; %bb.1022:
	global_load_ushort v3, v[1:2], off
	s_mov_b32 s1, 0
	s_mov_b32 s7, -1
	s_waitcnt vmcnt(0)
	v_lshlrev_b32_e32 v3, 16, v3
	v_cvt_f16_f32_e32 v3, v3
	s_branch .LBB154_1028
.LBB154_1023:
	s_mov_b32 s6, -1
	s_branch .LBB154_1027
.LBB154_1024:
	s_or_saveexec_b32 s7, s7
	v_mov_b32_e32 v3, 0x7e00
	s_xor_b32 exec_lo, exec_lo, s7
	s_cbranch_execz .LBB154_1005
.LBB154_1025:
	v_cmp_ne_u16_e32 vcc_lo, 0, v4
	v_mov_b32_e32 v3, v4
	s_andn2_b32 s6, s6, exec_lo
	s_and_b32 s10, vcc_lo, exec_lo
	s_or_b32 s6, s6, s10
	s_or_b32 exec_lo, exec_lo, s7
	s_and_saveexec_b32 s7, s6
	s_cbranch_execnz .LBB154_1006
	s_branch .LBB154_1007
.LBB154_1026:
	s_mov_b32 s1, -1
.LBB154_1027:
                                        ; implicit-def: $vgpr3
.LBB154_1028:
	s_and_b32 vcc_lo, exec_lo, s6
	s_mov_b32 s6, 0
	s_cbranch_vccz .LBB154_1030
; %bb.1029:
	s_cmp_lg_u32 s0, 11
	s_mov_b32 s6, -1
	s_cselect_b32 s0, -1, 0
	s_andn2_b32 s1, s1, exec_lo
	s_and_b32 s0, s0, exec_lo
	s_or_b32 s1, s1, s0
.LBB154_1030:
	s_mov_b32 s0, 0
.LBB154_1031:
	s_and_b32 s43, s7, exec_lo
	s_andn2_b32 s7, s22, exec_lo
	s_and_b32 s1, s1, exec_lo
	s_and_b32 s44, s0, exec_lo
	;; [unrolled: 1-line block ×3, first 2 shown]
	s_or_b32 s45, s7, s1
.LBB154_1032:
	s_or_b32 exec_lo, exec_lo, s33
	s_waitcnt lgkmcnt(0)
	s_andn2_b32 s6, s22, exec_lo
	s_and_b32 s7, s45, exec_lo
	s_and_b32 s43, s43, exec_lo
	s_and_b32 s1, s44, exec_lo
	s_and_b32 s0, s0, exec_lo
	s_or_b32 s22, s6, s7
.LBB154_1033:
	s_or_b32 exec_lo, exec_lo, s42
	s_waitcnt lgkmcnt(0)
	s_andn2_b32 s6, s40, exec_lo
	s_and_b32 s7, s23, exec_lo
	s_and_b32 s42, s43, exec_lo
	s_or_b32 s40, s6, s7
	s_andn2_b32 s6, s39, exec_lo
	s_and_b32 s7, s22, exec_lo
	s_and_b32 s23, s1, exec_lo
	;; [unrolled: 1-line block ×3, first 2 shown]
	s_or_b32 s39, s6, s7
.LBB154_1034:
	s_or_b32 exec_lo, exec_lo, s41
	s_andn2_b32 s0, s36, exec_lo
	s_waitcnt lgkmcnt(0)
	s_and_b32 s6, s40, exec_lo
	s_and_b32 s7, s39, exec_lo
	s_or_b32 s36, s0, s6
	s_andn2_b32 s6, s37, exec_lo
	s_and_b32 s0, s42, exec_lo
	s_and_b32 s22, s23, exec_lo
	s_and_b32 s39, s1, exec_lo
	s_or_b32 s37, s6, s7
	s_or_b32 exec_lo, exec_lo, s38
	s_mov_b32 s6, 0
	s_and_saveexec_b32 s1, s37
	s_cbranch_execz .LBB154_312
.LBB154_1035:
	s_mov_b32 s6, exec_lo
	s_andn2_b32 s39, s39, exec_lo
	s_trap 2
	s_or_b32 exec_lo, exec_lo, s1
	s_and_saveexec_b32 s1, s39
	s_xor_b32 s1, exec_lo, s1
	s_cbranch_execnz .LBB154_313
.LBB154_1036:
	s_or_b32 exec_lo, exec_lo, s1
	s_and_saveexec_b32 s1, s22
	s_cbranch_execz .LBB154_1082
.LBB154_1037:
	s_sext_i32_i16 s7, s30
	s_cmp_lt_i32 s7, 5
	s_cbranch_scc1 .LBB154_1042
; %bb.1038:
	s_cmp_lt_i32 s7, 8
	s_cbranch_scc1 .LBB154_1043
; %bb.1039:
	;; [unrolled: 3-line block ×3, first 2 shown]
	s_cmp_gt_i32 s7, 9
	s_cbranch_scc0 .LBB154_1045
; %bb.1041:
	global_load_dwordx2 v[3:4], v[1:2], off
	s_mov_b32 s7, 0
	s_waitcnt vmcnt(0)
	v_and_or_b32 v3, 0x1ff, v4, v3
	v_lshrrev_b32_e32 v5, 8, v4
	v_bfe_u32 v6, v4, 20, 11
	v_lshrrev_b32_e32 v4, 16, v4
	v_cmp_ne_u32_e32 vcc_lo, 0, v3
	v_sub_nc_u32_e32 v7, 0x3f1, v6
	v_add_nc_u32_e32 v6, 0xfffffc10, v6
	v_cndmask_b32_e64 v3, 0, 1, vcc_lo
	v_and_or_b32 v3, 0xffe, v5, v3
	v_med3_i32 v5, v7, 0, 13
	v_or_b32_e32 v7, 0x1000, v3
	v_lshrrev_b32_e32 v8, v5, v7
	v_lshlrev_b32_e32 v5, v5, v8
	v_cmp_ne_u32_e32 vcc_lo, v5, v7
	v_lshl_or_b32 v7, v6, 12, v3
	v_cndmask_b32_e64 v5, 0, 1, vcc_lo
	v_cmp_gt_i32_e32 vcc_lo, 1, v6
	v_or_b32_e32 v5, v8, v5
	v_cndmask_b32_e32 v5, v7, v5, vcc_lo
	v_and_b32_e32 v7, 7, v5
	v_lshrrev_b32_e32 v5, 2, v5
	v_cmp_lt_i32_e32 vcc_lo, 5, v7
	v_cndmask_b32_e64 v8, 0, 1, vcc_lo
	v_cmp_eq_u32_e32 vcc_lo, 3, v7
	v_cndmask_b32_e64 v7, 0, 1, vcc_lo
	v_cmp_ne_u32_e32 vcc_lo, 0, v3
	v_or_b32_e32 v7, v7, v8
	v_mov_b32_e32 v8, 0x7e00
	v_add_nc_u32_e32 v5, v5, v7
	v_cndmask_b32_e32 v3, 0x7c00, v8, vcc_lo
	v_cmp_gt_i32_e32 vcc_lo, 31, v6
	v_cndmask_b32_e32 v5, 0x7c00, v5, vcc_lo
	v_cmp_eq_u32_e32 vcc_lo, 0x40f, v6
	v_cndmask_b32_e32 v3, v5, v3, vcc_lo
	v_and_or_b32 v3, 0x8000, v4, v3
	s_branch .LBB154_1046
.LBB154_1042:
                                        ; implicit-def: $vgpr3
	s_branch .LBB154_1063
.LBB154_1043:
                                        ; implicit-def: $vgpr3
	s_branch .LBB154_1052
.LBB154_1044:
	s_mov_b32 s7, -1
                                        ; implicit-def: $vgpr3
	s_branch .LBB154_1049
.LBB154_1045:
	s_mov_b32 s7, -1
                                        ; implicit-def: $vgpr3
.LBB154_1046:
	s_andn2_b32 vcc_lo, exec_lo, s7
	s_cbranch_vccnz .LBB154_1048
; %bb.1047:
	global_load_dword v3, v[1:2], off
	s_waitcnt vmcnt(0)
	v_cvt_f16_f32_e32 v3, v3
.LBB154_1048:
	s_mov_b32 s7, 0
.LBB154_1049:
	s_andn2_b32 vcc_lo, exec_lo, s7
	s_cbranch_vccnz .LBB154_1051
; %bb.1050:
	global_load_dword v3, v[1:2], off
.LBB154_1051:
	s_cbranch_execnz .LBB154_1062
.LBB154_1052:
	s_sext_i32_i16 s7, s30
	s_cmp_lt_i32 s7, 6
	s_cbranch_scc1 .LBB154_1055
; %bb.1053:
	s_cmp_gt_i32 s7, 6
	s_cbranch_scc0 .LBB154_1056
; %bb.1054:
	global_load_dwordx2 v[3:4], v[1:2], off
	s_mov_b32 s7, 0
	s_waitcnt vmcnt(0)
	v_and_or_b32 v3, 0x1ff, v4, v3
	v_lshrrev_b32_e32 v5, 8, v4
	v_bfe_u32 v6, v4, 20, 11
	v_lshrrev_b32_e32 v4, 16, v4
	v_cmp_ne_u32_e32 vcc_lo, 0, v3
	v_sub_nc_u32_e32 v7, 0x3f1, v6
	v_add_nc_u32_e32 v6, 0xfffffc10, v6
	v_cndmask_b32_e64 v3, 0, 1, vcc_lo
	v_and_or_b32 v3, 0xffe, v5, v3
	v_med3_i32 v5, v7, 0, 13
	v_or_b32_e32 v7, 0x1000, v3
	v_lshrrev_b32_e32 v8, v5, v7
	v_lshlrev_b32_e32 v5, v5, v8
	v_cmp_ne_u32_e32 vcc_lo, v5, v7
	v_lshl_or_b32 v7, v6, 12, v3
	v_cndmask_b32_e64 v5, 0, 1, vcc_lo
	v_cmp_gt_i32_e32 vcc_lo, 1, v6
	v_or_b32_e32 v5, v8, v5
	v_cndmask_b32_e32 v5, v7, v5, vcc_lo
	v_and_b32_e32 v7, 7, v5
	v_lshrrev_b32_e32 v5, 2, v5
	v_cmp_lt_i32_e32 vcc_lo, 5, v7
	v_cndmask_b32_e64 v8, 0, 1, vcc_lo
	v_cmp_eq_u32_e32 vcc_lo, 3, v7
	v_cndmask_b32_e64 v7, 0, 1, vcc_lo
	v_cmp_ne_u32_e32 vcc_lo, 0, v3
	v_or_b32_e32 v7, v7, v8
	v_mov_b32_e32 v8, 0x7e00
	v_add_nc_u32_e32 v5, v5, v7
	v_cndmask_b32_e32 v3, 0x7c00, v8, vcc_lo
	v_cmp_gt_i32_e32 vcc_lo, 31, v6
	v_cndmask_b32_e32 v5, 0x7c00, v5, vcc_lo
	v_cmp_eq_u32_e32 vcc_lo, 0x40f, v6
	v_cndmask_b32_e32 v3, v5, v3, vcc_lo
	v_and_or_b32 v3, 0x8000, v4, v3
	s_branch .LBB154_1057
.LBB154_1055:
	s_mov_b32 s7, -1
                                        ; implicit-def: $vgpr3
	s_branch .LBB154_1060
.LBB154_1056:
	s_mov_b32 s7, -1
                                        ; implicit-def: $vgpr3
.LBB154_1057:
	s_andn2_b32 vcc_lo, exec_lo, s7
	s_cbranch_vccnz .LBB154_1059
; %bb.1058:
	global_load_dword v3, v[1:2], off
	s_waitcnt vmcnt(0)
	v_cvt_f16_f32_e32 v3, v3
.LBB154_1059:
	s_mov_b32 s7, 0
.LBB154_1060:
	s_andn2_b32 vcc_lo, exec_lo, s7
	s_cbranch_vccnz .LBB154_1062
; %bb.1061:
	global_load_ushort v3, v[1:2], off
.LBB154_1062:
	s_cbranch_execnz .LBB154_1081
.LBB154_1063:
	s_sext_i32_i16 s7, s30
	s_cmp_lt_i32 s7, 2
	s_cbranch_scc1 .LBB154_1067
; %bb.1064:
	s_cmp_lt_i32 s7, 3
	s_cbranch_scc1 .LBB154_1068
; %bb.1065:
	s_cmp_gt_i32 s7, 3
	s_cbranch_scc0 .LBB154_1069
; %bb.1066:
	global_load_dwordx2 v[3:4], v[1:2], off
	s_mov_b32 s7, 0
	s_waitcnt vmcnt(0)
	v_xor_b32_e32 v5, v3, v4
	v_ffbh_i32_e32 v6, v4
	v_ashrrev_i32_e32 v5, 31, v5
	v_add_nc_u32_e32 v6, -1, v6
	v_add_nc_u32_e32 v5, 32, v5
	v_min_u32_e32 v5, v6, v5
	v_lshlrev_b64 v[3:4], v5, v[3:4]
	v_min_u32_e32 v3, 1, v3
	v_or_b32_e32 v3, v4, v3
	v_sub_nc_u32_e32 v4, 32, v5
	v_cvt_f32_i32_e32 v3, v3
	v_ldexp_f32 v3, v3, v4
	v_cvt_f16_f32_e32 v3, v3
	s_branch .LBB154_1070
.LBB154_1067:
                                        ; implicit-def: $vgpr3
	s_branch .LBB154_1076
.LBB154_1068:
	s_mov_b32 s7, -1
                                        ; implicit-def: $vgpr3
	s_branch .LBB154_1073
.LBB154_1069:
	s_mov_b32 s7, -1
                                        ; implicit-def: $vgpr3
.LBB154_1070:
	s_andn2_b32 vcc_lo, exec_lo, s7
	s_cbranch_vccnz .LBB154_1072
; %bb.1071:
	global_load_dword v3, v[1:2], off
	s_waitcnt vmcnt(0)
	v_cvt_f32_i32_e32 v3, v3
	v_cvt_f16_f32_e32 v3, v3
.LBB154_1072:
	s_mov_b32 s7, 0
.LBB154_1073:
	s_andn2_b32 vcc_lo, exec_lo, s7
	s_cbranch_vccnz .LBB154_1075
; %bb.1074:
	global_load_ushort v3, v[1:2], off
	s_waitcnt vmcnt(0)
	v_cvt_f16_i16_e32 v3, v3
.LBB154_1075:
	s_cbranch_execnz .LBB154_1081
.LBB154_1076:
	s_sext_i32_i16 s7, s30
	s_cmp_gt_i32 s7, 0
	s_mov_b32 s7, 0
	s_cbranch_scc0 .LBB154_1078
; %bb.1077:
	global_load_sbyte v3, v[1:2], off
	s_waitcnt vmcnt(0)
	v_cvt_f16_i16_e32 v3, v3
	s_branch .LBB154_1079
.LBB154_1078:
	s_mov_b32 s7, -1
                                        ; implicit-def: $vgpr3
.LBB154_1079:
	s_andn2_b32 vcc_lo, exec_lo, s7
	s_cbranch_vccnz .LBB154_1081
; %bb.1080:
	global_load_ubyte v1, v[1:2], off
	s_waitcnt vmcnt(0)
	v_cvt_f16_u16_e32 v3, v1
.LBB154_1081:
	s_or_b32 s0, s0, exec_lo
.LBB154_1082:
	s_or_b32 exec_lo, exec_lo, s1
	s_mov_b32 s11, 0
	s_mov_b32 s10, 0
                                        ; implicit-def: $sgpr1
                                        ; implicit-def: $vgpr1_vgpr2
                                        ; implicit-def: $vgpr4
	s_and_saveexec_b32 s7, s0
	s_cbranch_execz .LBB154_1128
; %bb.1083:
	s_waitcnt vmcnt(0)
	v_cvt_f32_f16_e32 v1, v3
	s_mov_b32 s1, exec_lo
                                        ; implicit-def: $vgpr4
	v_and_b32_e32 v2, 0x7fffffff, v1
	v_cmpx_ngt_f32_e64 0x3c800000, |v1|
	s_xor_b32 s1, exec_lo, s1
	s_cbranch_execz .LBB154_1113
; %bb.1084:
	s_mov_b32 s10, exec_lo
                                        ; implicit-def: $vgpr4
	v_cmpx_nlt_f32_e64 |v1|, 2.0
	s_xor_b32 s10, exec_lo, s10
	s_cbranch_execz .LBB154_1094
; %bb.1085:
	v_cmp_ngt_f32_e64 s0, 0x41000000, |v1|
                                        ; implicit-def: $vgpr4
	s_and_saveexec_b32 s11, s0
	s_xor_b32 s0, exec_lo, s11
	s_cbranch_execz .LBB154_1091
; %bb.1086:
	v_cmp_ngt_f32_e64 s11, 0x5c800000, |v1|
                                        ; implicit-def: $vgpr4
	s_and_saveexec_b32 s12, s11
	s_xor_b32 s11, exec_lo, s12
	s_cbranch_execz .LBB154_1088
; %bb.1087:
	v_cmp_gt_f32_e64 s12, 0x800000, |v1|
	v_cndmask_b32_e64 v4, 0, 32, s12
	v_ldexp_f32 v4, |v1|, v4
	v_log_f32_e32 v4, v4
	v_mul_f32_e32 v5, 0x3f317217, v4
	v_cmp_gt_f32_e64 vcc_lo, 0x7f800000, |v4|
	v_fma_f32 v6, 0x3f317217, v4, -v5
	v_fmamk_f32 v6, v4, 0x3377d1cf, v6
	v_add_f32_e32 v5, v5, v6
	v_cndmask_b32_e32 v4, v4, v5, vcc_lo
	v_cndmask_b32_e64 v5, 0, 0x41b17218, s12
	v_sub_f32_e32 v4, v4, v5
	v_fma_f32 v4, |v1|, v4, -|v1|
.LBB154_1088:
	s_andn2_saveexec_b32 s11, s11
	s_cbranch_execz .LBB154_1090
; %bb.1089:
	v_cmp_gt_f32_e64 s12, 0x800000, |v1|
	v_rcp_f32_e64 v5, |v1|
	s_mov_b32 s13, 0xbad5c4e8
	v_cndmask_b32_e64 v4, 0, 32, s12
	v_ldexp_f32 v4, |v1|, v4
	v_mul_f32_e32 v6, v5, v5
	v_log_f32_e32 v4, v4
	v_fmaak_f32 v8, s13, v6, 0x3a5b3dd2
	v_fmaak_f32 v8, v6, v8, 0xba1c065c
	v_mul_f32_e32 v7, 0x3f317217, v4
	v_fmaak_f32 v8, v6, v8, 0x3a500cfd
	v_cmp_gt_f32_e64 vcc_lo, 0x7f800000, |v4|
	v_fma_f32 v9, 0x3f317217, v4, -v7
	v_fmaak_f32 v8, v6, v8, 0xbb360b61
	v_fmamk_f32 v9, v4, 0x3377d1cf, v9
	v_fmaak_f32 v6, v6, v8, 0x3daaaaab
	v_add_f32_e32 v7, v7, v9
	v_cndmask_b32_e32 v4, v4, v7, vcc_lo
	v_cndmask_b32_e64 v7, 0, 0x41b17218, s12
	v_sub_f32_e32 v7, v4, v7
	v_fmaak_f32 v4, v5, v6, 0x3ed67f1d
	v_add_f32_e64 v5, |v1|, -0.5
	v_add_f32_e32 v6, -1.0, v7
	v_fmac_f32_e32 v4, v5, v6
.LBB154_1090:
	s_or_b32 exec_lo, exec_lo, s11
.LBB154_1091:
	s_andn2_saveexec_b32 s11, s0
	s_cbranch_execz .LBB154_1093
; %bb.1092:
	v_cvt_i32_f32_e32 v4, v2
	s_mov_b32 s0, 0x36f5d7bd
	s_mov_b32 s12, 0x3805ff67
	v_cvt_f32_i32_e32 v5, v4
	v_cmp_lt_i32_e32 vcc_lo, 2, v4
	v_sub_f32_e64 v5, |v1|, v5
	v_add_f32_e32 v6, 2.0, v5
	v_add_f32_e32 v7, 0x40400000, v5
	v_add_f32_e32 v8, 4.0, v5
	v_add_f32_e32 v9, 0x40a00000, v5
	v_cndmask_b32_e32 v6, 1.0, v6, vcc_lo
	v_cmp_lt_i32_e32 vcc_lo, 3, v4
	v_cndmask_b32_e32 v7, 1.0, v7, vcc_lo
	v_cmp_lt_i32_e32 vcc_lo, 4, v4
	v_mul_f32_e32 v6, v6, v7
	v_cndmask_b32_e32 v8, 1.0, v8, vcc_lo
	v_cmp_lt_i32_e32 vcc_lo, 5, v4
	v_add_f32_e32 v7, 0x40c00000, v5
	v_mul_f32_e32 v6, v8, v6
	v_cndmask_b32_e32 v9, 1.0, v9, vcc_lo
	v_cmp_lt_i32_e32 vcc_lo, 6, v4
	v_fmaak_f32 v8, s12, v5, 0x3af135b4
	v_mul_f32_e32 v6, v9, v6
	v_cndmask_b32_e32 v4, 1.0, v7, vcc_lo
	v_mul_f32_e32 v4, v4, v6
	v_fmaak_f32 v6, s0, v5, 0x3a4beed6
	v_cmp_gt_f32_e32 vcc_lo, 0x800000, v4
	v_fmaak_f32 v6, v5, v6, 0x3c98bf54
	v_cndmask_b32_e64 v7, 0, 32, vcc_lo
	v_fmaak_f32 v6, v5, v6, 0x3e300f6e
	v_ldexp_f32 v4, v4, v7
	v_fmaak_f32 v7, v5, v8, 0x3cda40e4
	v_fmaak_f32 v6, v5, v6, 0x3f38d0c5
	v_log_f32_e32 v4, v4
	v_fmaak_f32 v7, v5, v7, 0x3e15dce6
	v_fmaak_f32 v6, v5, v6, 0x3fb22d3b
	;; [unrolled: 1-line block ×3, first 2 shown]
	v_fma_f32 v6, v5, v6, 1.0
	v_mul_f32_e32 v8, 0x3f317217, v4
	v_fmaak_f32 v7, v5, v7, 0x3e5c245a
	v_rcp_f32_e32 v6, v6
	v_cmp_gt_f32_e64 s0, 0x7f800000, |v4|
	v_fma_f32 v9, 0x3f317217, v4, -v8
	v_fmaak_f32 v7, v5, v7, 0xbd9e233f
	v_fmamk_f32 v9, v4, 0x3377d1cf, v9
	v_mul_f32_e32 v7, v5, v7
	v_add_f32_e32 v8, v8, v9
	v_mul_f32_e32 v6, v7, v6
	v_cndmask_b32_e64 v7, 0, 0x41b17218, vcc_lo
	v_cndmask_b32_e64 v4, v4, v8, s0
	v_fmac_f32_e32 v6, 0.5, v5
	v_sub_f32_e32 v4, v4, v7
	v_add_f32_e32 v4, v4, v6
.LBB154_1093:
	s_or_b32 exec_lo, exec_lo, s11
.LBB154_1094:
	s_andn2_saveexec_b32 s10, s10
	s_cbranch_execz .LBB154_1112
; %bb.1095:
	s_mov_b32 s11, exec_lo
                                        ; implicit-def: $vgpr4
                                        ; implicit-def: $vgpr6
                                        ; implicit-def: $vgpr5
	v_cmpx_ge_f32_e64 0x3f666666, |v1|
	s_xor_b32 s11, exec_lo, s11
	s_cbranch_execz .LBB154_1097
; %bb.1096:
	v_cmp_gt_f32_e64 s0, 0x800000, |v1|
	v_sub_f32_e64 v7, 1.0, |v1|
	v_cmp_gt_f32_e64 vcc_lo, 0x3f3b4a23, |v1|
	v_cndmask_b32_e64 v4, 0, 32, s0
	v_cndmask_b32_e64 v8, 0, 0x41b17218, s0
	v_ldexp_f32 v4, |v1|, v4
	v_log_f32_e32 v4, v4
	v_mul_f32_e32 v5, 0x3f317217, v4
	v_cmp_gt_f32_e64 s0, 0x7f800000, |v4|
	v_fma_f32 v6, 0x3f317217, v4, -v5
	v_fmamk_f32 v6, v4, 0x3377d1cf, v6
	v_add_f32_e32 v5, v5, v6
	v_add_f32_e64 v6, 0xbeec5b0c, |v1|
	v_cndmask_b32_e64 v4, v4, v5, s0
	v_cndmask_b32_e32 v5, v7, v6, vcc_lo
	v_cndmask_b32_e64 v6, 0, 1, vcc_lo
	v_cmp_gt_f32_e64 s0, 0x3e6d3309, |v1|
	v_sub_f32_e32 v4, v4, v8
	v_cndmask_b32_e64 v5, v5, |v1|, s0
	v_cndmask_b32_e64 v6, v6, 2, s0
	v_xor_b32_e32 v4, 0x80000000, v4
.LBB154_1097:
	s_andn2_saveexec_b32 s0, s11
	s_cbranch_execz .LBB154_1099
; %bb.1098:
	v_sub_f32_e64 v4, 2.0, |v1|
	v_add_f32_e64 v5, 0xbfbb16c3, |v1|
	v_cmp_gt_f32_e64 vcc_lo, 0x3fdda512, |v1|
	v_add_f32_e64 v6, |v1|, -1.0
	v_cndmask_b32_e32 v5, v4, v5, vcc_lo
	v_cndmask_b32_e64 v4, v4, 1.0, vcc_lo
	v_cmp_gt_f32_e64 vcc_lo, 0x3f9d70a4, |v1|
	v_cvt_i32_f32_e32 v4, v4
	v_cndmask_b32_e32 v5, v5, v6, vcc_lo
	v_cndmask_b32_e64 v6, v4, 2, vcc_lo
	v_mov_b32_e32 v4, 0
.LBB154_1099:
	s_or_b32 exec_lo, exec_lo, s0
	s_mov_b32 s0, exec_lo
	v_cmpx_lt_i32_e32 0, v6
	s_xor_b32 s0, exec_lo, s0
	s_cbranch_execz .LBB154_1107
; %bb.1100:
	s_mov_b32 s11, exec_lo
	v_cmpx_lt_i32_e32 1, v6
	s_xor_b32 s11, exec_lo, s11
	s_cbranch_execz .LBB154_1104
; %bb.1101:
	s_mov_b32 s12, exec_lo
	v_cmpx_eq_u32_e32 2, v6
	s_cbranch_execz .LBB154_1103
; %bb.1102:
	s_mov_b32 s13, 0x3b52d5db
	v_fmaak_f32 v6, s13, v5, 0x3dd572af
	s_mov_b32 s13, 0x3c5b3c5e
	v_fmaak_f32 v7, s13, v5, 0x3e6a7578
	v_fmaak_f32 v6, v5, v6, 0x3f44efdf
	;; [unrolled: 1-line block ×7, first 2 shown]
	v_fma_f32 v6, v5, v6, 1.0
	v_fmaak_f32 v7, v5, v7, 0xbd9e233f
	v_rcp_f32_e32 v6, v6
	v_mul_f32_e32 v7, v5, v7
	v_mul_f32_e32 v6, v7, v6
	v_fmac_f32_e32 v6, -0.5, v5
	v_add_f32_e32 v4, v4, v6
.LBB154_1103:
	s_or_b32 exec_lo, exec_lo, s12
                                        ; implicit-def: $vgpr5
.LBB154_1104:
	s_andn2_saveexec_b32 s11, s11
	s_cbranch_execz .LBB154_1106
; %bb.1105:
	v_mul_f32_e32 v6, v5, v5
	s_mov_b32 s12, 0xb9a3f927
	s_mov_b32 s13, 0x39afe9f7
	v_mul_f32_e32 v7, v5, v6
	v_fmaak_f32 v8, s12, v7, 0x3a66f867
	v_fmaak_f32 v9, s13, v7, 0xba0d3085
	s_mov_b32 s12, 0x39a57b6b
	v_fmaak_f32 v10, s12, v7, 0xbab7f476
	v_fmaak_f32 v8, v7, v8, 0xbb7177fe
	;; [unrolled: 1-line block ×9, first 2 shown]
	v_fmac_f32_e32 v8, v5, v9
	v_fmaak_f32 v5, v7, v10, 0x3ef7b95e
	v_fma_f32 v7, v7, -v8, 0xa2863e55
	v_fma_f32 v5, v6, v5, -v7
	v_add_f32_e32 v5, 0xbdf8cdce, v5
	v_add_f32_e32 v4, v4, v5
.LBB154_1106:
	s_or_b32 exec_lo, exec_lo, s11
                                        ; implicit-def: $vgpr6
                                        ; implicit-def: $vgpr5
.LBB154_1107:
	s_andn2_saveexec_b32 s0, s0
	s_cbranch_execz .LBB154_1111
; %bb.1108:
	s_mov_b32 s11, exec_lo
	v_cmpx_eq_u32_e32 0, v6
	s_cbranch_execz .LBB154_1110
; %bb.1109:
	v_mul_f32_e32 v6, v5, v5
	s_mov_b32 s12, 0x383c2c75
	v_fmaak_f32 v7, s12, v6, 0x38e28445
	s_mov_b32 s12, 0x37d383a2
	v_fmaak_f32 v8, s12, v6, 0x39679767
	v_fmaak_f32 v7, v6, v7, 0x3a05b634
	;; [unrolled: 1-line block ×9, first 2 shown]
	v_mul_f32_e32 v6, v6, v7
	v_fmac_f32_e32 v6, v5, v8
	v_fmac_f32_e32 v6, -0.5, v5
	v_add_f32_e32 v4, v4, v6
.LBB154_1110:
	s_or_b32 exec_lo, exec_lo, s11
.LBB154_1111:
	s_or_b32 exec_lo, exec_lo, s0
.LBB154_1112:
	s_or_b32 exec_lo, exec_lo, s10
.LBB154_1113:
	s_andn2_saveexec_b32 s0, s1
	s_cbranch_execz .LBB154_1115
; %bb.1114:
	v_cmp_gt_f32_e64 s1, 0x800000, |v1|
	s_mov_b32 s10, 0x3e8a8991
	v_fma_f32 v7, |v1|, s10, 0xbecd26ab
	v_cndmask_b32_e64 v4, 0, 32, s1
	v_ldexp_f32 v4, |v1|, v4
	v_log_f32_e32 v4, v4
	v_mul_f32_e32 v5, 0x3f317217, v4
	v_cmp_gt_f32_e64 vcc_lo, 0x7f800000, |v4|
	v_fma_f32 v6, 0x3f317217, v4, -v5
	v_fmamk_f32 v6, v4, 0x3377d1cf, v6
	v_add_f32_e32 v5, v5, v6
	v_fma_f32 v6, |v1|, v7, 0x3f528d33
	v_cndmask_b32_e32 v4, v4, v5, vcc_lo
	v_cndmask_b32_e64 v5, 0, 0x41b17218, s1
	v_fma_f32 v6, |v1|, v6, 0xbf13c468
	v_sub_f32_e32 v4, v4, v5
	v_fma_f32 v4, |v1|, v6, -v4
.LBB154_1115:
	s_or_b32 exec_lo, exec_lo, s0
	v_cmp_le_f16_e32 vcc_lo, 0, v3
	s_mov_b32 s1, exec_lo
	v_cmpx_nle_f16_e32 0, v3
	s_xor_b32 s10, exec_lo, s1
	s_cbranch_execz .LBB154_1119
; %bb.1116:
	v_cmp_gt_f32_e64 s0, 0x4b000000, |v1|
	v_cmp_lt_f32_e64 s1, 0x35000000, |v1|
	s_and_b32 s0, s0, s1
	s_and_saveexec_b32 s11, s0
	s_cbranch_execz .LBB154_1118
; %bb.1117:
	v_mul_f32_e64 v5, |v1|, 0.5
	s_mov_b32 s1, 0x3d4be544
	v_xor_b32_e32 v2, v2, v1
	v_floor_f32_e32 v6, v5
	v_cmp_neq_f32_e64 s0, 0x7f800000, v5
	v_sub_f32_e32 v6, v5, v6
	v_min_f32_e32 v6, 0x3f7fffff, v6
	v_add_f32_e32 v6, v6, v6
	v_cndmask_b32_e64 v5, 0, v6, s0
	v_cmp_gt_f32_e64 s0, |v1|, 1.0
	v_cndmask_b32_e64 v5, |v1|, v5, s0
	s_mov_b32 s0, 0x3e75aa41
	v_add_f32_e32 v6, v5, v5
	v_rndne_f32_e32 v6, v6
	v_fmac_f32_e32 v5, -0.5, v6
	v_cvt_i32_f32_e32 v6, v6
	v_mul_f32_e32 v7, v5, v5
	v_fmaak_f32 v8, s0, v7, 0xbf1f24be
	v_fmaak_f32 v9, s1, v7, 0x3e642e9d
	v_mul_f32_e32 v10, v5, v7
	v_fmaak_f32 v8, v7, v8, 0x40234736
	v_fmaak_f32 v9, v7, v9, 0xbfaad1da
	v_fmaak_f32 v8, v7, v8, 0xc0a55e0e
	v_fmaak_f32 v9, v7, v9, 0x4081e0d3
	v_mul_f32_e32 v8, v10, v8
	v_fmaak_f32 v9, v7, v9, 0xc09de9e6
	v_and_b32_e32 v10, 1, v6
	v_lshlrev_b32_e32 v6, 30, v6
	v_fmamk_f32 v5, v5, 0x40490fdb, v8
	v_fma_f32 v7, v7, v9, 1.0
	v_cmp_eq_u32_e64 s0, 0, v10
	v_and_b32_e32 v6, 0x80000000, v6
	v_cndmask_b32_e64 v5, v7, v5, s0
	v_xor3_b32 v2, v2, v6, v5
	v_mul_f32_e32 v2, v1, v2
	v_frexp_mant_f32_e64 v5, |v2|
	v_frexp_exp_i32_f32_e32 v2, v2
	v_rcp_f32_e32 v5, v5
	v_sub_nc_u32_e32 v2, 2, v2
	v_mul_f32_e32 v5, 0x3f490fdb, v5
	v_ldexp_f32 v2, v5, v2
	v_cmp_gt_f32_e64 s0, 0x800000, v2
	v_cndmask_b32_e64 v5, 0, 32, s0
	v_ldexp_f32 v2, v2, v5
	v_log_f32_e32 v2, v2
	v_mul_f32_e32 v5, 0x3f317217, v2
	v_cmp_gt_f32_e64 s1, 0x7f800000, |v2|
	v_fma_f32 v6, 0x3f317217, v2, -v5
	v_fmamk_f32 v6, v2, 0x3377d1cf, v6
	v_add_f32_e32 v5, v5, v6
	v_floor_f32_e32 v6, v1
	v_cndmask_b32_e64 v2, v2, v5, s1
	v_cndmask_b32_e64 v5, 0, 0x41b17218, s0
	v_sub_f32_e32 v6, v1, v6
	v_sub_f32_e32 v2, v2, v5
	v_min_f32_e32 v5, 0x3f7fffff, v6
	v_sub_f32_e32 v2, v2, v4
	v_cmp_neq_f32_e64 s0, 0, v5
	v_cndmask_b32_e64 v4, 0x7f800000, v2, s0
.LBB154_1118:
	s_or_b32 exec_lo, exec_lo, s11
.LBB154_1119:
	s_andn2_saveexec_b32 s10, s10
; %bb.1120:
	v_cmp_eq_f16_e64 s0, 1.0, v3
	v_cmp_eq_f16_e64 s1, 2.0, v3
	s_or_b32 s0, s0, s1
	v_cndmask_b32_e64 v4, v4, 0, s0
; %bb.1121:
	s_or_b32 exec_lo, exec_lo, s10
	v_cmp_gt_f32_e64 s0, 0x4b000000, |v1|
	v_cvt_f16_f32_e32 v2, v4
	s_and_b32 s1, s29, 0xff
	s_or_b32 vcc_lo, vcc_lo, s0
	v_cmp_class_f32_e64 s0, v1, 0x264
	v_cndmask_b32_e32 v2, 0x7c00, v2, vcc_lo
	v_cmp_u_f16_e32 vcc_lo, v3, v3
	s_cmp_lt_i32 s1, 11
	v_cndmask_b32_e64 v4, v2, 0x7c00, s0
	v_add_co_u32 v1, s0, s8, v0
	v_add_co_ci_u32_e64 v2, null, s9, 0, s0
	v_cndmask_b32_e32 v4, v4, v3, vcc_lo
	s_cbranch_scc1 .LBB154_1131
; %bb.1122:
	s_and_b32 s8, 0xffff, s1
	s_mov_b32 s9, -1
	s_cmp_gt_i32 s8, 25
	s_mov_b32 s0, s36
	s_cbranch_scc0 .LBB154_1159
; %bb.1123:
	s_cmp_gt_i32 s8, 28
	s_mov_b32 s0, s36
	s_cbranch_scc0 .LBB154_1143
; %bb.1124:
	;; [unrolled: 4-line block ×4, first 2 shown]
	s_cmp_eq_u32 s8, 46
	s_mov_b32 s0, -1
	s_cbranch_scc0 .LBB154_1132
; %bb.1127:
	v_cvt_f32_f16_e32 v0, v4
	v_cmp_o_f16_e32 vcc_lo, v4, v4
	s_mov_b32 s0, 0
	s_mov_b32 s9, 0
	v_bfe_u32 v3, v0, 16, 1
	v_add3_u32 v0, v0, v3, 0x7fff
	v_mov_b32_e32 v3, 0x7fc0
	v_cndmask_b32_sdwa v0, v3, v0, vcc_lo dst_sel:DWORD dst_unused:UNUSED_PAD src0_sel:DWORD src1_sel:WORD_1
	global_store_dword v[1:2], v0, off
	s_branch .LBB154_1133
.LBB154_1128:
	s_or_b32 exec_lo, exec_lo, s7
	s_and_saveexec_b32 s0, s36
	s_cbranch_execnz .LBB154_1201
.LBB154_1129:
	s_or_b32 exec_lo, exec_lo, s0
	s_and_saveexec_b32 s0, s11
	s_xor_b32 s0, exec_lo, s0
	s_cbranch_execz .LBB154_1202
.LBB154_1130:
	v_cmp_neq_f16_e32 vcc_lo, 0, v4
	v_cndmask_b32_e64 v0, 0, 1, vcc_lo
	global_store_byte v[1:2], v0, off
	s_or_b32 exec_lo, exec_lo, s0
	s_and_saveexec_b32 s0, s10
	s_xor_b32 s0, exec_lo, s0
	s_cbranch_execz .LBB154_1240
	s_branch .LBB154_1203
.LBB154_1131:
	s_mov_b32 s11, 0
	s_mov_b32 s9, -1
	s_mov_b32 s0, s36
	s_branch .LBB154_1200
.LBB154_1132:
	s_mov_b32 s9, 0
.LBB154_1133:
	s_and_b32 vcc_lo, exec_lo, s9
	s_cbranch_vccz .LBB154_1138
; %bb.1134:
	s_cmp_eq_u32 s8, 44
	s_mov_b32 s0, -1
	s_cbranch_scc0 .LBB154_1138
; %bb.1135:
	v_cvt_f32_f16_e32 v0, v4
	v_mov_b32_e32 v3, 0xff
	s_mov_b32 s9, exec_lo
	v_bfe_u32 v5, v0, 23, 8
	v_cmpx_ne_u32_e32 0xff, v5
	s_cbranch_execz .LBB154_1137
; %bb.1136:
	v_and_b32_e32 v3, 0x400000, v0
	v_and_or_b32 v5, 0x3fffff, v0, v5
	v_lshrrev_b32_e32 v0, 23, v0
	v_cmp_ne_u32_e32 vcc_lo, 0, v3
	v_cmp_ne_u32_e64 s0, 0, v5
	s_and_b32 s0, vcc_lo, s0
	v_cndmask_b32_e64 v3, 0, 1, s0
	v_add_nc_u32_e32 v3, v0, v3
.LBB154_1137:
	s_or_b32 exec_lo, exec_lo, s9
	s_mov_b32 s0, 0
	global_store_byte v[1:2], v3, off
.LBB154_1138:
	s_mov_b32 s9, 0
.LBB154_1139:
	s_and_b32 vcc_lo, exec_lo, s9
	s_cbranch_vccz .LBB154_1142
; %bb.1140:
	s_cmp_eq_u32 s8, 29
	s_mov_b32 s0, -1
	s_cbranch_scc0 .LBB154_1142
; %bb.1141:
	v_cvt_f32_f16_e32 v0, v4
	v_mov_b32_e32 v6, 0
	s_mov_b32 s0, 0
	s_mov_b32 s9, 0
	v_cvt_u32_f32_e32 v5, v0
	global_store_dwordx2 v[1:2], v[5:6], off
	s_branch .LBB154_1143
.LBB154_1142:
	s_mov_b32 s9, 0
.LBB154_1143:
	s_and_b32 vcc_lo, exec_lo, s9
	s_cbranch_vccz .LBB154_1158
; %bb.1144:
	s_cmp_lt_i32 s8, 27
	s_mov_b32 s9, -1
	s_cbranch_scc1 .LBB154_1150
; %bb.1145:
	s_cmp_gt_i32 s8, 27
	s_cbranch_scc0 .LBB154_1147
; %bb.1146:
	v_cvt_f32_f16_e32 v0, v4
	s_mov_b32 s9, 0
	v_cvt_u32_f32_e32 v0, v0
	global_store_dword v[1:2], v0, off
.LBB154_1147:
	s_andn2_b32 vcc_lo, exec_lo, s9
	s_cbranch_vccnz .LBB154_1149
; %bb.1148:
	v_cvt_u16_f16_e32 v0, v4
	global_store_short v[1:2], v0, off
.LBB154_1149:
	s_mov_b32 s9, 0
.LBB154_1150:
	s_andn2_b32 vcc_lo, exec_lo, s9
	s_cbranch_vccnz .LBB154_1158
; %bb.1151:
	v_cvt_f32_f16_e32 v0, v4
	v_mov_b32_e32 v5, 0x80
	s_mov_b32 s9, exec_lo
	v_and_b32_e32 v3, 0x7fffffff, v0
	v_cmpx_gt_u32_e32 0x43800000, v3
	s_cbranch_execz .LBB154_1157
; %bb.1152:
	v_cmp_lt_u32_e32 vcc_lo, 0x3bffffff, v3
	s_mov_b32 s10, 0
                                        ; implicit-def: $vgpr3
	s_and_saveexec_b32 s11, vcc_lo
	s_xor_b32 s11, exec_lo, s11
	s_cbranch_execz .LBB154_1311
; %bb.1153:
	v_bfe_u32 v3, v0, 20, 1
	s_mov_b32 s10, exec_lo
	v_add3_u32 v3, v0, v3, 0x487ffff
	v_lshrrev_b32_e32 v3, 20, v3
	s_andn2_saveexec_b32 s11, s11
	s_cbranch_execnz .LBB154_1312
.LBB154_1154:
	s_or_b32 exec_lo, exec_lo, s11
	v_mov_b32_e32 v5, 0
	s_and_saveexec_b32 s11, s10
.LBB154_1155:
	v_lshrrev_b32_e32 v0, 24, v0
	v_and_or_b32 v5, 0x80, v0, v3
.LBB154_1156:
	s_or_b32 exec_lo, exec_lo, s11
.LBB154_1157:
	s_or_b32 exec_lo, exec_lo, s9
	global_store_byte v[1:2], v5, off
.LBB154_1158:
	s_mov_b32 s9, 0
.LBB154_1159:
	s_and_b32 vcc_lo, exec_lo, s9
	s_mov_b32 s9, 0
	s_cbranch_vccz .LBB154_1199
; %bb.1160:
	s_cmp_gt_i32 s8, 22
	s_mov_b32 s10, -1
	s_cbranch_scc0 .LBB154_1192
; %bb.1161:
	s_cmp_lt_i32 s8, 24
	s_cbranch_scc1 .LBB154_1181
; %bb.1162:
	s_cmp_gt_i32 s8, 24
	s_cbranch_scc0 .LBB154_1170
; %bb.1163:
	v_cvt_f32_f16_e32 v0, v4
	v_mov_b32_e32 v5, 0x80
	s_mov_b32 s10, exec_lo
	v_and_b32_e32 v3, 0x7fffffff, v0
	v_cmpx_gt_u32_e32 0x47800000, v3
	s_cbranch_execz .LBB154_1169
; %bb.1164:
	v_cmp_lt_u32_e32 vcc_lo, 0x37ffffff, v3
	s_mov_b32 s11, 0
                                        ; implicit-def: $vgpr3
	s_and_saveexec_b32 s12, vcc_lo
	s_xor_b32 s12, exec_lo, s12
	s_cbranch_execz .LBB154_1475
; %bb.1165:
	v_bfe_u32 v3, v0, 21, 1
	s_mov_b32 s11, exec_lo
	v_add3_u32 v3, v0, v3, 0x88fffff
	v_lshrrev_b32_e32 v3, 21, v3
	s_andn2_saveexec_b32 s12, s12
	s_cbranch_execnz .LBB154_1476
.LBB154_1166:
	s_or_b32 exec_lo, exec_lo, s12
	v_mov_b32_e32 v5, 0
	s_and_saveexec_b32 s12, s11
.LBB154_1167:
	v_lshrrev_b32_e32 v0, 24, v0
	v_and_or_b32 v5, 0x80, v0, v3
.LBB154_1168:
	s_or_b32 exec_lo, exec_lo, s12
.LBB154_1169:
	s_or_b32 exec_lo, exec_lo, s10
	s_mov_b32 s10, 0
	global_store_byte v[1:2], v5, off
.LBB154_1170:
	s_and_b32 vcc_lo, exec_lo, s10
	s_cbranch_vccz .LBB154_1180
; %bb.1171:
	v_cvt_f32_f16_e32 v0, v4
	s_mov_b32 s10, exec_lo
                                        ; implicit-def: $vgpr3
	v_and_b32_e32 v5, 0x7fffffff, v0
	v_cmpx_gt_u32_e32 0x43f00000, v5
	s_xor_b32 s10, exec_lo, s10
	s_cbranch_execz .LBB154_1177
; %bb.1172:
	s_mov_b32 s11, exec_lo
                                        ; implicit-def: $vgpr3
	v_cmpx_lt_u32_e32 0x3c7fffff, v5
	s_xor_b32 s11, exec_lo, s11
; %bb.1173:
	v_bfe_u32 v3, v0, 20, 1
	v_add3_u32 v3, v0, v3, 0x407ffff
	v_and_b32_e32 v5, 0xff00000, v3
	v_lshrrev_b32_e32 v3, 20, v3
	v_cmp_ne_u32_e32 vcc_lo, 0x7f00000, v5
	v_cndmask_b32_e32 v3, 0x7e, v3, vcc_lo
; %bb.1174:
	s_andn2_saveexec_b32 s11, s11
; %bb.1175:
	v_add_f32_e64 v3, 0x46800000, |v0|
; %bb.1176:
	s_or_b32 exec_lo, exec_lo, s11
                                        ; implicit-def: $vgpr5
.LBB154_1177:
	s_andn2_saveexec_b32 s10, s10
; %bb.1178:
	v_mov_b32_e32 v3, 0x7f
	v_cmp_lt_u32_e32 vcc_lo, 0x7f800000, v5
	v_cndmask_b32_e32 v3, 0x7e, v3, vcc_lo
; %bb.1179:
	s_or_b32 exec_lo, exec_lo, s10
	v_lshrrev_b32_e32 v0, 24, v0
	v_and_or_b32 v0, 0x80, v0, v3
	global_store_byte v[1:2], v0, off
.LBB154_1180:
	s_mov_b32 s10, 0
.LBB154_1181:
	s_andn2_b32 vcc_lo, exec_lo, s10
	s_cbranch_vccnz .LBB154_1191
; %bb.1182:
	v_cvt_f32_f16_e32 v0, v4
	s_mov_b32 s10, exec_lo
                                        ; implicit-def: $vgpr3
	v_and_b32_e32 v5, 0x7fffffff, v0
	v_cmpx_gt_u32_e32 0x47800000, v5
	s_xor_b32 s10, exec_lo, s10
	s_cbranch_execz .LBB154_1188
; %bb.1183:
	s_mov_b32 s11, exec_lo
                                        ; implicit-def: $vgpr3
	v_cmpx_lt_u32_e32 0x387fffff, v5
	s_xor_b32 s11, exec_lo, s11
; %bb.1184:
	v_bfe_u32 v3, v0, 21, 1
	v_add3_u32 v3, v0, v3, 0x80fffff
	v_lshrrev_b32_e32 v3, 21, v3
; %bb.1185:
	s_andn2_saveexec_b32 s11, s11
; %bb.1186:
	v_add_f32_e64 v3, 0x43000000, |v0|
; %bb.1187:
	s_or_b32 exec_lo, exec_lo, s11
                                        ; implicit-def: $vgpr5
.LBB154_1188:
	s_andn2_saveexec_b32 s10, s10
; %bb.1189:
	v_mov_b32_e32 v3, 0x7f
	v_cmp_lt_u32_e32 vcc_lo, 0x7f800000, v5
	v_cndmask_b32_e32 v3, 0x7c, v3, vcc_lo
; %bb.1190:
	s_or_b32 exec_lo, exec_lo, s10
	v_lshrrev_b32_e32 v0, 24, v0
	v_and_or_b32 v0, 0x80, v0, v3
	global_store_byte v[1:2], v0, off
.LBB154_1191:
	s_mov_b32 s10, 0
.LBB154_1192:
	s_andn2_b32 vcc_lo, exec_lo, s10
	s_mov_b32 s11, 0
	s_cbranch_vccnz .LBB154_1200
; %bb.1193:
	s_cmp_gt_i32 s8, 14
	s_mov_b32 s10, -1
	s_cbranch_scc0 .LBB154_1197
; %bb.1194:
	s_cmp_eq_u32 s8, 15
	s_mov_b32 s0, -1
	s_cbranch_scc0 .LBB154_1196
; %bb.1195:
	v_cvt_f32_f16_e32 v0, v4
	v_cmp_o_f16_e32 vcc_lo, v4, v4
	s_mov_b32 s0, 0
	v_bfe_u32 v3, v0, 16, 1
	v_add3_u32 v0, v0, v3, 0x7fff
	v_mov_b32_e32 v3, 0x7fc0
	v_cndmask_b32_sdwa v0, v3, v0, vcc_lo dst_sel:DWORD dst_unused:UNUSED_PAD src0_sel:DWORD src1_sel:WORD_1
	global_store_short v[1:2], v0, off
.LBB154_1196:
	s_mov_b32 s10, 0
.LBB154_1197:
	s_and_b32 vcc_lo, exec_lo, s10
	s_cbranch_vccz .LBB154_1200
; %bb.1198:
	s_cmp_lg_u32 s8, 11
	s_mov_b32 s11, -1
	s_cselect_b32 s8, -1, 0
	s_andn2_b32 s0, s0, exec_lo
	s_and_b32 s8, s8, exec_lo
	s_or_b32 s0, s0, s8
	s_branch .LBB154_1200
.LBB154_1199:
	s_mov_b32 s11, 0
.LBB154_1200:
	s_andn2_b32 s8, s36, exec_lo
	s_and_b32 s0, s0, exec_lo
	s_and_b32 s10, s9, exec_lo
	;; [unrolled: 1-line block ×3, first 2 shown]
	s_or_b32 s36, s8, s0
	s_or_b32 exec_lo, exec_lo, s7
	s_and_saveexec_b32 s0, s36
	s_cbranch_execz .LBB154_1129
.LBB154_1201:
	s_or_b32 s6, s6, exec_lo
	s_andn2_b32 s11, s11, exec_lo
	s_trap 2
	s_or_b32 exec_lo, exec_lo, s0
	s_and_saveexec_b32 s0, s11
	s_xor_b32 s0, exec_lo, s0
	s_cbranch_execnz .LBB154_1130
.LBB154_1202:
	s_or_b32 exec_lo, exec_lo, s0
	s_and_saveexec_b32 s0, s10
	s_xor_b32 s0, exec_lo, s0
	s_cbranch_execz .LBB154_1240
.LBB154_1203:
	s_sext_i32_i16 s8, s1
	s_mov_b32 s7, -1
	s_cmp_lt_i32 s8, 5
	s_cbranch_scc1 .LBB154_1224
; %bb.1204:
	s_cmp_lt_i32 s8, 8
	s_cbranch_scc1 .LBB154_1214
; %bb.1205:
	;; [unrolled: 3-line block ×3, first 2 shown]
	s_cmp_gt_i32 s8, 9
	s_cbranch_scc0 .LBB154_1208
; %bb.1207:
	v_cvt_f32_f16_e32 v0, v4
	v_mov_b32_e32 v7, 0
	s_mov_b32 s7, 0
	v_cvt_f64_f32_e32 v[5:6], v0
	v_mov_b32_e32 v8, v7
	global_store_dwordx4 v[1:2], v[5:8], off
.LBB154_1208:
	s_andn2_b32 vcc_lo, exec_lo, s7
	s_cbranch_vccnz .LBB154_1210
; %bb.1209:
	v_cvt_f32_f16_e32 v5, v4
	v_mov_b32_e32 v6, 0
	global_store_dwordx2 v[1:2], v[5:6], off
.LBB154_1210:
	s_mov_b32 s7, 0
.LBB154_1211:
	s_andn2_b32 vcc_lo, exec_lo, s7
	s_cbranch_vccnz .LBB154_1213
; %bb.1212:
	v_and_b32_e32 v0, 0xffff, v4
	global_store_dword v[1:2], v0, off
.LBB154_1213:
	s_mov_b32 s7, 0
.LBB154_1214:
	s_andn2_b32 vcc_lo, exec_lo, s7
	s_cbranch_vccnz .LBB154_1223
; %bb.1215:
	s_sext_i32_i16 s8, s1
	s_mov_b32 s7, -1
	s_cmp_lt_i32 s8, 6
	s_cbranch_scc1 .LBB154_1221
; %bb.1216:
	s_cmp_gt_i32 s8, 6
	s_cbranch_scc0 .LBB154_1218
; %bb.1217:
	v_cvt_f32_f16_e32 v0, v4
	s_mov_b32 s7, 0
	v_cvt_f64_f32_e32 v[5:6], v0
	global_store_dwordx2 v[1:2], v[5:6], off
.LBB154_1218:
	s_andn2_b32 vcc_lo, exec_lo, s7
	s_cbranch_vccnz .LBB154_1220
; %bb.1219:
	v_cvt_f32_f16_e32 v0, v4
	global_store_dword v[1:2], v0, off
.LBB154_1220:
	s_mov_b32 s7, 0
.LBB154_1221:
	s_andn2_b32 vcc_lo, exec_lo, s7
	s_cbranch_vccnz .LBB154_1223
; %bb.1222:
	global_store_short v[1:2], v4, off
.LBB154_1223:
	s_mov_b32 s7, 0
.LBB154_1224:
	s_andn2_b32 vcc_lo, exec_lo, s7
	s_cbranch_vccnz .LBB154_1240
; %bb.1225:
	s_sext_i32_i16 s8, s1
	s_mov_b32 s7, -1
	s_cmp_lt_i32 s8, 2
	s_cbranch_scc1 .LBB154_1235
; %bb.1226:
	s_cmp_lt_i32 s8, 3
	s_cbranch_scc1 .LBB154_1232
; %bb.1227:
	s_cmp_gt_i32 s8, 3
	s_cbranch_scc0 .LBB154_1229
; %bb.1228:
	v_cvt_f32_f16_e32 v0, v4
	s_mov_b32 s7, 0
	v_cvt_i32_f32_e32 v5, v0
	v_ashrrev_i32_e32 v6, 31, v5
	global_store_dwordx2 v[1:2], v[5:6], off
.LBB154_1229:
	s_andn2_b32 vcc_lo, exec_lo, s7
	s_cbranch_vccnz .LBB154_1231
; %bb.1230:
	v_cvt_f32_f16_e32 v0, v4
	v_cvt_i32_f32_e32 v0, v0
	global_store_dword v[1:2], v0, off
.LBB154_1231:
	s_mov_b32 s7, 0
.LBB154_1232:
	s_andn2_b32 vcc_lo, exec_lo, s7
	s_cbranch_vccnz .LBB154_1234
; %bb.1233:
	v_cvt_i16_f16_e32 v0, v4
	global_store_short v[1:2], v0, off
.LBB154_1234:
	s_mov_b32 s7, 0
.LBB154_1235:
	s_andn2_b32 vcc_lo, exec_lo, s7
	s_cbranch_vccnz .LBB154_1240
; %bb.1236:
	s_sext_i32_i16 s1, s1
	s_cmp_gt_i32 s1, 0
	s_mov_b32 s1, -1
	s_cbranch_scc0 .LBB154_1238
; %bb.1237:
	v_cvt_i16_f16_e32 v0, v4
	s_mov_b32 s1, 0
	global_store_byte v[1:2], v0, off
.LBB154_1238:
	s_andn2_b32 vcc_lo, exec_lo, s1
	s_cbranch_vccnz .LBB154_1240
; %bb.1239:
	v_cvt_f32_f16_e32 v0, v4
	v_cvt_i32_f32_e32 v0, v0
	global_store_byte v[1:2], v0, off
.LBB154_1240:
	s_or_b32 exec_lo, exec_lo, s0
	s_and_b32 s12, s6, exec_lo
                                        ; implicit-def: $vgpr15
                                        ; implicit-def: $vgpr8
.LBB154_1241:
	s_or_saveexec_b32 s13, s28
	s_mov_b32 s0, 0
                                        ; implicit-def: $vgpr0_vgpr1
                                        ; implicit-def: $sgpr1
                                        ; implicit-def: $vgpr2
	s_xor_b32 exec_lo, exec_lo, s13
	s_cbranch_execz .LBB154_2401
; %bb.1242:
	v_cndmask_b32_e64 v0, 0, 1, s27
	s_andn2_b32 vcc_lo, exec_lo, s27
	s_cbranch_vccnz .LBB154_1248
; %bb.1243:
	s_cmp_lg_u32 s24, 0
	s_mov_b32 s8, 0
	s_cbranch_scc0 .LBB154_1249
; %bb.1244:
	s_min_u32 s10, s25, 15
	s_add_i32 s10, s10, 1
	s_cmp_eq_u32 s25, 2
	s_cbranch_scc1 .LBB154_1250
; %bb.1245:
	v_mov_b32_e32 v13, 0
	v_mov_b32_e32 v6, 0
	;; [unrolled: 1-line block ×3, first 2 shown]
	s_and_b32 s9, s10, 28
	s_add_u32 s0, s2, 0xc4
	s_addc_u32 s1, s3, 0
	s_mov_b32 s11, 0
	s_mov_b64 s[6:7], s[2:3]
.LBB154_1246:                           ; =>This Inner Loop Header: Depth=1
	s_clause 0x1
	s_load_dwordx8 s[16:23], s[6:7], 0x4
	s_load_dwordx4 s[28:31], s[6:7], 0x24
	s_load_dwordx8 s[36:43], s[0:1], 0x0
	s_add_u32 s6, s6, 48
	s_addc_u32 s7, s7, 0
	s_add_i32 s11, s11, 4
	s_add_u32 s0, s0, 32
	s_addc_u32 s1, s1, 0
	s_cmp_lg_u32 s9, s11
	s_waitcnt lgkmcnt(0)
	v_mul_hi_u32 v2, s17, v1
	v_add_nc_u32_e32 v2, v1, v2
	v_lshrrev_b32_e32 v2, s18, v2
	s_waitcnt vmcnt(0)
	v_mul_hi_u32 v3, s20, v2
	v_mul_lo_u32 v5, v2, s16
	v_add_nc_u32_e32 v3, v2, v3
	v_sub_nc_u32_e32 v1, v1, v5
	v_lshrrev_b32_e32 v3, s21, v3
	v_mul_lo_u32 v5, v1, s36
	v_mul_lo_u32 v9, v1, s37
	v_mul_hi_u32 v4, s23, v3
	v_add_nc_u32_e32 v4, v3, v4
	v_lshrrev_b32_e32 v4, s28, v4
	v_mul_hi_u32 v7, s30, v4
	v_mul_lo_u32 v10, v4, s22
	v_add_nc_u32_e32 v1, v4, v7
	v_mul_lo_u32 v7, v3, s19
	v_sub_nc_u32_e32 v3, v3, v10
	v_lshrrev_b32_e32 v1, s31, v1
	v_mul_lo_u32 v10, v3, s40
	v_mul_lo_u32 v3, v3, s41
	v_sub_nc_u32_e32 v2, v2, v7
	v_mul_lo_u32 v11, v1, s29
	v_mul_lo_u32 v7, v2, s38
	;; [unrolled: 1-line block ×3, first 2 shown]
	v_sub_nc_u32_e32 v4, v4, v11
	v_add3_u32 v5, v5, v6, v7
	v_mul_lo_u32 v11, v4, s42
	v_mul_lo_u32 v4, v4, s43
	v_add3_u32 v2, v9, v13, v2
	v_add3_u32 v6, v10, v5, v11
	;; [unrolled: 1-line block ×3, first 2 shown]
	s_cbranch_scc1 .LBB154_1246
; %bb.1247:
	s_and_b32 s10, s10, 3
	s_cmp_eq_u32 s10, 0
	s_cbranch_scc0 .LBB154_1251
	s_branch .LBB154_1253
.LBB154_1248:
	s_mov_b32 s8, -1
                                        ; implicit-def: $vgpr6
                                        ; implicit-def: $vgpr13
	s_branch .LBB154_1253
.LBB154_1249:
	v_mov_b32_e32 v6, 0
	v_mov_b32_e32 v13, 0
	s_branch .LBB154_1253
.LBB154_1250:
	v_mov_b32_e32 v6, 0
	v_mov_b32_e32 v13, 0
	;; [unrolled: 1-line block ×3, first 2 shown]
	s_mov_b32 s9, 0
	s_and_b32 s10, s10, 3
	s_cmp_eq_u32 s10, 0
	s_cbranch_scc1 .LBB154_1253
.LBB154_1251:
	s_lshl_b32 s0, s9, 3
	s_mul_i32 s6, s9, 12
	s_add_u32 s0, s2, s0
	s_addc_u32 s1, s3, 0
	s_add_u32 s0, s0, 0xc4
	s_addc_u32 s1, s1, 0
	;; [unrolled: 2-line block ×3, first 2 shown]
	.p2align	6
.LBB154_1252:                           ; =>This Inner Loop Header: Depth=1
	s_clause 0x1
	s_load_dwordx2 s[14:15], s[6:7], 0x4
	s_load_dword s9, s[6:7], 0xc
	s_load_dwordx2 s[16:17], s[0:1], 0x0
	s_add_u32 s6, s6, 12
	s_addc_u32 s7, s7, 0
	s_add_u32 s0, s0, 8
	s_addc_u32 s1, s1, 0
	s_add_i32 s10, s10, -1
	s_cmp_lg_u32 s10, 0
	s_waitcnt lgkmcnt(0)
	v_mul_hi_u32 v2, s15, v1
	v_add_nc_u32_e32 v2, v1, v2
	v_lshrrev_b32_e32 v2, s9, v2
	s_waitcnt vmcnt(0)
	v_mul_lo_u32 v3, v2, s14
	v_sub_nc_u32_e32 v1, v1, v3
	v_mad_u64_u32 v[6:7], null, v1, s16, v[6:7]
	v_mad_u64_u32 v[13:14], null, v1, s17, v[13:14]
	v_mov_b32_e32 v1, v2
	s_cbranch_scc1 .LBB154_1252
.LBB154_1253:
	s_andn2_b32 vcc_lo, exec_lo, s8
	s_cbranch_vccnz .LBB154_1256
; %bb.1254:
	s_clause 0x1
	s_load_dwordx4 s[8:11], s[2:3], 0x4
	s_load_dwordx2 s[0:1], s[2:3], 0xc4
	s_cmp_lt_u32 s24, 2
	s_waitcnt lgkmcnt(0)
	v_mul_hi_u32 v1, s9, v8
	v_add_nc_u32_e32 v1, v8, v1
	v_lshrrev_b32_e32 v1, s10, v1
	v_mul_lo_u32 v2, v1, s8
	v_sub_nc_u32_e32 v2, v8, v2
	v_mul_lo_u32 v6, v2, s0
	v_mul_lo_u32 v13, v2, s1
	s_cbranch_scc1 .LBB154_1256
; %bb.1255:
	s_clause 0x1
	s_load_dwordx4 s[8:11], s[2:3], 0x10
	s_load_dwordx2 s[0:1], s[2:3], 0xcc
	s_waitcnt lgkmcnt(0)
	v_mul_hi_u32 v2, s9, v1
	v_add_nc_u32_e32 v2, v1, v2
	v_lshrrev_b32_e32 v2, s10, v2
	v_mul_lo_u32 v2, v2, s8
	v_sub_nc_u32_e32 v1, v1, v2
	v_mad_u64_u32 v[6:7], null, v1, s0, v[6:7]
	v_mad_u64_u32 v[13:14], null, v1, s1, v[13:14]
.LBB154_1256:
	v_cmp_ne_u32_e32 vcc_lo, 1, v0
	v_add_nc_u32_e32 v1, 0x80, v8
	s_cbranch_vccnz .LBB154_1262
; %bb.1257:
	s_cmp_lg_u32 s24, 0
	s_mov_b32 s8, 0
	s_cbranch_scc0 .LBB154_1263
; %bb.1258:
	s_min_u32 s10, s25, 15
	s_add_i32 s10, s10, 1
	s_cmp_eq_u32 s25, 2
	s_cbranch_scc1 .LBB154_1264
; %bb.1259:
	v_mov_b32_e32 v11, 0
	v_mov_b32_e32 v4, 0
	;; [unrolled: 1-line block ×3, first 2 shown]
	s_and_b32 s9, s10, 28
	s_add_u32 s0, s2, 0xc4
	s_addc_u32 s1, s3, 0
	s_mov_b32 s11, 0
	s_mov_b64 s[6:7], s[2:3]
.LBB154_1260:                           ; =>This Inner Loop Header: Depth=1
	s_clause 0x1
	s_load_dwordx8 s[16:23], s[6:7], 0x4
	s_load_dwordx4 s[28:31], s[6:7], 0x24
	s_load_dwordx8 s[36:43], s[0:1], 0x0
	s_add_u32 s6, s6, 48
	s_addc_u32 s7, s7, 0
	s_add_i32 s11, s11, 4
	s_add_u32 s0, s0, 32
	s_addc_u32 s1, s1, 0
	s_cmp_lg_u32 s9, s11
	s_waitcnt vmcnt(0) lgkmcnt(0)
	v_mul_hi_u32 v3, s17, v2
	v_add_nc_u32_e32 v3, v2, v3
	v_lshrrev_b32_e32 v3, s18, v3
	v_mul_hi_u32 v5, s20, v3
	v_mul_lo_u32 v9, v3, s16
	v_add_nc_u32_e32 v5, v3, v5
	v_sub_nc_u32_e32 v2, v2, v9
	v_lshrrev_b32_e32 v5, s21, v5
	v_mul_lo_u32 v9, v2, s36
	v_mul_lo_u32 v12, v2, s37
	v_mul_hi_u32 v7, s23, v5
	v_add_nc_u32_e32 v7, v5, v7
	v_lshrrev_b32_e32 v7, s28, v7
	v_mul_hi_u32 v10, s30, v7
	v_mul_lo_u32 v14, v7, s22
	v_add_nc_u32_e32 v2, v7, v10
	v_mul_lo_u32 v10, v5, s19
	v_sub_nc_u32_e32 v5, v5, v14
	v_lshrrev_b32_e32 v2, s31, v2
	v_mul_lo_u32 v14, v5, s40
	v_mul_lo_u32 v5, v5, s41
	v_sub_nc_u32_e32 v3, v3, v10
	v_mul_lo_u32 v16, v2, s29
	v_mul_lo_u32 v10, v3, s38
	;; [unrolled: 1-line block ×3, first 2 shown]
	v_sub_nc_u32_e32 v7, v7, v16
	v_add3_u32 v4, v9, v4, v10
	v_mul_lo_u32 v16, v7, s42
	v_mul_lo_u32 v7, v7, s43
	v_add3_u32 v3, v12, v11, v3
	v_add3_u32 v4, v14, v4, v16
	;; [unrolled: 1-line block ×3, first 2 shown]
	s_cbranch_scc1 .LBB154_1260
; %bb.1261:
	s_and_b32 s10, s10, 3
	s_cmp_eq_u32 s10, 0
	s_cbranch_scc0 .LBB154_1265
	s_branch .LBB154_1267
.LBB154_1262:
	s_mov_b32 s8, -1
                                        ; implicit-def: $vgpr4
                                        ; implicit-def: $vgpr11
	s_branch .LBB154_1267
.LBB154_1263:
	v_mov_b32_e32 v4, 0
	v_mov_b32_e32 v11, 0
	s_branch .LBB154_1267
.LBB154_1264:
	v_mov_b32_e32 v4, 0
	v_mov_b32_e32 v11, 0
	;; [unrolled: 1-line block ×3, first 2 shown]
	s_mov_b32 s9, 0
	s_and_b32 s10, s10, 3
	s_cmp_eq_u32 s10, 0
	s_cbranch_scc1 .LBB154_1267
.LBB154_1265:
	s_lshl_b32 s0, s9, 3
	s_mul_i32 s6, s9, 12
	s_add_u32 s0, s2, s0
	s_addc_u32 s1, s3, 0
	s_add_u32 s0, s0, 0xc4
	s_addc_u32 s1, s1, 0
	s_add_u32 s6, s2, s6
	s_addc_u32 s7, s3, 0
	.p2align	6
.LBB154_1266:                           ; =>This Inner Loop Header: Depth=1
	s_clause 0x1
	s_load_dwordx2 s[14:15], s[6:7], 0x4
	s_load_dword s9, s[6:7], 0xc
	s_load_dwordx2 s[16:17], s[0:1], 0x0
	s_add_u32 s6, s6, 12
	s_addc_u32 s7, s7, 0
	s_add_u32 s0, s0, 8
	s_addc_u32 s1, s1, 0
	s_add_i32 s10, s10, -1
	s_cmp_lg_u32 s10, 0
	s_waitcnt vmcnt(0) lgkmcnt(0)
	v_mul_hi_u32 v3, s15, v2
	v_add_nc_u32_e32 v3, v2, v3
	v_lshrrev_b32_e32 v3, s9, v3
	v_mul_lo_u32 v5, v3, s14
	v_sub_nc_u32_e32 v2, v2, v5
	v_mad_u64_u32 v[4:5], null, v2, s16, v[4:5]
	v_mad_u64_u32 v[11:12], null, v2, s17, v[11:12]
	v_mov_b32_e32 v2, v3
	s_cbranch_scc1 .LBB154_1266
.LBB154_1267:
	s_andn2_b32 vcc_lo, exec_lo, s8
	s_cbranch_vccnz .LBB154_1270
; %bb.1268:
	s_clause 0x1
	s_load_dwordx4 s[8:11], s[2:3], 0x4
	s_load_dwordx2 s[0:1], s[2:3], 0xc4
	s_cmp_lt_u32 s24, 2
	s_waitcnt lgkmcnt(0)
	v_mul_hi_u32 v2, s9, v1
	v_add_nc_u32_e32 v2, v1, v2
	v_lshrrev_b32_e32 v2, s10, v2
	s_waitcnt vmcnt(0)
	v_mul_lo_u32 v3, v2, s8
	v_sub_nc_u32_e32 v1, v1, v3
	v_mul_lo_u32 v4, v1, s0
	v_mul_lo_u32 v11, v1, s1
	s_cbranch_scc1 .LBB154_1270
; %bb.1269:
	s_clause 0x1
	s_load_dwordx4 s[8:11], s[2:3], 0x10
	s_load_dwordx2 s[0:1], s[2:3], 0xcc
	s_waitcnt lgkmcnt(0)
	v_mul_hi_u32 v1, s9, v2
	v_add_nc_u32_e32 v1, v2, v1
	v_lshrrev_b32_e32 v1, s10, v1
	v_mul_lo_u32 v1, v1, s8
	v_sub_nc_u32_e32 v1, v2, v1
	v_mad_u64_u32 v[4:5], null, v1, s0, v[4:5]
	v_mad_u64_u32 v[11:12], null, v1, s1, v[11:12]
.LBB154_1270:
	v_cmp_ne_u32_e32 vcc_lo, 1, v0
	v_add_nc_u32_e32 v1, 0x100, v8
	s_cbranch_vccnz .LBB154_1276
; %bb.1271:
	s_cmp_lg_u32 s24, 0
	s_mov_b32 s8, 0
	s_cbranch_scc0 .LBB154_1277
; %bb.1272:
	s_min_u32 s10, s25, 15
	s_add_i32 s10, s10, 1
	s_cmp_eq_u32 s25, 2
	s_cbranch_scc1 .LBB154_1278
; %bb.1273:
	v_mov_b32_e32 v9, 0
	v_mov_b32_e32 v2, 0
	s_waitcnt vmcnt(0)
	v_mov_b32_e32 v3, v1
	s_and_b32 s9, s10, 28
	s_add_u32 s0, s2, 0xc4
	s_addc_u32 s1, s3, 0
	s_mov_b32 s11, 0
	s_mov_b64 s[6:7], s[2:3]
.LBB154_1274:                           ; =>This Inner Loop Header: Depth=1
	s_clause 0x1
	s_load_dwordx8 s[16:23], s[6:7], 0x4
	s_load_dwordx4 s[28:31], s[6:7], 0x24
	s_load_dwordx8 s[36:43], s[0:1], 0x0
	s_add_u32 s6, s6, 48
	s_addc_u32 s7, s7, 0
	s_add_i32 s11, s11, 4
	s_add_u32 s0, s0, 32
	s_addc_u32 s1, s1, 0
	s_cmp_lg_u32 s9, s11
	s_waitcnt lgkmcnt(0)
	v_mul_hi_u32 v5, s17, v3
	v_add_nc_u32_e32 v5, v3, v5
	v_lshrrev_b32_e32 v5, s18, v5
	v_mul_hi_u32 v7, s20, v5
	v_mul_lo_u32 v10, v5, s16
	v_add_nc_u32_e32 v7, v5, v7
	v_sub_nc_u32_e32 v3, v3, v10
	v_lshrrev_b32_e32 v7, s21, v7
	v_mul_lo_u32 v10, v3, s36
	v_mul_lo_u32 v14, v3, s37
	v_mul_hi_u32 v8, s23, v7
	v_add_nc_u32_e32 v8, v7, v8
	v_lshrrev_b32_e32 v8, s28, v8
	v_mul_hi_u32 v12, s30, v8
	v_mul_lo_u32 v16, v8, s22
	v_add_nc_u32_e32 v3, v8, v12
	v_mul_lo_u32 v12, v7, s19
	v_sub_nc_u32_e32 v7, v7, v16
	v_lshrrev_b32_e32 v3, s31, v3
	v_mul_lo_u32 v16, v7, s40
	v_mul_lo_u32 v7, v7, s41
	v_sub_nc_u32_e32 v5, v5, v12
	v_mul_lo_u32 v17, v3, s29
	v_mul_lo_u32 v12, v5, s38
	;; [unrolled: 1-line block ×3, first 2 shown]
	v_sub_nc_u32_e32 v8, v8, v17
	v_add3_u32 v2, v10, v2, v12
	v_mul_lo_u32 v17, v8, s42
	v_mul_lo_u32 v8, v8, s43
	v_add3_u32 v5, v14, v9, v5
	v_add3_u32 v2, v16, v2, v17
	v_add3_u32 v9, v7, v5, v8
	s_cbranch_scc1 .LBB154_1274
; %bb.1275:
	s_and_b32 s10, s10, 3
	s_cmp_eq_u32 s10, 0
	s_cbranch_scc0 .LBB154_1279
	s_branch .LBB154_1281
.LBB154_1276:
	s_mov_b32 s8, -1
                                        ; implicit-def: $vgpr2
                                        ; implicit-def: $vgpr9
	s_branch .LBB154_1281
.LBB154_1277:
	v_mov_b32_e32 v2, 0
	v_mov_b32_e32 v9, 0
	s_branch .LBB154_1281
.LBB154_1278:
	v_mov_b32_e32 v2, 0
	v_mov_b32_e32 v9, 0
	s_waitcnt vmcnt(0)
	v_mov_b32_e32 v3, v1
	s_mov_b32 s9, 0
	s_and_b32 s10, s10, 3
	s_cmp_eq_u32 s10, 0
	s_cbranch_scc1 .LBB154_1281
.LBB154_1279:
	s_lshl_b32 s0, s9, 3
	s_mul_i32 s6, s9, 12
	s_add_u32 s0, s2, s0
	s_addc_u32 s1, s3, 0
	s_add_u32 s0, s0, 0xc4
	s_addc_u32 s1, s1, 0
	;; [unrolled: 2-line block ×3, first 2 shown]
	.p2align	6
.LBB154_1280:                           ; =>This Inner Loop Header: Depth=1
	s_clause 0x1
	s_load_dwordx2 s[14:15], s[6:7], 0x4
	s_load_dword s9, s[6:7], 0xc
	s_load_dwordx2 s[16:17], s[0:1], 0x0
	s_add_u32 s6, s6, 12
	s_addc_u32 s7, s7, 0
	s_add_u32 s0, s0, 8
	s_addc_u32 s1, s1, 0
	s_add_i32 s10, s10, -1
	s_cmp_lg_u32 s10, 0
	s_waitcnt lgkmcnt(0)
	v_mul_hi_u32 v5, s15, v3
	v_add_nc_u32_e32 v5, v3, v5
	v_lshrrev_b32_e32 v5, s9, v5
	v_mul_lo_u32 v7, v5, s14
	v_sub_nc_u32_e32 v7, v3, v7
	v_mad_u64_u32 v[2:3], null, v7, s16, v[2:3]
	v_mad_u64_u32 v[9:10], null, v7, s17, v[9:10]
	v_mov_b32_e32 v3, v5
	s_cbranch_scc1 .LBB154_1280
.LBB154_1281:
	s_andn2_b32 vcc_lo, exec_lo, s8
	s_cbranch_vccnz .LBB154_1284
; %bb.1282:
	s_clause 0x1
	s_load_dwordx4 s[8:11], s[2:3], 0x4
	s_load_dwordx2 s[0:1], s[2:3], 0xc4
	s_cmp_lt_u32 s24, 2
	s_waitcnt lgkmcnt(0)
	v_mul_hi_u32 v2, s9, v1
	v_add_nc_u32_e32 v2, v1, v2
	s_waitcnt vmcnt(0)
	v_lshrrev_b32_e32 v3, s10, v2
	v_mul_lo_u32 v2, v3, s8
	v_sub_nc_u32_e32 v1, v1, v2
	v_mul_lo_u32 v2, v1, s0
	v_mul_lo_u32 v9, v1, s1
	s_cbranch_scc1 .LBB154_1284
; %bb.1283:
	s_clause 0x1
	s_load_dwordx4 s[8:11], s[2:3], 0x10
	s_load_dwordx2 s[0:1], s[2:3], 0xcc
	s_waitcnt lgkmcnt(0)
	v_mul_hi_u32 v1, s9, v3
	v_add_nc_u32_e32 v1, v3, v1
	v_lshrrev_b32_e32 v1, s10, v1
	v_mul_lo_u32 v1, v1, s8
	v_sub_nc_u32_e32 v1, v3, v1
	v_mad_u64_u32 v[2:3], null, v1, s0, v[2:3]
	v_mad_u64_u32 v[9:10], null, v1, s1, v[9:10]
.LBB154_1284:
	v_cmp_ne_u32_e32 vcc_lo, 1, v0
	s_cbranch_vccnz .LBB154_1290
; %bb.1285:
	s_cmp_lg_u32 s24, 0
	s_mov_b32 s8, 0
	s_cbranch_scc0 .LBB154_1291
; %bb.1286:
	s_min_u32 s10, s25, 15
	s_add_i32 s10, s10, 1
	s_cmp_eq_u32 s25, 2
	s_cbranch_scc1 .LBB154_1292
; %bb.1287:
	v_mov_b32_e32 v7, 0
	v_mov_b32_e32 v0, 0
	;; [unrolled: 1-line block ×3, first 2 shown]
	s_and_b32 s9, s10, 28
	s_add_u32 s0, s2, 0xc4
	s_addc_u32 s1, s3, 0
	s_mov_b32 s11, 0
	s_mov_b64 s[6:7], s[2:3]
.LBB154_1288:                           ; =>This Inner Loop Header: Depth=1
	s_clause 0x1
	s_load_dwordx8 s[16:23], s[6:7], 0x4
	s_load_dwordx4 s[28:31], s[6:7], 0x24
	s_load_dwordx8 s[36:43], s[0:1], 0x0
	s_add_u32 s6, s6, 48
	s_addc_u32 s7, s7, 0
	s_add_i32 s11, s11, 4
	s_add_u32 s0, s0, 32
	s_addc_u32 s1, s1, 0
	s_cmp_lg_u32 s9, s11
	s_waitcnt vmcnt(0) lgkmcnt(0)
	v_mul_hi_u32 v3, s17, v1
	v_add_nc_u32_e32 v3, v1, v3
	v_lshrrev_b32_e32 v3, s18, v3
	v_mul_hi_u32 v5, s20, v3
	v_mul_lo_u32 v10, v3, s16
	v_add_nc_u32_e32 v5, v3, v5
	v_sub_nc_u32_e32 v1, v1, v10
	v_lshrrev_b32_e32 v5, s21, v5
	v_mul_lo_u32 v10, v1, s36
	v_mul_lo_u32 v14, v1, s37
	v_mul_hi_u32 v8, s23, v5
	v_add_nc_u32_e32 v8, v5, v8
	v_lshrrev_b32_e32 v8, s28, v8
	v_mul_hi_u32 v12, s30, v8
	v_mul_lo_u32 v16, v8, s22
	v_add_nc_u32_e32 v1, v8, v12
	v_mul_lo_u32 v12, v5, s19
	v_sub_nc_u32_e32 v5, v5, v16
	v_lshrrev_b32_e32 v1, s31, v1
	v_mul_lo_u32 v16, v5, s40
	v_mul_lo_u32 v5, v5, s41
	v_sub_nc_u32_e32 v3, v3, v12
	v_mul_lo_u32 v17, v1, s29
	v_mul_lo_u32 v12, v3, s38
	;; [unrolled: 1-line block ×3, first 2 shown]
	v_sub_nc_u32_e32 v8, v8, v17
	v_add3_u32 v0, v10, v0, v12
	v_mul_lo_u32 v17, v8, s42
	v_mul_lo_u32 v8, v8, s43
	v_add3_u32 v3, v14, v7, v3
	v_add3_u32 v0, v16, v0, v17
	;; [unrolled: 1-line block ×3, first 2 shown]
	s_cbranch_scc1 .LBB154_1288
; %bb.1289:
	s_and_b32 s10, s10, 3
	s_cmp_eq_u32 s10, 0
	s_cbranch_scc0 .LBB154_1293
	s_branch .LBB154_1295
.LBB154_1290:
	s_mov_b32 s8, -1
                                        ; implicit-def: $vgpr0
                                        ; implicit-def: $vgpr7
	s_branch .LBB154_1295
.LBB154_1291:
	v_mov_b32_e32 v0, 0
	v_mov_b32_e32 v7, 0
	s_branch .LBB154_1295
.LBB154_1292:
	v_mov_b32_e32 v0, 0
	v_mov_b32_e32 v7, 0
	;; [unrolled: 1-line block ×3, first 2 shown]
	s_mov_b32 s9, 0
	s_and_b32 s10, s10, 3
	s_cmp_eq_u32 s10, 0
	s_cbranch_scc1 .LBB154_1295
.LBB154_1293:
	s_lshl_b32 s0, s9, 3
	s_mul_i32 s6, s9, 12
	s_add_u32 s0, s2, s0
	s_addc_u32 s1, s3, 0
	s_add_u32 s0, s0, 0xc4
	s_addc_u32 s1, s1, 0
	;; [unrolled: 2-line block ×3, first 2 shown]
	.p2align	6
.LBB154_1294:                           ; =>This Inner Loop Header: Depth=1
	s_clause 0x1
	s_load_dwordx2 s[14:15], s[6:7], 0x4
	s_load_dword s9, s[6:7], 0xc
	s_load_dwordx2 s[16:17], s[0:1], 0x0
	s_add_u32 s6, s6, 12
	s_addc_u32 s7, s7, 0
	s_add_u32 s0, s0, 8
	s_addc_u32 s1, s1, 0
	s_add_i32 s10, s10, -1
	s_cmp_lg_u32 s10, 0
	s_waitcnt vmcnt(0) lgkmcnt(0)
	v_mul_hi_u32 v3, s15, v1
	v_add_nc_u32_e32 v3, v1, v3
	v_lshrrev_b32_e32 v3, s9, v3
	v_mul_lo_u32 v5, v3, s14
	v_sub_nc_u32_e32 v5, v1, v5
	v_mad_u64_u32 v[0:1], null, v5, s16, v[0:1]
	v_mad_u64_u32 v[7:8], null, v5, s17, v[7:8]
	v_mov_b32_e32 v1, v3
	s_cbranch_scc1 .LBB154_1294
.LBB154_1295:
	s_andn2_b32 vcc_lo, exec_lo, s8
	s_cbranch_vccnz .LBB154_1298
; %bb.1296:
	s_clause 0x1
	s_load_dwordx4 s[8:11], s[2:3], 0x4
	s_load_dwordx2 s[0:1], s[2:3], 0xc4
	s_cmp_lt_u32 s24, 2
	s_waitcnt lgkmcnt(0)
	v_mul_hi_u32 v0, s9, v15
	v_add_nc_u32_e32 v0, v15, v0
	v_lshrrev_b32_e32 v1, s10, v0
	v_mul_lo_u32 v0, v1, s8
	s_waitcnt vmcnt(0)
	v_sub_nc_u32_e32 v3, v15, v0
	v_mul_lo_u32 v0, v3, s0
	v_mul_lo_u32 v7, v3, s1
	s_cbranch_scc1 .LBB154_1298
; %bb.1297:
	s_clause 0x1
	s_load_dwordx4 s[8:11], s[2:3], 0x10
	s_load_dwordx2 s[0:1], s[2:3], 0xcc
	s_waitcnt lgkmcnt(0)
	v_mul_hi_u32 v3, s9, v1
	v_add_nc_u32_e32 v3, v1, v3
	v_lshrrev_b32_e32 v3, s10, v3
	v_mul_lo_u32 v3, v3, s8
	v_sub_nc_u32_e32 v3, v1, v3
	v_mad_u64_u32 v[0:1], null, v3, s0, v[0:1]
	v_mad_u64_u32 v[7:8], null, v3, s1, v[7:8]
.LBB154_1298:
	s_clause 0x1
	s_load_dwordx4 s[8:11], s[2:3], 0x148
	s_load_dword s6, s[4:5], 0x160
	s_waitcnt lgkmcnt(0)
	v_add_co_u32 v12, s0, s10, v13
	v_add_co_ci_u32_e64 v13, null, s11, 0, s0
	s_bfe_u32 s0, s6, 0x80010
	s_cmp_lt_i32 s0, 11
	s_cbranch_scc1 .LBB154_1305
; %bb.1299:
	s_and_b32 s1, 0xffff, s0
	s_mov_b32 s3, 0
	s_cmp_gt_i32 s1, 25
	s_cbranch_scc0 .LBB154_1307
; %bb.1300:
	s_cmp_gt_i32 s1, 28
	s_cbranch_scc0 .LBB154_1308
; %bb.1301:
	;; [unrolled: 3-line block ×4, first 2 shown]
	s_cmp_eq_u32 s1, 46
	s_mov_b32 s5, 0
	s_cbranch_scc0 .LBB154_1313
; %bb.1304:
	global_load_dword v1, v[12:13], off
	s_mov_b32 s2, 0
	s_mov_b32 s4, -1
	s_waitcnt vmcnt(0)
	v_lshlrev_b32_e32 v1, 16, v1
	v_cvt_f16_f32_e32 v1, v1
	s_branch .LBB154_1315
.LBB154_1305:
	s_mov_b32 s4, 0
	s_mov_b32 s5, s12
                                        ; implicit-def: $vgpr1
	s_cbranch_execnz .LBB154_1378
.LBB154_1306:
	s_andn2_b32 vcc_lo, exec_lo, s4
	s_cbranch_vccz .LBB154_1423
	s_branch .LBB154_2399
.LBB154_1307:
	s_mov_b32 s4, 0
	s_mov_b32 s2, 0
                                        ; implicit-def: $vgpr1
	s_cbranch_execnz .LBB154_1343
	s_branch .LBB154_1374
.LBB154_1308:
	s_mov_b32 s5, -1
	s_mov_b32 s4, 0
	s_mov_b32 s2, 0
                                        ; implicit-def: $vgpr1
	s_branch .LBB154_1324
.LBB154_1309:
	s_mov_b32 s4, 0
	s_mov_b32 s2, 0
                                        ; implicit-def: $vgpr1
	s_cbranch_execnz .LBB154_1320
	s_branch .LBB154_1323
.LBB154_1310:
	s_mov_b32 s5, -1
	s_mov_b32 s4, 0
	s_mov_b32 s2, 0
	s_branch .LBB154_1314
.LBB154_1311:
	s_andn2_saveexec_b32 s11, s11
	s_cbranch_execz .LBB154_1154
.LBB154_1312:
	v_add_f32_e64 v3, 0x46000000, |v0|
	s_andn2_b32 s10, s10, exec_lo
	v_and_b32_e32 v3, 0xff, v3
	v_cmp_ne_u32_e32 vcc_lo, 0, v3
	s_and_b32 s12, vcc_lo, exec_lo
	s_or_b32 s10, s10, s12
	s_or_b32 exec_lo, exec_lo, s11
	v_mov_b32_e32 v5, 0
	s_and_saveexec_b32 s11, s10
	s_cbranch_execnz .LBB154_1155
	s_branch .LBB154_1156
.LBB154_1313:
	s_mov_b32 s2, -1
	s_mov_b32 s4, 0
.LBB154_1314:
                                        ; implicit-def: $vgpr1
.LBB154_1315:
	s_and_b32 vcc_lo, exec_lo, s5
	s_cbranch_vccz .LBB154_1318
; %bb.1316:
	s_cmp_eq_u32 s1, 44
	s_cbranch_scc0 .LBB154_1319
; %bb.1317:
	global_load_ubyte v1, v[12:13], off
	s_mov_b32 s2, 0
	s_mov_b32 s4, -1
	s_waitcnt vmcnt(0)
	v_lshlrev_b32_e32 v3, 23, v1
	v_cmp_ne_u32_e32 vcc_lo, 0xff, v1
	v_cvt_f16_f32_e32 v3, v3
	v_cndmask_b32_e32 v3, 0x7e00, v3, vcc_lo
	v_cmp_ne_u32_e32 vcc_lo, 0, v1
	v_cndmask_b32_e32 v1, 0, v3, vcc_lo
.LBB154_1318:
	s_branch .LBB154_1323
.LBB154_1319:
	s_mov_b32 s2, -1
                                        ; implicit-def: $vgpr1
	s_branch .LBB154_1323
.LBB154_1320:
	s_cmp_eq_u32 s1, 29
	s_cbranch_scc0 .LBB154_1322
; %bb.1321:
	global_load_dwordx2 v[14:15], v[12:13], off
	s_mov_b32 s2, 0
	s_mov_b32 s4, -1
	s_mov_b32 s5, 0
	s_waitcnt vmcnt(0)
	v_ffbh_u32_e32 v1, v15
	v_min_u32_e32 v1, 32, v1
	v_lshlrev_b64 v[14:15], v1, v[14:15]
	v_sub_nc_u32_e32 v1, 32, v1
	v_min_u32_e32 v3, 1, v14
	v_or_b32_e32 v3, v15, v3
	v_cvt_f32_u32_e32 v3, v3
	v_ldexp_f32 v1, v3, v1
	v_cvt_f16_f32_e32 v1, v1
	s_branch .LBB154_1324
.LBB154_1322:
	s_mov_b32 s2, -1
                                        ; implicit-def: $vgpr1
.LBB154_1323:
	s_mov_b32 s5, 0
.LBB154_1324:
	s_and_b32 vcc_lo, exec_lo, s5
	s_cbranch_vccz .LBB154_1342
; %bb.1325:
	s_cmp_lt_i32 s1, 27
	s_cbranch_scc1 .LBB154_1328
; %bb.1326:
	s_cmp_gt_i32 s1, 27
	s_cbranch_scc0 .LBB154_1329
; %bb.1327:
	global_load_dword v1, v[12:13], off
	s_mov_b32 s4, 0
	s_waitcnt vmcnt(0)
	v_cvt_f32_u32_e32 v1, v1
	v_cvt_f16_f32_e32 v1, v1
	s_branch .LBB154_1330
.LBB154_1328:
	s_mov_b32 s4, -1
                                        ; implicit-def: $vgpr1
	s_branch .LBB154_1333
.LBB154_1329:
	s_mov_b32 s4, -1
                                        ; implicit-def: $vgpr1
.LBB154_1330:
	s_andn2_b32 vcc_lo, exec_lo, s4
	s_cbranch_vccnz .LBB154_1332
; %bb.1331:
	global_load_ushort v1, v[12:13], off
	s_waitcnt vmcnt(0)
	v_cvt_f16_u16_e32 v1, v1
.LBB154_1332:
	s_mov_b32 s4, 0
.LBB154_1333:
	s_andn2_b32 vcc_lo, exec_lo, s4
	s_cbranch_vccnz .LBB154_1341
; %bb.1334:
	global_load_ubyte v3, v[12:13], off
	s_mov_b32 s4, 0
	s_mov_b32 s5, exec_lo
	s_waitcnt vmcnt(0)
	v_cmpx_lt_i16_e32 0x7f, v3
	s_xor_b32 s5, exec_lo, s5
	s_cbranch_execz .LBB154_1354
; %bb.1335:
	s_mov_b32 s4, -1
	s_mov_b32 s7, exec_lo
	v_cmpx_eq_u16_e32 0x80, v3
; %bb.1336:
	s_xor_b32 s4, exec_lo, -1
; %bb.1337:
	s_or_b32 exec_lo, exec_lo, s7
	s_and_b32 s4, s4, exec_lo
	s_or_saveexec_b32 s5, s5
	v_mov_b32_e32 v1, 0x7e00
	s_xor_b32 exec_lo, exec_lo, s5
	s_cbranch_execnz .LBB154_1355
.LBB154_1338:
	s_or_b32 exec_lo, exec_lo, s5
	s_and_saveexec_b32 s5, s4
	s_cbranch_execz .LBB154_1340
.LBB154_1339:
	v_and_b32_e32 v1, 0xffff, v3
	v_lshlrev_b32_e32 v3, 24, v3
	v_and_b32_e32 v5, 7, v1
	v_bfe_u32 v14, v1, 3, 4
	v_and_b32_e32 v3, 0x80000000, v3
	v_ffbh_u32_e32 v8, v5
	v_cmp_eq_u32_e32 vcc_lo, 0, v14
	v_min_u32_e32 v8, 32, v8
	v_subrev_nc_u32_e32 v10, 28, v8
	v_sub_nc_u32_e32 v8, 29, v8
	v_lshlrev_b32_e32 v1, v10, v1
	v_cndmask_b32_e32 v8, v14, v8, vcc_lo
	v_and_b32_e32 v1, 7, v1
	v_cndmask_b32_e32 v1, v5, v1, vcc_lo
	v_lshl_add_u32 v5, v8, 23, 0x3b800000
	v_lshlrev_b32_e32 v1, 20, v1
	v_or3_b32 v1, v3, v5, v1
	v_cvt_f16_f32_e32 v1, v1
.LBB154_1340:
	s_or_b32 exec_lo, exec_lo, s5
.LBB154_1341:
	s_mov_b32 s4, -1
.LBB154_1342:
	s_branch .LBB154_1374
.LBB154_1343:
	s_cmp_gt_i32 s1, 22
	s_cbranch_scc0 .LBB154_1353
; %bb.1344:
	s_cmp_lt_i32 s1, 24
	s_cbranch_scc1 .LBB154_1356
; %bb.1345:
	s_cmp_gt_i32 s1, 24
	s_cbranch_scc0 .LBB154_1357
; %bb.1346:
	global_load_ubyte v3, v[12:13], off
	s_mov_b32 s4, exec_lo
	s_waitcnt vmcnt(0)
	v_cmpx_lt_i16_e32 0x7f, v3
	s_xor_b32 s4, exec_lo, s4
	s_cbranch_execz .LBB154_1368
; %bb.1347:
	s_mov_b32 s3, -1
	s_mov_b32 s5, exec_lo
	v_cmpx_eq_u16_e32 0x80, v3
; %bb.1348:
	s_xor_b32 s3, exec_lo, -1
; %bb.1349:
	s_or_b32 exec_lo, exec_lo, s5
	s_and_b32 s3, s3, exec_lo
	s_or_saveexec_b32 s4, s4
	v_mov_b32_e32 v1, 0x7e00
	s_xor_b32 exec_lo, exec_lo, s4
	s_cbranch_execnz .LBB154_1369
.LBB154_1350:
	s_or_b32 exec_lo, exec_lo, s4
	s_and_saveexec_b32 s4, s3
	s_cbranch_execz .LBB154_1352
.LBB154_1351:
	v_and_b32_e32 v1, 0xffff, v3
	v_lshlrev_b32_e32 v3, 24, v3
	v_and_b32_e32 v5, 3, v1
	v_bfe_u32 v14, v1, 2, 5
	v_and_b32_e32 v3, 0x80000000, v3
	v_ffbh_u32_e32 v8, v5
	v_cmp_eq_u32_e32 vcc_lo, 0, v14
	v_min_u32_e32 v8, 32, v8
	v_subrev_nc_u32_e32 v10, 29, v8
	v_sub_nc_u32_e32 v8, 30, v8
	v_lshlrev_b32_e32 v1, v10, v1
	v_cndmask_b32_e32 v8, v14, v8, vcc_lo
	v_and_b32_e32 v1, 3, v1
	v_cndmask_b32_e32 v1, v5, v1, vcc_lo
	v_lshl_add_u32 v5, v8, 23, 0x37800000
	v_lshlrev_b32_e32 v1, 21, v1
	v_or3_b32 v1, v3, v5, v1
	v_cvt_f16_f32_e32 v1, v1
.LBB154_1352:
	s_or_b32 exec_lo, exec_lo, s4
	s_mov_b32 s3, 0
	s_branch .LBB154_1358
.LBB154_1353:
                                        ; implicit-def: $vgpr1
	s_mov_b32 s3, 0
	s_branch .LBB154_1364
.LBB154_1354:
	s_or_saveexec_b32 s5, s5
	v_mov_b32_e32 v1, 0x7e00
	s_xor_b32 exec_lo, exec_lo, s5
	s_cbranch_execz .LBB154_1338
.LBB154_1355:
	v_cmp_ne_u16_e32 vcc_lo, 0, v3
	v_mov_b32_e32 v1, v3
	s_andn2_b32 s4, s4, exec_lo
	s_and_b32 s7, vcc_lo, exec_lo
	s_or_b32 s4, s4, s7
	s_or_b32 exec_lo, exec_lo, s5
	s_and_saveexec_b32 s5, s4
	s_cbranch_execnz .LBB154_1339
	s_branch .LBB154_1340
.LBB154_1356:
	s_mov_b32 s3, -1
                                        ; implicit-def: $vgpr1
	s_branch .LBB154_1361
.LBB154_1357:
	s_mov_b32 s3, -1
                                        ; implicit-def: $vgpr1
.LBB154_1358:
	s_and_b32 vcc_lo, exec_lo, s3
	s_cbranch_vccz .LBB154_1360
; %bb.1359:
	global_load_ubyte v1, v[12:13], off
	s_waitcnt vmcnt(0)
	v_lshlrev_b32_e32 v1, 24, v1
	v_and_b32_e32 v3, 0x7f000000, v1
	v_ffbh_u32_e32 v5, v3
	v_add_nc_u32_e32 v10, 0x1000000, v3
	v_cmp_ne_u32_e32 vcc_lo, 0, v3
	v_min_u32_e32 v5, 32, v5
	v_sub_nc_u32_e64 v5, v5, 4 clamp
	v_lshlrev_b32_e32 v8, v5, v3
	v_lshlrev_b32_e32 v5, 23, v5
	v_lshrrev_b32_e32 v8, 4, v8
	v_sub_nc_u32_e32 v5, v8, v5
	v_ashrrev_i32_e32 v8, 8, v10
	v_add_nc_u32_e32 v5, 0x3c000000, v5
	v_and_or_b32 v5, 0x7f800000, v8, v5
	v_cndmask_b32_e32 v3, 0, v5, vcc_lo
	v_and_or_b32 v1, 0x80000000, v1, v3
	v_cvt_f16_f32_e32 v1, v1
.LBB154_1360:
	s_mov_b32 s3, 0
.LBB154_1361:
	s_andn2_b32 vcc_lo, exec_lo, s3
	s_cbranch_vccnz .LBB154_1363
; %bb.1362:
	global_load_ubyte v1, v[12:13], off
	s_waitcnt vmcnt(0)
	v_lshlrev_b32_e32 v3, 25, v1
	v_lshlrev_b16 v1, 8, v1
	v_lshrrev_b32_e32 v5, 4, v3
	v_and_or_b32 v8, 0x7f00, v1, 0.5
	v_cmp_gt_u32_e32 vcc_lo, 0x8000000, v3
	v_bfe_i32 v1, v1, 0, 16
	v_or_b32_e32 v5, 0x70000000, v5
	v_add_f32_e32 v8, -0.5, v8
	v_mul_f32_e32 v5, 0x7800000, v5
	v_cndmask_b32_e32 v3, v5, v8, vcc_lo
	v_and_or_b32 v1, 0x80000000, v1, v3
	v_cvt_f16_f32_e32 v1, v1
.LBB154_1363:
	s_mov_b32 s4, -1
	s_mov_b32 s3, 0
	s_cbranch_execnz .LBB154_1374
.LBB154_1364:
	s_cmp_gt_i32 s1, 14
	s_cbranch_scc0 .LBB154_1367
; %bb.1365:
	s_cmp_eq_u32 s1, 15
	s_cbranch_scc0 .LBB154_1370
; %bb.1366:
	global_load_ushort v1, v[12:13], off
	s_mov_b32 s2, 0
	s_mov_b32 s4, -1
	s_waitcnt vmcnt(0)
	v_lshlrev_b32_e32 v1, 16, v1
	v_cvt_f16_f32_e32 v1, v1
	s_branch .LBB154_1372
.LBB154_1367:
	s_mov_b32 s3, -1
	s_branch .LBB154_1371
.LBB154_1368:
	s_or_saveexec_b32 s4, s4
	v_mov_b32_e32 v1, 0x7e00
	s_xor_b32 exec_lo, exec_lo, s4
	s_cbranch_execz .LBB154_1350
.LBB154_1369:
	v_cmp_ne_u16_e32 vcc_lo, 0, v3
	v_mov_b32_e32 v1, v3
	s_andn2_b32 s3, s3, exec_lo
	s_and_b32 s5, vcc_lo, exec_lo
	s_or_b32 s3, s3, s5
	s_or_b32 exec_lo, exec_lo, s4
	s_and_saveexec_b32 s4, s3
	s_cbranch_execnz .LBB154_1351
	s_branch .LBB154_1352
.LBB154_1370:
	s_mov_b32 s2, -1
.LBB154_1371:
                                        ; implicit-def: $vgpr1
.LBB154_1372:
	s_and_b32 vcc_lo, exec_lo, s3
	s_mov_b32 s3, 0
	s_cbranch_vccz .LBB154_1374
; %bb.1373:
	s_cmp_lg_u32 s1, 11
	s_mov_b32 s3, -1
	s_cselect_b32 s2, -1, 0
.LBB154_1374:
	s_and_b32 vcc_lo, exec_lo, s2
	s_mov_b32 s5, s12
	s_cbranch_vccnz .LBB154_1473
; %bb.1375:
	s_andn2_b32 vcc_lo, exec_lo, s3
	s_cbranch_vccnz .LBB154_1377
.LBB154_1376:
	global_load_ubyte v1, v[12:13], off
	s_mov_b32 s4, -1
	s_waitcnt vmcnt(0)
	v_cmp_ne_u16_e32 vcc_lo, 0, v1
	v_cndmask_b32_e64 v1, 0, 0x3c00, vcc_lo
.LBB154_1377:
	s_branch .LBB154_1306
.LBB154_1378:
	s_and_b32 s0, 0xffff, s0
	s_cmp_lt_i32 s0, 5
	s_cbranch_scc1 .LBB154_1383
; %bb.1379:
	s_cmp_lt_i32 s0, 8
	s_cbranch_scc1 .LBB154_1384
; %bb.1380:
	;; [unrolled: 3-line block ×3, first 2 shown]
	s_cmp_gt_i32 s0, 9
	s_cbranch_scc0 .LBB154_1386
; %bb.1382:
	global_load_dwordx2 v[14:15], v[12:13], off
	s_mov_b32 s1, 0
	s_waitcnt vmcnt(0)
	v_and_or_b32 v1, 0x1ff, v15, v14
	v_lshrrev_b32_e32 v3, 8, v15
	v_bfe_u32 v5, v15, 20, 11
	v_cmp_ne_u32_e32 vcc_lo, 0, v1
	v_sub_nc_u32_e32 v8, 0x3f1, v5
	v_add_nc_u32_e32 v5, 0xfffffc10, v5
	v_cndmask_b32_e64 v1, 0, 1, vcc_lo
	v_and_or_b32 v1, 0xffe, v3, v1
	v_med3_i32 v3, v8, 0, 13
	v_or_b32_e32 v8, 0x1000, v1
	v_lshrrev_b32_e32 v10, v3, v8
	v_lshlrev_b32_e32 v3, v3, v10
	v_cmp_ne_u32_e32 vcc_lo, v3, v8
	v_lshl_or_b32 v8, v5, 12, v1
	v_cndmask_b32_e64 v3, 0, 1, vcc_lo
	v_cmp_gt_i32_e32 vcc_lo, 1, v5
	v_or_b32_e32 v3, v10, v3
	v_cndmask_b32_e32 v3, v8, v3, vcc_lo
	v_and_b32_e32 v8, 7, v3
	v_lshrrev_b32_e32 v3, 2, v3
	v_cmp_lt_i32_e32 vcc_lo, 5, v8
	v_cndmask_b32_e64 v10, 0, 1, vcc_lo
	v_cmp_eq_u32_e32 vcc_lo, 3, v8
	v_cndmask_b32_e64 v8, 0, 1, vcc_lo
	v_cmp_ne_u32_e32 vcc_lo, 0, v1
	v_or_b32_e32 v8, v8, v10
	v_mov_b32_e32 v10, 0x7e00
	v_add_nc_u32_e32 v3, v3, v8
	v_cndmask_b32_e32 v1, 0x7c00, v10, vcc_lo
	v_cmp_gt_i32_e32 vcc_lo, 31, v5
	v_cndmask_b32_e32 v3, 0x7c00, v3, vcc_lo
	v_cmp_eq_u32_e32 vcc_lo, 0x40f, v5
	v_cndmask_b32_e32 v1, v3, v1, vcc_lo
	v_lshrrev_b32_e32 v3, 16, v15
	v_and_or_b32 v1, 0x8000, v3, v1
	s_branch .LBB154_1387
.LBB154_1383:
                                        ; implicit-def: $vgpr1
	s_branch .LBB154_1404
.LBB154_1384:
                                        ; implicit-def: $vgpr1
	s_branch .LBB154_1393
.LBB154_1385:
	s_mov_b32 s1, -1
                                        ; implicit-def: $vgpr1
	s_branch .LBB154_1390
.LBB154_1386:
	s_mov_b32 s1, -1
                                        ; implicit-def: $vgpr1
.LBB154_1387:
	s_andn2_b32 vcc_lo, exec_lo, s1
	s_cbranch_vccnz .LBB154_1389
; %bb.1388:
	global_load_dword v1, v[12:13], off
	s_waitcnt vmcnt(0)
	v_cvt_f16_f32_e32 v1, v1
.LBB154_1389:
	s_mov_b32 s1, 0
.LBB154_1390:
	s_andn2_b32 vcc_lo, exec_lo, s1
	s_cbranch_vccnz .LBB154_1392
; %bb.1391:
	global_load_dword v1, v[12:13], off
.LBB154_1392:
	s_cbranch_execnz .LBB154_1403
.LBB154_1393:
	s_cmp_lt_i32 s0, 6
	s_cbranch_scc1 .LBB154_1396
; %bb.1394:
	s_cmp_gt_i32 s0, 6
	s_cbranch_scc0 .LBB154_1397
; %bb.1395:
	global_load_dwordx2 v[14:15], v[12:13], off
	s_mov_b32 s1, 0
	s_waitcnt vmcnt(0)
	v_and_or_b32 v1, 0x1ff, v15, v14
	v_lshrrev_b32_e32 v3, 8, v15
	v_bfe_u32 v5, v15, 20, 11
	v_cmp_ne_u32_e32 vcc_lo, 0, v1
	v_sub_nc_u32_e32 v8, 0x3f1, v5
	v_add_nc_u32_e32 v5, 0xfffffc10, v5
	v_cndmask_b32_e64 v1, 0, 1, vcc_lo
	v_and_or_b32 v1, 0xffe, v3, v1
	v_med3_i32 v3, v8, 0, 13
	v_or_b32_e32 v8, 0x1000, v1
	v_lshrrev_b32_e32 v10, v3, v8
	v_lshlrev_b32_e32 v3, v3, v10
	v_cmp_ne_u32_e32 vcc_lo, v3, v8
	v_lshl_or_b32 v8, v5, 12, v1
	v_cndmask_b32_e64 v3, 0, 1, vcc_lo
	v_cmp_gt_i32_e32 vcc_lo, 1, v5
	v_or_b32_e32 v3, v10, v3
	v_cndmask_b32_e32 v3, v8, v3, vcc_lo
	v_and_b32_e32 v8, 7, v3
	v_lshrrev_b32_e32 v3, 2, v3
	v_cmp_lt_i32_e32 vcc_lo, 5, v8
	v_cndmask_b32_e64 v10, 0, 1, vcc_lo
	v_cmp_eq_u32_e32 vcc_lo, 3, v8
	v_cndmask_b32_e64 v8, 0, 1, vcc_lo
	v_cmp_ne_u32_e32 vcc_lo, 0, v1
	v_or_b32_e32 v8, v8, v10
	v_mov_b32_e32 v10, 0x7e00
	v_add_nc_u32_e32 v3, v3, v8
	v_cndmask_b32_e32 v1, 0x7c00, v10, vcc_lo
	v_cmp_gt_i32_e32 vcc_lo, 31, v5
	v_cndmask_b32_e32 v3, 0x7c00, v3, vcc_lo
	v_cmp_eq_u32_e32 vcc_lo, 0x40f, v5
	v_cndmask_b32_e32 v1, v3, v1, vcc_lo
	v_lshrrev_b32_e32 v3, 16, v15
	v_and_or_b32 v1, 0x8000, v3, v1
	s_branch .LBB154_1398
.LBB154_1396:
	s_mov_b32 s1, -1
                                        ; implicit-def: $vgpr1
	s_branch .LBB154_1401
.LBB154_1397:
	s_mov_b32 s1, -1
                                        ; implicit-def: $vgpr1
.LBB154_1398:
	s_andn2_b32 vcc_lo, exec_lo, s1
	s_cbranch_vccnz .LBB154_1400
; %bb.1399:
	global_load_dword v1, v[12:13], off
	s_waitcnt vmcnt(0)
	v_cvt_f16_f32_e32 v1, v1
.LBB154_1400:
	s_mov_b32 s1, 0
.LBB154_1401:
	s_andn2_b32 vcc_lo, exec_lo, s1
	s_cbranch_vccnz .LBB154_1403
; %bb.1402:
	global_load_ushort v1, v[12:13], off
.LBB154_1403:
	s_cbranch_execnz .LBB154_1422
.LBB154_1404:
	s_cmp_lt_i32 s0, 2
	s_cbranch_scc1 .LBB154_1408
; %bb.1405:
	s_cmp_lt_i32 s0, 3
	s_cbranch_scc1 .LBB154_1409
; %bb.1406:
	s_cmp_gt_i32 s0, 3
	s_cbranch_scc0 .LBB154_1410
; %bb.1407:
	global_load_dwordx2 v[14:15], v[12:13], off
	s_mov_b32 s1, 0
	s_waitcnt vmcnt(0)
	v_xor_b32_e32 v1, v14, v15
	v_ffbh_i32_e32 v3, v15
	v_ashrrev_i32_e32 v1, 31, v1
	v_add_nc_u32_e32 v3, -1, v3
	v_add_nc_u32_e32 v1, 32, v1
	v_min_u32_e32 v1, v3, v1
	v_lshlrev_b64 v[14:15], v1, v[14:15]
	v_sub_nc_u32_e32 v1, 32, v1
	v_min_u32_e32 v3, 1, v14
	v_or_b32_e32 v3, v15, v3
	v_cvt_f32_i32_e32 v3, v3
	v_ldexp_f32 v1, v3, v1
	v_cvt_f16_f32_e32 v1, v1
	s_branch .LBB154_1411
.LBB154_1408:
                                        ; implicit-def: $vgpr1
	s_branch .LBB154_1417
.LBB154_1409:
	s_mov_b32 s1, -1
                                        ; implicit-def: $vgpr1
	s_branch .LBB154_1414
.LBB154_1410:
	s_mov_b32 s1, -1
                                        ; implicit-def: $vgpr1
.LBB154_1411:
	s_andn2_b32 vcc_lo, exec_lo, s1
	s_cbranch_vccnz .LBB154_1413
; %bb.1412:
	global_load_dword v1, v[12:13], off
	s_waitcnt vmcnt(0)
	v_cvt_f32_i32_e32 v1, v1
	v_cvt_f16_f32_e32 v1, v1
.LBB154_1413:
	s_mov_b32 s1, 0
.LBB154_1414:
	s_andn2_b32 vcc_lo, exec_lo, s1
	s_cbranch_vccnz .LBB154_1416
; %bb.1415:
	global_load_ushort v1, v[12:13], off
	s_waitcnt vmcnt(0)
	v_cvt_f16_i16_e32 v1, v1
.LBB154_1416:
	s_cbranch_execnz .LBB154_1422
.LBB154_1417:
	s_cmp_gt_i32 s0, 0
	s_mov_b32 s0, 0
	s_cbranch_scc0 .LBB154_1419
; %bb.1418:
	global_load_sbyte v1, v[12:13], off
	s_waitcnt vmcnt(0)
	v_cvt_f16_i16_e32 v1, v1
	s_branch .LBB154_1420
.LBB154_1419:
	s_mov_b32 s0, -1
                                        ; implicit-def: $vgpr1
.LBB154_1420:
	s_andn2_b32 vcc_lo, exec_lo, s0
	s_cbranch_vccnz .LBB154_1422
; %bb.1421:
	global_load_ubyte v1, v[12:13], off
	s_waitcnt vmcnt(0)
	v_cvt_f16_u16_e32 v1, v1
.LBB154_1422:
.LBB154_1423:
	s_waitcnt vmcnt(0)
	v_cvt_f32_f16_e32 v3, v1
	s_mov_b32 s1, exec_lo
                                        ; implicit-def: $vgpr5
	v_and_b32_e32 v8, 0x7fffffff, v3
	v_cmpx_ngt_f32_e64 0x3c800000, |v3|
	s_xor_b32 s1, exec_lo, s1
	s_cbranch_execz .LBB154_1453
; %bb.1424:
	s_mov_b32 s2, exec_lo
                                        ; implicit-def: $vgpr5
	v_cmpx_nlt_f32_e64 |v3|, 2.0
	s_xor_b32 s2, exec_lo, s2
	s_cbranch_execz .LBB154_1434
; %bb.1425:
	v_cmp_ngt_f32_e64 s0, 0x41000000, |v3|
                                        ; implicit-def: $vgpr5
	s_and_saveexec_b32 s3, s0
	s_xor_b32 s0, exec_lo, s3
	s_cbranch_execz .LBB154_1431
; %bb.1426:
	v_cmp_ngt_f32_e64 s3, 0x5c800000, |v3|
                                        ; implicit-def: $vgpr5
	s_and_saveexec_b32 s4, s3
	s_xor_b32 s3, exec_lo, s4
	s_cbranch_execz .LBB154_1428
; %bb.1427:
	v_cmp_gt_f32_e64 s4, 0x800000, |v3|
	v_cndmask_b32_e64 v5, 0, 32, s4
	v_ldexp_f32 v5, |v3|, v5
	v_log_f32_e32 v5, v5
	v_mul_f32_e32 v10, 0x3f317217, v5
	v_cmp_gt_f32_e64 vcc_lo, 0x7f800000, |v5|
	v_fma_f32 v12, 0x3f317217, v5, -v10
	v_fmamk_f32 v12, v5, 0x3377d1cf, v12
	v_add_f32_e32 v10, v10, v12
	v_cndmask_b32_e32 v5, v5, v10, vcc_lo
	v_cndmask_b32_e64 v10, 0, 0x41b17218, s4
	v_sub_f32_e32 v5, v5, v10
	v_fma_f32 v5, |v3|, v5, -|v3|
.LBB154_1428:
	s_andn2_saveexec_b32 s3, s3
	s_cbranch_execz .LBB154_1430
; %bb.1429:
	v_cmp_gt_f32_e64 s4, 0x800000, |v3|
	v_rcp_f32_e64 v10, |v3|
	s_mov_b32 s7, 0xbad5c4e8
	v_cndmask_b32_e64 v5, 0, 32, s4
	v_ldexp_f32 v5, |v3|, v5
	v_mul_f32_e32 v12, v10, v10
	v_log_f32_e32 v5, v5
	v_fmaak_f32 v14, s7, v12, 0x3a5b3dd2
	v_fmaak_f32 v14, v12, v14, 0xba1c065c
	v_mul_f32_e32 v13, 0x3f317217, v5
	v_fmaak_f32 v14, v12, v14, 0x3a500cfd
	v_cmp_gt_f32_e64 vcc_lo, 0x7f800000, |v5|
	v_fma_f32 v15, 0x3f317217, v5, -v13
	v_fmaak_f32 v14, v12, v14, 0xbb360b61
	v_fmamk_f32 v15, v5, 0x3377d1cf, v15
	v_fmaak_f32 v12, v12, v14, 0x3daaaaab
	v_add_f32_e32 v13, v13, v15
	v_cndmask_b32_e32 v5, v5, v13, vcc_lo
	v_cndmask_b32_e64 v13, 0, 0x41b17218, s4
	v_sub_f32_e32 v13, v5, v13
	v_fmaak_f32 v5, v10, v12, 0x3ed67f1d
	v_add_f32_e64 v10, |v3|, -0.5
	v_add_f32_e32 v12, -1.0, v13
	v_fmac_f32_e32 v5, v10, v12
.LBB154_1430:
	s_or_b32 exec_lo, exec_lo, s3
.LBB154_1431:
	s_andn2_saveexec_b32 s3, s0
	s_cbranch_execz .LBB154_1433
; %bb.1432:
	v_cvt_i32_f32_e32 v5, v8
	s_mov_b32 s0, 0x36f5d7bd
	s_mov_b32 s4, 0x3805ff67
	v_cvt_f32_i32_e32 v10, v5
	v_cmp_lt_i32_e32 vcc_lo, 2, v5
	v_sub_f32_e64 v10, |v3|, v10
	v_add_f32_e32 v12, 2.0, v10
	v_add_f32_e32 v13, 0x40400000, v10
	v_add_f32_e32 v14, 4.0, v10
	v_add_f32_e32 v15, 0x40a00000, v10
	v_cndmask_b32_e32 v12, 1.0, v12, vcc_lo
	v_cmp_lt_i32_e32 vcc_lo, 3, v5
	v_cndmask_b32_e32 v13, 1.0, v13, vcc_lo
	v_cmp_lt_i32_e32 vcc_lo, 4, v5
	v_mul_f32_e32 v12, v12, v13
	v_cndmask_b32_e32 v14, 1.0, v14, vcc_lo
	v_cmp_lt_i32_e32 vcc_lo, 5, v5
	v_add_f32_e32 v13, 0x40c00000, v10
	v_mul_f32_e32 v12, v14, v12
	v_cndmask_b32_e32 v15, 1.0, v15, vcc_lo
	v_cmp_lt_i32_e32 vcc_lo, 6, v5
	v_fmaak_f32 v14, s4, v10, 0x3af135b4
	v_mul_f32_e32 v12, v15, v12
	v_cndmask_b32_e32 v5, 1.0, v13, vcc_lo
	v_mul_f32_e32 v5, v5, v12
	v_fmaak_f32 v12, s0, v10, 0x3a4beed6
	v_cmp_gt_f32_e32 vcc_lo, 0x800000, v5
	v_fmaak_f32 v12, v10, v12, 0x3c98bf54
	v_cndmask_b32_e64 v13, 0, 32, vcc_lo
	v_fmaak_f32 v12, v10, v12, 0x3e300f6e
	v_ldexp_f32 v5, v5, v13
	v_fmaak_f32 v13, v10, v14, 0x3cda40e4
	v_fmaak_f32 v12, v10, v12, 0x3f38d0c5
	v_log_f32_e32 v5, v5
	v_fmaak_f32 v13, v10, v13, 0x3e15dce6
	v_fmaak_f32 v12, v10, v12, 0x3fb22d3b
	;; [unrolled: 1-line block ×3, first 2 shown]
	v_fma_f32 v12, v10, v12, 1.0
	v_mul_f32_e32 v14, 0x3f317217, v5
	v_fmaak_f32 v13, v10, v13, 0x3e5c245a
	v_rcp_f32_e32 v12, v12
	v_cmp_gt_f32_e64 s0, 0x7f800000, |v5|
	v_fma_f32 v15, 0x3f317217, v5, -v14
	v_fmaak_f32 v13, v10, v13, 0xbd9e233f
	v_fmamk_f32 v15, v5, 0x3377d1cf, v15
	v_mul_f32_e32 v13, v10, v13
	v_add_f32_e32 v14, v14, v15
	v_mul_f32_e32 v12, v13, v12
	v_cndmask_b32_e64 v13, 0, 0x41b17218, vcc_lo
	v_cndmask_b32_e64 v5, v5, v14, s0
	v_fmac_f32_e32 v12, 0.5, v10
	v_sub_f32_e32 v5, v5, v13
	v_add_f32_e32 v5, v5, v12
.LBB154_1433:
	s_or_b32 exec_lo, exec_lo, s3
.LBB154_1434:
	s_andn2_saveexec_b32 s2, s2
	s_cbranch_execz .LBB154_1452
; %bb.1435:
	s_mov_b32 s3, exec_lo
                                        ; implicit-def: $vgpr5
                                        ; implicit-def: $vgpr12
                                        ; implicit-def: $vgpr10
	v_cmpx_ge_f32_e64 0x3f666666, |v3|
	s_xor_b32 s3, exec_lo, s3
	s_cbranch_execz .LBB154_1437
; %bb.1436:
	v_cmp_gt_f32_e64 s0, 0x800000, |v3|
	v_sub_f32_e64 v13, 1.0, |v3|
	v_cmp_gt_f32_e64 vcc_lo, 0x3f3b4a23, |v3|
	v_cndmask_b32_e64 v5, 0, 32, s0
	v_cndmask_b32_e64 v14, 0, 0x41b17218, s0
	v_ldexp_f32 v5, |v3|, v5
	v_log_f32_e32 v5, v5
	v_mul_f32_e32 v10, 0x3f317217, v5
	v_cmp_gt_f32_e64 s0, 0x7f800000, |v5|
	v_fma_f32 v12, 0x3f317217, v5, -v10
	v_fmamk_f32 v12, v5, 0x3377d1cf, v12
	v_add_f32_e32 v10, v10, v12
	v_add_f32_e64 v12, 0xbeec5b0c, |v3|
	v_cndmask_b32_e64 v5, v5, v10, s0
	v_cndmask_b32_e32 v10, v13, v12, vcc_lo
	v_cndmask_b32_e64 v12, 0, 1, vcc_lo
	v_cmp_gt_f32_e64 s0, 0x3e6d3309, |v3|
	v_sub_f32_e32 v5, v5, v14
	v_cndmask_b32_e64 v10, v10, |v3|, s0
	v_cndmask_b32_e64 v12, v12, 2, s0
	v_xor_b32_e32 v5, 0x80000000, v5
.LBB154_1437:
	s_andn2_saveexec_b32 s0, s3
	s_cbranch_execz .LBB154_1439
; %bb.1438:
	v_sub_f32_e64 v5, 2.0, |v3|
	v_add_f32_e64 v10, 0xbfbb16c3, |v3|
	v_cmp_gt_f32_e64 vcc_lo, 0x3fdda512, |v3|
	v_add_f32_e64 v12, |v3|, -1.0
	v_cndmask_b32_e32 v10, v5, v10, vcc_lo
	v_cndmask_b32_e64 v5, v5, 1.0, vcc_lo
	v_cmp_gt_f32_e64 vcc_lo, 0x3f9d70a4, |v3|
	v_cvt_i32_f32_e32 v5, v5
	v_cndmask_b32_e32 v10, v10, v12, vcc_lo
	v_cndmask_b32_e64 v12, v5, 2, vcc_lo
	v_mov_b32_e32 v5, 0
.LBB154_1439:
	s_or_b32 exec_lo, exec_lo, s0
	s_mov_b32 s0, exec_lo
	v_cmpx_lt_i32_e32 0, v12
	s_xor_b32 s0, exec_lo, s0
	s_cbranch_execz .LBB154_1447
; %bb.1440:
	s_mov_b32 s3, exec_lo
	v_cmpx_lt_i32_e32 1, v12
	s_xor_b32 s3, exec_lo, s3
	s_cbranch_execz .LBB154_1444
; %bb.1441:
	s_mov_b32 s4, exec_lo
	v_cmpx_eq_u32_e32 2, v12
	s_cbranch_execz .LBB154_1443
; %bb.1442:
	s_mov_b32 s7, 0x3b52d5db
	v_fmaak_f32 v12, s7, v10, 0x3dd572af
	s_mov_b32 s7, 0x3c5b3c5e
	v_fmaak_f32 v13, s7, v10, 0x3e6a7578
	v_fmaak_f32 v12, v10, v12, 0x3f44efdf
	;; [unrolled: 1-line block ×7, first 2 shown]
	v_fma_f32 v12, v10, v12, 1.0
	v_fmaak_f32 v13, v10, v13, 0xbd9e233f
	v_rcp_f32_e32 v12, v12
	v_mul_f32_e32 v13, v10, v13
	v_mul_f32_e32 v12, v13, v12
	v_fmac_f32_e32 v12, -0.5, v10
	v_add_f32_e32 v5, v5, v12
.LBB154_1443:
	s_or_b32 exec_lo, exec_lo, s4
                                        ; implicit-def: $vgpr10
.LBB154_1444:
	s_andn2_saveexec_b32 s3, s3
	s_cbranch_execz .LBB154_1446
; %bb.1445:
	v_mul_f32_e32 v12, v10, v10
	s_mov_b32 s4, 0xb9a3f927
	s_mov_b32 s7, 0x39afe9f7
	v_mul_f32_e32 v13, v10, v12
	v_fmaak_f32 v14, s4, v13, 0x3a66f867
	v_fmaak_f32 v15, s7, v13, 0xba0d3085
	s_mov_b32 s4, 0x39a57b6b
	v_fmaak_f32 v16, s4, v13, 0xbab7f476
	v_fmaak_f32 v14, v13, v14, 0xbb7177fe
	;; [unrolled: 1-line block ×9, first 2 shown]
	v_fmac_f32_e32 v14, v10, v15
	v_fmaak_f32 v10, v13, v16, 0x3ef7b95e
	v_fma_f32 v13, v13, -v14, 0xa2863e55
	v_fma_f32 v10, v12, v10, -v13
	v_add_f32_e32 v10, 0xbdf8cdce, v10
	v_add_f32_e32 v5, v5, v10
.LBB154_1446:
	s_or_b32 exec_lo, exec_lo, s3
                                        ; implicit-def: $vgpr12
                                        ; implicit-def: $vgpr10
.LBB154_1447:
	s_andn2_saveexec_b32 s0, s0
	s_cbranch_execz .LBB154_1451
; %bb.1448:
	s_mov_b32 s3, exec_lo
	v_cmpx_eq_u32_e32 0, v12
	s_cbranch_execz .LBB154_1450
; %bb.1449:
	v_mul_f32_e32 v12, v10, v10
	s_mov_b32 s4, 0x383c2c75
	v_fmaak_f32 v13, s4, v12, 0x38e28445
	s_mov_b32 s4, 0x37d383a2
	v_fmaak_f32 v14, s4, v12, 0x39679767
	v_fmaak_f32 v13, v12, v13, 0x3a05b634
	;; [unrolled: 1-line block ×9, first 2 shown]
	v_mul_f32_e32 v12, v12, v13
	v_fmac_f32_e32 v12, v10, v14
	v_fmac_f32_e32 v12, -0.5, v10
	v_add_f32_e32 v5, v5, v12
.LBB154_1450:
	s_or_b32 exec_lo, exec_lo, s3
.LBB154_1451:
	s_or_b32 exec_lo, exec_lo, s0
.LBB154_1452:
	s_or_b32 exec_lo, exec_lo, s2
.LBB154_1453:
	s_andn2_saveexec_b32 s0, s1
	s_cbranch_execz .LBB154_1455
; %bb.1454:
	v_cmp_gt_f32_e64 s1, 0x800000, |v3|
	s_mov_b32 s2, 0x3e8a8991
	v_fma_f32 v13, |v3|, s2, 0xbecd26ab
	v_cndmask_b32_e64 v5, 0, 32, s1
	v_ldexp_f32 v5, |v3|, v5
	v_log_f32_e32 v5, v5
	v_mul_f32_e32 v10, 0x3f317217, v5
	v_cmp_gt_f32_e64 vcc_lo, 0x7f800000, |v5|
	v_fma_f32 v12, 0x3f317217, v5, -v10
	v_fmamk_f32 v12, v5, 0x3377d1cf, v12
	v_add_f32_e32 v10, v10, v12
	v_fma_f32 v12, |v3|, v13, 0x3f528d33
	v_cndmask_b32_e32 v5, v5, v10, vcc_lo
	v_cndmask_b32_e64 v10, 0, 0x41b17218, s1
	v_fma_f32 v12, |v3|, v12, 0xbf13c468
	v_sub_f32_e32 v5, v5, v10
	v_fma_f32 v5, |v3|, v12, -v5
.LBB154_1455:
	s_or_b32 exec_lo, exec_lo, s0
	v_cmp_le_f16_e64 s0, 0, v1
	s_mov_b32 s1, exec_lo
	v_cmpx_nle_f16_e32 0, v1
	s_xor_b32 s2, exec_lo, s1
	s_cbranch_execz .LBB154_1459
; %bb.1456:
	v_cmp_gt_f32_e64 s1, 0x4b000000, |v3|
	v_cmp_lt_f32_e64 s3, 0x35000000, |v3|
	s_and_b32 s1, s1, s3
	s_and_saveexec_b32 s3, s1
	s_cbranch_execz .LBB154_1458
; %bb.1457:
	v_mul_f32_e64 v10, |v3|, 0.5
	v_cmp_gt_f32_e64 s1, |v3|, 1.0
	s_mov_b32 s4, 0x3d4be544
	v_xor_b32_e32 v8, v8, v3
	v_floor_f32_e32 v12, v10
	v_cmp_neq_f32_e32 vcc_lo, 0x7f800000, v10
	v_sub_f32_e32 v12, v10, v12
	v_min_f32_e32 v12, 0x3f7fffff, v12
	v_add_f32_e32 v12, v12, v12
	v_cndmask_b32_e32 v10, 0, v12, vcc_lo
	v_cndmask_b32_e64 v10, |v3|, v10, s1
	s_mov_b32 s1, 0x3e75aa41
	v_add_f32_e32 v12, v10, v10
	v_rndne_f32_e32 v12, v12
	v_fmac_f32_e32 v10, -0.5, v12
	v_cvt_i32_f32_e32 v12, v12
	v_mul_f32_e32 v13, v10, v10
	v_fmaak_f32 v14, s1, v13, 0xbf1f24be
	v_fmaak_f32 v15, s4, v13, 0x3e642e9d
	v_mul_f32_e32 v16, v10, v13
	v_fmaak_f32 v14, v13, v14, 0x40234736
	v_fmaak_f32 v15, v13, v15, 0xbfaad1da
	v_fmaak_f32 v14, v13, v14, 0xc0a55e0e
	v_fmaak_f32 v15, v13, v15, 0x4081e0d3
	v_mul_f32_e32 v14, v16, v14
	v_fmaak_f32 v15, v13, v15, 0xc09de9e6
	v_and_b32_e32 v16, 1, v12
	v_lshlrev_b32_e32 v12, 30, v12
	v_fmamk_f32 v10, v10, 0x40490fdb, v14
	v_fma_f32 v13, v13, v15, 1.0
	v_cmp_eq_u32_e32 vcc_lo, 0, v16
	v_and_b32_e32 v12, 0x80000000, v12
	v_cndmask_b32_e32 v10, v13, v10, vcc_lo
	v_xor3_b32 v8, v8, v12, v10
	v_mul_f32_e32 v8, v3, v8
	v_frexp_mant_f32_e64 v10, |v8|
	v_frexp_exp_i32_f32_e32 v8, v8
	v_rcp_f32_e32 v10, v10
	v_sub_nc_u32_e32 v8, 2, v8
	v_mul_f32_e32 v10, 0x3f490fdb, v10
	v_ldexp_f32 v8, v10, v8
	v_cmp_gt_f32_e32 vcc_lo, 0x800000, v8
	v_cndmask_b32_e64 v10, 0, 32, vcc_lo
	v_ldexp_f32 v8, v8, v10
	v_log_f32_e32 v8, v8
	v_mul_f32_e32 v10, 0x3f317217, v8
	v_cmp_gt_f32_e64 s1, 0x7f800000, |v8|
	v_fma_f32 v12, 0x3f317217, v8, -v10
	v_fmamk_f32 v12, v8, 0x3377d1cf, v12
	v_add_f32_e32 v10, v10, v12
	v_floor_f32_e32 v12, v3
	v_cndmask_b32_e64 v8, v8, v10, s1
	v_cndmask_b32_e64 v10, 0, 0x41b17218, vcc_lo
	v_sub_f32_e32 v12, v3, v12
	v_sub_f32_e32 v8, v8, v10
	v_min_f32_e32 v10, 0x3f7fffff, v12
	v_sub_f32_e32 v5, v8, v5
	v_cmp_neq_f32_e32 vcc_lo, 0, v10
	v_cndmask_b32_e32 v5, 0x7f800000, v5, vcc_lo
.LBB154_1458:
	s_or_b32 exec_lo, exec_lo, s3
.LBB154_1459:
	s_andn2_saveexec_b32 s2, s2
; %bb.1460:
	v_cmp_eq_f16_e32 vcc_lo, 1.0, v1
	v_cmp_eq_f16_e64 s1, 2.0, v1
	s_or_b32 s1, vcc_lo, s1
	v_cndmask_b32_e64 v5, v5, 0, s1
; %bb.1461:
	s_or_b32 exec_lo, exec_lo, s2
	v_add_co_u32 v10, s2, s10, v11
	s_lshr_b32 s1, s6, 16
	v_add_co_ci_u32_e64 v11, null, s11, 0, s2
	s_and_b32 s4, s1, 0xff
	s_cmp_lt_i32 s4, 11
	s_cbranch_scc1 .LBB154_1468
; %bb.1462:
	s_and_b32 s1, 0xffff, s4
	s_mov_b32 s3, 0
	s_cmp_gt_i32 s1, 25
	s_cbranch_scc0 .LBB154_1470
; %bb.1463:
	s_cmp_gt_i32 s1, 28
	s_cbranch_scc0 .LBB154_1471
; %bb.1464:
	;; [unrolled: 3-line block ×4, first 2 shown]
	s_cmp_eq_u32 s1, 46
	s_mov_b32 s14, 0
	s_cbranch_scc0 .LBB154_1477
; %bb.1467:
	global_load_dword v8, v[10:11], off
	s_mov_b32 s2, 0
	s_mov_b32 s7, -1
	s_waitcnt vmcnt(0)
	v_lshlrev_b32_e32 v8, 16, v8
	v_cvt_f16_f32_e32 v12, v8
	s_branch .LBB154_1479
.LBB154_1468:
	s_mov_b32 s7, 0
                                        ; implicit-def: $vgpr12
	s_cbranch_execnz .LBB154_1544
.LBB154_1469:
	s_andn2_b32 vcc_lo, exec_lo, s7
	s_cbranch_vccnz .LBB154_2399
	s_branch .LBB154_1591
.LBB154_1470:
	s_mov_b32 s7, 0
	s_mov_b32 s2, 0
                                        ; implicit-def: $vgpr12
	s_cbranch_execnz .LBB154_1508
	s_branch .LBB154_1540
.LBB154_1471:
	s_mov_b32 s14, -1
	s_mov_b32 s7, 0
	s_mov_b32 s2, 0
                                        ; implicit-def: $vgpr12
	s_branch .LBB154_1489
.LBB154_1472:
	s_mov_b32 s14, -1
	s_mov_b32 s7, 0
	s_mov_b32 s2, 0
                                        ; implicit-def: $vgpr12
	s_branch .LBB154_1484
.LBB154_1473:
	s_or_b32 s5, s12, exec_lo
	s_trap 2
	s_cbranch_execz .LBB154_1376
	s_branch .LBB154_1377
.LBB154_1474:
	s_mov_b32 s14, -1
	s_mov_b32 s7, 0
	s_mov_b32 s2, 0
	s_branch .LBB154_1478
.LBB154_1475:
	s_andn2_saveexec_b32 s12, s12
	s_cbranch_execz .LBB154_1166
.LBB154_1476:
	v_add_f32_e64 v3, 0x42800000, |v0|
	s_andn2_b32 s11, s11, exec_lo
	v_and_b32_e32 v3, 0xff, v3
	v_cmp_ne_u32_e32 vcc_lo, 0, v3
	s_and_b32 s13, vcc_lo, exec_lo
	s_or_b32 s11, s11, s13
	s_or_b32 exec_lo, exec_lo, s12
	v_mov_b32_e32 v5, 0
	s_and_saveexec_b32 s12, s11
	s_cbranch_execnz .LBB154_1167
	s_branch .LBB154_1168
.LBB154_1477:
	s_mov_b32 s2, -1
	s_mov_b32 s7, 0
.LBB154_1478:
                                        ; implicit-def: $vgpr12
.LBB154_1479:
	s_and_b32 vcc_lo, exec_lo, s14
	s_cbranch_vccz .LBB154_1483
; %bb.1480:
	s_cmp_eq_u32 s1, 44
	s_cbranch_scc0 .LBB154_1482
; %bb.1481:
	global_load_ubyte v8, v[10:11], off
	s_mov_b32 s2, 0
	s_mov_b32 s7, -1
	s_waitcnt vmcnt(0)
	v_lshlrev_b32_e32 v12, 23, v8
	v_cmp_ne_u32_e32 vcc_lo, 0xff, v8
	v_cvt_f16_f32_e32 v12, v12
	v_cndmask_b32_e32 v12, 0x7e00, v12, vcc_lo
	v_cmp_ne_u32_e32 vcc_lo, 0, v8
	v_cndmask_b32_e32 v12, 0, v12, vcc_lo
	s_branch .LBB154_1483
.LBB154_1482:
	s_mov_b32 s2, -1
                                        ; implicit-def: $vgpr12
.LBB154_1483:
	s_mov_b32 s14, 0
.LBB154_1484:
	s_and_b32 vcc_lo, exec_lo, s14
	s_cbranch_vccz .LBB154_1488
; %bb.1485:
	s_cmp_eq_u32 s1, 29
	s_cbranch_scc0 .LBB154_1487
; %bb.1486:
	global_load_dwordx2 v[12:13], v[10:11], off
	s_mov_b32 s2, 0
	s_mov_b32 s7, -1
	s_mov_b32 s14, 0
	s_waitcnt vmcnt(0)
	v_ffbh_u32_e32 v8, v13
	v_min_u32_e32 v8, 32, v8
	v_lshlrev_b64 v[12:13], v8, v[12:13]
	v_sub_nc_u32_e32 v8, 32, v8
	v_min_u32_e32 v12, 1, v12
	v_or_b32_e32 v12, v13, v12
	v_cvt_f32_u32_e32 v12, v12
	v_ldexp_f32 v8, v12, v8
	v_cvt_f16_f32_e32 v12, v8
	s_branch .LBB154_1489
.LBB154_1487:
	s_mov_b32 s2, -1
                                        ; implicit-def: $vgpr12
.LBB154_1488:
	s_mov_b32 s14, 0
.LBB154_1489:
	s_and_b32 vcc_lo, exec_lo, s14
	s_cbranch_vccz .LBB154_1507
; %bb.1490:
	s_cmp_lt_i32 s1, 27
	s_cbranch_scc1 .LBB154_1493
; %bb.1491:
	s_cmp_gt_i32 s1, 27
	s_cbranch_scc0 .LBB154_1494
; %bb.1492:
	global_load_dword v8, v[10:11], off
	s_mov_b32 s7, 0
	s_waitcnt vmcnt(0)
	v_cvt_f32_u32_e32 v8, v8
	v_cvt_f16_f32_e32 v12, v8
	s_branch .LBB154_1495
.LBB154_1493:
	s_mov_b32 s7, -1
                                        ; implicit-def: $vgpr12
	s_branch .LBB154_1498
.LBB154_1494:
	s_mov_b32 s7, -1
                                        ; implicit-def: $vgpr12
.LBB154_1495:
	s_andn2_b32 vcc_lo, exec_lo, s7
	s_cbranch_vccnz .LBB154_1497
; %bb.1496:
	global_load_ushort v8, v[10:11], off
	s_waitcnt vmcnt(0)
	v_cvt_f16_u16_e32 v12, v8
.LBB154_1497:
	s_mov_b32 s7, 0
.LBB154_1498:
	s_andn2_b32 vcc_lo, exec_lo, s7
	s_cbranch_vccnz .LBB154_1506
; %bb.1499:
	global_load_ubyte v8, v[10:11], off
	s_mov_b32 s7, 0
	s_mov_b32 s14, exec_lo
	s_waitcnt vmcnt(0)
	v_cmpx_lt_i16_e32 0x7f, v8
	s_xor_b32 s14, exec_lo, s14
	s_cbranch_execz .LBB154_1519
; %bb.1500:
	s_mov_b32 s7, -1
	s_mov_b32 s15, exec_lo
	v_cmpx_eq_u16_e32 0x80, v8
; %bb.1501:
	s_xor_b32 s7, exec_lo, -1
; %bb.1502:
	s_or_b32 exec_lo, exec_lo, s15
	s_and_b32 s7, s7, exec_lo
	s_or_saveexec_b32 s14, s14
	v_mov_b32_e32 v12, 0x7e00
	s_xor_b32 exec_lo, exec_lo, s14
	s_cbranch_execnz .LBB154_1520
.LBB154_1503:
	s_or_b32 exec_lo, exec_lo, s14
	s_and_saveexec_b32 s14, s7
	s_cbranch_execz .LBB154_1505
.LBB154_1504:
	v_and_b32_e32 v12, 0xffff, v8
	v_lshlrev_b32_e32 v8, 24, v8
	v_and_b32_e32 v13, 7, v12
	v_bfe_u32 v16, v12, 3, 4
	v_and_b32_e32 v8, 0x80000000, v8
	v_ffbh_u32_e32 v14, v13
	v_cmp_eq_u32_e32 vcc_lo, 0, v16
	v_min_u32_e32 v14, 32, v14
	v_subrev_nc_u32_e32 v15, 28, v14
	v_sub_nc_u32_e32 v14, 29, v14
	v_lshlrev_b32_e32 v12, v15, v12
	v_cndmask_b32_e32 v14, v16, v14, vcc_lo
	v_and_b32_e32 v12, 7, v12
	v_cndmask_b32_e32 v12, v13, v12, vcc_lo
	v_lshl_add_u32 v13, v14, 23, 0x3b800000
	v_lshlrev_b32_e32 v12, 20, v12
	v_or3_b32 v8, v8, v13, v12
	v_cvt_f16_f32_e32 v12, v8
.LBB154_1505:
	s_or_b32 exec_lo, exec_lo, s14
.LBB154_1506:
	s_mov_b32 s7, -1
.LBB154_1507:
	s_branch .LBB154_1540
.LBB154_1508:
	s_cmp_gt_i32 s1, 22
	s_cbranch_scc0 .LBB154_1518
; %bb.1509:
	s_cmp_lt_i32 s1, 24
	s_cbranch_scc1 .LBB154_1521
; %bb.1510:
	s_cmp_gt_i32 s1, 24
	s_cbranch_scc0 .LBB154_1522
; %bb.1511:
	global_load_ubyte v8, v[10:11], off
	s_mov_b32 s7, exec_lo
	s_waitcnt vmcnt(0)
	v_cmpx_lt_i16_e32 0x7f, v8
	s_xor_b32 s7, exec_lo, s7
	s_cbranch_execz .LBB154_1534
; %bb.1512:
	s_mov_b32 s3, -1
	s_mov_b32 s14, exec_lo
	v_cmpx_eq_u16_e32 0x80, v8
; %bb.1513:
	s_xor_b32 s3, exec_lo, -1
; %bb.1514:
	s_or_b32 exec_lo, exec_lo, s14
	s_and_b32 s3, s3, exec_lo
	s_or_saveexec_b32 s7, s7
	v_mov_b32_e32 v12, 0x7e00
	s_xor_b32 exec_lo, exec_lo, s7
	s_cbranch_execnz .LBB154_1535
.LBB154_1515:
	s_or_b32 exec_lo, exec_lo, s7
	s_and_saveexec_b32 s7, s3
	s_cbranch_execz .LBB154_1517
.LBB154_1516:
	v_and_b32_e32 v12, 0xffff, v8
	v_lshlrev_b32_e32 v8, 24, v8
	v_and_b32_e32 v13, 3, v12
	v_bfe_u32 v16, v12, 2, 5
	v_and_b32_e32 v8, 0x80000000, v8
	v_ffbh_u32_e32 v14, v13
	v_cmp_eq_u32_e32 vcc_lo, 0, v16
	v_min_u32_e32 v14, 32, v14
	v_subrev_nc_u32_e32 v15, 29, v14
	v_sub_nc_u32_e32 v14, 30, v14
	v_lshlrev_b32_e32 v12, v15, v12
	v_cndmask_b32_e32 v14, v16, v14, vcc_lo
	v_and_b32_e32 v12, 3, v12
	v_cndmask_b32_e32 v12, v13, v12, vcc_lo
	v_lshl_add_u32 v13, v14, 23, 0x37800000
	v_lshlrev_b32_e32 v12, 21, v12
	v_or3_b32 v8, v8, v13, v12
	v_cvt_f16_f32_e32 v12, v8
.LBB154_1517:
	s_or_b32 exec_lo, exec_lo, s7
	s_mov_b32 s3, 0
	s_branch .LBB154_1523
.LBB154_1518:
	s_mov_b32 s3, -1
                                        ; implicit-def: $vgpr12
	s_branch .LBB154_1529
.LBB154_1519:
	s_or_saveexec_b32 s14, s14
	v_mov_b32_e32 v12, 0x7e00
	s_xor_b32 exec_lo, exec_lo, s14
	s_cbranch_execz .LBB154_1503
.LBB154_1520:
	v_cmp_ne_u16_e32 vcc_lo, 0, v8
	v_mov_b32_e32 v12, v8
	s_andn2_b32 s7, s7, exec_lo
	s_and_b32 s15, vcc_lo, exec_lo
	s_or_b32 s7, s7, s15
	s_or_b32 exec_lo, exec_lo, s14
	s_and_saveexec_b32 s14, s7
	s_cbranch_execnz .LBB154_1504
	s_branch .LBB154_1505
.LBB154_1521:
	s_mov_b32 s3, -1
                                        ; implicit-def: $vgpr12
	s_branch .LBB154_1526
.LBB154_1522:
	s_mov_b32 s3, -1
                                        ; implicit-def: $vgpr12
.LBB154_1523:
	s_and_b32 vcc_lo, exec_lo, s3
	s_cbranch_vccz .LBB154_1525
; %bb.1524:
	global_load_ubyte v8, v[10:11], off
	s_waitcnt vmcnt(0)
	v_lshlrev_b32_e32 v8, 24, v8
	v_and_b32_e32 v12, 0x7f000000, v8
	v_ffbh_u32_e32 v13, v12
	v_add_nc_u32_e32 v15, 0x1000000, v12
	v_cmp_ne_u32_e32 vcc_lo, 0, v12
	v_min_u32_e32 v13, 32, v13
	v_sub_nc_u32_e64 v13, v13, 4 clamp
	v_lshlrev_b32_e32 v14, v13, v12
	v_lshlrev_b32_e32 v13, 23, v13
	v_lshrrev_b32_e32 v14, 4, v14
	v_sub_nc_u32_e32 v13, v14, v13
	v_ashrrev_i32_e32 v14, 8, v15
	v_add_nc_u32_e32 v13, 0x3c000000, v13
	v_and_or_b32 v13, 0x7f800000, v14, v13
	v_cndmask_b32_e32 v12, 0, v13, vcc_lo
	v_and_or_b32 v8, 0x80000000, v8, v12
	v_cvt_f16_f32_e32 v12, v8
.LBB154_1525:
	s_mov_b32 s3, 0
.LBB154_1526:
	s_andn2_b32 vcc_lo, exec_lo, s3
	s_cbranch_vccnz .LBB154_1528
; %bb.1527:
	global_load_ubyte v8, v[10:11], off
	s_waitcnt vmcnt(0)
	v_lshlrev_b32_e32 v12, 25, v8
	v_lshlrev_b16 v8, 8, v8
	v_lshrrev_b32_e32 v13, 4, v12
	v_and_or_b32 v14, 0x7f00, v8, 0.5
	v_cmp_gt_u32_e32 vcc_lo, 0x8000000, v12
	v_bfe_i32 v8, v8, 0, 16
	v_or_b32_e32 v13, 0x70000000, v13
	v_add_f32_e32 v14, -0.5, v14
	v_mul_f32_e32 v13, 0x7800000, v13
	v_cndmask_b32_e32 v12, v13, v14, vcc_lo
	v_and_or_b32 v8, 0x80000000, v8, v12
	v_cvt_f16_f32_e32 v12, v8
.LBB154_1528:
	s_mov_b32 s3, 0
	s_mov_b32 s7, -1
.LBB154_1529:
	s_andn2_b32 vcc_lo, exec_lo, s3
	s_mov_b32 s3, 0
	s_cbranch_vccnz .LBB154_1540
; %bb.1530:
	s_cmp_gt_i32 s1, 14
	s_cbranch_scc0 .LBB154_1533
; %bb.1531:
	s_cmp_eq_u32 s1, 15
	s_cbranch_scc0 .LBB154_1536
; %bb.1532:
	global_load_ushort v8, v[10:11], off
	s_mov_b32 s2, 0
	s_mov_b32 s7, -1
	s_waitcnt vmcnt(0)
	v_lshlrev_b32_e32 v8, 16, v8
	v_cvt_f16_f32_e32 v12, v8
	s_branch .LBB154_1538
.LBB154_1533:
	s_mov_b32 s3, -1
	s_branch .LBB154_1537
.LBB154_1534:
	s_or_saveexec_b32 s7, s7
	v_mov_b32_e32 v12, 0x7e00
	s_xor_b32 exec_lo, exec_lo, s7
	s_cbranch_execz .LBB154_1515
.LBB154_1535:
	v_cmp_ne_u16_e32 vcc_lo, 0, v8
	v_mov_b32_e32 v12, v8
	s_andn2_b32 s3, s3, exec_lo
	s_and_b32 s14, vcc_lo, exec_lo
	s_or_b32 s3, s3, s14
	s_or_b32 exec_lo, exec_lo, s7
	s_and_saveexec_b32 s7, s3
	s_cbranch_execnz .LBB154_1516
	s_branch .LBB154_1517
.LBB154_1536:
	s_mov_b32 s2, -1
.LBB154_1537:
                                        ; implicit-def: $vgpr12
.LBB154_1538:
	s_and_b32 vcc_lo, exec_lo, s3
	s_mov_b32 s3, 0
	s_cbranch_vccz .LBB154_1540
; %bb.1539:
	s_cmp_lg_u32 s1, 11
	s_mov_b32 s3, -1
	s_cselect_b32 s2, -1, 0
.LBB154_1540:
	s_and_b32 vcc_lo, exec_lo, s2
	s_cbranch_vccnz .LBB154_1641
; %bb.1541:
	s_andn2_b32 vcc_lo, exec_lo, s3
	s_cbranch_vccnz .LBB154_1543
.LBB154_1542:
	global_load_ubyte v8, v[10:11], off
	s_mov_b32 s7, -1
	s_waitcnt vmcnt(0)
	v_cmp_ne_u16_e32 vcc_lo, 0, v8
	v_cndmask_b32_e64 v12, 0, 0x3c00, vcc_lo
.LBB154_1543:
	s_branch .LBB154_1469
.LBB154_1544:
	s_and_b32 s1, 0xffff, s4
	s_cmp_lt_i32 s1, 5
	s_cbranch_scc1 .LBB154_1549
; %bb.1545:
	s_cmp_lt_i32 s1, 8
	s_cbranch_scc1 .LBB154_1550
; %bb.1546:
	;; [unrolled: 3-line block ×3, first 2 shown]
	s_cmp_gt_i32 s1, 9
	s_cbranch_scc0 .LBB154_1552
; %bb.1548:
	global_load_dwordx2 v[12:13], v[10:11], off
	s_mov_b32 s2, 0
	s_waitcnt vmcnt(0)
	v_and_or_b32 v8, 0x1ff, v13, v12
	v_lshrrev_b32_e32 v12, 8, v13
	v_bfe_u32 v14, v13, 20, 11
	v_cmp_ne_u32_e32 vcc_lo, 0, v8
	v_sub_nc_u32_e32 v15, 0x3f1, v14
	v_add_nc_u32_e32 v14, 0xfffffc10, v14
	v_cndmask_b32_e64 v8, 0, 1, vcc_lo
	v_and_or_b32 v8, 0xffe, v12, v8
	v_med3_i32 v12, v15, 0, 13
	v_or_b32_e32 v15, 0x1000, v8
	v_lshrrev_b32_e32 v16, v12, v15
	v_lshlrev_b32_e32 v12, v12, v16
	v_cmp_ne_u32_e32 vcc_lo, v12, v15
	v_lshl_or_b32 v15, v14, 12, v8
	v_cndmask_b32_e64 v12, 0, 1, vcc_lo
	v_cmp_gt_i32_e32 vcc_lo, 1, v14
	v_or_b32_e32 v12, v16, v12
	v_cndmask_b32_e32 v12, v15, v12, vcc_lo
	v_and_b32_e32 v15, 7, v12
	v_lshrrev_b32_e32 v12, 2, v12
	v_cmp_lt_i32_e32 vcc_lo, 5, v15
	v_cndmask_b32_e64 v16, 0, 1, vcc_lo
	v_cmp_eq_u32_e32 vcc_lo, 3, v15
	v_cndmask_b32_e64 v15, 0, 1, vcc_lo
	v_cmp_ne_u32_e32 vcc_lo, 0, v8
	v_or_b32_e32 v15, v15, v16
	v_mov_b32_e32 v16, 0x7e00
	v_add_nc_u32_e32 v12, v12, v15
	v_cndmask_b32_e32 v8, 0x7c00, v16, vcc_lo
	v_cmp_gt_i32_e32 vcc_lo, 31, v14
	v_cndmask_b32_e32 v12, 0x7c00, v12, vcc_lo
	v_cmp_eq_u32_e32 vcc_lo, 0x40f, v14
	v_cndmask_b32_e32 v8, v12, v8, vcc_lo
	v_lshrrev_b32_e32 v12, 16, v13
	v_and_or_b32 v12, 0x8000, v12, v8
	s_branch .LBB154_1553
.LBB154_1549:
                                        ; implicit-def: $vgpr12
	s_branch .LBB154_1571
.LBB154_1550:
	s_mov_b32 s2, -1
                                        ; implicit-def: $vgpr12
	s_branch .LBB154_1559
.LBB154_1551:
	s_mov_b32 s2, -1
                                        ; implicit-def: $vgpr12
	s_branch .LBB154_1556
.LBB154_1552:
	s_mov_b32 s2, -1
                                        ; implicit-def: $vgpr12
.LBB154_1553:
	s_andn2_b32 vcc_lo, exec_lo, s2
	s_cbranch_vccnz .LBB154_1555
; %bb.1554:
	global_load_dword v8, v[10:11], off
	s_waitcnt vmcnt(0)
	v_cvt_f16_f32_e32 v12, v8
.LBB154_1555:
	s_mov_b32 s2, 0
.LBB154_1556:
	s_andn2_b32 vcc_lo, exec_lo, s2
	s_cbranch_vccnz .LBB154_1558
; %bb.1557:
	global_load_dword v12, v[10:11], off
.LBB154_1558:
	s_mov_b32 s2, 0
.LBB154_1559:
	s_andn2_b32 vcc_lo, exec_lo, s2
	s_cbranch_vccnz .LBB154_1570
; %bb.1560:
	s_cmp_lt_i32 s1, 6
	s_cbranch_scc1 .LBB154_1563
; %bb.1561:
	s_cmp_gt_i32 s1, 6
	s_cbranch_scc0 .LBB154_1564
; %bb.1562:
	global_load_dwordx2 v[12:13], v[10:11], off
	s_mov_b32 s2, 0
	s_waitcnt vmcnt(0)
	v_and_or_b32 v8, 0x1ff, v13, v12
	v_lshrrev_b32_e32 v12, 8, v13
	v_bfe_u32 v14, v13, 20, 11
	v_cmp_ne_u32_e32 vcc_lo, 0, v8
	v_sub_nc_u32_e32 v15, 0x3f1, v14
	v_add_nc_u32_e32 v14, 0xfffffc10, v14
	v_cndmask_b32_e64 v8, 0, 1, vcc_lo
	v_and_or_b32 v8, 0xffe, v12, v8
	v_med3_i32 v12, v15, 0, 13
	v_or_b32_e32 v15, 0x1000, v8
	v_lshrrev_b32_e32 v16, v12, v15
	v_lshlrev_b32_e32 v12, v12, v16
	v_cmp_ne_u32_e32 vcc_lo, v12, v15
	v_lshl_or_b32 v15, v14, 12, v8
	v_cndmask_b32_e64 v12, 0, 1, vcc_lo
	v_cmp_gt_i32_e32 vcc_lo, 1, v14
	v_or_b32_e32 v12, v16, v12
	v_cndmask_b32_e32 v12, v15, v12, vcc_lo
	v_and_b32_e32 v15, 7, v12
	v_lshrrev_b32_e32 v12, 2, v12
	v_cmp_lt_i32_e32 vcc_lo, 5, v15
	v_cndmask_b32_e64 v16, 0, 1, vcc_lo
	v_cmp_eq_u32_e32 vcc_lo, 3, v15
	v_cndmask_b32_e64 v15, 0, 1, vcc_lo
	v_cmp_ne_u32_e32 vcc_lo, 0, v8
	v_or_b32_e32 v15, v15, v16
	v_mov_b32_e32 v16, 0x7e00
	v_add_nc_u32_e32 v12, v12, v15
	v_cndmask_b32_e32 v8, 0x7c00, v16, vcc_lo
	v_cmp_gt_i32_e32 vcc_lo, 31, v14
	v_cndmask_b32_e32 v12, 0x7c00, v12, vcc_lo
	v_cmp_eq_u32_e32 vcc_lo, 0x40f, v14
	v_cndmask_b32_e32 v8, v12, v8, vcc_lo
	v_lshrrev_b32_e32 v12, 16, v13
	v_and_or_b32 v12, 0x8000, v12, v8
	s_branch .LBB154_1565
.LBB154_1563:
	s_mov_b32 s2, -1
                                        ; implicit-def: $vgpr12
	s_branch .LBB154_1568
.LBB154_1564:
	s_mov_b32 s2, -1
                                        ; implicit-def: $vgpr12
.LBB154_1565:
	s_andn2_b32 vcc_lo, exec_lo, s2
	s_cbranch_vccnz .LBB154_1567
; %bb.1566:
	global_load_dword v8, v[10:11], off
	s_waitcnt vmcnt(0)
	v_cvt_f16_f32_e32 v12, v8
.LBB154_1567:
	s_mov_b32 s2, 0
.LBB154_1568:
	s_andn2_b32 vcc_lo, exec_lo, s2
	s_cbranch_vccnz .LBB154_1570
; %bb.1569:
	global_load_ushort v12, v[10:11], off
.LBB154_1570:
	s_cbranch_execnz .LBB154_1590
.LBB154_1571:
	s_cmp_lt_i32 s1, 2
	s_cbranch_scc1 .LBB154_1575
; %bb.1572:
	s_cmp_lt_i32 s1, 3
	s_cbranch_scc1 .LBB154_1576
; %bb.1573:
	s_cmp_gt_i32 s1, 3
	s_cbranch_scc0 .LBB154_1577
; %bb.1574:
	global_load_dwordx2 v[12:13], v[10:11], off
	s_mov_b32 s2, 0
	s_waitcnt vmcnt(0)
	v_xor_b32_e32 v8, v12, v13
	v_ffbh_i32_e32 v14, v13
	v_ashrrev_i32_e32 v8, 31, v8
	v_add_nc_u32_e32 v14, -1, v14
	v_add_nc_u32_e32 v8, 32, v8
	v_min_u32_e32 v8, v14, v8
	v_lshlrev_b64 v[12:13], v8, v[12:13]
	v_sub_nc_u32_e32 v8, 32, v8
	v_min_u32_e32 v12, 1, v12
	v_or_b32_e32 v12, v13, v12
	v_cvt_f32_i32_e32 v12, v12
	v_ldexp_f32 v8, v12, v8
	v_cvt_f16_f32_e32 v12, v8
	s_branch .LBB154_1578
.LBB154_1575:
	s_mov_b32 s2, -1
                                        ; implicit-def: $vgpr12
	s_branch .LBB154_1584
.LBB154_1576:
	s_mov_b32 s2, -1
                                        ; implicit-def: $vgpr12
	s_branch .LBB154_1581
.LBB154_1577:
	s_mov_b32 s2, -1
                                        ; implicit-def: $vgpr12
.LBB154_1578:
	s_andn2_b32 vcc_lo, exec_lo, s2
	s_cbranch_vccnz .LBB154_1580
; %bb.1579:
	global_load_dword v8, v[10:11], off
	s_waitcnt vmcnt(0)
	v_cvt_f32_i32_e32 v8, v8
	v_cvt_f16_f32_e32 v12, v8
.LBB154_1580:
	s_mov_b32 s2, 0
.LBB154_1581:
	s_andn2_b32 vcc_lo, exec_lo, s2
	s_cbranch_vccnz .LBB154_1583
; %bb.1582:
	global_load_ushort v8, v[10:11], off
	s_waitcnt vmcnt(0)
	v_cvt_f16_i16_e32 v12, v8
.LBB154_1583:
	s_mov_b32 s2, 0
.LBB154_1584:
	s_andn2_b32 vcc_lo, exec_lo, s2
	s_cbranch_vccnz .LBB154_1590
; %bb.1585:
	s_cmp_gt_i32 s1, 0
	s_mov_b32 s1, 0
	s_cbranch_scc0 .LBB154_1587
; %bb.1586:
	global_load_sbyte v8, v[10:11], off
	s_waitcnt vmcnt(0)
	v_cvt_f16_i16_e32 v12, v8
	s_branch .LBB154_1588
.LBB154_1587:
	s_mov_b32 s1, -1
                                        ; implicit-def: $vgpr12
.LBB154_1588:
	s_andn2_b32 vcc_lo, exec_lo, s1
	s_cbranch_vccnz .LBB154_1590
; %bb.1589:
	global_load_ubyte v8, v[10:11], off
	s_waitcnt vmcnt(0)
	v_cvt_f16_u16_e32 v12, v8
.LBB154_1590:
.LBB154_1591:
	s_waitcnt vmcnt(0)
	v_cvt_f32_f16_e32 v10, v12
	s_mov_b32 s2, exec_lo
                                        ; implicit-def: $vgpr13
	v_and_b32_e32 v8, 0x7fffffff, v10
	v_cmpx_ngt_f32_e64 0x3c800000, |v10|
	s_xor_b32 s2, exec_lo, s2
	s_cbranch_execz .LBB154_1621
; %bb.1592:
	s_mov_b32 s3, exec_lo
                                        ; implicit-def: $vgpr13
	v_cmpx_nlt_f32_e64 |v10|, 2.0
	s_xor_b32 s3, exec_lo, s3
	s_cbranch_execz .LBB154_1602
; %bb.1593:
	v_cmp_ngt_f32_e64 s1, 0x41000000, |v10|
                                        ; implicit-def: $vgpr13
	s_and_saveexec_b32 s7, s1
	s_xor_b32 s1, exec_lo, s7
	s_cbranch_execz .LBB154_1599
; %bb.1594:
	v_cmp_ngt_f32_e64 s7, 0x5c800000, |v10|
                                        ; implicit-def: $vgpr13
	s_and_saveexec_b32 s14, s7
	s_xor_b32 s7, exec_lo, s14
	s_cbranch_execz .LBB154_1596
; %bb.1595:
	v_cmp_gt_f32_e64 s14, 0x800000, |v10|
	v_cndmask_b32_e64 v11, 0, 32, s14
	v_ldexp_f32 v11, |v10|, v11
	v_log_f32_e32 v11, v11
	v_mul_f32_e32 v13, 0x3f317217, v11
	v_cmp_gt_f32_e64 vcc_lo, 0x7f800000, |v11|
	v_fma_f32 v14, 0x3f317217, v11, -v13
	v_fmamk_f32 v14, v11, 0x3377d1cf, v14
	v_add_f32_e32 v13, v13, v14
	v_cndmask_b32_e32 v11, v11, v13, vcc_lo
	v_cndmask_b32_e64 v13, 0, 0x41b17218, s14
	v_sub_f32_e32 v11, v11, v13
	v_fma_f32 v13, |v10|, v11, -|v10|
.LBB154_1596:
	s_andn2_saveexec_b32 s7, s7
	s_cbranch_execz .LBB154_1598
; %bb.1597:
	v_cmp_gt_f32_e64 s14, 0x800000, |v10|
	v_rcp_f32_e64 v13, |v10|
	s_mov_b32 s15, 0xbad5c4e8
	v_cndmask_b32_e64 v11, 0, 32, s14
	v_ldexp_f32 v11, |v10|, v11
	v_mul_f32_e32 v14, v13, v13
	v_log_f32_e32 v11, v11
	v_fmaak_f32 v16, s15, v14, 0x3a5b3dd2
	v_fmaak_f32 v16, v14, v16, 0xba1c065c
	v_mul_f32_e32 v15, 0x3f317217, v11
	v_fmaak_f32 v16, v14, v16, 0x3a500cfd
	v_cmp_gt_f32_e64 vcc_lo, 0x7f800000, |v11|
	v_fma_f32 v17, 0x3f317217, v11, -v15
	v_fmaak_f32 v16, v14, v16, 0xbb360b61
	v_fmamk_f32 v17, v11, 0x3377d1cf, v17
	v_fmaak_f32 v14, v14, v16, 0x3daaaaab
	v_add_f32_e32 v15, v15, v17
	v_fmaak_f32 v13, v13, v14, 0x3ed67f1d
	v_add_f32_e64 v14, |v10|, -0.5
	v_cndmask_b32_e32 v11, v11, v15, vcc_lo
	v_cndmask_b32_e64 v15, 0, 0x41b17218, s14
	v_sub_f32_e32 v11, v11, v15
	v_add_f32_e32 v11, -1.0, v11
	v_fmac_f32_e32 v13, v14, v11
.LBB154_1598:
	s_or_b32 exec_lo, exec_lo, s7
.LBB154_1599:
	s_andn2_saveexec_b32 s7, s1
	s_cbranch_execz .LBB154_1601
; %bb.1600:
	v_cvt_i32_f32_e32 v11, v8
	s_mov_b32 s1, 0x36f5d7bd
	s_mov_b32 s14, 0x3805ff67
	v_cvt_f32_i32_e32 v13, v11
	v_cmp_lt_i32_e32 vcc_lo, 2, v11
	v_sub_f32_e64 v13, |v10|, v13
	v_add_f32_e32 v14, 2.0, v13
	v_add_f32_e32 v15, 0x40400000, v13
	v_add_f32_e32 v16, 4.0, v13
	v_add_f32_e32 v17, 0x40a00000, v13
	v_cndmask_b32_e32 v14, 1.0, v14, vcc_lo
	v_cmp_lt_i32_e32 vcc_lo, 3, v11
	v_cndmask_b32_e32 v15, 1.0, v15, vcc_lo
	v_cmp_lt_i32_e32 vcc_lo, 4, v11
	v_mul_f32_e32 v14, v14, v15
	v_cndmask_b32_e32 v16, 1.0, v16, vcc_lo
	v_cmp_lt_i32_e32 vcc_lo, 5, v11
	v_add_f32_e32 v15, 0x40c00000, v13
	v_mul_f32_e32 v14, v16, v14
	v_cndmask_b32_e32 v17, 1.0, v17, vcc_lo
	v_cmp_lt_i32_e32 vcc_lo, 6, v11
	v_fmaak_f32 v16, s14, v13, 0x3af135b4
	v_mul_f32_e32 v14, v17, v14
	v_cndmask_b32_e32 v11, 1.0, v15, vcc_lo
	v_mul_f32_e32 v11, v11, v14
	v_fmaak_f32 v14, s1, v13, 0x3a4beed6
	v_cmp_gt_f32_e32 vcc_lo, 0x800000, v11
	v_fmaak_f32 v14, v13, v14, 0x3c98bf54
	v_cndmask_b32_e64 v15, 0, 32, vcc_lo
	v_fmaak_f32 v14, v13, v14, 0x3e300f6e
	v_ldexp_f32 v11, v11, v15
	v_fmaak_f32 v15, v13, v16, 0x3cda40e4
	v_fmaak_f32 v14, v13, v14, 0x3f38d0c5
	v_log_f32_e32 v11, v11
	v_fmaak_f32 v15, v13, v15, 0x3e15dce6
	v_fmaak_f32 v14, v13, v14, 0x3fb22d3b
	;; [unrolled: 1-line block ×3, first 2 shown]
	v_fma_f32 v14, v13, v14, 1.0
	v_mul_f32_e32 v16, 0x3f317217, v11
	v_fmaak_f32 v15, v13, v15, 0x3e5c245a
	v_rcp_f32_e32 v14, v14
	v_cmp_gt_f32_e64 s1, 0x7f800000, |v11|
	v_fma_f32 v17, 0x3f317217, v11, -v16
	v_fmaak_f32 v15, v13, v15, 0xbd9e233f
	v_fmamk_f32 v17, v11, 0x3377d1cf, v17
	v_mul_f32_e32 v15, v13, v15
	v_add_f32_e32 v16, v16, v17
	v_mul_f32_e32 v14, v15, v14
	v_cndmask_b32_e64 v15, 0, 0x41b17218, vcc_lo
	v_cndmask_b32_e64 v11, v11, v16, s1
	v_fmac_f32_e32 v14, 0.5, v13
	v_sub_f32_e32 v11, v11, v15
	v_add_f32_e32 v13, v11, v14
.LBB154_1601:
	s_or_b32 exec_lo, exec_lo, s7
.LBB154_1602:
	s_andn2_saveexec_b32 s3, s3
	s_cbranch_execz .LBB154_1620
; %bb.1603:
	s_mov_b32 s7, exec_lo
                                        ; implicit-def: $vgpr13
                                        ; implicit-def: $vgpr14
                                        ; implicit-def: $vgpr11
	v_cmpx_ge_f32_e64 0x3f666666, |v10|
	s_xor_b32 s7, exec_lo, s7
	s_cbranch_execz .LBB154_1605
; %bb.1604:
	v_cmp_gt_f32_e64 s1, 0x800000, |v10|
	v_sub_f32_e64 v15, 1.0, |v10|
	v_cmp_gt_f32_e64 vcc_lo, 0x3f3b4a23, |v10|
	v_cndmask_b32_e64 v11, 0, 32, s1
	v_cndmask_b32_e64 v16, 0, 0x41b17218, s1
	v_ldexp_f32 v11, |v10|, v11
	v_log_f32_e32 v11, v11
	v_mul_f32_e32 v13, 0x3f317217, v11
	v_cmp_gt_f32_e64 s1, 0x7f800000, |v11|
	v_fma_f32 v14, 0x3f317217, v11, -v13
	v_fmamk_f32 v14, v11, 0x3377d1cf, v14
	v_add_f32_e32 v13, v13, v14
	v_add_f32_e64 v14, 0xbeec5b0c, |v10|
	v_cndmask_b32_e64 v11, v11, v13, s1
	v_cndmask_b32_e32 v13, v15, v14, vcc_lo
	v_cndmask_b32_e64 v14, 0, 1, vcc_lo
	v_cmp_gt_f32_e64 s1, 0x3e6d3309, |v10|
	v_sub_f32_e32 v15, v11, v16
	v_cndmask_b32_e64 v11, v13, |v10|, s1
	v_cndmask_b32_e64 v14, v14, 2, s1
	v_xor_b32_e32 v13, 0x80000000, v15
.LBB154_1605:
	s_andn2_saveexec_b32 s1, s7
	s_cbranch_execz .LBB154_1607
; %bb.1606:
	v_sub_f32_e64 v11, 2.0, |v10|
	v_add_f32_e64 v13, 0xbfbb16c3, |v10|
	v_cmp_gt_f32_e64 vcc_lo, 0x3fdda512, |v10|
	v_add_f32_e64 v14, |v10|, -1.0
	v_cndmask_b32_e32 v13, v11, v13, vcc_lo
	v_cndmask_b32_e64 v11, v11, 1.0, vcc_lo
	v_cmp_gt_f32_e64 vcc_lo, 0x3f9d70a4, |v10|
	v_cvt_i32_f32_e32 v15, v11
	v_cndmask_b32_e32 v11, v13, v14, vcc_lo
	v_mov_b32_e32 v13, 0
	v_cndmask_b32_e64 v14, v15, 2, vcc_lo
.LBB154_1607:
	s_or_b32 exec_lo, exec_lo, s1
	s_mov_b32 s1, exec_lo
	v_cmpx_lt_i32_e32 0, v14
	s_xor_b32 s1, exec_lo, s1
	s_cbranch_execz .LBB154_1615
; %bb.1608:
	s_mov_b32 s7, exec_lo
	v_cmpx_lt_i32_e32 1, v14
	s_xor_b32 s7, exec_lo, s7
	s_cbranch_execz .LBB154_1612
; %bb.1609:
	s_mov_b32 s14, exec_lo
	v_cmpx_eq_u32_e32 2, v14
	s_cbranch_execz .LBB154_1611
; %bb.1610:
	s_mov_b32 s15, 0x3b52d5db
	v_fmaak_f32 v14, s15, v11, 0x3dd572af
	s_mov_b32 s15, 0x3c5b3c5e
	v_fmaak_f32 v15, s15, v11, 0x3e6a7578
	v_fmaak_f32 v14, v11, v14, 0x3f44efdf
	;; [unrolled: 1-line block ×7, first 2 shown]
	v_fma_f32 v14, v11, v14, 1.0
	v_fmaak_f32 v15, v11, v15, 0xbd9e233f
	v_rcp_f32_e32 v14, v14
	v_mul_f32_e32 v15, v11, v15
	v_mul_f32_e32 v14, v15, v14
	v_fmac_f32_e32 v14, -0.5, v11
	v_add_f32_e32 v13, v13, v14
.LBB154_1611:
	s_or_b32 exec_lo, exec_lo, s14
                                        ; implicit-def: $vgpr11
.LBB154_1612:
	s_andn2_saveexec_b32 s7, s7
	s_cbranch_execz .LBB154_1614
; %bb.1613:
	v_mul_f32_e32 v14, v11, v11
	s_mov_b32 s14, 0xb9a3f927
	s_mov_b32 s15, 0x39afe9f7
	v_mul_f32_e32 v15, v11, v14
	v_fmaak_f32 v16, s14, v15, 0x3a66f867
	v_fmaak_f32 v17, s15, v15, 0xba0d3085
	s_mov_b32 s14, 0x39a57b6b
	v_fmaak_f32 v18, s14, v15, 0xbab7f476
	v_fmaak_f32 v16, v15, v16, 0xbb7177fe
	;; [unrolled: 1-line block ×9, first 2 shown]
	v_fmac_f32_e32 v16, v11, v17
	v_fmaak_f32 v11, v15, v18, 0x3ef7b95e
	v_fma_f32 v15, v15, -v16, 0xa2863e55
	v_fma_f32 v11, v14, v11, -v15
	v_add_f32_e32 v11, 0xbdf8cdce, v11
	v_add_f32_e32 v13, v13, v11
.LBB154_1614:
	s_or_b32 exec_lo, exec_lo, s7
                                        ; implicit-def: $vgpr14
                                        ; implicit-def: $vgpr11
.LBB154_1615:
	s_andn2_saveexec_b32 s1, s1
	s_cbranch_execz .LBB154_1619
; %bb.1616:
	s_mov_b32 s7, exec_lo
	v_cmpx_eq_u32_e32 0, v14
	s_cbranch_execz .LBB154_1618
; %bb.1617:
	v_mul_f32_e32 v14, v11, v11
	s_mov_b32 s14, 0x383c2c75
	v_fmaak_f32 v15, s14, v14, 0x38e28445
	s_mov_b32 s14, 0x37d383a2
	v_fmaak_f32 v16, s14, v14, 0x39679767
	v_fmaak_f32 v15, v14, v15, 0x3a05b634
	;; [unrolled: 1-line block ×9, first 2 shown]
	v_mul_f32_e32 v14, v14, v15
	v_fmac_f32_e32 v14, v11, v16
	v_fmac_f32_e32 v14, -0.5, v11
	v_add_f32_e32 v13, v13, v14
.LBB154_1618:
	s_or_b32 exec_lo, exec_lo, s7
.LBB154_1619:
	s_or_b32 exec_lo, exec_lo, s1
.LBB154_1620:
	s_or_b32 exec_lo, exec_lo, s3
.LBB154_1621:
	s_andn2_saveexec_b32 s1, s2
	s_cbranch_execz .LBB154_1623
; %bb.1622:
	v_cmp_gt_f32_e64 s2, 0x800000, |v10|
	s_mov_b32 s3, 0x3e8a8991
	v_fma_f32 v15, |v10|, s3, 0xbecd26ab
	v_cndmask_b32_e64 v11, 0, 32, s2
	v_ldexp_f32 v11, |v10|, v11
	v_log_f32_e32 v11, v11
	v_mul_f32_e32 v13, 0x3f317217, v11
	v_cmp_gt_f32_e64 vcc_lo, 0x7f800000, |v11|
	v_fma_f32 v14, 0x3f317217, v11, -v13
	v_fmamk_f32 v14, v11, 0x3377d1cf, v14
	v_add_f32_e32 v13, v13, v14
	v_fma_f32 v14, |v10|, v15, 0x3f528d33
	v_cndmask_b32_e32 v11, v11, v13, vcc_lo
	v_cndmask_b32_e64 v13, 0, 0x41b17218, s2
	v_fma_f32 v14, |v10|, v14, 0xbf13c468
	v_sub_f32_e32 v11, v11, v13
	v_fma_f32 v13, |v10|, v14, -v11
.LBB154_1623:
	s_or_b32 exec_lo, exec_lo, s1
	v_cmp_le_f16_e64 s1, 0, v12
	s_mov_b32 s2, exec_lo
	v_cmpx_nle_f16_e32 0, v12
	s_xor_b32 s3, exec_lo, s2
	s_cbranch_execz .LBB154_1627
; %bb.1624:
	v_cmp_gt_f32_e64 s2, 0x4b000000, |v10|
	v_cmp_lt_f32_e64 s7, 0x35000000, |v10|
	s_and_b32 s2, s2, s7
	s_and_saveexec_b32 s7, s2
	s_cbranch_execz .LBB154_1626
; %bb.1625:
	v_mul_f32_e64 v11, |v10|, 0.5
	v_cmp_gt_f32_e64 s2, |v10|, 1.0
	s_mov_b32 s14, 0x3d4be544
	v_xor_b32_e32 v8, v8, v10
	v_floor_f32_e32 v14, v11
	v_cmp_neq_f32_e32 vcc_lo, 0x7f800000, v11
	v_sub_f32_e32 v14, v11, v14
	v_min_f32_e32 v14, 0x3f7fffff, v14
	v_add_f32_e32 v14, v14, v14
	v_cndmask_b32_e32 v11, 0, v14, vcc_lo
	v_cndmask_b32_e64 v11, |v10|, v11, s2
	s_mov_b32 s2, 0x3e75aa41
	v_add_f32_e32 v14, v11, v11
	v_rndne_f32_e32 v14, v14
	v_fmac_f32_e32 v11, -0.5, v14
	v_cvt_i32_f32_e32 v14, v14
	v_mul_f32_e32 v15, v11, v11
	v_fmaak_f32 v16, s2, v15, 0xbf1f24be
	v_fmaak_f32 v17, s14, v15, 0x3e642e9d
	v_mul_f32_e32 v18, v11, v15
	v_fmaak_f32 v16, v15, v16, 0x40234736
	v_fmaak_f32 v17, v15, v17, 0xbfaad1da
	;; [unrolled: 1-line block ×4, first 2 shown]
	v_mul_f32_e32 v16, v18, v16
	v_fmaak_f32 v17, v15, v17, 0xc09de9e6
	v_and_b32_e32 v18, 1, v14
	v_lshlrev_b32_e32 v14, 30, v14
	v_fmamk_f32 v11, v11, 0x40490fdb, v16
	v_fma_f32 v15, v15, v17, 1.0
	v_cmp_eq_u32_e32 vcc_lo, 0, v18
	v_and_b32_e32 v14, 0x80000000, v14
	v_cndmask_b32_e32 v11, v15, v11, vcc_lo
	v_xor3_b32 v8, v8, v14, v11
	v_mul_f32_e32 v8, v10, v8
	v_frexp_mant_f32_e64 v11, |v8|
	v_frexp_exp_i32_f32_e32 v8, v8
	v_rcp_f32_e32 v11, v11
	v_sub_nc_u32_e32 v8, 2, v8
	v_mul_f32_e32 v11, 0x3f490fdb, v11
	v_ldexp_f32 v8, v11, v8
	v_cmp_gt_f32_e32 vcc_lo, 0x800000, v8
	v_cndmask_b32_e64 v11, 0, 32, vcc_lo
	v_ldexp_f32 v8, v8, v11
	v_log_f32_e32 v8, v8
	v_mul_f32_e32 v11, 0x3f317217, v8
	v_cmp_gt_f32_e64 s2, 0x7f800000, |v8|
	v_fma_f32 v14, 0x3f317217, v8, -v11
	v_fmamk_f32 v14, v8, 0x3377d1cf, v14
	v_add_f32_e32 v11, v11, v14
	v_floor_f32_e32 v14, v10
	v_cndmask_b32_e64 v8, v8, v11, s2
	v_cndmask_b32_e64 v11, 0, 0x41b17218, vcc_lo
	v_sub_f32_e32 v14, v10, v14
	v_sub_f32_e32 v8, v8, v11
	v_min_f32_e32 v11, 0x3f7fffff, v14
	v_sub_f32_e32 v8, v8, v13
	v_cmp_neq_f32_e32 vcc_lo, 0, v11
	v_cndmask_b32_e32 v13, 0x7f800000, v8, vcc_lo
.LBB154_1626:
	s_or_b32 exec_lo, exec_lo, s7
.LBB154_1627:
	s_andn2_saveexec_b32 s3, s3
; %bb.1628:
	v_cmp_eq_f16_e32 vcc_lo, 1.0, v12
	v_cmp_eq_f16_e64 s2, 2.0, v12
	s_or_b32 s2, vcc_lo, s2
	v_cndmask_b32_e64 v13, v13, 0, s2
; %bb.1629:
	s_or_b32 exec_lo, exec_lo, s3
	v_add_co_u32 v8, s2, s10, v9
	v_add_co_ci_u32_e64 v9, null, s11, 0, s2
	s_cmp_lt_i32 s4, 11
	s_cbranch_scc1 .LBB154_1636
; %bb.1630:
	s_and_b32 s2, 0xffff, s4
	s_mov_b32 s7, 0
	s_cmp_gt_i32 s2, 25
	s_cbranch_scc0 .LBB154_1638
; %bb.1631:
	s_cmp_gt_i32 s2, 28
	s_cbranch_scc0 .LBB154_1639
; %bb.1632:
	;; [unrolled: 3-line block ×4, first 2 shown]
	s_cmp_eq_u32 s2, 46
	s_mov_b32 s15, 0
	s_cbranch_scc0 .LBB154_1643
; %bb.1635:
	global_load_dword v11, v[8:9], off
	s_mov_b32 s3, 0
	s_mov_b32 s14, -1
	s_waitcnt vmcnt(0)
	v_lshlrev_b32_e32 v11, 16, v11
	v_cvt_f16_f32_e32 v11, v11
	s_branch .LBB154_1645
.LBB154_1636:
	s_mov_b32 s14, 0
                                        ; implicit-def: $vgpr11
	s_cbranch_execnz .LBB154_1711
.LBB154_1637:
	s_andn2_b32 vcc_lo, exec_lo, s14
	s_cbranch_vccnz .LBB154_2399
	s_branch .LBB154_1759
.LBB154_1638:
	s_mov_b32 s15, -1
	s_mov_b32 s14, 0
	s_mov_b32 s3, 0
                                        ; implicit-def: $vgpr11
	s_branch .LBB154_1674
.LBB154_1639:
	s_mov_b32 s15, -1
	s_mov_b32 s14, 0
	s_mov_b32 s3, 0
                                        ; implicit-def: $vgpr11
	s_branch .LBB154_1655
.LBB154_1640:
	s_mov_b32 s15, -1
	s_mov_b32 s14, 0
	s_mov_b32 s3, 0
                                        ; implicit-def: $vgpr11
	s_branch .LBB154_1650
.LBB154_1641:
	s_or_b32 s5, s5, exec_lo
	s_trap 2
	s_cbranch_execz .LBB154_1542
	s_branch .LBB154_1543
.LBB154_1642:
	s_mov_b32 s15, -1
	s_mov_b32 s14, 0
	s_mov_b32 s3, 0
	s_branch .LBB154_1644
.LBB154_1643:
	s_mov_b32 s3, -1
	s_mov_b32 s14, 0
.LBB154_1644:
                                        ; implicit-def: $vgpr11
.LBB154_1645:
	s_and_b32 vcc_lo, exec_lo, s15
	s_cbranch_vccz .LBB154_1649
; %bb.1646:
	s_cmp_eq_u32 s2, 44
	s_cbranch_scc0 .LBB154_1648
; %bb.1647:
	global_load_ubyte v11, v[8:9], off
	s_mov_b32 s3, 0
	s_mov_b32 s14, -1
	s_waitcnt vmcnt(0)
	v_lshlrev_b32_e32 v14, 23, v11
	v_cmp_ne_u32_e32 vcc_lo, 0xff, v11
	v_cvt_f16_f32_e32 v14, v14
	v_cndmask_b32_e32 v14, 0x7e00, v14, vcc_lo
	v_cmp_ne_u32_e32 vcc_lo, 0, v11
	v_cndmask_b32_e32 v11, 0, v14, vcc_lo
	s_branch .LBB154_1649
.LBB154_1648:
	s_mov_b32 s3, -1
                                        ; implicit-def: $vgpr11
.LBB154_1649:
	s_mov_b32 s15, 0
.LBB154_1650:
	s_and_b32 vcc_lo, exec_lo, s15
	s_cbranch_vccz .LBB154_1654
; %bb.1651:
	s_cmp_eq_u32 s2, 29
	s_cbranch_scc0 .LBB154_1653
; %bb.1652:
	global_load_dwordx2 v[14:15], v[8:9], off
	s_mov_b32 s3, 0
	s_mov_b32 s14, -1
	s_mov_b32 s15, 0
	s_waitcnt vmcnt(0)
	v_ffbh_u32_e32 v11, v15
	v_min_u32_e32 v11, 32, v11
	v_lshlrev_b64 v[14:15], v11, v[14:15]
	v_sub_nc_u32_e32 v11, 32, v11
	v_min_u32_e32 v14, 1, v14
	v_or_b32_e32 v14, v15, v14
	v_cvt_f32_u32_e32 v14, v14
	v_ldexp_f32 v11, v14, v11
	v_cvt_f16_f32_e32 v11, v11
	s_branch .LBB154_1655
.LBB154_1653:
	s_mov_b32 s3, -1
                                        ; implicit-def: $vgpr11
.LBB154_1654:
	s_mov_b32 s15, 0
.LBB154_1655:
	s_and_b32 vcc_lo, exec_lo, s15
	s_cbranch_vccz .LBB154_1673
; %bb.1656:
	s_cmp_lt_i32 s2, 27
	s_cbranch_scc1 .LBB154_1659
; %bb.1657:
	s_cmp_gt_i32 s2, 27
	s_cbranch_scc0 .LBB154_1660
; %bb.1658:
	global_load_dword v11, v[8:9], off
	s_mov_b32 s14, 0
	s_waitcnt vmcnt(0)
	v_cvt_f32_u32_e32 v11, v11
	v_cvt_f16_f32_e32 v11, v11
	s_branch .LBB154_1661
.LBB154_1659:
	s_mov_b32 s14, -1
                                        ; implicit-def: $vgpr11
	s_branch .LBB154_1664
.LBB154_1660:
	s_mov_b32 s14, -1
                                        ; implicit-def: $vgpr11
.LBB154_1661:
	s_andn2_b32 vcc_lo, exec_lo, s14
	s_cbranch_vccnz .LBB154_1663
; %bb.1662:
	global_load_ushort v11, v[8:9], off
	s_waitcnt vmcnt(0)
	v_cvt_f16_u16_e32 v11, v11
.LBB154_1663:
	s_mov_b32 s14, 0
.LBB154_1664:
	s_andn2_b32 vcc_lo, exec_lo, s14
	s_cbranch_vccnz .LBB154_1672
; %bb.1665:
	global_load_ubyte v14, v[8:9], off
	s_mov_b32 s14, 0
	s_mov_b32 s15, exec_lo
	s_waitcnt vmcnt(0)
	v_cmpx_lt_i16_e32 0x7f, v14
	s_xor_b32 s15, exec_lo, s15
	s_cbranch_execz .LBB154_1686
; %bb.1666:
	s_mov_b32 s14, -1
	s_mov_b32 s16, exec_lo
	v_cmpx_eq_u16_e32 0x80, v14
; %bb.1667:
	s_xor_b32 s14, exec_lo, -1
; %bb.1668:
	s_or_b32 exec_lo, exec_lo, s16
	s_and_b32 s14, s14, exec_lo
	s_or_saveexec_b32 s15, s15
	v_mov_b32_e32 v11, 0x7e00
	s_xor_b32 exec_lo, exec_lo, s15
	s_cbranch_execnz .LBB154_1687
.LBB154_1669:
	s_or_b32 exec_lo, exec_lo, s15
	s_and_saveexec_b32 s15, s14
	s_cbranch_execz .LBB154_1671
.LBB154_1670:
	v_and_b32_e32 v11, 0xffff, v14
	v_lshlrev_b32_e32 v14, 24, v14
	v_and_b32_e32 v15, 7, v11
	v_bfe_u32 v18, v11, 3, 4
	v_and_b32_e32 v14, 0x80000000, v14
	v_ffbh_u32_e32 v16, v15
	v_cmp_eq_u32_e32 vcc_lo, 0, v18
	v_min_u32_e32 v16, 32, v16
	v_subrev_nc_u32_e32 v17, 28, v16
	v_sub_nc_u32_e32 v16, 29, v16
	v_lshlrev_b32_e32 v11, v17, v11
	v_cndmask_b32_e32 v16, v18, v16, vcc_lo
	v_and_b32_e32 v11, 7, v11
	v_cndmask_b32_e32 v11, v15, v11, vcc_lo
	v_lshl_add_u32 v15, v16, 23, 0x3b800000
	v_lshlrev_b32_e32 v11, 20, v11
	v_or3_b32 v11, v14, v15, v11
	v_cvt_f16_f32_e32 v11, v11
.LBB154_1671:
	s_or_b32 exec_lo, exec_lo, s15
.LBB154_1672:
	s_mov_b32 s14, -1
.LBB154_1673:
	s_mov_b32 s15, 0
.LBB154_1674:
	s_and_b32 vcc_lo, exec_lo, s15
	s_cbranch_vccz .LBB154_1707
; %bb.1675:
	s_cmp_gt_i32 s2, 22
	s_cbranch_scc0 .LBB154_1685
; %bb.1676:
	s_cmp_lt_i32 s2, 24
	s_cbranch_scc1 .LBB154_1688
; %bb.1677:
	s_cmp_gt_i32 s2, 24
	s_cbranch_scc0 .LBB154_1689
; %bb.1678:
	global_load_ubyte v14, v[8:9], off
	s_mov_b32 s14, exec_lo
	s_waitcnt vmcnt(0)
	v_cmpx_lt_i16_e32 0x7f, v14
	s_xor_b32 s14, exec_lo, s14
	s_cbranch_execz .LBB154_1701
; %bb.1679:
	s_mov_b32 s7, -1
	s_mov_b32 s15, exec_lo
	v_cmpx_eq_u16_e32 0x80, v14
; %bb.1680:
	s_xor_b32 s7, exec_lo, -1
; %bb.1681:
	s_or_b32 exec_lo, exec_lo, s15
	s_and_b32 s7, s7, exec_lo
	s_or_saveexec_b32 s14, s14
	v_mov_b32_e32 v11, 0x7e00
	s_xor_b32 exec_lo, exec_lo, s14
	s_cbranch_execnz .LBB154_1702
.LBB154_1682:
	s_or_b32 exec_lo, exec_lo, s14
	s_and_saveexec_b32 s14, s7
	s_cbranch_execz .LBB154_1684
.LBB154_1683:
	v_and_b32_e32 v11, 0xffff, v14
	v_lshlrev_b32_e32 v14, 24, v14
	v_and_b32_e32 v15, 3, v11
	v_bfe_u32 v18, v11, 2, 5
	v_and_b32_e32 v14, 0x80000000, v14
	v_ffbh_u32_e32 v16, v15
	v_cmp_eq_u32_e32 vcc_lo, 0, v18
	v_min_u32_e32 v16, 32, v16
	v_subrev_nc_u32_e32 v17, 29, v16
	v_sub_nc_u32_e32 v16, 30, v16
	v_lshlrev_b32_e32 v11, v17, v11
	v_cndmask_b32_e32 v16, v18, v16, vcc_lo
	v_and_b32_e32 v11, 3, v11
	v_cndmask_b32_e32 v11, v15, v11, vcc_lo
	v_lshl_add_u32 v15, v16, 23, 0x37800000
	v_lshlrev_b32_e32 v11, 21, v11
	v_or3_b32 v11, v14, v15, v11
	v_cvt_f16_f32_e32 v11, v11
.LBB154_1684:
	s_or_b32 exec_lo, exec_lo, s14
	s_mov_b32 s7, 0
	s_branch .LBB154_1690
.LBB154_1685:
	s_mov_b32 s7, -1
                                        ; implicit-def: $vgpr11
	s_branch .LBB154_1696
.LBB154_1686:
	s_or_saveexec_b32 s15, s15
	v_mov_b32_e32 v11, 0x7e00
	s_xor_b32 exec_lo, exec_lo, s15
	s_cbranch_execz .LBB154_1669
.LBB154_1687:
	v_cmp_ne_u16_e32 vcc_lo, 0, v14
	v_mov_b32_e32 v11, v14
	s_andn2_b32 s14, s14, exec_lo
	s_and_b32 s16, vcc_lo, exec_lo
	s_or_b32 s14, s14, s16
	s_or_b32 exec_lo, exec_lo, s15
	s_and_saveexec_b32 s15, s14
	s_cbranch_execnz .LBB154_1670
	s_branch .LBB154_1671
.LBB154_1688:
	s_mov_b32 s7, -1
                                        ; implicit-def: $vgpr11
	s_branch .LBB154_1693
.LBB154_1689:
	s_mov_b32 s7, -1
                                        ; implicit-def: $vgpr11
.LBB154_1690:
	s_and_b32 vcc_lo, exec_lo, s7
	s_cbranch_vccz .LBB154_1692
; %bb.1691:
	global_load_ubyte v11, v[8:9], off
	s_waitcnt vmcnt(0)
	v_lshlrev_b32_e32 v11, 24, v11
	v_and_b32_e32 v14, 0x7f000000, v11
	v_ffbh_u32_e32 v15, v14
	v_add_nc_u32_e32 v17, 0x1000000, v14
	v_cmp_ne_u32_e32 vcc_lo, 0, v14
	v_min_u32_e32 v15, 32, v15
	v_sub_nc_u32_e64 v15, v15, 4 clamp
	v_lshlrev_b32_e32 v16, v15, v14
	v_lshlrev_b32_e32 v15, 23, v15
	v_lshrrev_b32_e32 v16, 4, v16
	v_sub_nc_u32_e32 v15, v16, v15
	v_ashrrev_i32_e32 v16, 8, v17
	v_add_nc_u32_e32 v15, 0x3c000000, v15
	v_and_or_b32 v15, 0x7f800000, v16, v15
	v_cndmask_b32_e32 v14, 0, v15, vcc_lo
	v_and_or_b32 v11, 0x80000000, v11, v14
	v_cvt_f16_f32_e32 v11, v11
.LBB154_1692:
	s_mov_b32 s7, 0
.LBB154_1693:
	s_andn2_b32 vcc_lo, exec_lo, s7
	s_cbranch_vccnz .LBB154_1695
; %bb.1694:
	global_load_ubyte v11, v[8:9], off
	s_waitcnt vmcnt(0)
	v_lshlrev_b32_e32 v14, 25, v11
	v_lshlrev_b16 v11, 8, v11
	v_lshrrev_b32_e32 v15, 4, v14
	v_and_or_b32 v16, 0x7f00, v11, 0.5
	v_cmp_gt_u32_e32 vcc_lo, 0x8000000, v14
	v_bfe_i32 v11, v11, 0, 16
	v_or_b32_e32 v15, 0x70000000, v15
	v_add_f32_e32 v16, -0.5, v16
	v_mul_f32_e32 v15, 0x7800000, v15
	v_cndmask_b32_e32 v14, v15, v16, vcc_lo
	v_and_or_b32 v11, 0x80000000, v11, v14
	v_cvt_f16_f32_e32 v11, v11
.LBB154_1695:
	s_mov_b32 s7, 0
	s_mov_b32 s14, -1
.LBB154_1696:
	s_andn2_b32 vcc_lo, exec_lo, s7
	s_mov_b32 s7, 0
	s_cbranch_vccnz .LBB154_1707
; %bb.1697:
	s_cmp_gt_i32 s2, 14
	s_cbranch_scc0 .LBB154_1700
; %bb.1698:
	s_cmp_eq_u32 s2, 15
	s_cbranch_scc0 .LBB154_1703
; %bb.1699:
	global_load_ushort v11, v[8:9], off
	s_mov_b32 s3, 0
	s_mov_b32 s14, -1
	s_waitcnt vmcnt(0)
	v_lshlrev_b32_e32 v11, 16, v11
	v_cvt_f16_f32_e32 v11, v11
	s_branch .LBB154_1705
.LBB154_1700:
	s_mov_b32 s7, -1
	s_branch .LBB154_1704
.LBB154_1701:
	s_or_saveexec_b32 s14, s14
	v_mov_b32_e32 v11, 0x7e00
	s_xor_b32 exec_lo, exec_lo, s14
	s_cbranch_execz .LBB154_1682
.LBB154_1702:
	v_cmp_ne_u16_e32 vcc_lo, 0, v14
	v_mov_b32_e32 v11, v14
	s_andn2_b32 s7, s7, exec_lo
	s_and_b32 s15, vcc_lo, exec_lo
	s_or_b32 s7, s7, s15
	s_or_b32 exec_lo, exec_lo, s14
	s_and_saveexec_b32 s14, s7
	s_cbranch_execnz .LBB154_1683
	s_branch .LBB154_1684
.LBB154_1703:
	s_mov_b32 s3, -1
.LBB154_1704:
                                        ; implicit-def: $vgpr11
.LBB154_1705:
	s_and_b32 vcc_lo, exec_lo, s7
	s_mov_b32 s7, 0
	s_cbranch_vccz .LBB154_1707
; %bb.1706:
	s_cmp_lg_u32 s2, 11
	s_mov_b32 s7, -1
	s_cselect_b32 s3, -1, 0
.LBB154_1707:
	s_and_b32 vcc_lo, exec_lo, s3
	s_cbranch_vccnz .LBB154_1808
; %bb.1708:
	s_andn2_b32 vcc_lo, exec_lo, s7
	s_cbranch_vccnz .LBB154_1710
.LBB154_1709:
	global_load_ubyte v11, v[8:9], off
	s_mov_b32 s14, -1
	s_waitcnt vmcnt(0)
	v_cmp_ne_u16_e32 vcc_lo, 0, v11
	v_cndmask_b32_e64 v11, 0, 0x3c00, vcc_lo
.LBB154_1710:
	s_branch .LBB154_1637
.LBB154_1711:
	s_and_b32 s2, 0xffff, s4
	s_cmp_lt_i32 s2, 5
	s_cbranch_scc1 .LBB154_1716
; %bb.1712:
	s_cmp_lt_i32 s2, 8
	s_cbranch_scc1 .LBB154_1717
; %bb.1713:
	s_cmp_lt_i32 s2, 9
	s_cbranch_scc1 .LBB154_1718
; %bb.1714:
	s_cmp_gt_i32 s2, 9
	s_cbranch_scc0 .LBB154_1719
; %bb.1715:
	global_load_dwordx2 v[14:15], v[8:9], off
	s_mov_b32 s3, 0
	s_waitcnt vmcnt(0)
	v_and_or_b32 v11, 0x1ff, v15, v14
	v_lshrrev_b32_e32 v14, 8, v15
	v_bfe_u32 v16, v15, 20, 11
	v_cmp_ne_u32_e32 vcc_lo, 0, v11
	v_sub_nc_u32_e32 v17, 0x3f1, v16
	v_add_nc_u32_e32 v16, 0xfffffc10, v16
	v_cndmask_b32_e64 v11, 0, 1, vcc_lo
	v_and_or_b32 v11, 0xffe, v14, v11
	v_med3_i32 v14, v17, 0, 13
	v_or_b32_e32 v17, 0x1000, v11
	v_lshrrev_b32_e32 v18, v14, v17
	v_lshlrev_b32_e32 v14, v14, v18
	v_cmp_ne_u32_e32 vcc_lo, v14, v17
	v_lshl_or_b32 v17, v16, 12, v11
	v_cndmask_b32_e64 v14, 0, 1, vcc_lo
	v_cmp_gt_i32_e32 vcc_lo, 1, v16
	v_or_b32_e32 v14, v18, v14
	v_cndmask_b32_e32 v14, v17, v14, vcc_lo
	v_and_b32_e32 v17, 7, v14
	v_lshrrev_b32_e32 v14, 2, v14
	v_cmp_lt_i32_e32 vcc_lo, 5, v17
	v_cndmask_b32_e64 v18, 0, 1, vcc_lo
	v_cmp_eq_u32_e32 vcc_lo, 3, v17
	v_cndmask_b32_e64 v17, 0, 1, vcc_lo
	v_cmp_ne_u32_e32 vcc_lo, 0, v11
	v_or_b32_e32 v17, v17, v18
	v_mov_b32_e32 v18, 0x7e00
	v_add_nc_u32_e32 v14, v14, v17
	v_cndmask_b32_e32 v11, 0x7c00, v18, vcc_lo
	v_cmp_gt_i32_e32 vcc_lo, 31, v16
	v_cndmask_b32_e32 v14, 0x7c00, v14, vcc_lo
	v_cmp_eq_u32_e32 vcc_lo, 0x40f, v16
	v_cndmask_b32_e32 v11, v14, v11, vcc_lo
	v_lshrrev_b32_e32 v14, 16, v15
	v_and_or_b32 v11, 0x8000, v14, v11
	s_branch .LBB154_1720
.LBB154_1716:
	s_mov_b32 s3, -1
                                        ; implicit-def: $vgpr11
	s_branch .LBB154_1738
.LBB154_1717:
	s_mov_b32 s3, -1
                                        ; implicit-def: $vgpr11
	s_branch .LBB154_1726
.LBB154_1718:
	s_mov_b32 s3, -1
                                        ; implicit-def: $vgpr11
	s_branch .LBB154_1723
.LBB154_1719:
	s_mov_b32 s3, -1
                                        ; implicit-def: $vgpr11
.LBB154_1720:
	s_andn2_b32 vcc_lo, exec_lo, s3
	s_cbranch_vccnz .LBB154_1722
; %bb.1721:
	global_load_dword v11, v[8:9], off
	s_waitcnt vmcnt(0)
	v_cvt_f16_f32_e32 v11, v11
.LBB154_1722:
	s_mov_b32 s3, 0
.LBB154_1723:
	s_andn2_b32 vcc_lo, exec_lo, s3
	s_cbranch_vccnz .LBB154_1725
; %bb.1724:
	global_load_dword v11, v[8:9], off
.LBB154_1725:
	s_mov_b32 s3, 0
.LBB154_1726:
	s_andn2_b32 vcc_lo, exec_lo, s3
	s_cbranch_vccnz .LBB154_1737
; %bb.1727:
	s_cmp_lt_i32 s2, 6
	s_cbranch_scc1 .LBB154_1730
; %bb.1728:
	s_cmp_gt_i32 s2, 6
	s_cbranch_scc0 .LBB154_1731
; %bb.1729:
	global_load_dwordx2 v[14:15], v[8:9], off
	s_mov_b32 s3, 0
	s_waitcnt vmcnt(0)
	v_and_or_b32 v11, 0x1ff, v15, v14
	v_lshrrev_b32_e32 v14, 8, v15
	v_bfe_u32 v16, v15, 20, 11
	v_cmp_ne_u32_e32 vcc_lo, 0, v11
	v_sub_nc_u32_e32 v17, 0x3f1, v16
	v_add_nc_u32_e32 v16, 0xfffffc10, v16
	v_cndmask_b32_e64 v11, 0, 1, vcc_lo
	v_and_or_b32 v11, 0xffe, v14, v11
	v_med3_i32 v14, v17, 0, 13
	v_or_b32_e32 v17, 0x1000, v11
	v_lshrrev_b32_e32 v18, v14, v17
	v_lshlrev_b32_e32 v14, v14, v18
	v_cmp_ne_u32_e32 vcc_lo, v14, v17
	v_lshl_or_b32 v17, v16, 12, v11
	v_cndmask_b32_e64 v14, 0, 1, vcc_lo
	v_cmp_gt_i32_e32 vcc_lo, 1, v16
	v_or_b32_e32 v14, v18, v14
	v_cndmask_b32_e32 v14, v17, v14, vcc_lo
	v_and_b32_e32 v17, 7, v14
	v_lshrrev_b32_e32 v14, 2, v14
	v_cmp_lt_i32_e32 vcc_lo, 5, v17
	v_cndmask_b32_e64 v18, 0, 1, vcc_lo
	v_cmp_eq_u32_e32 vcc_lo, 3, v17
	v_cndmask_b32_e64 v17, 0, 1, vcc_lo
	v_cmp_ne_u32_e32 vcc_lo, 0, v11
	v_or_b32_e32 v17, v17, v18
	v_mov_b32_e32 v18, 0x7e00
	v_add_nc_u32_e32 v14, v14, v17
	v_cndmask_b32_e32 v11, 0x7c00, v18, vcc_lo
	v_cmp_gt_i32_e32 vcc_lo, 31, v16
	v_cndmask_b32_e32 v14, 0x7c00, v14, vcc_lo
	v_cmp_eq_u32_e32 vcc_lo, 0x40f, v16
	v_cndmask_b32_e32 v11, v14, v11, vcc_lo
	v_lshrrev_b32_e32 v14, 16, v15
	v_and_or_b32 v11, 0x8000, v14, v11
	s_branch .LBB154_1732
.LBB154_1730:
	s_mov_b32 s3, -1
                                        ; implicit-def: $vgpr11
	s_branch .LBB154_1735
.LBB154_1731:
	s_mov_b32 s3, -1
                                        ; implicit-def: $vgpr11
.LBB154_1732:
	s_andn2_b32 vcc_lo, exec_lo, s3
	s_cbranch_vccnz .LBB154_1734
; %bb.1733:
	global_load_dword v11, v[8:9], off
	s_waitcnt vmcnt(0)
	v_cvt_f16_f32_e32 v11, v11
.LBB154_1734:
	s_mov_b32 s3, 0
.LBB154_1735:
	s_andn2_b32 vcc_lo, exec_lo, s3
	s_cbranch_vccnz .LBB154_1737
; %bb.1736:
	global_load_ushort v11, v[8:9], off
.LBB154_1737:
	s_mov_b32 s3, 0
.LBB154_1738:
	s_andn2_b32 vcc_lo, exec_lo, s3
	s_cbranch_vccnz .LBB154_1758
; %bb.1739:
	s_cmp_lt_i32 s2, 2
	s_cbranch_scc1 .LBB154_1743
; %bb.1740:
	s_cmp_lt_i32 s2, 3
	s_cbranch_scc1 .LBB154_1744
; %bb.1741:
	s_cmp_gt_i32 s2, 3
	s_cbranch_scc0 .LBB154_1745
; %bb.1742:
	global_load_dwordx2 v[14:15], v[8:9], off
	s_mov_b32 s3, 0
	s_waitcnt vmcnt(0)
	v_xor_b32_e32 v11, v14, v15
	v_ffbh_i32_e32 v16, v15
	v_ashrrev_i32_e32 v11, 31, v11
	v_add_nc_u32_e32 v16, -1, v16
	v_add_nc_u32_e32 v11, 32, v11
	v_min_u32_e32 v11, v16, v11
	v_lshlrev_b64 v[14:15], v11, v[14:15]
	v_sub_nc_u32_e32 v11, 32, v11
	v_min_u32_e32 v14, 1, v14
	v_or_b32_e32 v14, v15, v14
	v_cvt_f32_i32_e32 v14, v14
	v_ldexp_f32 v11, v14, v11
	v_cvt_f16_f32_e32 v11, v11
	s_branch .LBB154_1746
.LBB154_1743:
	s_mov_b32 s3, -1
                                        ; implicit-def: $vgpr11
	s_branch .LBB154_1752
.LBB154_1744:
	s_mov_b32 s3, -1
                                        ; implicit-def: $vgpr11
	s_branch .LBB154_1749
.LBB154_1745:
	s_mov_b32 s3, -1
                                        ; implicit-def: $vgpr11
.LBB154_1746:
	s_andn2_b32 vcc_lo, exec_lo, s3
	s_cbranch_vccnz .LBB154_1748
; %bb.1747:
	global_load_dword v11, v[8:9], off
	s_waitcnt vmcnt(0)
	v_cvt_f32_i32_e32 v11, v11
	v_cvt_f16_f32_e32 v11, v11
.LBB154_1748:
	s_mov_b32 s3, 0
.LBB154_1749:
	s_andn2_b32 vcc_lo, exec_lo, s3
	s_cbranch_vccnz .LBB154_1751
; %bb.1750:
	global_load_ushort v11, v[8:9], off
	s_waitcnt vmcnt(0)
	v_cvt_f16_i16_e32 v11, v11
.LBB154_1751:
	s_mov_b32 s3, 0
.LBB154_1752:
	s_andn2_b32 vcc_lo, exec_lo, s3
	s_cbranch_vccnz .LBB154_1758
; %bb.1753:
	s_cmp_gt_i32 s2, 0
	s_mov_b32 s2, 0
	s_cbranch_scc0 .LBB154_1755
; %bb.1754:
	global_load_sbyte v11, v[8:9], off
	s_waitcnt vmcnt(0)
	v_cvt_f16_i16_e32 v11, v11
	s_branch .LBB154_1756
.LBB154_1755:
	s_mov_b32 s2, -1
                                        ; implicit-def: $vgpr11
.LBB154_1756:
	s_andn2_b32 vcc_lo, exec_lo, s2
	s_cbranch_vccnz .LBB154_1758
; %bb.1757:
	global_load_ubyte v8, v[8:9], off
	s_waitcnt vmcnt(0)
	v_cvt_f16_u16_e32 v11, v8
.LBB154_1758:
.LBB154_1759:
	s_waitcnt vmcnt(0)
	v_cvt_f32_f16_e32 v9, v11
	s_mov_b32 s3, exec_lo
                                        ; implicit-def: $vgpr15
	v_and_b32_e32 v8, 0x7fffffff, v9
	v_cmpx_ngt_f32_e64 0x3c800000, |v9|
	s_xor_b32 s3, exec_lo, s3
	s_cbranch_execz .LBB154_1789
; %bb.1760:
	s_mov_b32 s7, exec_lo
                                        ; implicit-def: $vgpr15
	v_cmpx_nlt_f32_e64 |v9|, 2.0
	s_xor_b32 s7, exec_lo, s7
	s_cbranch_execz .LBB154_1770
; %bb.1761:
	v_cmp_ngt_f32_e64 s2, 0x41000000, |v9|
                                        ; implicit-def: $vgpr15
	s_and_saveexec_b32 s14, s2
	s_xor_b32 s2, exec_lo, s14
	s_cbranch_execz .LBB154_1767
; %bb.1762:
	v_cmp_ngt_f32_e64 s14, 0x5c800000, |v9|
                                        ; implicit-def: $vgpr15
	s_and_saveexec_b32 s15, s14
	s_xor_b32 s14, exec_lo, s15
	s_cbranch_execz .LBB154_1764
; %bb.1763:
	v_cmp_gt_f32_e64 s15, 0x800000, |v9|
	v_cndmask_b32_e64 v14, 0, 32, s15
	v_ldexp_f32 v14, |v9|, v14
	v_log_f32_e32 v14, v14
	v_mul_f32_e32 v15, 0x3f317217, v14
	v_cmp_gt_f32_e64 vcc_lo, 0x7f800000, |v14|
	v_fma_f32 v16, 0x3f317217, v14, -v15
	v_fmamk_f32 v16, v14, 0x3377d1cf, v16
	v_add_f32_e32 v15, v15, v16
	v_cndmask_b32_e32 v14, v14, v15, vcc_lo
	v_cndmask_b32_e64 v15, 0, 0x41b17218, s15
	v_sub_f32_e32 v14, v14, v15
	v_fma_f32 v15, |v9|, v14, -|v9|
.LBB154_1764:
	s_andn2_saveexec_b32 s14, s14
	s_cbranch_execz .LBB154_1766
; %bb.1765:
	v_cmp_gt_f32_e64 s15, 0x800000, |v9|
	v_rcp_f32_e64 v15, |v9|
	s_mov_b32 s16, 0xbad5c4e8
	v_cndmask_b32_e64 v14, 0, 32, s15
	v_ldexp_f32 v14, |v9|, v14
	v_mul_f32_e32 v16, v15, v15
	v_log_f32_e32 v14, v14
	v_fmaak_f32 v18, s16, v16, 0x3a5b3dd2
	v_fmaak_f32 v18, v16, v18, 0xba1c065c
	v_mul_f32_e32 v17, 0x3f317217, v14
	v_fmaak_f32 v18, v16, v18, 0x3a500cfd
	v_cmp_gt_f32_e64 vcc_lo, 0x7f800000, |v14|
	v_fma_f32 v19, 0x3f317217, v14, -v17
	v_fmaak_f32 v18, v16, v18, 0xbb360b61
	v_fmamk_f32 v19, v14, 0x3377d1cf, v19
	v_fmaak_f32 v16, v16, v18, 0x3daaaaab
	v_add_f32_e32 v17, v17, v19
	v_fmaak_f32 v15, v15, v16, 0x3ed67f1d
	v_add_f32_e64 v16, |v9|, -0.5
	v_cndmask_b32_e32 v14, v14, v17, vcc_lo
	v_cndmask_b32_e64 v17, 0, 0x41b17218, s15
	v_sub_f32_e32 v14, v14, v17
	v_add_f32_e32 v14, -1.0, v14
	v_fmac_f32_e32 v15, v16, v14
.LBB154_1766:
	s_or_b32 exec_lo, exec_lo, s14
.LBB154_1767:
	s_andn2_saveexec_b32 s14, s2
	s_cbranch_execz .LBB154_1769
; %bb.1768:
	v_cvt_i32_f32_e32 v14, v8
	s_mov_b32 s2, 0x36f5d7bd
	s_mov_b32 s15, 0x3805ff67
	v_cvt_f32_i32_e32 v15, v14
	v_cmp_lt_i32_e32 vcc_lo, 2, v14
	v_sub_f32_e64 v15, |v9|, v15
	v_add_f32_e32 v16, 2.0, v15
	v_add_f32_e32 v17, 0x40400000, v15
	v_add_f32_e32 v18, 4.0, v15
	v_add_f32_e32 v19, 0x40a00000, v15
	v_cndmask_b32_e32 v16, 1.0, v16, vcc_lo
	v_cmp_lt_i32_e32 vcc_lo, 3, v14
	v_cndmask_b32_e32 v17, 1.0, v17, vcc_lo
	v_cmp_lt_i32_e32 vcc_lo, 4, v14
	v_mul_f32_e32 v16, v16, v17
	v_cndmask_b32_e32 v18, 1.0, v18, vcc_lo
	v_cmp_lt_i32_e32 vcc_lo, 5, v14
	v_add_f32_e32 v17, 0x40c00000, v15
	v_mul_f32_e32 v16, v18, v16
	v_cndmask_b32_e32 v19, 1.0, v19, vcc_lo
	v_cmp_lt_i32_e32 vcc_lo, 6, v14
	v_fmaak_f32 v18, s15, v15, 0x3af135b4
	v_mul_f32_e32 v16, v19, v16
	v_cndmask_b32_e32 v14, 1.0, v17, vcc_lo
	v_mul_f32_e32 v14, v14, v16
	v_fmaak_f32 v16, s2, v15, 0x3a4beed6
	v_cmp_gt_f32_e32 vcc_lo, 0x800000, v14
	v_fmaak_f32 v16, v15, v16, 0x3c98bf54
	v_cndmask_b32_e64 v17, 0, 32, vcc_lo
	v_fmaak_f32 v16, v15, v16, 0x3e300f6e
	v_ldexp_f32 v14, v14, v17
	v_fmaak_f32 v17, v15, v18, 0x3cda40e4
	v_fmaak_f32 v16, v15, v16, 0x3f38d0c5
	v_log_f32_e32 v14, v14
	v_fmaak_f32 v17, v15, v17, 0x3e15dce6
	v_fmaak_f32 v16, v15, v16, 0x3fb22d3b
	;; [unrolled: 1-line block ×3, first 2 shown]
	v_fma_f32 v16, v15, v16, 1.0
	v_mul_f32_e32 v18, 0x3f317217, v14
	v_fmaak_f32 v17, v15, v17, 0x3e5c245a
	v_rcp_f32_e32 v16, v16
	v_cmp_gt_f32_e64 s2, 0x7f800000, |v14|
	v_fma_f32 v19, 0x3f317217, v14, -v18
	v_fmaak_f32 v17, v15, v17, 0xbd9e233f
	v_fmamk_f32 v19, v14, 0x3377d1cf, v19
	v_mul_f32_e32 v17, v15, v17
	v_add_f32_e32 v18, v18, v19
	v_mul_f32_e32 v16, v17, v16
	v_cndmask_b32_e64 v17, 0, 0x41b17218, vcc_lo
	v_cndmask_b32_e64 v14, v14, v18, s2
	v_fmac_f32_e32 v16, 0.5, v15
	v_sub_f32_e32 v14, v14, v17
	v_add_f32_e32 v15, v14, v16
.LBB154_1769:
	s_or_b32 exec_lo, exec_lo, s14
.LBB154_1770:
	s_andn2_saveexec_b32 s7, s7
	s_cbranch_execz .LBB154_1788
; %bb.1771:
	s_mov_b32 s14, exec_lo
                                        ; implicit-def: $vgpr15
                                        ; implicit-def: $vgpr16
                                        ; implicit-def: $vgpr14
	v_cmpx_ge_f32_e64 0x3f666666, |v9|
	s_xor_b32 s14, exec_lo, s14
	s_cbranch_execz .LBB154_1773
; %bb.1772:
	v_cmp_gt_f32_e64 s2, 0x800000, |v9|
	v_sub_f32_e64 v17, 1.0, |v9|
	v_cmp_gt_f32_e64 vcc_lo, 0x3f3b4a23, |v9|
	v_cndmask_b32_e64 v14, 0, 32, s2
	v_cndmask_b32_e64 v18, 0, 0x41b17218, s2
	v_ldexp_f32 v14, |v9|, v14
	v_log_f32_e32 v14, v14
	v_mul_f32_e32 v15, 0x3f317217, v14
	v_cmp_gt_f32_e64 s2, 0x7f800000, |v14|
	v_fma_f32 v16, 0x3f317217, v14, -v15
	v_fmamk_f32 v16, v14, 0x3377d1cf, v16
	v_add_f32_e32 v15, v15, v16
	v_add_f32_e64 v16, 0xbeec5b0c, |v9|
	v_cndmask_b32_e64 v14, v14, v15, s2
	v_cndmask_b32_e32 v15, v17, v16, vcc_lo
	v_cndmask_b32_e64 v16, 0, 1, vcc_lo
	v_cmp_gt_f32_e64 s2, 0x3e6d3309, |v9|
	v_sub_f32_e32 v17, v14, v18
	v_cndmask_b32_e64 v14, v15, |v9|, s2
	v_cndmask_b32_e64 v16, v16, 2, s2
	v_xor_b32_e32 v15, 0x80000000, v17
.LBB154_1773:
	s_andn2_saveexec_b32 s2, s14
	s_cbranch_execz .LBB154_1775
; %bb.1774:
	v_sub_f32_e64 v14, 2.0, |v9|
	v_add_f32_e64 v15, 0xbfbb16c3, |v9|
	v_cmp_gt_f32_e64 vcc_lo, 0x3fdda512, |v9|
	v_add_f32_e64 v16, |v9|, -1.0
	v_cndmask_b32_e32 v15, v14, v15, vcc_lo
	v_cndmask_b32_e64 v14, v14, 1.0, vcc_lo
	v_cmp_gt_f32_e64 vcc_lo, 0x3f9d70a4, |v9|
	v_cvt_i32_f32_e32 v17, v14
	v_cndmask_b32_e32 v14, v15, v16, vcc_lo
	v_mov_b32_e32 v15, 0
	v_cndmask_b32_e64 v16, v17, 2, vcc_lo
.LBB154_1775:
	s_or_b32 exec_lo, exec_lo, s2
	s_mov_b32 s2, exec_lo
	v_cmpx_lt_i32_e32 0, v16
	s_xor_b32 s2, exec_lo, s2
	s_cbranch_execz .LBB154_1783
; %bb.1776:
	s_mov_b32 s14, exec_lo
	v_cmpx_lt_i32_e32 1, v16
	s_xor_b32 s14, exec_lo, s14
	s_cbranch_execz .LBB154_1780
; %bb.1777:
	s_mov_b32 s15, exec_lo
	v_cmpx_eq_u32_e32 2, v16
	s_cbranch_execz .LBB154_1779
; %bb.1778:
	s_mov_b32 s16, 0x3b52d5db
	v_fmaak_f32 v16, s16, v14, 0x3dd572af
	s_mov_b32 s16, 0x3c5b3c5e
	v_fmaak_f32 v17, s16, v14, 0x3e6a7578
	v_fmaak_f32 v16, v14, v16, 0x3f44efdf
	;; [unrolled: 1-line block ×7, first 2 shown]
	v_fma_f32 v16, v14, v16, 1.0
	v_fmaak_f32 v17, v14, v17, 0xbd9e233f
	v_rcp_f32_e32 v16, v16
	v_mul_f32_e32 v17, v14, v17
	v_mul_f32_e32 v16, v17, v16
	v_fmac_f32_e32 v16, -0.5, v14
	v_add_f32_e32 v15, v15, v16
.LBB154_1779:
	s_or_b32 exec_lo, exec_lo, s15
                                        ; implicit-def: $vgpr14
.LBB154_1780:
	s_andn2_saveexec_b32 s14, s14
	s_cbranch_execz .LBB154_1782
; %bb.1781:
	v_mul_f32_e32 v16, v14, v14
	s_mov_b32 s15, 0xb9a3f927
	s_mov_b32 s16, 0x39afe9f7
	v_mul_f32_e32 v17, v14, v16
	v_fmaak_f32 v18, s15, v17, 0x3a66f867
	v_fmaak_f32 v19, s16, v17, 0xba0d3085
	s_mov_b32 s15, 0x39a57b6b
	v_fmaak_f32 v20, s15, v17, 0xbab7f476
	v_fmaak_f32 v18, v17, v18, 0xbb7177fe
	;; [unrolled: 1-line block ×9, first 2 shown]
	v_fmac_f32_e32 v18, v14, v19
	v_fmaak_f32 v14, v17, v20, 0x3ef7b95e
	v_fma_f32 v17, v17, -v18, 0xa2863e55
	v_fma_f32 v14, v16, v14, -v17
	v_add_f32_e32 v14, 0xbdf8cdce, v14
	v_add_f32_e32 v15, v15, v14
.LBB154_1782:
	s_or_b32 exec_lo, exec_lo, s14
                                        ; implicit-def: $vgpr16
                                        ; implicit-def: $vgpr14
.LBB154_1783:
	s_andn2_saveexec_b32 s2, s2
	s_cbranch_execz .LBB154_1787
; %bb.1784:
	s_mov_b32 s14, exec_lo
	v_cmpx_eq_u32_e32 0, v16
	s_cbranch_execz .LBB154_1786
; %bb.1785:
	v_mul_f32_e32 v16, v14, v14
	s_mov_b32 s15, 0x383c2c75
	v_fmaak_f32 v17, s15, v16, 0x38e28445
	s_mov_b32 s15, 0x37d383a2
	v_fmaak_f32 v18, s15, v16, 0x39679767
	v_fmaak_f32 v17, v16, v17, 0x3a05b634
	;; [unrolled: 1-line block ×9, first 2 shown]
	v_mul_f32_e32 v16, v16, v17
	v_fmac_f32_e32 v16, v14, v18
	v_fmac_f32_e32 v16, -0.5, v14
	v_add_f32_e32 v15, v15, v16
.LBB154_1786:
	s_or_b32 exec_lo, exec_lo, s14
.LBB154_1787:
	s_or_b32 exec_lo, exec_lo, s2
.LBB154_1788:
	s_or_b32 exec_lo, exec_lo, s7
.LBB154_1789:
	s_andn2_saveexec_b32 s2, s3
	s_cbranch_execz .LBB154_1791
; %bb.1790:
	v_cmp_gt_f32_e64 s3, 0x800000, |v9|
	s_mov_b32 s7, 0x3e8a8991
	v_fma_f32 v17, |v9|, s7, 0xbecd26ab
	v_cndmask_b32_e64 v14, 0, 32, s3
	v_ldexp_f32 v14, |v9|, v14
	v_log_f32_e32 v14, v14
	v_mul_f32_e32 v15, 0x3f317217, v14
	v_cmp_gt_f32_e64 vcc_lo, 0x7f800000, |v14|
	v_fma_f32 v16, 0x3f317217, v14, -v15
	v_fmamk_f32 v16, v14, 0x3377d1cf, v16
	v_add_f32_e32 v15, v15, v16
	v_fma_f32 v16, |v9|, v17, 0x3f528d33
	v_cndmask_b32_e32 v14, v14, v15, vcc_lo
	v_cndmask_b32_e64 v15, 0, 0x41b17218, s3
	v_fma_f32 v16, |v9|, v16, 0xbf13c468
	v_sub_f32_e32 v14, v14, v15
	v_fma_f32 v15, |v9|, v16, -v14
.LBB154_1791:
	s_or_b32 exec_lo, exec_lo, s2
	v_cmp_le_f16_e64 s2, 0, v11
	s_mov_b32 s3, exec_lo
	v_cmpx_nle_f16_e32 0, v11
	s_xor_b32 s7, exec_lo, s3
	s_cbranch_execz .LBB154_1795
; %bb.1792:
	v_cmp_gt_f32_e64 s3, 0x4b000000, |v9|
	v_cmp_lt_f32_e64 s14, 0x35000000, |v9|
	s_and_b32 s3, s3, s14
	s_and_saveexec_b32 s14, s3
	s_cbranch_execz .LBB154_1794
; %bb.1793:
	v_mul_f32_e64 v14, |v9|, 0.5
	v_cmp_gt_f32_e64 s3, |v9|, 1.0
	s_mov_b32 s15, 0x3d4be544
	v_xor_b32_e32 v8, v8, v9
	v_floor_f32_e32 v16, v14
	v_cmp_neq_f32_e32 vcc_lo, 0x7f800000, v14
	v_sub_f32_e32 v16, v14, v16
	v_min_f32_e32 v16, 0x3f7fffff, v16
	v_add_f32_e32 v16, v16, v16
	v_cndmask_b32_e32 v14, 0, v16, vcc_lo
	v_cndmask_b32_e64 v14, |v9|, v14, s3
	s_mov_b32 s3, 0x3e75aa41
	v_add_f32_e32 v16, v14, v14
	v_rndne_f32_e32 v16, v16
	v_fmac_f32_e32 v14, -0.5, v16
	v_cvt_i32_f32_e32 v16, v16
	v_mul_f32_e32 v17, v14, v14
	v_fmaak_f32 v18, s3, v17, 0xbf1f24be
	v_fmaak_f32 v19, s15, v17, 0x3e642e9d
	v_mul_f32_e32 v20, v14, v17
	v_fmaak_f32 v18, v17, v18, 0x40234736
	v_fmaak_f32 v19, v17, v19, 0xbfaad1da
	;; [unrolled: 1-line block ×4, first 2 shown]
	v_mul_f32_e32 v18, v20, v18
	v_fmaak_f32 v19, v17, v19, 0xc09de9e6
	v_and_b32_e32 v20, 1, v16
	v_lshlrev_b32_e32 v16, 30, v16
	v_fmamk_f32 v14, v14, 0x40490fdb, v18
	v_fma_f32 v17, v17, v19, 1.0
	v_cmp_eq_u32_e32 vcc_lo, 0, v20
	v_and_b32_e32 v16, 0x80000000, v16
	v_cndmask_b32_e32 v14, v17, v14, vcc_lo
	v_xor3_b32 v8, v8, v16, v14
	v_mul_f32_e32 v8, v9, v8
	v_frexp_mant_f32_e64 v14, |v8|
	v_frexp_exp_i32_f32_e32 v8, v8
	v_rcp_f32_e32 v14, v14
	v_sub_nc_u32_e32 v8, 2, v8
	v_mul_f32_e32 v14, 0x3f490fdb, v14
	v_ldexp_f32 v8, v14, v8
	v_cmp_gt_f32_e32 vcc_lo, 0x800000, v8
	v_cndmask_b32_e64 v14, 0, 32, vcc_lo
	v_ldexp_f32 v8, v8, v14
	v_log_f32_e32 v8, v8
	v_mul_f32_e32 v14, 0x3f317217, v8
	v_cmp_gt_f32_e64 s3, 0x7f800000, |v8|
	v_fma_f32 v16, 0x3f317217, v8, -v14
	v_fmamk_f32 v16, v8, 0x3377d1cf, v16
	v_add_f32_e32 v14, v14, v16
	v_floor_f32_e32 v16, v9
	v_cndmask_b32_e64 v8, v8, v14, s3
	v_cndmask_b32_e64 v14, 0, 0x41b17218, vcc_lo
	v_sub_f32_e32 v16, v9, v16
	v_sub_f32_e32 v8, v8, v14
	v_min_f32_e32 v14, 0x3f7fffff, v16
	v_sub_f32_e32 v8, v8, v15
	v_cmp_neq_f32_e32 vcc_lo, 0, v14
	v_cndmask_b32_e32 v15, 0x7f800000, v8, vcc_lo
.LBB154_1794:
	s_or_b32 exec_lo, exec_lo, s14
.LBB154_1795:
	s_andn2_saveexec_b32 s7, s7
; %bb.1796:
	v_cmp_eq_f16_e32 vcc_lo, 1.0, v11
	v_cmp_eq_f16_e64 s3, 2.0, v11
	s_or_b32 s3, vcc_lo, s3
	v_cndmask_b32_e64 v15, v15, 0, s3
; %bb.1797:
	s_or_b32 exec_lo, exec_lo, s7
	v_add_co_u32 v7, s3, s10, v7
	v_add_co_ci_u32_e64 v8, null, s11, 0, s3
	s_cmp_lt_i32 s4, 11
	s_cbranch_scc1 .LBB154_1804
; %bb.1798:
	s_and_b32 s3, 0xffff, s4
	s_mov_b32 s10, 0
	s_cmp_gt_i32 s3, 25
	s_cbranch_scc0 .LBB154_1805
; %bb.1799:
	s_cmp_gt_i32 s3, 28
	s_cbranch_scc0 .LBB154_1806
; %bb.1800:
	;; [unrolled: 3-line block ×4, first 2 shown]
	s_cmp_eq_u32 s3, 46
	s_mov_b32 s14, 0
	s_cbranch_scc0 .LBB154_1810
; %bb.1803:
	global_load_dword v14, v[7:8], off
	s_mov_b32 s7, 0
	s_mov_b32 s11, -1
	s_waitcnt vmcnt(0)
	v_lshlrev_b32_e32 v14, 16, v14
	v_cvt_f16_f32_e32 v14, v14
	s_branch .LBB154_1812
.LBB154_1804:
	s_mov_b32 s3, -1
	s_mov_b32 s11, 0
                                        ; implicit-def: $vgpr14
	s_branch .LBB154_1878
.LBB154_1805:
	s_mov_b32 s14, -1
	s_mov_b32 s11, 0
	s_mov_b32 s7, 0
                                        ; implicit-def: $vgpr14
	s_branch .LBB154_1841
.LBB154_1806:
	s_mov_b32 s14, -1
	s_mov_b32 s11, 0
	s_mov_b32 s7, 0
                                        ; implicit-def: $vgpr14
	s_branch .LBB154_1822
.LBB154_1807:
	s_mov_b32 s14, -1
	s_mov_b32 s11, 0
	s_mov_b32 s7, 0
                                        ; implicit-def: $vgpr14
	s_branch .LBB154_1817
.LBB154_1808:
	s_or_b32 s5, s5, exec_lo
	s_trap 2
	s_cbranch_execz .LBB154_1709
	s_branch .LBB154_1710
.LBB154_1809:
	s_mov_b32 s14, -1
	s_mov_b32 s11, 0
	s_mov_b32 s7, 0
	s_branch .LBB154_1811
.LBB154_1810:
	s_mov_b32 s7, -1
	s_mov_b32 s11, 0
.LBB154_1811:
                                        ; implicit-def: $vgpr14
.LBB154_1812:
	s_and_b32 vcc_lo, exec_lo, s14
	s_cbranch_vccz .LBB154_1816
; %bb.1813:
	s_cmp_eq_u32 s3, 44
	s_cbranch_scc0 .LBB154_1815
; %bb.1814:
	global_load_ubyte v14, v[7:8], off
	s_mov_b32 s7, 0
	s_mov_b32 s11, -1
	s_waitcnt vmcnt(0)
	v_lshlrev_b32_e32 v16, 23, v14
	v_cmp_ne_u32_e32 vcc_lo, 0xff, v14
	v_cvt_f16_f32_e32 v16, v16
	v_cndmask_b32_e32 v16, 0x7e00, v16, vcc_lo
	v_cmp_ne_u32_e32 vcc_lo, 0, v14
	v_cndmask_b32_e32 v14, 0, v16, vcc_lo
	s_branch .LBB154_1816
.LBB154_1815:
	s_mov_b32 s7, -1
                                        ; implicit-def: $vgpr14
.LBB154_1816:
	s_mov_b32 s14, 0
.LBB154_1817:
	s_and_b32 vcc_lo, exec_lo, s14
	s_cbranch_vccz .LBB154_1821
; %bb.1818:
	s_cmp_eq_u32 s3, 29
	s_cbranch_scc0 .LBB154_1820
; %bb.1819:
	global_load_dwordx2 v[16:17], v[7:8], off
	s_mov_b32 s7, 0
	s_mov_b32 s11, -1
	s_mov_b32 s14, 0
	s_waitcnt vmcnt(0)
	v_ffbh_u32_e32 v14, v17
	v_min_u32_e32 v14, 32, v14
	v_lshlrev_b64 v[16:17], v14, v[16:17]
	v_sub_nc_u32_e32 v14, 32, v14
	v_min_u32_e32 v16, 1, v16
	v_or_b32_e32 v16, v17, v16
	v_cvt_f32_u32_e32 v16, v16
	v_ldexp_f32 v14, v16, v14
	v_cvt_f16_f32_e32 v14, v14
	s_branch .LBB154_1822
.LBB154_1820:
	s_mov_b32 s7, -1
                                        ; implicit-def: $vgpr14
.LBB154_1821:
	s_mov_b32 s14, 0
.LBB154_1822:
	s_and_b32 vcc_lo, exec_lo, s14
	s_cbranch_vccz .LBB154_1840
; %bb.1823:
	s_cmp_lt_i32 s3, 27
	s_cbranch_scc1 .LBB154_1826
; %bb.1824:
	s_cmp_gt_i32 s3, 27
	s_cbranch_scc0 .LBB154_1827
; %bb.1825:
	global_load_dword v14, v[7:8], off
	s_mov_b32 s11, 0
	s_waitcnt vmcnt(0)
	v_cvt_f32_u32_e32 v14, v14
	v_cvt_f16_f32_e32 v14, v14
	s_branch .LBB154_1828
.LBB154_1826:
	s_mov_b32 s11, -1
                                        ; implicit-def: $vgpr14
	s_branch .LBB154_1831
.LBB154_1827:
	s_mov_b32 s11, -1
                                        ; implicit-def: $vgpr14
.LBB154_1828:
	s_andn2_b32 vcc_lo, exec_lo, s11
	s_cbranch_vccnz .LBB154_1830
; %bb.1829:
	global_load_ushort v14, v[7:8], off
	s_waitcnt vmcnt(0)
	v_cvt_f16_u16_e32 v14, v14
.LBB154_1830:
	s_mov_b32 s11, 0
.LBB154_1831:
	s_andn2_b32 vcc_lo, exec_lo, s11
	s_cbranch_vccnz .LBB154_1839
; %bb.1832:
	global_load_ubyte v16, v[7:8], off
	s_mov_b32 s11, 0
	s_mov_b32 s14, exec_lo
	s_waitcnt vmcnt(0)
	v_cmpx_lt_i16_e32 0x7f, v16
	s_xor_b32 s14, exec_lo, s14
	s_cbranch_execz .LBB154_1853
; %bb.1833:
	s_mov_b32 s11, -1
	s_mov_b32 s15, exec_lo
	v_cmpx_eq_u16_e32 0x80, v16
; %bb.1834:
	s_xor_b32 s11, exec_lo, -1
; %bb.1835:
	s_or_b32 exec_lo, exec_lo, s15
	s_and_b32 s11, s11, exec_lo
	s_or_saveexec_b32 s14, s14
	v_mov_b32_e32 v14, 0x7e00
	s_xor_b32 exec_lo, exec_lo, s14
	s_cbranch_execnz .LBB154_1854
.LBB154_1836:
	s_or_b32 exec_lo, exec_lo, s14
	s_and_saveexec_b32 s14, s11
	s_cbranch_execz .LBB154_1838
.LBB154_1837:
	v_and_b32_e32 v14, 0xffff, v16
	v_lshlrev_b32_e32 v16, 24, v16
	v_and_b32_e32 v17, 7, v14
	v_bfe_u32 v20, v14, 3, 4
	v_and_b32_e32 v16, 0x80000000, v16
	v_ffbh_u32_e32 v18, v17
	v_cmp_eq_u32_e32 vcc_lo, 0, v20
	v_min_u32_e32 v18, 32, v18
	v_subrev_nc_u32_e32 v19, 28, v18
	v_sub_nc_u32_e32 v18, 29, v18
	v_lshlrev_b32_e32 v14, v19, v14
	v_cndmask_b32_e32 v18, v20, v18, vcc_lo
	v_and_b32_e32 v14, 7, v14
	v_cndmask_b32_e32 v14, v17, v14, vcc_lo
	v_lshl_add_u32 v17, v18, 23, 0x3b800000
	v_lshlrev_b32_e32 v14, 20, v14
	v_or3_b32 v14, v16, v17, v14
	v_cvt_f16_f32_e32 v14, v14
.LBB154_1838:
	s_or_b32 exec_lo, exec_lo, s14
.LBB154_1839:
	s_mov_b32 s11, -1
.LBB154_1840:
	s_mov_b32 s14, 0
.LBB154_1841:
	s_and_b32 vcc_lo, exec_lo, s14
	s_cbranch_vccz .LBB154_1874
; %bb.1842:
	s_cmp_gt_i32 s3, 22
	s_cbranch_scc0 .LBB154_1852
; %bb.1843:
	s_cmp_lt_i32 s3, 24
	s_cbranch_scc1 .LBB154_1855
; %bb.1844:
	s_cmp_gt_i32 s3, 24
	s_cbranch_scc0 .LBB154_1856
; %bb.1845:
	global_load_ubyte v16, v[7:8], off
	s_mov_b32 s11, exec_lo
	s_waitcnt vmcnt(0)
	v_cmpx_lt_i16_e32 0x7f, v16
	s_xor_b32 s11, exec_lo, s11
	s_cbranch_execz .LBB154_1868
; %bb.1846:
	s_mov_b32 s10, -1
	s_mov_b32 s14, exec_lo
	v_cmpx_eq_u16_e32 0x80, v16
; %bb.1847:
	s_xor_b32 s10, exec_lo, -1
; %bb.1848:
	s_or_b32 exec_lo, exec_lo, s14
	s_and_b32 s10, s10, exec_lo
	s_or_saveexec_b32 s11, s11
	v_mov_b32_e32 v14, 0x7e00
	s_xor_b32 exec_lo, exec_lo, s11
	s_cbranch_execnz .LBB154_1869
.LBB154_1849:
	s_or_b32 exec_lo, exec_lo, s11
	s_and_saveexec_b32 s11, s10
	s_cbranch_execz .LBB154_1851
.LBB154_1850:
	v_and_b32_e32 v14, 0xffff, v16
	v_lshlrev_b32_e32 v16, 24, v16
	v_and_b32_e32 v17, 3, v14
	v_bfe_u32 v20, v14, 2, 5
	v_and_b32_e32 v16, 0x80000000, v16
	v_ffbh_u32_e32 v18, v17
	v_cmp_eq_u32_e32 vcc_lo, 0, v20
	v_min_u32_e32 v18, 32, v18
	v_subrev_nc_u32_e32 v19, 29, v18
	v_sub_nc_u32_e32 v18, 30, v18
	v_lshlrev_b32_e32 v14, v19, v14
	v_cndmask_b32_e32 v18, v20, v18, vcc_lo
	v_and_b32_e32 v14, 3, v14
	v_cndmask_b32_e32 v14, v17, v14, vcc_lo
	v_lshl_add_u32 v17, v18, 23, 0x37800000
	v_lshlrev_b32_e32 v14, 21, v14
	v_or3_b32 v14, v16, v17, v14
	v_cvt_f16_f32_e32 v14, v14
.LBB154_1851:
	s_or_b32 exec_lo, exec_lo, s11
	s_mov_b32 s10, 0
	s_branch .LBB154_1857
.LBB154_1852:
	s_mov_b32 s10, -1
                                        ; implicit-def: $vgpr14
	s_branch .LBB154_1863
.LBB154_1853:
	s_or_saveexec_b32 s14, s14
	v_mov_b32_e32 v14, 0x7e00
	s_xor_b32 exec_lo, exec_lo, s14
	s_cbranch_execz .LBB154_1836
.LBB154_1854:
	v_cmp_ne_u16_e32 vcc_lo, 0, v16
	v_mov_b32_e32 v14, v16
	s_andn2_b32 s11, s11, exec_lo
	s_and_b32 s15, vcc_lo, exec_lo
	s_or_b32 s11, s11, s15
	s_or_b32 exec_lo, exec_lo, s14
	s_and_saveexec_b32 s14, s11
	s_cbranch_execnz .LBB154_1837
	s_branch .LBB154_1838
.LBB154_1855:
	s_mov_b32 s10, -1
                                        ; implicit-def: $vgpr14
	s_branch .LBB154_1860
.LBB154_1856:
	s_mov_b32 s10, -1
                                        ; implicit-def: $vgpr14
.LBB154_1857:
	s_and_b32 vcc_lo, exec_lo, s10
	s_cbranch_vccz .LBB154_1859
; %bb.1858:
	global_load_ubyte v14, v[7:8], off
	s_waitcnt vmcnt(0)
	v_lshlrev_b32_e32 v14, 24, v14
	v_and_b32_e32 v16, 0x7f000000, v14
	v_ffbh_u32_e32 v17, v16
	v_add_nc_u32_e32 v19, 0x1000000, v16
	v_cmp_ne_u32_e32 vcc_lo, 0, v16
	v_min_u32_e32 v17, 32, v17
	v_sub_nc_u32_e64 v17, v17, 4 clamp
	v_lshlrev_b32_e32 v18, v17, v16
	v_lshlrev_b32_e32 v17, 23, v17
	v_lshrrev_b32_e32 v18, 4, v18
	v_sub_nc_u32_e32 v17, v18, v17
	v_ashrrev_i32_e32 v18, 8, v19
	v_add_nc_u32_e32 v17, 0x3c000000, v17
	v_and_or_b32 v17, 0x7f800000, v18, v17
	v_cndmask_b32_e32 v16, 0, v17, vcc_lo
	v_and_or_b32 v14, 0x80000000, v14, v16
	v_cvt_f16_f32_e32 v14, v14
.LBB154_1859:
	s_mov_b32 s10, 0
.LBB154_1860:
	s_andn2_b32 vcc_lo, exec_lo, s10
	s_cbranch_vccnz .LBB154_1862
; %bb.1861:
	global_load_ubyte v14, v[7:8], off
	s_waitcnt vmcnt(0)
	v_lshlrev_b32_e32 v16, 25, v14
	v_lshlrev_b16 v14, 8, v14
	v_lshrrev_b32_e32 v17, 4, v16
	v_and_or_b32 v18, 0x7f00, v14, 0.5
	v_cmp_gt_u32_e32 vcc_lo, 0x8000000, v16
	v_bfe_i32 v14, v14, 0, 16
	v_or_b32_e32 v17, 0x70000000, v17
	v_add_f32_e32 v18, -0.5, v18
	v_mul_f32_e32 v17, 0x7800000, v17
	v_cndmask_b32_e32 v16, v17, v18, vcc_lo
	v_and_or_b32 v14, 0x80000000, v14, v16
	v_cvt_f16_f32_e32 v14, v14
.LBB154_1862:
	s_mov_b32 s10, 0
	s_mov_b32 s11, -1
.LBB154_1863:
	s_andn2_b32 vcc_lo, exec_lo, s10
	s_mov_b32 s10, 0
	s_cbranch_vccnz .LBB154_1874
; %bb.1864:
	s_cmp_gt_i32 s3, 14
	s_cbranch_scc0 .LBB154_1867
; %bb.1865:
	s_cmp_eq_u32 s3, 15
	s_cbranch_scc0 .LBB154_1870
; %bb.1866:
	global_load_ushort v14, v[7:8], off
	s_mov_b32 s7, 0
	s_mov_b32 s11, -1
	s_waitcnt vmcnt(0)
	v_lshlrev_b32_e32 v14, 16, v14
	v_cvt_f16_f32_e32 v14, v14
	s_branch .LBB154_1872
.LBB154_1867:
	s_mov_b32 s10, -1
	s_branch .LBB154_1871
.LBB154_1868:
	s_or_saveexec_b32 s11, s11
	v_mov_b32_e32 v14, 0x7e00
	s_xor_b32 exec_lo, exec_lo, s11
	s_cbranch_execz .LBB154_1849
.LBB154_1869:
	v_cmp_ne_u16_e32 vcc_lo, 0, v16
	v_mov_b32_e32 v14, v16
	s_andn2_b32 s10, s10, exec_lo
	s_and_b32 s14, vcc_lo, exec_lo
	s_or_b32 s10, s10, s14
	s_or_b32 exec_lo, exec_lo, s11
	s_and_saveexec_b32 s11, s10
	s_cbranch_execnz .LBB154_1850
	s_branch .LBB154_1851
.LBB154_1870:
	s_mov_b32 s7, -1
.LBB154_1871:
                                        ; implicit-def: $vgpr14
.LBB154_1872:
	s_and_b32 vcc_lo, exec_lo, s10
	s_mov_b32 s10, 0
	s_cbranch_vccz .LBB154_1874
; %bb.1873:
	s_cmp_lg_u32 s3, 11
	s_mov_b32 s10, -1
	s_cselect_b32 s7, -1, 0
.LBB154_1874:
	s_and_b32 vcc_lo, exec_lo, s7
	s_cbranch_vccnz .LBB154_2445
; %bb.1875:
	s_andn2_b32 vcc_lo, exec_lo, s10
	s_cbranch_vccnz .LBB154_1877
.LBB154_1876:
	global_load_ubyte v14, v[7:8], off
	s_mov_b32 s11, -1
	s_waitcnt vmcnt(0)
	v_cmp_ne_u16_e32 vcc_lo, 0, v14
	v_cndmask_b32_e64 v14, 0, 0x3c00, vcc_lo
.LBB154_1877:
	s_mov_b32 s3, 0
.LBB154_1878:
	s_and_b32 vcc_lo, exec_lo, s3
	s_cbranch_vccz .LBB154_1927
; %bb.1879:
	s_and_b32 s3, 0xffff, s4
	s_cmp_lt_i32 s3, 5
	s_cbranch_scc1 .LBB154_1884
; %bb.1880:
	s_cmp_lt_i32 s3, 8
	s_cbranch_scc1 .LBB154_1885
; %bb.1881:
	;; [unrolled: 3-line block ×3, first 2 shown]
	s_cmp_gt_i32 s3, 9
	s_cbranch_scc0 .LBB154_1887
; %bb.1883:
	global_load_dwordx2 v[16:17], v[7:8], off
	s_mov_b32 s4, 0
	s_waitcnt vmcnt(0)
	v_and_or_b32 v14, 0x1ff, v17, v16
	v_lshrrev_b32_e32 v16, 8, v17
	v_bfe_u32 v18, v17, 20, 11
	v_cmp_ne_u32_e32 vcc_lo, 0, v14
	v_sub_nc_u32_e32 v19, 0x3f1, v18
	v_add_nc_u32_e32 v18, 0xfffffc10, v18
	v_cndmask_b32_e64 v14, 0, 1, vcc_lo
	v_and_or_b32 v14, 0xffe, v16, v14
	v_med3_i32 v16, v19, 0, 13
	v_or_b32_e32 v19, 0x1000, v14
	v_lshrrev_b32_e32 v20, v16, v19
	v_lshlrev_b32_e32 v16, v16, v20
	v_cmp_ne_u32_e32 vcc_lo, v16, v19
	v_lshl_or_b32 v19, v18, 12, v14
	v_cndmask_b32_e64 v16, 0, 1, vcc_lo
	v_cmp_gt_i32_e32 vcc_lo, 1, v18
	v_or_b32_e32 v16, v20, v16
	v_cndmask_b32_e32 v16, v19, v16, vcc_lo
	v_and_b32_e32 v19, 7, v16
	v_lshrrev_b32_e32 v16, 2, v16
	v_cmp_lt_i32_e32 vcc_lo, 5, v19
	v_cndmask_b32_e64 v20, 0, 1, vcc_lo
	v_cmp_eq_u32_e32 vcc_lo, 3, v19
	v_cndmask_b32_e64 v19, 0, 1, vcc_lo
	v_cmp_ne_u32_e32 vcc_lo, 0, v14
	v_or_b32_e32 v19, v19, v20
	v_mov_b32_e32 v20, 0x7e00
	v_add_nc_u32_e32 v16, v16, v19
	v_cndmask_b32_e32 v14, 0x7c00, v20, vcc_lo
	v_cmp_gt_i32_e32 vcc_lo, 31, v18
	v_cndmask_b32_e32 v16, 0x7c00, v16, vcc_lo
	v_cmp_eq_u32_e32 vcc_lo, 0x40f, v18
	v_cndmask_b32_e32 v14, v16, v14, vcc_lo
	v_lshrrev_b32_e32 v16, 16, v17
	v_and_or_b32 v14, 0x8000, v16, v14
	s_branch .LBB154_1888
.LBB154_1884:
	s_mov_b32 s4, -1
                                        ; implicit-def: $vgpr14
	s_branch .LBB154_1906
.LBB154_1885:
	s_mov_b32 s4, -1
                                        ; implicit-def: $vgpr14
	s_branch .LBB154_1894
.LBB154_1886:
	s_mov_b32 s4, -1
                                        ; implicit-def: $vgpr14
	s_branch .LBB154_1891
.LBB154_1887:
	s_mov_b32 s4, -1
                                        ; implicit-def: $vgpr14
.LBB154_1888:
	s_andn2_b32 vcc_lo, exec_lo, s4
	s_cbranch_vccnz .LBB154_1890
; %bb.1889:
	global_load_dword v14, v[7:8], off
	s_waitcnt vmcnt(0)
	v_cvt_f16_f32_e32 v14, v14
.LBB154_1890:
	s_mov_b32 s4, 0
.LBB154_1891:
	s_andn2_b32 vcc_lo, exec_lo, s4
	s_cbranch_vccnz .LBB154_1893
; %bb.1892:
	global_load_dword v14, v[7:8], off
.LBB154_1893:
	s_mov_b32 s4, 0
.LBB154_1894:
	s_andn2_b32 vcc_lo, exec_lo, s4
	s_cbranch_vccnz .LBB154_1905
; %bb.1895:
	s_cmp_lt_i32 s3, 6
	s_cbranch_scc1 .LBB154_1898
; %bb.1896:
	s_cmp_gt_i32 s3, 6
	s_cbranch_scc0 .LBB154_1899
; %bb.1897:
	global_load_dwordx2 v[16:17], v[7:8], off
	s_mov_b32 s4, 0
	s_waitcnt vmcnt(0)
	v_and_or_b32 v14, 0x1ff, v17, v16
	v_lshrrev_b32_e32 v16, 8, v17
	v_bfe_u32 v18, v17, 20, 11
	v_cmp_ne_u32_e32 vcc_lo, 0, v14
	v_sub_nc_u32_e32 v19, 0x3f1, v18
	v_add_nc_u32_e32 v18, 0xfffffc10, v18
	v_cndmask_b32_e64 v14, 0, 1, vcc_lo
	v_and_or_b32 v14, 0xffe, v16, v14
	v_med3_i32 v16, v19, 0, 13
	v_or_b32_e32 v19, 0x1000, v14
	v_lshrrev_b32_e32 v20, v16, v19
	v_lshlrev_b32_e32 v16, v16, v20
	v_cmp_ne_u32_e32 vcc_lo, v16, v19
	v_lshl_or_b32 v19, v18, 12, v14
	v_cndmask_b32_e64 v16, 0, 1, vcc_lo
	v_cmp_gt_i32_e32 vcc_lo, 1, v18
	v_or_b32_e32 v16, v20, v16
	v_cndmask_b32_e32 v16, v19, v16, vcc_lo
	v_and_b32_e32 v19, 7, v16
	v_lshrrev_b32_e32 v16, 2, v16
	v_cmp_lt_i32_e32 vcc_lo, 5, v19
	v_cndmask_b32_e64 v20, 0, 1, vcc_lo
	v_cmp_eq_u32_e32 vcc_lo, 3, v19
	v_cndmask_b32_e64 v19, 0, 1, vcc_lo
	v_cmp_ne_u32_e32 vcc_lo, 0, v14
	v_or_b32_e32 v19, v19, v20
	v_mov_b32_e32 v20, 0x7e00
	v_add_nc_u32_e32 v16, v16, v19
	v_cndmask_b32_e32 v14, 0x7c00, v20, vcc_lo
	v_cmp_gt_i32_e32 vcc_lo, 31, v18
	v_cndmask_b32_e32 v16, 0x7c00, v16, vcc_lo
	v_cmp_eq_u32_e32 vcc_lo, 0x40f, v18
	v_cndmask_b32_e32 v14, v16, v14, vcc_lo
	v_lshrrev_b32_e32 v16, 16, v17
	v_and_or_b32 v14, 0x8000, v16, v14
	s_branch .LBB154_1900
.LBB154_1898:
	s_mov_b32 s4, -1
                                        ; implicit-def: $vgpr14
	s_branch .LBB154_1903
.LBB154_1899:
	s_mov_b32 s4, -1
                                        ; implicit-def: $vgpr14
.LBB154_1900:
	s_andn2_b32 vcc_lo, exec_lo, s4
	s_cbranch_vccnz .LBB154_1902
; %bb.1901:
	global_load_dword v14, v[7:8], off
	s_waitcnt vmcnt(0)
	v_cvt_f16_f32_e32 v14, v14
.LBB154_1902:
	s_mov_b32 s4, 0
.LBB154_1903:
	s_andn2_b32 vcc_lo, exec_lo, s4
	s_cbranch_vccnz .LBB154_1905
; %bb.1904:
	global_load_ushort v14, v[7:8], off
.LBB154_1905:
	s_mov_b32 s4, 0
.LBB154_1906:
	s_andn2_b32 vcc_lo, exec_lo, s4
	s_cbranch_vccnz .LBB154_1926
; %bb.1907:
	s_cmp_lt_i32 s3, 2
	s_cbranch_scc1 .LBB154_1911
; %bb.1908:
	s_cmp_lt_i32 s3, 3
	s_cbranch_scc1 .LBB154_1912
; %bb.1909:
	s_cmp_gt_i32 s3, 3
	s_cbranch_scc0 .LBB154_1913
; %bb.1910:
	global_load_dwordx2 v[16:17], v[7:8], off
	s_mov_b32 s4, 0
	s_waitcnt vmcnt(0)
	v_xor_b32_e32 v14, v16, v17
	v_ffbh_i32_e32 v18, v17
	v_ashrrev_i32_e32 v14, 31, v14
	v_add_nc_u32_e32 v18, -1, v18
	v_add_nc_u32_e32 v14, 32, v14
	v_min_u32_e32 v14, v18, v14
	v_lshlrev_b64 v[16:17], v14, v[16:17]
	v_sub_nc_u32_e32 v14, 32, v14
	v_min_u32_e32 v16, 1, v16
	v_or_b32_e32 v16, v17, v16
	v_cvt_f32_i32_e32 v16, v16
	v_ldexp_f32 v14, v16, v14
	v_cvt_f16_f32_e32 v14, v14
	s_branch .LBB154_1914
.LBB154_1911:
	s_mov_b32 s4, -1
                                        ; implicit-def: $vgpr14
	s_branch .LBB154_1920
.LBB154_1912:
	s_mov_b32 s4, -1
                                        ; implicit-def: $vgpr14
	s_branch .LBB154_1917
.LBB154_1913:
	s_mov_b32 s4, -1
                                        ; implicit-def: $vgpr14
.LBB154_1914:
	s_andn2_b32 vcc_lo, exec_lo, s4
	s_cbranch_vccnz .LBB154_1916
; %bb.1915:
	global_load_dword v14, v[7:8], off
	s_waitcnt vmcnt(0)
	v_cvt_f32_i32_e32 v14, v14
	v_cvt_f16_f32_e32 v14, v14
.LBB154_1916:
	s_mov_b32 s4, 0
.LBB154_1917:
	s_andn2_b32 vcc_lo, exec_lo, s4
	s_cbranch_vccnz .LBB154_1919
; %bb.1918:
	global_load_ushort v14, v[7:8], off
	s_waitcnt vmcnt(0)
	v_cvt_f16_i16_e32 v14, v14
.LBB154_1919:
	s_mov_b32 s4, 0
.LBB154_1920:
	s_andn2_b32 vcc_lo, exec_lo, s4
	s_cbranch_vccnz .LBB154_1926
; %bb.1921:
	s_cmp_gt_i32 s3, 0
	s_mov_b32 s3, 0
	s_cbranch_scc0 .LBB154_1923
; %bb.1922:
	global_load_sbyte v14, v[7:8], off
	s_waitcnt vmcnt(0)
	v_cvt_f16_i16_e32 v14, v14
	s_branch .LBB154_1924
.LBB154_1923:
	s_mov_b32 s3, -1
                                        ; implicit-def: $vgpr14
.LBB154_1924:
	s_andn2_b32 vcc_lo, exec_lo, s3
	s_cbranch_vccnz .LBB154_1926
; %bb.1925:
	global_load_ubyte v7, v[7:8], off
	s_waitcnt vmcnt(0)
	v_cvt_f16_u16_e32 v14, v7
.LBB154_1926:
	s_mov_b32 s11, -1
.LBB154_1927:
	s_andn2_b32 vcc_lo, exec_lo, s11
	s_cbranch_vccnz .LBB154_2399
; %bb.1928:
	s_waitcnt vmcnt(0)
	v_cvt_f32_f16_e32 v7, v14
	s_mov_b32 s4, exec_lo
                                        ; implicit-def: $vgpr8
	v_and_b32_e32 v16, 0x7fffffff, v7
	v_cmpx_ngt_f32_e64 0x3c800000, |v7|
	s_xor_b32 s4, exec_lo, s4
	s_cbranch_execz .LBB154_1958
; %bb.1929:
	s_mov_b32 s7, exec_lo
                                        ; implicit-def: $vgpr8
	v_cmpx_nlt_f32_e64 |v7|, 2.0
	s_xor_b32 s7, exec_lo, s7
	s_cbranch_execz .LBB154_1939
; %bb.1930:
	v_cmp_ngt_f32_e64 s3, 0x41000000, |v7|
                                        ; implicit-def: $vgpr8
	s_and_saveexec_b32 s10, s3
	s_xor_b32 s3, exec_lo, s10
	s_cbranch_execz .LBB154_1936
; %bb.1931:
	v_cmp_ngt_f32_e64 s10, 0x5c800000, |v7|
                                        ; implicit-def: $vgpr8
	s_and_saveexec_b32 s11, s10
	s_xor_b32 s10, exec_lo, s11
	s_cbranch_execz .LBB154_1933
; %bb.1932:
	v_cmp_gt_f32_e64 s11, 0x800000, |v7|
	v_cndmask_b32_e64 v8, 0, 32, s11
	v_ldexp_f32 v8, |v7|, v8
	v_log_f32_e32 v8, v8
	v_mul_f32_e32 v17, 0x3f317217, v8
	v_cmp_gt_f32_e64 vcc_lo, 0x7f800000, |v8|
	v_fma_f32 v18, 0x3f317217, v8, -v17
	v_fmamk_f32 v18, v8, 0x3377d1cf, v18
	v_add_f32_e32 v17, v17, v18
	v_cndmask_b32_e32 v8, v8, v17, vcc_lo
	v_cndmask_b32_e64 v17, 0, 0x41b17218, s11
	v_sub_f32_e32 v8, v8, v17
	v_fma_f32 v8, |v7|, v8, -|v7|
.LBB154_1933:
	s_andn2_saveexec_b32 s10, s10
	s_cbranch_execz .LBB154_1935
; %bb.1934:
	v_cmp_gt_f32_e64 s11, 0x800000, |v7|
	v_rcp_f32_e64 v17, |v7|
	s_mov_b32 s14, 0xbad5c4e8
	v_cndmask_b32_e64 v8, 0, 32, s11
	v_ldexp_f32 v8, |v7|, v8
	v_mul_f32_e32 v18, v17, v17
	v_log_f32_e32 v8, v8
	v_fmaak_f32 v20, s14, v18, 0x3a5b3dd2
	v_fmaak_f32 v20, v18, v20, 0xba1c065c
	v_mul_f32_e32 v19, 0x3f317217, v8
	v_fmaak_f32 v20, v18, v20, 0x3a500cfd
	v_cmp_gt_f32_e64 vcc_lo, 0x7f800000, |v8|
	v_fma_f32 v21, 0x3f317217, v8, -v19
	v_fmaak_f32 v20, v18, v20, 0xbb360b61
	v_fmamk_f32 v21, v8, 0x3377d1cf, v21
	v_fmaak_f32 v18, v18, v20, 0x3daaaaab
	v_add_f32_e32 v19, v19, v21
	v_cndmask_b32_e32 v8, v8, v19, vcc_lo
	v_cndmask_b32_e64 v19, 0, 0x41b17218, s11
	v_sub_f32_e32 v19, v8, v19
	v_fmaak_f32 v8, v17, v18, 0x3ed67f1d
	v_add_f32_e64 v17, |v7|, -0.5
	v_add_f32_e32 v18, -1.0, v19
	v_fmac_f32_e32 v8, v17, v18
.LBB154_1935:
	s_or_b32 exec_lo, exec_lo, s10
.LBB154_1936:
	s_andn2_saveexec_b32 s10, s3
	s_cbranch_execz .LBB154_1938
; %bb.1937:
	v_cvt_i32_f32_e32 v8, v16
	s_mov_b32 s3, 0x36f5d7bd
	s_mov_b32 s11, 0x3805ff67
	v_cvt_f32_i32_e32 v17, v8
	v_cmp_lt_i32_e32 vcc_lo, 2, v8
	v_sub_f32_e64 v17, |v7|, v17
	v_add_f32_e32 v18, 2.0, v17
	v_add_f32_e32 v19, 0x40400000, v17
	v_add_f32_e32 v20, 4.0, v17
	v_add_f32_e32 v21, 0x40a00000, v17
	v_cndmask_b32_e32 v18, 1.0, v18, vcc_lo
	v_cmp_lt_i32_e32 vcc_lo, 3, v8
	v_cndmask_b32_e32 v19, 1.0, v19, vcc_lo
	v_cmp_lt_i32_e32 vcc_lo, 4, v8
	v_mul_f32_e32 v18, v18, v19
	v_cndmask_b32_e32 v20, 1.0, v20, vcc_lo
	v_cmp_lt_i32_e32 vcc_lo, 5, v8
	v_add_f32_e32 v19, 0x40c00000, v17
	v_mul_f32_e32 v18, v20, v18
	v_cndmask_b32_e32 v21, 1.0, v21, vcc_lo
	v_cmp_lt_i32_e32 vcc_lo, 6, v8
	v_fmaak_f32 v20, s11, v17, 0x3af135b4
	v_mul_f32_e32 v18, v21, v18
	v_cndmask_b32_e32 v8, 1.0, v19, vcc_lo
	v_mul_f32_e32 v8, v8, v18
	v_fmaak_f32 v18, s3, v17, 0x3a4beed6
	v_cmp_gt_f32_e32 vcc_lo, 0x800000, v8
	v_fmaak_f32 v18, v17, v18, 0x3c98bf54
	v_cndmask_b32_e64 v19, 0, 32, vcc_lo
	v_fmaak_f32 v18, v17, v18, 0x3e300f6e
	v_ldexp_f32 v8, v8, v19
	v_fmaak_f32 v19, v17, v20, 0x3cda40e4
	v_fmaak_f32 v18, v17, v18, 0x3f38d0c5
	v_log_f32_e32 v8, v8
	v_fmaak_f32 v19, v17, v19, 0x3e15dce6
	v_fmaak_f32 v18, v17, v18, 0x3fb22d3b
	v_fmaak_f32 v19, v17, v19, 0x3ea6cc7a
	v_fma_f32 v18, v17, v18, 1.0
	v_mul_f32_e32 v20, 0x3f317217, v8
	v_fmaak_f32 v19, v17, v19, 0x3e5c245a
	v_rcp_f32_e32 v18, v18
	v_cmp_gt_f32_e64 s3, 0x7f800000, |v8|
	v_fma_f32 v21, 0x3f317217, v8, -v20
	v_fmaak_f32 v19, v17, v19, 0xbd9e233f
	v_fmamk_f32 v21, v8, 0x3377d1cf, v21
	v_mul_f32_e32 v19, v17, v19
	v_add_f32_e32 v20, v20, v21
	v_mul_f32_e32 v18, v19, v18
	v_cndmask_b32_e64 v19, 0, 0x41b17218, vcc_lo
	v_cndmask_b32_e64 v8, v8, v20, s3
	v_fmac_f32_e32 v18, 0.5, v17
	v_sub_f32_e32 v8, v8, v19
	v_add_f32_e32 v8, v8, v18
.LBB154_1938:
	s_or_b32 exec_lo, exec_lo, s10
.LBB154_1939:
	s_andn2_saveexec_b32 s7, s7
	s_cbranch_execz .LBB154_1957
; %bb.1940:
	s_mov_b32 s10, exec_lo
                                        ; implicit-def: $vgpr8
                                        ; implicit-def: $vgpr18
                                        ; implicit-def: $vgpr17
	v_cmpx_ge_f32_e64 0x3f666666, |v7|
	s_xor_b32 s10, exec_lo, s10
	s_cbranch_execz .LBB154_1942
; %bb.1941:
	v_cmp_gt_f32_e64 s3, 0x800000, |v7|
	v_sub_f32_e64 v19, 1.0, |v7|
	v_cmp_gt_f32_e64 vcc_lo, 0x3f3b4a23, |v7|
	v_cndmask_b32_e64 v8, 0, 32, s3
	v_cndmask_b32_e64 v20, 0, 0x41b17218, s3
	v_ldexp_f32 v8, |v7|, v8
	v_log_f32_e32 v8, v8
	v_mul_f32_e32 v17, 0x3f317217, v8
	v_cmp_gt_f32_e64 s3, 0x7f800000, |v8|
	v_fma_f32 v18, 0x3f317217, v8, -v17
	v_fmamk_f32 v18, v8, 0x3377d1cf, v18
	v_add_f32_e32 v17, v17, v18
	v_add_f32_e64 v18, 0xbeec5b0c, |v7|
	v_cndmask_b32_e64 v8, v8, v17, s3
	v_cndmask_b32_e32 v17, v19, v18, vcc_lo
	v_cndmask_b32_e64 v18, 0, 1, vcc_lo
	v_cmp_gt_f32_e64 s3, 0x3e6d3309, |v7|
	v_sub_f32_e32 v8, v8, v20
	v_cndmask_b32_e64 v17, v17, |v7|, s3
	v_cndmask_b32_e64 v18, v18, 2, s3
	v_xor_b32_e32 v8, 0x80000000, v8
.LBB154_1942:
	s_andn2_saveexec_b32 s3, s10
	s_cbranch_execz .LBB154_1944
; %bb.1943:
	v_sub_f32_e64 v8, 2.0, |v7|
	v_add_f32_e64 v17, 0xbfbb16c3, |v7|
	v_cmp_gt_f32_e64 vcc_lo, 0x3fdda512, |v7|
	v_add_f32_e64 v18, |v7|, -1.0
	v_cndmask_b32_e32 v17, v8, v17, vcc_lo
	v_cndmask_b32_e64 v8, v8, 1.0, vcc_lo
	v_cmp_gt_f32_e64 vcc_lo, 0x3f9d70a4, |v7|
	v_cvt_i32_f32_e32 v8, v8
	v_cndmask_b32_e32 v17, v17, v18, vcc_lo
	v_cndmask_b32_e64 v18, v8, 2, vcc_lo
	v_mov_b32_e32 v8, 0
.LBB154_1944:
	s_or_b32 exec_lo, exec_lo, s3
	s_mov_b32 s3, exec_lo
	v_cmpx_lt_i32_e32 0, v18
	s_xor_b32 s3, exec_lo, s3
	s_cbranch_execz .LBB154_1952
; %bb.1945:
	s_mov_b32 s10, exec_lo
	v_cmpx_lt_i32_e32 1, v18
	s_xor_b32 s10, exec_lo, s10
	s_cbranch_execz .LBB154_1949
; %bb.1946:
	s_mov_b32 s11, exec_lo
	v_cmpx_eq_u32_e32 2, v18
	s_cbranch_execz .LBB154_1948
; %bb.1947:
	s_mov_b32 s14, 0x3b52d5db
	v_fmaak_f32 v18, s14, v17, 0x3dd572af
	s_mov_b32 s14, 0x3c5b3c5e
	v_fmaak_f32 v19, s14, v17, 0x3e6a7578
	v_fmaak_f32 v18, v17, v18, 0x3f44efdf
	;; [unrolled: 1-line block ×7, first 2 shown]
	v_fma_f32 v18, v17, v18, 1.0
	v_fmaak_f32 v19, v17, v19, 0xbd9e233f
	v_rcp_f32_e32 v18, v18
	v_mul_f32_e32 v19, v17, v19
	v_mul_f32_e32 v18, v19, v18
	v_fmac_f32_e32 v18, -0.5, v17
	v_add_f32_e32 v8, v8, v18
.LBB154_1948:
	s_or_b32 exec_lo, exec_lo, s11
                                        ; implicit-def: $vgpr17
.LBB154_1949:
	s_andn2_saveexec_b32 s10, s10
	s_cbranch_execz .LBB154_1951
; %bb.1950:
	v_mul_f32_e32 v18, v17, v17
	s_mov_b32 s11, 0xb9a3f927
	s_mov_b32 s14, 0x39afe9f7
	v_mul_f32_e32 v19, v17, v18
	v_fmaak_f32 v20, s11, v19, 0x3a66f867
	v_fmaak_f32 v21, s14, v19, 0xba0d3085
	s_mov_b32 s11, 0x39a57b6b
	v_fmaak_f32 v22, s11, v19, 0xbab7f476
	v_fmaak_f32 v20, v19, v20, 0xbb7177fe
	;; [unrolled: 1-line block ×9, first 2 shown]
	v_fmac_f32_e32 v20, v17, v21
	v_fmaak_f32 v17, v19, v22, 0x3ef7b95e
	v_fma_f32 v19, v19, -v20, 0xa2863e55
	v_fma_f32 v17, v18, v17, -v19
	v_add_f32_e32 v17, 0xbdf8cdce, v17
	v_add_f32_e32 v8, v8, v17
.LBB154_1951:
	s_or_b32 exec_lo, exec_lo, s10
                                        ; implicit-def: $vgpr18
                                        ; implicit-def: $vgpr17
.LBB154_1952:
	s_andn2_saveexec_b32 s3, s3
	s_cbranch_execz .LBB154_1956
; %bb.1953:
	s_mov_b32 s10, exec_lo
	v_cmpx_eq_u32_e32 0, v18
	s_cbranch_execz .LBB154_1955
; %bb.1954:
	v_mul_f32_e32 v18, v17, v17
	s_mov_b32 s11, 0x383c2c75
	v_fmaak_f32 v19, s11, v18, 0x38e28445
	s_mov_b32 s11, 0x37d383a2
	v_fmaak_f32 v20, s11, v18, 0x39679767
	v_fmaak_f32 v19, v18, v19, 0x3a05b634
	;; [unrolled: 1-line block ×9, first 2 shown]
	v_mul_f32_e32 v18, v18, v19
	v_fmac_f32_e32 v18, v17, v20
	v_fmac_f32_e32 v18, -0.5, v17
	v_add_f32_e32 v8, v8, v18
.LBB154_1955:
	s_or_b32 exec_lo, exec_lo, s10
.LBB154_1956:
	s_or_b32 exec_lo, exec_lo, s3
.LBB154_1957:
	s_or_b32 exec_lo, exec_lo, s7
.LBB154_1958:
	s_andn2_saveexec_b32 s3, s4
	s_cbranch_execz .LBB154_1960
; %bb.1959:
	v_cmp_gt_f32_e64 s4, 0x800000, |v7|
	s_mov_b32 s7, 0x3e8a8991
	v_fma_f32 v19, |v7|, s7, 0xbecd26ab
	v_cndmask_b32_e64 v8, 0, 32, s4
	v_ldexp_f32 v8, |v7|, v8
	v_log_f32_e32 v8, v8
	v_mul_f32_e32 v17, 0x3f317217, v8
	v_cmp_gt_f32_e64 vcc_lo, 0x7f800000, |v8|
	v_fma_f32 v18, 0x3f317217, v8, -v17
	v_fmamk_f32 v18, v8, 0x3377d1cf, v18
	v_add_f32_e32 v17, v17, v18
	v_fma_f32 v18, |v7|, v19, 0x3f528d33
	v_cndmask_b32_e32 v8, v8, v17, vcc_lo
	v_cndmask_b32_e64 v17, 0, 0x41b17218, s4
	v_fma_f32 v18, |v7|, v18, 0xbf13c468
	v_sub_f32_e32 v8, v8, v17
	v_fma_f32 v8, |v7|, v18, -v8
.LBB154_1960:
	s_or_b32 exec_lo, exec_lo, s3
	v_cmp_le_f16_e64 s3, 0, v14
	s_mov_b32 s4, exec_lo
	v_cmpx_nle_f16_e32 0, v14
	s_xor_b32 s7, exec_lo, s4
	s_cbranch_execz .LBB154_1964
; %bb.1961:
	v_cmp_gt_f32_e64 s4, 0x4b000000, |v7|
	v_cmp_lt_f32_e64 s10, 0x35000000, |v7|
	s_and_b32 s4, s4, s10
	s_and_saveexec_b32 s10, s4
	s_cbranch_execz .LBB154_1963
; %bb.1962:
	v_mul_f32_e64 v17, |v7|, 0.5
	v_cmp_gt_f32_e64 s4, |v7|, 1.0
	s_mov_b32 s11, 0x3d4be544
	v_xor_b32_e32 v16, v16, v7
	v_floor_f32_e32 v18, v17
	v_cmp_neq_f32_e32 vcc_lo, 0x7f800000, v17
	v_sub_f32_e32 v18, v17, v18
	v_min_f32_e32 v18, 0x3f7fffff, v18
	v_add_f32_e32 v18, v18, v18
	v_cndmask_b32_e32 v17, 0, v18, vcc_lo
	v_cndmask_b32_e64 v17, |v7|, v17, s4
	s_mov_b32 s4, 0x3e75aa41
	v_add_f32_e32 v18, v17, v17
	v_rndne_f32_e32 v18, v18
	v_fmac_f32_e32 v17, -0.5, v18
	v_cvt_i32_f32_e32 v18, v18
	v_mul_f32_e32 v19, v17, v17
	v_fmaak_f32 v20, s4, v19, 0xbf1f24be
	v_fmaak_f32 v21, s11, v19, 0x3e642e9d
	v_mul_f32_e32 v22, v17, v19
	v_fmaak_f32 v20, v19, v20, 0x40234736
	v_fmaak_f32 v21, v19, v21, 0xbfaad1da
	;; [unrolled: 1-line block ×4, first 2 shown]
	v_mul_f32_e32 v20, v22, v20
	v_fmaak_f32 v21, v19, v21, 0xc09de9e6
	v_and_b32_e32 v22, 1, v18
	v_lshlrev_b32_e32 v18, 30, v18
	v_fmamk_f32 v17, v17, 0x40490fdb, v20
	v_fma_f32 v19, v19, v21, 1.0
	v_cmp_eq_u32_e32 vcc_lo, 0, v22
	v_and_b32_e32 v18, 0x80000000, v18
	v_cndmask_b32_e32 v17, v19, v17, vcc_lo
	v_xor3_b32 v16, v16, v18, v17
	v_mul_f32_e32 v16, v7, v16
	v_frexp_mant_f32_e64 v17, |v16|
	v_frexp_exp_i32_f32_e32 v16, v16
	v_rcp_f32_e32 v17, v17
	v_sub_nc_u32_e32 v16, 2, v16
	v_mul_f32_e32 v17, 0x3f490fdb, v17
	v_ldexp_f32 v16, v17, v16
	v_cmp_gt_f32_e32 vcc_lo, 0x800000, v16
	v_cndmask_b32_e64 v17, 0, 32, vcc_lo
	v_ldexp_f32 v16, v16, v17
	v_log_f32_e32 v16, v16
	v_mul_f32_e32 v17, 0x3f317217, v16
	v_cmp_gt_f32_e64 s4, 0x7f800000, |v16|
	v_fma_f32 v18, 0x3f317217, v16, -v17
	v_fmamk_f32 v18, v16, 0x3377d1cf, v18
	v_add_f32_e32 v17, v17, v18
	v_floor_f32_e32 v18, v7
	v_cndmask_b32_e64 v16, v16, v17, s4
	v_cndmask_b32_e64 v17, 0, 0x41b17218, vcc_lo
	v_sub_f32_e32 v18, v7, v18
	v_sub_f32_e32 v16, v16, v17
	v_min_f32_e32 v17, 0x3f7fffff, v18
	v_sub_f32_e32 v8, v16, v8
	v_cmp_neq_f32_e32 vcc_lo, 0, v17
	v_cndmask_b32_e32 v8, 0x7f800000, v8, vcc_lo
.LBB154_1963:
	s_or_b32 exec_lo, exec_lo, s10
.LBB154_1964:
	s_andn2_saveexec_b32 s7, s7
; %bb.1965:
	v_cmp_eq_f16_e32 vcc_lo, 1.0, v14
	v_cmp_eq_f16_e64 s4, 2.0, v14
	s_or_b32 s4, vcc_lo, s4
	v_cndmask_b32_e64 v8, v8, 0, s4
; %bb.1966:
	s_or_b32 exec_lo, exec_lo, s7
	v_cmp_gt_f32_e64 s4, 0x4b000000, |v3|
	v_cvt_f16_f32_e32 v5, v5
	s_or_b32 vcc_lo, s0, s4
	v_cmp_class_f32_e64 s0, v3, 0x264
	v_cndmask_b32_e32 v5, 0x7c00, v5, vcc_lo
	v_cmp_u_f16_e32 vcc_lo, v1, v1
	s_bfe_u32 s4, s6, 0x80008
	s_cmp_lt_i32 s4, 11
	v_cndmask_b32_e64 v3, v5, 0x7c00, s0
	v_add_co_u32 v5, s0, s8, v6
	v_add_co_ci_u32_e64 v6, null, s9, 0, s0
	v_cndmask_b32_e32 v1, v3, v1, vcc_lo
	s_cbranch_scc1 .LBB154_2044
; %bb.1967:
	s_and_b32 s7, 0xffff, s4
	s_mov_b32 s14, -1
	s_mov_b32 s10, 0
	s_cmp_gt_i32 s7, 25
	s_mov_b32 s11, 0
	s_mov_b32 s0, 0
	s_cbranch_scc0 .LBB154_2000
; %bb.1968:
	s_cmp_gt_i32 s7, 28
	s_cbranch_scc0 .LBB154_1983
; %bb.1969:
	s_cmp_gt_i32 s7, 43
	;; [unrolled: 3-line block ×3, first 2 shown]
	s_cbranch_scc0 .LBB154_1973
; %bb.1971:
	s_mov_b32 s0, -1
	s_mov_b32 s14, 0
	s_cmp_eq_u32 s7, 46
	s_cbranch_scc0 .LBB154_1973
; %bb.1972:
	v_cvt_f32_f16_e32 v3, v1
	v_cmp_o_f16_e32 vcc_lo, v1, v1
	s_mov_b32 s0, 0
	s_mov_b32 s11, -1
	v_bfe_u32 v16, v3, 16, 1
	v_add3_u32 v3, v3, v16, 0x7fff
	v_mov_b32_e32 v16, 0x7fc0
	v_cndmask_b32_sdwa v3, v16, v3, vcc_lo dst_sel:DWORD dst_unused:UNUSED_PAD src0_sel:DWORD src1_sel:WORD_1
	global_store_dword v[5:6], v3, off
.LBB154_1973:
	s_and_b32 vcc_lo, exec_lo, s14
	s_cbranch_vccz .LBB154_1978
; %bb.1974:
	s_cmp_eq_u32 s7, 44
	s_mov_b32 s0, -1
	s_cbranch_scc0 .LBB154_1978
; %bb.1975:
	v_cvt_f32_f16_e32 v3, v1
	v_mov_b32_e32 v16, 0xff
	s_mov_b32 s11, exec_lo
	v_bfe_u32 v17, v3, 23, 8
	v_cmpx_ne_u32_e32 0xff, v17
	s_cbranch_execz .LBB154_1977
; %bb.1976:
	v_and_b32_e32 v16, 0x400000, v3
	v_and_or_b32 v17, 0x3fffff, v3, v17
	v_lshrrev_b32_e32 v3, 23, v3
	v_cmp_ne_u32_e32 vcc_lo, 0, v16
	v_cmp_ne_u32_e64 s0, 0, v17
	s_and_b32 s0, vcc_lo, s0
	v_cndmask_b32_e64 v16, 0, 1, s0
	v_add_nc_u32_e32 v16, v3, v16
.LBB154_1977:
	s_or_b32 exec_lo, exec_lo, s11
	s_mov_b32 s0, 0
	s_mov_b32 s11, -1
	global_store_byte v[5:6], v16, off
.LBB154_1978:
	s_mov_b32 s14, 0
.LBB154_1979:
	s_and_b32 vcc_lo, exec_lo, s14
	s_cbranch_vccz .LBB154_1982
; %bb.1980:
	s_cmp_eq_u32 s7, 29
	s_mov_b32 s0, -1
	s_cbranch_scc0 .LBB154_1982
; %bb.1981:
	v_cvt_f32_f16_e32 v3, v1
	v_mov_b32_e32 v17, 0
	s_mov_b32 s0, 0
	s_mov_b32 s11, -1
	v_cvt_u32_f32_e32 v16, v3
	global_store_dwordx2 v[5:6], v[16:17], off
.LBB154_1982:
	s_mov_b32 s14, 0
.LBB154_1983:
	s_and_b32 vcc_lo, exec_lo, s14
	s_cbranch_vccz .LBB154_1999
; %bb.1984:
	s_cmp_lt_i32 s7, 27
	s_mov_b32 s11, -1
	s_cbranch_scc1 .LBB154_1990
; %bb.1985:
	s_cmp_gt_i32 s7, 27
	s_cbranch_scc0 .LBB154_1987
; %bb.1986:
	v_cvt_f32_f16_e32 v3, v1
	s_mov_b32 s11, 0
	v_cvt_u32_f32_e32 v3, v3
	global_store_dword v[5:6], v3, off
.LBB154_1987:
	s_andn2_b32 vcc_lo, exec_lo, s11
	s_cbranch_vccnz .LBB154_1989
; %bb.1988:
	v_cvt_u16_f16_e32 v3, v1
	global_store_short v[5:6], v3, off
.LBB154_1989:
	s_mov_b32 s11, 0
.LBB154_1990:
	s_andn2_b32 vcc_lo, exec_lo, s11
	s_cbranch_vccnz .LBB154_1998
; %bb.1991:
	v_cvt_f32_f16_e32 v3, v1
	v_mov_b32_e32 v17, 0x80
	s_mov_b32 s11, exec_lo
	v_and_b32_e32 v16, 0x7fffffff, v3
	v_cmpx_gt_u32_e32 0x43800000, v16
	s_cbranch_execz .LBB154_1997
; %bb.1992:
	v_cmp_lt_u32_e32 vcc_lo, 0x3bffffff, v16
	s_mov_b32 s14, 0
                                        ; implicit-def: $vgpr16
	s_and_saveexec_b32 s15, vcc_lo
	s_xor_b32 s15, exec_lo, s15
	s_cbranch_execz .LBB154_2446
; %bb.1993:
	v_bfe_u32 v16, v3, 20, 1
	s_mov_b32 s14, exec_lo
	v_add3_u32 v16, v3, v16, 0x487ffff
	v_lshrrev_b32_e32 v16, 20, v16
	s_andn2_saveexec_b32 s15, s15
	s_cbranch_execnz .LBB154_2447
.LBB154_1994:
	s_or_b32 exec_lo, exec_lo, s15
	v_mov_b32_e32 v17, 0
	s_and_saveexec_b32 s15, s14
.LBB154_1995:
	v_lshrrev_b32_e32 v3, 24, v3
	v_and_or_b32 v17, 0x80, v3, v16
.LBB154_1996:
	s_or_b32 exec_lo, exec_lo, s15
.LBB154_1997:
	s_or_b32 exec_lo, exec_lo, s11
	global_store_byte v[5:6], v17, off
.LBB154_1998:
	s_mov_b32 s11, -1
.LBB154_1999:
	s_mov_b32 s14, 0
.LBB154_2000:
	s_and_b32 vcc_lo, exec_lo, s14
	s_cbranch_vccz .LBB154_2040
; %bb.2001:
	s_cmp_gt_i32 s7, 22
	s_mov_b32 s10, -1
	s_cbranch_scc0 .LBB154_2033
; %bb.2002:
	s_cmp_lt_i32 s7, 24
	s_cbranch_scc1 .LBB154_2022
; %bb.2003:
	s_cmp_gt_i32 s7, 24
	s_cbranch_scc0 .LBB154_2011
; %bb.2004:
	v_cvt_f32_f16_e32 v3, v1
	v_mov_b32_e32 v17, 0x80
	s_mov_b32 s10, exec_lo
	v_and_b32_e32 v16, 0x7fffffff, v3
	v_cmpx_gt_u32_e32 0x47800000, v16
	s_cbranch_execz .LBB154_2010
; %bb.2005:
	v_cmp_lt_u32_e32 vcc_lo, 0x37ffffff, v16
	s_mov_b32 s11, 0
                                        ; implicit-def: $vgpr16
	s_and_saveexec_b32 s14, vcc_lo
	s_xor_b32 s14, exec_lo, s14
	s_cbranch_execz .LBB154_2449
; %bb.2006:
	v_bfe_u32 v16, v3, 21, 1
	s_mov_b32 s11, exec_lo
	v_add3_u32 v16, v3, v16, 0x88fffff
	v_lshrrev_b32_e32 v16, 21, v16
	s_andn2_saveexec_b32 s14, s14
	s_cbranch_execnz .LBB154_2450
.LBB154_2007:
	s_or_b32 exec_lo, exec_lo, s14
	v_mov_b32_e32 v17, 0
	s_and_saveexec_b32 s14, s11
.LBB154_2008:
	v_lshrrev_b32_e32 v3, 24, v3
	v_and_or_b32 v17, 0x80, v3, v16
.LBB154_2009:
	s_or_b32 exec_lo, exec_lo, s14
.LBB154_2010:
	s_or_b32 exec_lo, exec_lo, s10
	s_mov_b32 s10, 0
	global_store_byte v[5:6], v17, off
.LBB154_2011:
	s_and_b32 vcc_lo, exec_lo, s10
	s_cbranch_vccz .LBB154_2021
; %bb.2012:
	v_cvt_f32_f16_e32 v3, v1
	s_mov_b32 s10, exec_lo
                                        ; implicit-def: $vgpr16
	v_and_b32_e32 v17, 0x7fffffff, v3
	v_cmpx_gt_u32_e32 0x43f00000, v17
	s_xor_b32 s10, exec_lo, s10
	s_cbranch_execz .LBB154_2018
; %bb.2013:
	s_mov_b32 s11, exec_lo
                                        ; implicit-def: $vgpr16
	v_cmpx_lt_u32_e32 0x3c7fffff, v17
	s_xor_b32 s11, exec_lo, s11
; %bb.2014:
	v_bfe_u32 v16, v3, 20, 1
	v_add3_u32 v16, v3, v16, 0x407ffff
	v_and_b32_e32 v17, 0xff00000, v16
	v_lshrrev_b32_e32 v16, 20, v16
	v_cmp_ne_u32_e32 vcc_lo, 0x7f00000, v17
	v_cndmask_b32_e32 v16, 0x7e, v16, vcc_lo
; %bb.2015:
	s_andn2_saveexec_b32 s11, s11
; %bb.2016:
	v_add_f32_e64 v16, 0x46800000, |v3|
; %bb.2017:
	s_or_b32 exec_lo, exec_lo, s11
                                        ; implicit-def: $vgpr17
.LBB154_2018:
	s_andn2_saveexec_b32 s10, s10
; %bb.2019:
	v_mov_b32_e32 v16, 0x7f
	v_cmp_lt_u32_e32 vcc_lo, 0x7f800000, v17
	v_cndmask_b32_e32 v16, 0x7e, v16, vcc_lo
; %bb.2020:
	s_or_b32 exec_lo, exec_lo, s10
	v_lshrrev_b32_e32 v3, 24, v3
	v_and_or_b32 v3, 0x80, v3, v16
	global_store_byte v[5:6], v3, off
.LBB154_2021:
	s_mov_b32 s10, 0
.LBB154_2022:
	s_andn2_b32 vcc_lo, exec_lo, s10
	s_cbranch_vccnz .LBB154_2032
; %bb.2023:
	v_cvt_f32_f16_e32 v3, v1
	s_mov_b32 s10, exec_lo
                                        ; implicit-def: $vgpr16
	v_and_b32_e32 v17, 0x7fffffff, v3
	v_cmpx_gt_u32_e32 0x47800000, v17
	s_xor_b32 s10, exec_lo, s10
	s_cbranch_execz .LBB154_2029
; %bb.2024:
	s_mov_b32 s11, exec_lo
                                        ; implicit-def: $vgpr16
	v_cmpx_lt_u32_e32 0x387fffff, v17
	s_xor_b32 s11, exec_lo, s11
; %bb.2025:
	v_bfe_u32 v16, v3, 21, 1
	v_add3_u32 v16, v3, v16, 0x80fffff
	v_lshrrev_b32_e32 v16, 21, v16
; %bb.2026:
	s_andn2_saveexec_b32 s11, s11
; %bb.2027:
	v_add_f32_e64 v16, 0x43000000, |v3|
; %bb.2028:
	s_or_b32 exec_lo, exec_lo, s11
                                        ; implicit-def: $vgpr17
.LBB154_2029:
	s_andn2_saveexec_b32 s10, s10
; %bb.2030:
	v_mov_b32_e32 v16, 0x7f
	v_cmp_lt_u32_e32 vcc_lo, 0x7f800000, v17
	v_cndmask_b32_e32 v16, 0x7c, v16, vcc_lo
; %bb.2031:
	s_or_b32 exec_lo, exec_lo, s10
	v_lshrrev_b32_e32 v3, 24, v3
	v_and_or_b32 v3, 0x80, v3, v16
	global_store_byte v[5:6], v3, off
.LBB154_2032:
	s_mov_b32 s10, 0
	s_mov_b32 s11, -1
.LBB154_2033:
	s_andn2_b32 vcc_lo, exec_lo, s10
	s_mov_b32 s10, 0
	s_cbranch_vccnz .LBB154_2040
; %bb.2034:
	s_cmp_gt_i32 s7, 14
	s_mov_b32 s10, -1
	s_cbranch_scc0 .LBB154_2038
; %bb.2035:
	s_cmp_eq_u32 s7, 15
	s_mov_b32 s0, -1
	s_cbranch_scc0 .LBB154_2037
; %bb.2036:
	v_cvt_f32_f16_e32 v3, v1
	v_cmp_o_f16_e32 vcc_lo, v1, v1
	s_mov_b32 s0, 0
	s_mov_b32 s11, -1
	v_bfe_u32 v16, v3, 16, 1
	v_add3_u32 v3, v3, v16, 0x7fff
	v_mov_b32_e32 v16, 0x7fc0
	v_cndmask_b32_sdwa v3, v16, v3, vcc_lo dst_sel:DWORD dst_unused:UNUSED_PAD src0_sel:DWORD src1_sel:WORD_1
	global_store_short v[5:6], v3, off
.LBB154_2037:
	s_mov_b32 s10, 0
.LBB154_2038:
	s_and_b32 vcc_lo, exec_lo, s10
	s_mov_b32 s10, 0
	s_cbranch_vccz .LBB154_2040
; %bb.2039:
	s_cmp_lg_u32 s7, 11
	s_mov_b32 s10, -1
	s_cselect_b32 s0, -1, 0
.LBB154_2040:
	s_and_b32 vcc_lo, exec_lo, s0
	s_cbranch_vccnz .LBB154_2448
; %bb.2041:
	s_andn2_b32 vcc_lo, exec_lo, s10
	s_cbranch_vccnz .LBB154_2043
.LBB154_2042:
	v_cmp_neq_f16_e32 vcc_lo, 0, v1
	s_mov_b32 s11, -1
	v_cndmask_b32_e64 v3, 0, 1, vcc_lo
	global_store_byte v[5:6], v3, off
.LBB154_2043:
	s_mov_b32 s0, 0
	s_branch .LBB154_2045
.LBB154_2044:
	s_mov_b32 s0, -1
	s_mov_b32 s11, 0
.LBB154_2045:
	s_and_b32 vcc_lo, exec_lo, s0
	s_cbranch_vccz .LBB154_2084
; %bb.2046:
	s_and_b32 s0, 0xffff, s4
	s_mov_b32 s4, -1
	s_cmp_lt_i32 s0, 5
	s_cbranch_scc1 .LBB154_2067
; %bb.2047:
	s_cmp_lt_i32 s0, 8
	s_cbranch_scc1 .LBB154_2057
; %bb.2048:
	;; [unrolled: 3-line block ×3, first 2 shown]
	s_cmp_gt_i32 s0, 9
	s_cbranch_scc0 .LBB154_2051
; %bb.2050:
	v_cvt_f32_f16_e32 v3, v1
	v_mov_b32_e32 v18, 0
	s_mov_b32 s4, 0
	v_cvt_f64_f32_e32 v[16:17], v3
	v_mov_b32_e32 v19, v18
	global_store_dwordx4 v[5:6], v[16:19], off
.LBB154_2051:
	s_andn2_b32 vcc_lo, exec_lo, s4
	s_cbranch_vccnz .LBB154_2053
; %bb.2052:
	v_cvt_f32_f16_e32 v16, v1
	v_mov_b32_e32 v17, 0
	global_store_dwordx2 v[5:6], v[16:17], off
.LBB154_2053:
	s_mov_b32 s4, 0
.LBB154_2054:
	s_andn2_b32 vcc_lo, exec_lo, s4
	s_cbranch_vccnz .LBB154_2056
; %bb.2055:
	v_and_b32_e32 v3, 0xffff, v1
	global_store_dword v[5:6], v3, off
.LBB154_2056:
	s_mov_b32 s4, 0
.LBB154_2057:
	s_andn2_b32 vcc_lo, exec_lo, s4
	s_cbranch_vccnz .LBB154_2066
; %bb.2058:
	s_cmp_lt_i32 s0, 6
	s_mov_b32 s4, -1
	s_cbranch_scc1 .LBB154_2064
; %bb.2059:
	s_cmp_gt_i32 s0, 6
	s_cbranch_scc0 .LBB154_2061
; %bb.2060:
	v_cvt_f32_f16_e32 v3, v1
	s_mov_b32 s4, 0
	v_cvt_f64_f32_e32 v[16:17], v3
	global_store_dwordx2 v[5:6], v[16:17], off
.LBB154_2061:
	s_andn2_b32 vcc_lo, exec_lo, s4
	s_cbranch_vccnz .LBB154_2063
; %bb.2062:
	v_cvt_f32_f16_e32 v3, v1
	global_store_dword v[5:6], v3, off
.LBB154_2063:
	s_mov_b32 s4, 0
.LBB154_2064:
	s_andn2_b32 vcc_lo, exec_lo, s4
	s_cbranch_vccnz .LBB154_2066
; %bb.2065:
	global_store_short v[5:6], v1, off
.LBB154_2066:
	s_mov_b32 s4, 0
.LBB154_2067:
	s_andn2_b32 vcc_lo, exec_lo, s4
	s_cbranch_vccnz .LBB154_2083
; %bb.2068:
	s_cmp_lt_i32 s0, 2
	s_mov_b32 s4, -1
	s_cbranch_scc1 .LBB154_2078
; %bb.2069:
	s_cmp_lt_i32 s0, 3
	s_cbranch_scc1 .LBB154_2075
; %bb.2070:
	s_cmp_gt_i32 s0, 3
	s_cbranch_scc0 .LBB154_2072
; %bb.2071:
	v_cvt_f32_f16_e32 v3, v1
	s_mov_b32 s4, 0
	v_cvt_i32_f32_e32 v16, v3
	v_ashrrev_i32_e32 v17, 31, v16
	global_store_dwordx2 v[5:6], v[16:17], off
.LBB154_2072:
	s_andn2_b32 vcc_lo, exec_lo, s4
	s_cbranch_vccnz .LBB154_2074
; %bb.2073:
	v_cvt_f32_f16_e32 v3, v1
	v_cvt_i32_f32_e32 v3, v3
	global_store_dword v[5:6], v3, off
.LBB154_2074:
	s_mov_b32 s4, 0
.LBB154_2075:
	s_andn2_b32 vcc_lo, exec_lo, s4
	s_cbranch_vccnz .LBB154_2077
; %bb.2076:
	v_cvt_i16_f16_e32 v3, v1
	global_store_short v[5:6], v3, off
.LBB154_2077:
	s_mov_b32 s4, 0
.LBB154_2078:
	s_andn2_b32 vcc_lo, exec_lo, s4
	s_cbranch_vccnz .LBB154_2083
; %bb.2079:
	s_cmp_gt_i32 s0, 0
	s_mov_b32 s0, -1
	s_cbranch_scc0 .LBB154_2081
; %bb.2080:
	v_cvt_i16_f16_e32 v3, v1
	s_mov_b32 s0, 0
	global_store_byte v[5:6], v3, off
.LBB154_2081:
	s_andn2_b32 vcc_lo, exec_lo, s0
	s_cbranch_vccnz .LBB154_2083
; %bb.2082:
	v_cvt_f32_f16_e32 v1, v1
	v_cvt_i32_f32_e32 v1, v1
	global_store_byte v[5:6], v1, off
.LBB154_2083:
	s_mov_b32 s11, -1
.LBB154_2084:
	s_andn2_b32 vcc_lo, exec_lo, s11
	s_cbranch_vccnz .LBB154_2399
; %bb.2085:
	v_cmp_gt_f32_e64 s0, 0x4b000000, |v10|
	v_cvt_f16_f32_e32 v1, v13
	s_or_b32 vcc_lo, s1, s0
	v_cmp_class_f32_e64 s0, v10, 0x264
	v_cndmask_b32_e32 v1, 0x7c00, v1, vcc_lo
	v_cmp_u_f16_e32 vcc_lo, v12, v12
	v_cndmask_b32_e64 v1, v1, 0x7c00, s0
	s_lshr_b32 s0, s6, 8
	s_and_b32 s1, s0, 0xff
	v_add_co_u32 v3, s0, s8, v4
	v_cndmask_b32_e32 v1, v1, v12, vcc_lo
	v_add_co_ci_u32_e64 v4, null, s9, 0, s0
	s_cmp_lt_i32 s1, 11
	s_cbranch_scc1 .LBB154_2163
; %bb.2086:
	s_and_b32 s4, 0xffff, s1
	s_mov_b32 s10, -1
	s_mov_b32 s6, 0
	s_cmp_gt_i32 s4, 25
	s_mov_b32 s7, 0
	s_mov_b32 s0, 0
	s_cbranch_scc0 .LBB154_2119
; %bb.2087:
	s_cmp_gt_i32 s4, 28
	s_cbranch_scc0 .LBB154_2102
; %bb.2088:
	s_cmp_gt_i32 s4, 43
	;; [unrolled: 3-line block ×3, first 2 shown]
	s_cbranch_scc0 .LBB154_2092
; %bb.2090:
	s_mov_b32 s0, -1
	s_mov_b32 s10, 0
	s_cmp_eq_u32 s4, 46
	s_cbranch_scc0 .LBB154_2092
; %bb.2091:
	v_cvt_f32_f16_e32 v5, v1
	v_cmp_o_f16_e32 vcc_lo, v1, v1
	s_mov_b32 s0, 0
	s_mov_b32 s7, -1
	v_bfe_u32 v6, v5, 16, 1
	v_add3_u32 v5, v5, v6, 0x7fff
	v_mov_b32_e32 v6, 0x7fc0
	v_cndmask_b32_sdwa v5, v6, v5, vcc_lo dst_sel:DWORD dst_unused:UNUSED_PAD src0_sel:DWORD src1_sel:WORD_1
	global_store_dword v[3:4], v5, off
.LBB154_2092:
	s_and_b32 vcc_lo, exec_lo, s10
	s_cbranch_vccz .LBB154_2097
; %bb.2093:
	s_cmp_eq_u32 s4, 44
	s_mov_b32 s0, -1
	s_cbranch_scc0 .LBB154_2097
; %bb.2094:
	v_cvt_f32_f16_e32 v5, v1
	v_mov_b32_e32 v6, 0xff
	s_mov_b32 s7, exec_lo
	v_bfe_u32 v10, v5, 23, 8
	v_cmpx_ne_u32_e32 0xff, v10
	s_cbranch_execz .LBB154_2096
; %bb.2095:
	v_and_b32_e32 v6, 0x400000, v5
	v_and_or_b32 v10, 0x3fffff, v5, v10
	v_lshrrev_b32_e32 v5, 23, v5
	v_cmp_ne_u32_e32 vcc_lo, 0, v6
	v_cmp_ne_u32_e64 s0, 0, v10
	s_and_b32 s0, vcc_lo, s0
	v_cndmask_b32_e64 v6, 0, 1, s0
	v_add_nc_u32_e32 v6, v5, v6
.LBB154_2096:
	s_or_b32 exec_lo, exec_lo, s7
	s_mov_b32 s0, 0
	s_mov_b32 s7, -1
	global_store_byte v[3:4], v6, off
.LBB154_2097:
	s_mov_b32 s10, 0
.LBB154_2098:
	s_and_b32 vcc_lo, exec_lo, s10
	s_cbranch_vccz .LBB154_2101
; %bb.2099:
	s_cmp_eq_u32 s4, 29
	s_mov_b32 s0, -1
	s_cbranch_scc0 .LBB154_2101
; %bb.2100:
	v_cvt_f32_f16_e32 v5, v1
	v_mov_b32_e32 v6, 0
	s_mov_b32 s0, 0
	s_mov_b32 s7, -1
	v_cvt_u32_f32_e32 v5, v5
	global_store_dwordx2 v[3:4], v[5:6], off
.LBB154_2101:
	s_mov_b32 s10, 0
.LBB154_2102:
	s_and_b32 vcc_lo, exec_lo, s10
	s_cbranch_vccz .LBB154_2118
; %bb.2103:
	s_cmp_lt_i32 s4, 27
	s_mov_b32 s7, -1
	s_cbranch_scc1 .LBB154_2109
; %bb.2104:
	s_cmp_gt_i32 s4, 27
	s_cbranch_scc0 .LBB154_2106
; %bb.2105:
	v_cvt_f32_f16_e32 v5, v1
	s_mov_b32 s7, 0
	v_cvt_u32_f32_e32 v5, v5
	global_store_dword v[3:4], v5, off
.LBB154_2106:
	s_andn2_b32 vcc_lo, exec_lo, s7
	s_cbranch_vccnz .LBB154_2108
; %bb.2107:
	v_cvt_u16_f16_e32 v5, v1
	global_store_short v[3:4], v5, off
.LBB154_2108:
	s_mov_b32 s7, 0
.LBB154_2109:
	s_andn2_b32 vcc_lo, exec_lo, s7
	s_cbranch_vccnz .LBB154_2117
; %bb.2110:
	v_cvt_f32_f16_e32 v5, v1
	v_mov_b32_e32 v10, 0x80
	s_mov_b32 s7, exec_lo
	v_and_b32_e32 v6, 0x7fffffff, v5
	v_cmpx_gt_u32_e32 0x43800000, v6
	s_cbranch_execz .LBB154_2116
; %bb.2111:
	v_cmp_lt_u32_e32 vcc_lo, 0x3bffffff, v6
	s_mov_b32 s10, 0
                                        ; implicit-def: $vgpr6
	s_and_saveexec_b32 s11, vcc_lo
	s_xor_b32 s11, exec_lo, s11
	s_cbranch_execz .LBB154_2451
; %bb.2112:
	v_bfe_u32 v6, v5, 20, 1
	s_mov_b32 s10, exec_lo
	v_add3_u32 v6, v5, v6, 0x487ffff
	v_lshrrev_b32_e32 v6, 20, v6
	s_andn2_saveexec_b32 s11, s11
	s_cbranch_execnz .LBB154_2452
.LBB154_2113:
	s_or_b32 exec_lo, exec_lo, s11
	v_mov_b32_e32 v10, 0
	s_and_saveexec_b32 s11, s10
.LBB154_2114:
	v_lshrrev_b32_e32 v5, 24, v5
	v_and_or_b32 v10, 0x80, v5, v6
.LBB154_2115:
	s_or_b32 exec_lo, exec_lo, s11
.LBB154_2116:
	s_or_b32 exec_lo, exec_lo, s7
	global_store_byte v[3:4], v10, off
.LBB154_2117:
	s_mov_b32 s7, -1
.LBB154_2118:
	s_mov_b32 s10, 0
.LBB154_2119:
	s_and_b32 vcc_lo, exec_lo, s10
	s_cbranch_vccz .LBB154_2159
; %bb.2120:
	s_cmp_gt_i32 s4, 22
	s_mov_b32 s6, -1
	s_cbranch_scc0 .LBB154_2152
; %bb.2121:
	s_cmp_lt_i32 s4, 24
	s_cbranch_scc1 .LBB154_2141
; %bb.2122:
	s_cmp_gt_i32 s4, 24
	s_cbranch_scc0 .LBB154_2130
; %bb.2123:
	v_cvt_f32_f16_e32 v5, v1
	v_mov_b32_e32 v10, 0x80
	s_mov_b32 s6, exec_lo
	v_and_b32_e32 v6, 0x7fffffff, v5
	v_cmpx_gt_u32_e32 0x47800000, v6
	s_cbranch_execz .LBB154_2129
; %bb.2124:
	v_cmp_lt_u32_e32 vcc_lo, 0x37ffffff, v6
	s_mov_b32 s7, 0
                                        ; implicit-def: $vgpr6
	s_and_saveexec_b32 s10, vcc_lo
	s_xor_b32 s10, exec_lo, s10
	s_cbranch_execz .LBB154_2454
; %bb.2125:
	v_bfe_u32 v6, v5, 21, 1
	s_mov_b32 s7, exec_lo
	v_add3_u32 v6, v5, v6, 0x88fffff
	v_lshrrev_b32_e32 v6, 21, v6
	s_andn2_saveexec_b32 s10, s10
	s_cbranch_execnz .LBB154_2455
.LBB154_2126:
	s_or_b32 exec_lo, exec_lo, s10
	v_mov_b32_e32 v10, 0
	s_and_saveexec_b32 s10, s7
.LBB154_2127:
	v_lshrrev_b32_e32 v5, 24, v5
	v_and_or_b32 v10, 0x80, v5, v6
.LBB154_2128:
	s_or_b32 exec_lo, exec_lo, s10
.LBB154_2129:
	s_or_b32 exec_lo, exec_lo, s6
	s_mov_b32 s6, 0
	global_store_byte v[3:4], v10, off
.LBB154_2130:
	s_and_b32 vcc_lo, exec_lo, s6
	s_cbranch_vccz .LBB154_2140
; %bb.2131:
	v_cvt_f32_f16_e32 v5, v1
	s_mov_b32 s6, exec_lo
                                        ; implicit-def: $vgpr6
	v_and_b32_e32 v10, 0x7fffffff, v5
	v_cmpx_gt_u32_e32 0x43f00000, v10
	s_xor_b32 s6, exec_lo, s6
	s_cbranch_execz .LBB154_2137
; %bb.2132:
	s_mov_b32 s7, exec_lo
                                        ; implicit-def: $vgpr6
	v_cmpx_lt_u32_e32 0x3c7fffff, v10
	s_xor_b32 s7, exec_lo, s7
; %bb.2133:
	v_bfe_u32 v6, v5, 20, 1
	v_add3_u32 v6, v5, v6, 0x407ffff
	v_and_b32_e32 v10, 0xff00000, v6
	v_lshrrev_b32_e32 v6, 20, v6
	v_cmp_ne_u32_e32 vcc_lo, 0x7f00000, v10
	v_cndmask_b32_e32 v6, 0x7e, v6, vcc_lo
; %bb.2134:
	s_andn2_saveexec_b32 s7, s7
; %bb.2135:
	v_add_f32_e64 v6, 0x46800000, |v5|
; %bb.2136:
	s_or_b32 exec_lo, exec_lo, s7
                                        ; implicit-def: $vgpr10
.LBB154_2137:
	s_andn2_saveexec_b32 s6, s6
; %bb.2138:
	v_mov_b32_e32 v6, 0x7f
	v_cmp_lt_u32_e32 vcc_lo, 0x7f800000, v10
	v_cndmask_b32_e32 v6, 0x7e, v6, vcc_lo
; %bb.2139:
	s_or_b32 exec_lo, exec_lo, s6
	v_lshrrev_b32_e32 v5, 24, v5
	v_and_or_b32 v5, 0x80, v5, v6
	global_store_byte v[3:4], v5, off
.LBB154_2140:
	s_mov_b32 s6, 0
.LBB154_2141:
	s_andn2_b32 vcc_lo, exec_lo, s6
	s_cbranch_vccnz .LBB154_2151
; %bb.2142:
	v_cvt_f32_f16_e32 v5, v1
	s_mov_b32 s6, exec_lo
                                        ; implicit-def: $vgpr6
	v_and_b32_e32 v10, 0x7fffffff, v5
	v_cmpx_gt_u32_e32 0x47800000, v10
	s_xor_b32 s6, exec_lo, s6
	s_cbranch_execz .LBB154_2148
; %bb.2143:
	s_mov_b32 s7, exec_lo
                                        ; implicit-def: $vgpr6
	v_cmpx_lt_u32_e32 0x387fffff, v10
	s_xor_b32 s7, exec_lo, s7
; %bb.2144:
	v_bfe_u32 v6, v5, 21, 1
	v_add3_u32 v6, v5, v6, 0x80fffff
	v_lshrrev_b32_e32 v6, 21, v6
; %bb.2145:
	s_andn2_saveexec_b32 s7, s7
; %bb.2146:
	v_add_f32_e64 v6, 0x43000000, |v5|
; %bb.2147:
	s_or_b32 exec_lo, exec_lo, s7
                                        ; implicit-def: $vgpr10
.LBB154_2148:
	s_andn2_saveexec_b32 s6, s6
; %bb.2149:
	v_mov_b32_e32 v6, 0x7f
	v_cmp_lt_u32_e32 vcc_lo, 0x7f800000, v10
	v_cndmask_b32_e32 v6, 0x7c, v6, vcc_lo
; %bb.2150:
	s_or_b32 exec_lo, exec_lo, s6
	v_lshrrev_b32_e32 v5, 24, v5
	v_and_or_b32 v5, 0x80, v5, v6
	global_store_byte v[3:4], v5, off
.LBB154_2151:
	s_mov_b32 s6, 0
	s_mov_b32 s7, -1
.LBB154_2152:
	s_andn2_b32 vcc_lo, exec_lo, s6
	s_mov_b32 s6, 0
	s_cbranch_vccnz .LBB154_2159
; %bb.2153:
	s_cmp_gt_i32 s4, 14
	s_mov_b32 s6, -1
	s_cbranch_scc0 .LBB154_2157
; %bb.2154:
	s_cmp_eq_u32 s4, 15
	s_mov_b32 s0, -1
	s_cbranch_scc0 .LBB154_2156
; %bb.2155:
	v_cvt_f32_f16_e32 v5, v1
	v_cmp_o_f16_e32 vcc_lo, v1, v1
	s_mov_b32 s0, 0
	s_mov_b32 s7, -1
	v_bfe_u32 v6, v5, 16, 1
	v_add3_u32 v5, v5, v6, 0x7fff
	v_mov_b32_e32 v6, 0x7fc0
	v_cndmask_b32_sdwa v5, v6, v5, vcc_lo dst_sel:DWORD dst_unused:UNUSED_PAD src0_sel:DWORD src1_sel:WORD_1
	global_store_short v[3:4], v5, off
.LBB154_2156:
	s_mov_b32 s6, 0
.LBB154_2157:
	s_and_b32 vcc_lo, exec_lo, s6
	s_mov_b32 s6, 0
	s_cbranch_vccz .LBB154_2159
; %bb.2158:
	s_cmp_lg_u32 s4, 11
	s_mov_b32 s6, -1
	s_cselect_b32 s0, -1, 0
.LBB154_2159:
	s_and_b32 vcc_lo, exec_lo, s0
	s_cbranch_vccnz .LBB154_2453
; %bb.2160:
	s_andn2_b32 vcc_lo, exec_lo, s6
	s_cbranch_vccnz .LBB154_2162
.LBB154_2161:
	v_cmp_neq_f16_e32 vcc_lo, 0, v1
	s_mov_b32 s7, -1
	v_cndmask_b32_e64 v5, 0, 1, vcc_lo
	global_store_byte v[3:4], v5, off
.LBB154_2162:
	s_mov_b32 s0, 0
	s_branch .LBB154_2164
.LBB154_2163:
	s_mov_b32 s0, -1
	s_mov_b32 s7, 0
.LBB154_2164:
	s_and_b32 vcc_lo, exec_lo, s0
	s_cbranch_vccz .LBB154_2203
; %bb.2165:
	s_and_b32 s0, 0xffff, s1
	s_mov_b32 s4, -1
	s_cmp_lt_i32 s0, 5
	s_cbranch_scc1 .LBB154_2186
; %bb.2166:
	s_cmp_lt_i32 s0, 8
	s_cbranch_scc1 .LBB154_2176
; %bb.2167:
	;; [unrolled: 3-line block ×3, first 2 shown]
	s_cmp_gt_i32 s0, 9
	s_cbranch_scc0 .LBB154_2170
; %bb.2169:
	v_cvt_f32_f16_e32 v5, v1
	v_mov_b32_e32 v18, 0
	s_mov_b32 s4, 0
	v_cvt_f64_f32_e32 v[16:17], v5
	v_mov_b32_e32 v19, v18
	global_store_dwordx4 v[3:4], v[16:19], off
.LBB154_2170:
	s_andn2_b32 vcc_lo, exec_lo, s4
	s_cbranch_vccnz .LBB154_2172
; %bb.2171:
	v_cvt_f32_f16_e32 v5, v1
	v_mov_b32_e32 v6, 0
	global_store_dwordx2 v[3:4], v[5:6], off
.LBB154_2172:
	s_mov_b32 s4, 0
.LBB154_2173:
	s_andn2_b32 vcc_lo, exec_lo, s4
	s_cbranch_vccnz .LBB154_2175
; %bb.2174:
	v_and_b32_e32 v5, 0xffff, v1
	global_store_dword v[3:4], v5, off
.LBB154_2175:
	s_mov_b32 s4, 0
.LBB154_2176:
	s_andn2_b32 vcc_lo, exec_lo, s4
	s_cbranch_vccnz .LBB154_2185
; %bb.2177:
	s_cmp_lt_i32 s0, 6
	s_mov_b32 s4, -1
	s_cbranch_scc1 .LBB154_2183
; %bb.2178:
	s_cmp_gt_i32 s0, 6
	s_cbranch_scc0 .LBB154_2180
; %bb.2179:
	v_cvt_f32_f16_e32 v5, v1
	s_mov_b32 s4, 0
	v_cvt_f64_f32_e32 v[5:6], v5
	global_store_dwordx2 v[3:4], v[5:6], off
.LBB154_2180:
	s_andn2_b32 vcc_lo, exec_lo, s4
	s_cbranch_vccnz .LBB154_2182
; %bb.2181:
	v_cvt_f32_f16_e32 v5, v1
	global_store_dword v[3:4], v5, off
.LBB154_2182:
	s_mov_b32 s4, 0
.LBB154_2183:
	s_andn2_b32 vcc_lo, exec_lo, s4
	s_cbranch_vccnz .LBB154_2185
; %bb.2184:
	global_store_short v[3:4], v1, off
.LBB154_2185:
	s_mov_b32 s4, 0
.LBB154_2186:
	s_andn2_b32 vcc_lo, exec_lo, s4
	s_cbranch_vccnz .LBB154_2202
; %bb.2187:
	s_cmp_lt_i32 s0, 2
	s_mov_b32 s4, -1
	s_cbranch_scc1 .LBB154_2197
; %bb.2188:
	s_cmp_lt_i32 s0, 3
	s_cbranch_scc1 .LBB154_2194
; %bb.2189:
	s_cmp_gt_i32 s0, 3
	s_cbranch_scc0 .LBB154_2191
; %bb.2190:
	v_cvt_f32_f16_e32 v5, v1
	s_mov_b32 s4, 0
	v_cvt_i32_f32_e32 v5, v5
	v_ashrrev_i32_e32 v6, 31, v5
	global_store_dwordx2 v[3:4], v[5:6], off
.LBB154_2191:
	s_andn2_b32 vcc_lo, exec_lo, s4
	s_cbranch_vccnz .LBB154_2193
; %bb.2192:
	v_cvt_f32_f16_e32 v5, v1
	v_cvt_i32_f32_e32 v5, v5
	global_store_dword v[3:4], v5, off
.LBB154_2193:
	s_mov_b32 s4, 0
.LBB154_2194:
	s_andn2_b32 vcc_lo, exec_lo, s4
	s_cbranch_vccnz .LBB154_2196
; %bb.2195:
	v_cvt_i16_f16_e32 v5, v1
	global_store_short v[3:4], v5, off
.LBB154_2196:
	s_mov_b32 s4, 0
.LBB154_2197:
	s_andn2_b32 vcc_lo, exec_lo, s4
	s_cbranch_vccnz .LBB154_2202
; %bb.2198:
	s_cmp_gt_i32 s0, 0
	s_mov_b32 s0, -1
	s_cbranch_scc0 .LBB154_2200
; %bb.2199:
	v_cvt_i16_f16_e32 v5, v1
	s_mov_b32 s0, 0
	global_store_byte v[3:4], v5, off
.LBB154_2200:
	s_andn2_b32 vcc_lo, exec_lo, s0
	s_cbranch_vccnz .LBB154_2202
; %bb.2201:
	v_cvt_f32_f16_e32 v1, v1
	v_cvt_i32_f32_e32 v1, v1
	global_store_byte v[3:4], v1, off
.LBB154_2202:
	s_mov_b32 s7, -1
.LBB154_2203:
	s_andn2_b32 vcc_lo, exec_lo, s7
	s_cbranch_vccnz .LBB154_2399
; %bb.2204:
	v_cmp_gt_f32_e64 s0, 0x4b000000, |v9|
	v_cvt_f16_f32_e32 v1, v15
	s_or_b32 vcc_lo, s2, s0
	v_cmp_class_f32_e64 s0, v9, 0x264
	v_cndmask_b32_e32 v1, 0x7c00, v1, vcc_lo
	v_cmp_u_f16_e32 vcc_lo, v11, v11
	s_cmp_lt_i32 s1, 11
	v_cndmask_b32_e64 v1, v1, 0x7c00, s0
	v_cndmask_b32_e32 v3, v1, v11, vcc_lo
	v_add_co_u32 v1, s0, s8, v2
	v_add_co_ci_u32_e64 v2, null, s9, 0, s0
	s_cbranch_scc1 .LBB154_2282
; %bb.2205:
	s_and_b32 s2, 0xffff, s1
	s_mov_b32 s7, -1
	s_mov_b32 s4, 0
	s_cmp_gt_i32 s2, 25
	s_mov_b32 s6, 0
	s_mov_b32 s0, 0
	s_cbranch_scc0 .LBB154_2238
; %bb.2206:
	s_cmp_gt_i32 s2, 28
	s_cbranch_scc0 .LBB154_2221
; %bb.2207:
	s_cmp_gt_i32 s2, 43
	;; [unrolled: 3-line block ×3, first 2 shown]
	s_cbranch_scc0 .LBB154_2211
; %bb.2209:
	s_mov_b32 s0, -1
	s_mov_b32 s7, 0
	s_cmp_eq_u32 s2, 46
	s_cbranch_scc0 .LBB154_2211
; %bb.2210:
	v_cvt_f32_f16_e32 v4, v3
	v_cmp_o_f16_e32 vcc_lo, v3, v3
	s_mov_b32 s0, 0
	s_mov_b32 s6, -1
	v_bfe_u32 v5, v4, 16, 1
	v_add3_u32 v4, v4, v5, 0x7fff
	v_mov_b32_e32 v5, 0x7fc0
	v_cndmask_b32_sdwa v4, v5, v4, vcc_lo dst_sel:DWORD dst_unused:UNUSED_PAD src0_sel:DWORD src1_sel:WORD_1
	global_store_dword v[1:2], v4, off
.LBB154_2211:
	s_and_b32 vcc_lo, exec_lo, s7
	s_cbranch_vccz .LBB154_2216
; %bb.2212:
	s_cmp_eq_u32 s2, 44
	s_mov_b32 s0, -1
	s_cbranch_scc0 .LBB154_2216
; %bb.2213:
	v_cvt_f32_f16_e32 v4, v3
	v_mov_b32_e32 v5, 0xff
	s_mov_b32 s6, exec_lo
	v_bfe_u32 v6, v4, 23, 8
	v_cmpx_ne_u32_e32 0xff, v6
	s_cbranch_execz .LBB154_2215
; %bb.2214:
	v_and_b32_e32 v5, 0x400000, v4
	v_and_or_b32 v6, 0x3fffff, v4, v6
	v_lshrrev_b32_e32 v4, 23, v4
	v_cmp_ne_u32_e32 vcc_lo, 0, v5
	v_cmp_ne_u32_e64 s0, 0, v6
	s_and_b32 s0, vcc_lo, s0
	v_cndmask_b32_e64 v5, 0, 1, s0
	v_add_nc_u32_e32 v5, v4, v5
.LBB154_2215:
	s_or_b32 exec_lo, exec_lo, s6
	s_mov_b32 s0, 0
	s_mov_b32 s6, -1
	global_store_byte v[1:2], v5, off
.LBB154_2216:
	s_mov_b32 s7, 0
.LBB154_2217:
	s_and_b32 vcc_lo, exec_lo, s7
	s_cbranch_vccz .LBB154_2220
; %bb.2218:
	s_cmp_eq_u32 s2, 29
	s_mov_b32 s0, -1
	s_cbranch_scc0 .LBB154_2220
; %bb.2219:
	v_cvt_f32_f16_e32 v4, v3
	v_mov_b32_e32 v5, 0
	s_mov_b32 s0, 0
	s_mov_b32 s6, -1
	v_cvt_u32_f32_e32 v4, v4
	global_store_dwordx2 v[1:2], v[4:5], off
.LBB154_2220:
	s_mov_b32 s7, 0
.LBB154_2221:
	s_and_b32 vcc_lo, exec_lo, s7
	s_cbranch_vccz .LBB154_2237
; %bb.2222:
	s_cmp_lt_i32 s2, 27
	s_mov_b32 s6, -1
	s_cbranch_scc1 .LBB154_2228
; %bb.2223:
	s_cmp_gt_i32 s2, 27
	s_cbranch_scc0 .LBB154_2225
; %bb.2224:
	v_cvt_f32_f16_e32 v4, v3
	s_mov_b32 s6, 0
	v_cvt_u32_f32_e32 v4, v4
	global_store_dword v[1:2], v4, off
.LBB154_2225:
	s_andn2_b32 vcc_lo, exec_lo, s6
	s_cbranch_vccnz .LBB154_2227
; %bb.2226:
	v_cvt_u16_f16_e32 v4, v3
	global_store_short v[1:2], v4, off
.LBB154_2227:
	s_mov_b32 s6, 0
.LBB154_2228:
	s_andn2_b32 vcc_lo, exec_lo, s6
	s_cbranch_vccnz .LBB154_2236
; %bb.2229:
	v_cvt_f32_f16_e32 v4, v3
	v_mov_b32_e32 v6, 0x80
	s_mov_b32 s6, exec_lo
	v_and_b32_e32 v5, 0x7fffffff, v4
	v_cmpx_gt_u32_e32 0x43800000, v5
	s_cbranch_execz .LBB154_2235
; %bb.2230:
	v_cmp_lt_u32_e32 vcc_lo, 0x3bffffff, v5
	s_mov_b32 s7, 0
                                        ; implicit-def: $vgpr5
	s_and_saveexec_b32 s10, vcc_lo
	s_xor_b32 s10, exec_lo, s10
	s_cbranch_execz .LBB154_2456
; %bb.2231:
	v_bfe_u32 v5, v4, 20, 1
	s_mov_b32 s7, exec_lo
	v_add3_u32 v5, v4, v5, 0x487ffff
	v_lshrrev_b32_e32 v5, 20, v5
	s_andn2_saveexec_b32 s10, s10
	s_cbranch_execnz .LBB154_2457
.LBB154_2232:
	s_or_b32 exec_lo, exec_lo, s10
	v_mov_b32_e32 v6, 0
	s_and_saveexec_b32 s10, s7
.LBB154_2233:
	v_lshrrev_b32_e32 v4, 24, v4
	v_and_or_b32 v6, 0x80, v4, v5
.LBB154_2234:
	s_or_b32 exec_lo, exec_lo, s10
.LBB154_2235:
	s_or_b32 exec_lo, exec_lo, s6
	global_store_byte v[1:2], v6, off
.LBB154_2236:
	s_mov_b32 s6, -1
.LBB154_2237:
	s_mov_b32 s7, 0
.LBB154_2238:
	s_and_b32 vcc_lo, exec_lo, s7
	s_cbranch_vccz .LBB154_2278
; %bb.2239:
	s_cmp_gt_i32 s2, 22
	s_mov_b32 s4, -1
	s_cbranch_scc0 .LBB154_2271
; %bb.2240:
	s_cmp_lt_i32 s2, 24
	s_cbranch_scc1 .LBB154_2260
; %bb.2241:
	s_cmp_gt_i32 s2, 24
	s_cbranch_scc0 .LBB154_2249
; %bb.2242:
	v_cvt_f32_f16_e32 v4, v3
	v_mov_b32_e32 v6, 0x80
	s_mov_b32 s4, exec_lo
	v_and_b32_e32 v5, 0x7fffffff, v4
	v_cmpx_gt_u32_e32 0x47800000, v5
	s_cbranch_execz .LBB154_2248
; %bb.2243:
	v_cmp_lt_u32_e32 vcc_lo, 0x37ffffff, v5
	s_mov_b32 s6, 0
                                        ; implicit-def: $vgpr5
	s_and_saveexec_b32 s7, vcc_lo
	s_xor_b32 s7, exec_lo, s7
	s_cbranch_execz .LBB154_2459
; %bb.2244:
	v_bfe_u32 v5, v4, 21, 1
	s_mov_b32 s6, exec_lo
	v_add3_u32 v5, v4, v5, 0x88fffff
	v_lshrrev_b32_e32 v5, 21, v5
	s_andn2_saveexec_b32 s7, s7
	s_cbranch_execnz .LBB154_2460
.LBB154_2245:
	s_or_b32 exec_lo, exec_lo, s7
	v_mov_b32_e32 v6, 0
	s_and_saveexec_b32 s7, s6
.LBB154_2246:
	v_lshrrev_b32_e32 v4, 24, v4
	v_and_or_b32 v6, 0x80, v4, v5
.LBB154_2247:
	s_or_b32 exec_lo, exec_lo, s7
.LBB154_2248:
	s_or_b32 exec_lo, exec_lo, s4
	s_mov_b32 s4, 0
	global_store_byte v[1:2], v6, off
.LBB154_2249:
	s_and_b32 vcc_lo, exec_lo, s4
	s_cbranch_vccz .LBB154_2259
; %bb.2250:
	v_cvt_f32_f16_e32 v4, v3
	s_mov_b32 s4, exec_lo
                                        ; implicit-def: $vgpr5
	v_and_b32_e32 v6, 0x7fffffff, v4
	v_cmpx_gt_u32_e32 0x43f00000, v6
	s_xor_b32 s4, exec_lo, s4
	s_cbranch_execz .LBB154_2256
; %bb.2251:
	s_mov_b32 s6, exec_lo
                                        ; implicit-def: $vgpr5
	v_cmpx_lt_u32_e32 0x3c7fffff, v6
	s_xor_b32 s6, exec_lo, s6
; %bb.2252:
	v_bfe_u32 v5, v4, 20, 1
	v_add3_u32 v5, v4, v5, 0x407ffff
	v_and_b32_e32 v6, 0xff00000, v5
	v_lshrrev_b32_e32 v5, 20, v5
	v_cmp_ne_u32_e32 vcc_lo, 0x7f00000, v6
	v_cndmask_b32_e32 v5, 0x7e, v5, vcc_lo
; %bb.2253:
	s_andn2_saveexec_b32 s6, s6
; %bb.2254:
	v_add_f32_e64 v5, 0x46800000, |v4|
; %bb.2255:
	s_or_b32 exec_lo, exec_lo, s6
                                        ; implicit-def: $vgpr6
.LBB154_2256:
	s_andn2_saveexec_b32 s4, s4
; %bb.2257:
	v_mov_b32_e32 v5, 0x7f
	v_cmp_lt_u32_e32 vcc_lo, 0x7f800000, v6
	v_cndmask_b32_e32 v5, 0x7e, v5, vcc_lo
; %bb.2258:
	s_or_b32 exec_lo, exec_lo, s4
	v_lshrrev_b32_e32 v4, 24, v4
	v_and_or_b32 v4, 0x80, v4, v5
	global_store_byte v[1:2], v4, off
.LBB154_2259:
	s_mov_b32 s4, 0
.LBB154_2260:
	s_andn2_b32 vcc_lo, exec_lo, s4
	s_cbranch_vccnz .LBB154_2270
; %bb.2261:
	v_cvt_f32_f16_e32 v4, v3
	s_mov_b32 s4, exec_lo
                                        ; implicit-def: $vgpr5
	v_and_b32_e32 v6, 0x7fffffff, v4
	v_cmpx_gt_u32_e32 0x47800000, v6
	s_xor_b32 s4, exec_lo, s4
	s_cbranch_execz .LBB154_2267
; %bb.2262:
	s_mov_b32 s6, exec_lo
                                        ; implicit-def: $vgpr5
	v_cmpx_lt_u32_e32 0x387fffff, v6
	s_xor_b32 s6, exec_lo, s6
; %bb.2263:
	v_bfe_u32 v5, v4, 21, 1
	v_add3_u32 v5, v4, v5, 0x80fffff
	v_lshrrev_b32_e32 v5, 21, v5
; %bb.2264:
	s_andn2_saveexec_b32 s6, s6
; %bb.2265:
	v_add_f32_e64 v5, 0x43000000, |v4|
; %bb.2266:
	s_or_b32 exec_lo, exec_lo, s6
                                        ; implicit-def: $vgpr6
.LBB154_2267:
	s_andn2_saveexec_b32 s4, s4
; %bb.2268:
	v_mov_b32_e32 v5, 0x7f
	v_cmp_lt_u32_e32 vcc_lo, 0x7f800000, v6
	v_cndmask_b32_e32 v5, 0x7c, v5, vcc_lo
; %bb.2269:
	s_or_b32 exec_lo, exec_lo, s4
	v_lshrrev_b32_e32 v4, 24, v4
	v_and_or_b32 v4, 0x80, v4, v5
	global_store_byte v[1:2], v4, off
.LBB154_2270:
	s_mov_b32 s4, 0
	s_mov_b32 s6, -1
.LBB154_2271:
	s_andn2_b32 vcc_lo, exec_lo, s4
	s_mov_b32 s4, 0
	s_cbranch_vccnz .LBB154_2278
; %bb.2272:
	s_cmp_gt_i32 s2, 14
	s_mov_b32 s4, -1
	s_cbranch_scc0 .LBB154_2276
; %bb.2273:
	s_cmp_eq_u32 s2, 15
	s_mov_b32 s0, -1
	s_cbranch_scc0 .LBB154_2275
; %bb.2274:
	v_cvt_f32_f16_e32 v4, v3
	v_cmp_o_f16_e32 vcc_lo, v3, v3
	s_mov_b32 s0, 0
	s_mov_b32 s6, -1
	v_bfe_u32 v5, v4, 16, 1
	v_add3_u32 v4, v4, v5, 0x7fff
	v_mov_b32_e32 v5, 0x7fc0
	v_cndmask_b32_sdwa v4, v5, v4, vcc_lo dst_sel:DWORD dst_unused:UNUSED_PAD src0_sel:DWORD src1_sel:WORD_1
	global_store_short v[1:2], v4, off
.LBB154_2275:
	s_mov_b32 s4, 0
.LBB154_2276:
	s_and_b32 vcc_lo, exec_lo, s4
	s_mov_b32 s4, 0
	s_cbranch_vccz .LBB154_2278
; %bb.2277:
	s_cmp_lg_u32 s2, 11
	s_mov_b32 s4, -1
	s_cselect_b32 s0, -1, 0
.LBB154_2278:
	s_and_b32 vcc_lo, exec_lo, s0
	s_cbranch_vccnz .LBB154_2458
; %bb.2279:
	s_andn2_b32 vcc_lo, exec_lo, s4
	s_cbranch_vccnz .LBB154_2281
.LBB154_2280:
	v_cmp_neq_f16_e32 vcc_lo, 0, v3
	s_mov_b32 s6, -1
	v_cndmask_b32_e64 v4, 0, 1, vcc_lo
	global_store_byte v[1:2], v4, off
.LBB154_2281:
	s_mov_b32 s0, 0
	s_branch .LBB154_2283
.LBB154_2282:
	s_mov_b32 s0, -1
	s_mov_b32 s6, 0
.LBB154_2283:
	s_and_b32 vcc_lo, exec_lo, s0
	s_cbranch_vccz .LBB154_2322
; %bb.2284:
	s_and_b32 s0, 0xffff, s1
	s_mov_b32 s2, -1
	s_cmp_lt_i32 s0, 5
	s_cbranch_scc1 .LBB154_2305
; %bb.2285:
	s_cmp_lt_i32 s0, 8
	s_cbranch_scc1 .LBB154_2295
; %bb.2286:
	;; [unrolled: 3-line block ×3, first 2 shown]
	s_cmp_gt_i32 s0, 9
	s_cbranch_scc0 .LBB154_2289
; %bb.2288:
	v_cvt_f32_f16_e32 v4, v3
	v_mov_b32_e32 v11, 0
	s_mov_b32 s2, 0
	v_cvt_f64_f32_e32 v[9:10], v4
	v_mov_b32_e32 v12, v11
	global_store_dwordx4 v[1:2], v[9:12], off
.LBB154_2289:
	s_andn2_b32 vcc_lo, exec_lo, s2
	s_cbranch_vccnz .LBB154_2291
; %bb.2290:
	v_cvt_f32_f16_e32 v4, v3
	v_mov_b32_e32 v5, 0
	global_store_dwordx2 v[1:2], v[4:5], off
.LBB154_2291:
	s_mov_b32 s2, 0
.LBB154_2292:
	s_andn2_b32 vcc_lo, exec_lo, s2
	s_cbranch_vccnz .LBB154_2294
; %bb.2293:
	v_and_b32_e32 v4, 0xffff, v3
	global_store_dword v[1:2], v4, off
.LBB154_2294:
	s_mov_b32 s2, 0
.LBB154_2295:
	s_andn2_b32 vcc_lo, exec_lo, s2
	s_cbranch_vccnz .LBB154_2304
; %bb.2296:
	s_cmp_lt_i32 s0, 6
	s_mov_b32 s2, -1
	s_cbranch_scc1 .LBB154_2302
; %bb.2297:
	s_cmp_gt_i32 s0, 6
	s_cbranch_scc0 .LBB154_2299
; %bb.2298:
	v_cvt_f32_f16_e32 v4, v3
	s_mov_b32 s2, 0
	v_cvt_f64_f32_e32 v[4:5], v4
	global_store_dwordx2 v[1:2], v[4:5], off
.LBB154_2299:
	s_andn2_b32 vcc_lo, exec_lo, s2
	s_cbranch_vccnz .LBB154_2301
; %bb.2300:
	v_cvt_f32_f16_e32 v4, v3
	global_store_dword v[1:2], v4, off
.LBB154_2301:
	s_mov_b32 s2, 0
.LBB154_2302:
	s_andn2_b32 vcc_lo, exec_lo, s2
	s_cbranch_vccnz .LBB154_2304
; %bb.2303:
	global_store_short v[1:2], v3, off
.LBB154_2304:
	s_mov_b32 s2, 0
.LBB154_2305:
	s_andn2_b32 vcc_lo, exec_lo, s2
	s_cbranch_vccnz .LBB154_2321
; %bb.2306:
	s_cmp_lt_i32 s0, 2
	s_mov_b32 s2, -1
	s_cbranch_scc1 .LBB154_2316
; %bb.2307:
	s_cmp_lt_i32 s0, 3
	s_cbranch_scc1 .LBB154_2313
; %bb.2308:
	s_cmp_gt_i32 s0, 3
	s_cbranch_scc0 .LBB154_2310
; %bb.2309:
	v_cvt_f32_f16_e32 v4, v3
	s_mov_b32 s2, 0
	v_cvt_i32_f32_e32 v4, v4
	v_ashrrev_i32_e32 v5, 31, v4
	global_store_dwordx2 v[1:2], v[4:5], off
.LBB154_2310:
	s_andn2_b32 vcc_lo, exec_lo, s2
	s_cbranch_vccnz .LBB154_2312
; %bb.2311:
	v_cvt_f32_f16_e32 v4, v3
	v_cvt_i32_f32_e32 v4, v4
	global_store_dword v[1:2], v4, off
.LBB154_2312:
	s_mov_b32 s2, 0
.LBB154_2313:
	s_andn2_b32 vcc_lo, exec_lo, s2
	s_cbranch_vccnz .LBB154_2315
; %bb.2314:
	v_cvt_i16_f16_e32 v4, v3
	global_store_short v[1:2], v4, off
.LBB154_2315:
	s_mov_b32 s2, 0
.LBB154_2316:
	s_andn2_b32 vcc_lo, exec_lo, s2
	s_cbranch_vccnz .LBB154_2321
; %bb.2317:
	s_cmp_gt_i32 s0, 0
	s_mov_b32 s0, -1
	s_cbranch_scc0 .LBB154_2319
; %bb.2318:
	v_cvt_i16_f16_e32 v4, v3
	s_mov_b32 s0, 0
	global_store_byte v[1:2], v4, off
.LBB154_2319:
	s_andn2_b32 vcc_lo, exec_lo, s0
	s_cbranch_vccnz .LBB154_2321
; %bb.2320:
	v_cvt_f32_f16_e32 v3, v3
	v_cvt_i32_f32_e32 v3, v3
	global_store_byte v[1:2], v3, off
.LBB154_2321:
	s_mov_b32 s6, -1
.LBB154_2322:
	s_andn2_b32 vcc_lo, exec_lo, s6
	s_cbranch_vccnz .LBB154_2399
; %bb.2323:
	v_cmp_gt_f32_e64 s0, 0x4b000000, |v7|
	v_cvt_f16_f32_e32 v1, v8
	s_or_b32 vcc_lo, s3, s0
	v_cmp_class_f32_e64 s0, v7, 0x264
	v_cndmask_b32_e32 v1, 0x7c00, v1, vcc_lo
	v_cmp_u_f16_e32 vcc_lo, v14, v14
	s_cmp_lt_i32 s1, 11
	v_cndmask_b32_e64 v1, v1, 0x7c00, s0
	v_add_co_u32 v0, s0, s8, v0
	v_cndmask_b32_e32 v2, v1, v14, vcc_lo
	v_add_co_ci_u32_e64 v1, null, s9, 0, s0
	s_cbranch_scc1 .LBB154_2444
; %bb.2324:
	s_and_b32 s2, 0xffff, s1
	s_mov_b32 s4, -1
	s_mov_b32 s3, 0
	s_cmp_gt_i32 s2, 25
	s_mov_b32 s0, 0
	s_cbranch_scc0 .LBB154_2357
; %bb.2325:
	s_cmp_gt_i32 s2, 28
	s_cbranch_scc0 .LBB154_2341
; %bb.2326:
	s_cmp_gt_i32 s2, 43
	s_cbranch_scc0 .LBB154_2337
; %bb.2327:
	s_cmp_gt_i32 s2, 45
	s_cbranch_scc0 .LBB154_2331
; %bb.2328:
	s_cmp_eq_u32 s2, 46
	s_mov_b32 s0, -1
	s_cbranch_scc0 .LBB154_2330
; %bb.2329:
	v_cvt_f32_f16_e32 v3, v2
	v_cmp_o_f16_e32 vcc_lo, v2, v2
	s_mov_b32 s0, 0
	v_bfe_u32 v4, v3, 16, 1
	v_add3_u32 v3, v3, v4, 0x7fff
	v_mov_b32_e32 v4, 0x7fc0
	v_cndmask_b32_sdwa v3, v4, v3, vcc_lo dst_sel:DWORD dst_unused:UNUSED_PAD src0_sel:DWORD src1_sel:WORD_1
	global_store_dword v[0:1], v3, off
.LBB154_2330:
	s_mov_b32 s4, 0
.LBB154_2331:
	s_and_b32 vcc_lo, exec_lo, s4
	s_cbranch_vccz .LBB154_2336
; %bb.2332:
	s_cmp_eq_u32 s2, 44
	s_mov_b32 s0, -1
	s_cbranch_scc0 .LBB154_2336
; %bb.2333:
	v_cvt_f32_f16_e32 v3, v2
	v_mov_b32_e32 v4, 0xff
	s_mov_b32 s4, exec_lo
	v_bfe_u32 v5, v3, 23, 8
	v_cmpx_ne_u32_e32 0xff, v5
	s_cbranch_execz .LBB154_2335
; %bb.2334:
	v_and_b32_e32 v4, 0x400000, v3
	v_and_or_b32 v5, 0x3fffff, v3, v5
	v_lshrrev_b32_e32 v3, 23, v3
	v_cmp_ne_u32_e32 vcc_lo, 0, v4
	v_cmp_ne_u32_e64 s0, 0, v5
	s_and_b32 s0, vcc_lo, s0
	v_cndmask_b32_e64 v4, 0, 1, s0
	v_add_nc_u32_e32 v4, v3, v4
.LBB154_2335:
	s_or_b32 exec_lo, exec_lo, s4
	s_mov_b32 s0, 0
	global_store_byte v[0:1], v4, off
.LBB154_2336:
	s_mov_b32 s4, 0
.LBB154_2337:
	s_and_b32 vcc_lo, exec_lo, s4
	s_cbranch_vccz .LBB154_2340
; %bb.2338:
	s_cmp_eq_u32 s2, 29
	s_mov_b32 s0, -1
	s_cbranch_scc0 .LBB154_2340
; %bb.2339:
	v_cvt_f32_f16_e32 v3, v2
	v_mov_b32_e32 v4, 0
	s_mov_b32 s0, 0
	v_cvt_u32_f32_e32 v3, v3
	global_store_dwordx2 v[0:1], v[3:4], off
.LBB154_2340:
	s_mov_b32 s4, 0
.LBB154_2341:
	s_and_b32 vcc_lo, exec_lo, s4
	s_cbranch_vccz .LBB154_2356
; %bb.2342:
	s_cmp_lt_i32 s2, 27
	s_mov_b32 s4, -1
	s_cbranch_scc1 .LBB154_2348
; %bb.2343:
	s_cmp_gt_i32 s2, 27
	s_cbranch_scc0 .LBB154_2345
; %bb.2344:
	v_cvt_f32_f16_e32 v3, v2
	s_mov_b32 s4, 0
	v_cvt_u32_f32_e32 v3, v3
	global_store_dword v[0:1], v3, off
.LBB154_2345:
	s_andn2_b32 vcc_lo, exec_lo, s4
	s_cbranch_vccnz .LBB154_2347
; %bb.2346:
	v_cvt_u16_f16_e32 v3, v2
	global_store_short v[0:1], v3, off
.LBB154_2347:
	s_mov_b32 s4, 0
.LBB154_2348:
	s_andn2_b32 vcc_lo, exec_lo, s4
	s_cbranch_vccnz .LBB154_2356
; %bb.2349:
	v_cvt_f32_f16_e32 v3, v2
	v_mov_b32_e32 v5, 0x80
	s_mov_b32 s4, exec_lo
	v_and_b32_e32 v4, 0x7fffffff, v3
	v_cmpx_gt_u32_e32 0x43800000, v4
	s_cbranch_execz .LBB154_2355
; %bb.2350:
	v_cmp_lt_u32_e32 vcc_lo, 0x3bffffff, v4
	s_mov_b32 s6, 0
                                        ; implicit-def: $vgpr4
	s_and_saveexec_b32 s7, vcc_lo
	s_xor_b32 s7, exec_lo, s7
	s_cbranch_execz .LBB154_2461
; %bb.2351:
	v_bfe_u32 v4, v3, 20, 1
	s_mov_b32 s6, exec_lo
	v_add3_u32 v4, v3, v4, 0x487ffff
	v_lshrrev_b32_e32 v4, 20, v4
	s_andn2_saveexec_b32 s7, s7
	s_cbranch_execnz .LBB154_2462
.LBB154_2352:
	s_or_b32 exec_lo, exec_lo, s7
	v_mov_b32_e32 v5, 0
	s_and_saveexec_b32 s7, s6
.LBB154_2353:
	v_lshrrev_b32_e32 v3, 24, v3
	v_and_or_b32 v5, 0x80, v3, v4
.LBB154_2354:
	s_or_b32 exec_lo, exec_lo, s7
.LBB154_2355:
	s_or_b32 exec_lo, exec_lo, s4
	global_store_byte v[0:1], v5, off
.LBB154_2356:
	s_mov_b32 s4, 0
.LBB154_2357:
	s_and_b32 vcc_lo, exec_lo, s4
	s_cbranch_vccz .LBB154_2397
; %bb.2358:
	s_cmp_gt_i32 s2, 22
	s_mov_b32 s3, -1
	s_cbranch_scc0 .LBB154_2390
; %bb.2359:
	s_cmp_lt_i32 s2, 24
	s_cbranch_scc1 .LBB154_2379
; %bb.2360:
	s_cmp_gt_i32 s2, 24
	s_cbranch_scc0 .LBB154_2368
; %bb.2361:
	v_cvt_f32_f16_e32 v3, v2
	v_mov_b32_e32 v5, 0x80
	s_mov_b32 s3, exec_lo
	v_and_b32_e32 v4, 0x7fffffff, v3
	v_cmpx_gt_u32_e32 0x47800000, v4
	s_cbranch_execz .LBB154_2367
; %bb.2362:
	v_cmp_lt_u32_e32 vcc_lo, 0x37ffffff, v4
	s_mov_b32 s4, 0
                                        ; implicit-def: $vgpr4
	s_and_saveexec_b32 s6, vcc_lo
	s_xor_b32 s6, exec_lo, s6
	s_cbranch_execz .LBB154_2464
; %bb.2363:
	v_bfe_u32 v4, v3, 21, 1
	s_mov_b32 s4, exec_lo
	v_add3_u32 v4, v3, v4, 0x88fffff
	v_lshrrev_b32_e32 v4, 21, v4
	s_andn2_saveexec_b32 s6, s6
	s_cbranch_execnz .LBB154_2465
.LBB154_2364:
	s_or_b32 exec_lo, exec_lo, s6
	v_mov_b32_e32 v5, 0
	s_and_saveexec_b32 s6, s4
.LBB154_2365:
	v_lshrrev_b32_e32 v3, 24, v3
	v_and_or_b32 v5, 0x80, v3, v4
.LBB154_2366:
	s_or_b32 exec_lo, exec_lo, s6
.LBB154_2367:
	s_or_b32 exec_lo, exec_lo, s3
	s_mov_b32 s3, 0
	global_store_byte v[0:1], v5, off
.LBB154_2368:
	s_and_b32 vcc_lo, exec_lo, s3
	s_cbranch_vccz .LBB154_2378
; %bb.2369:
	v_cvt_f32_f16_e32 v3, v2
	s_mov_b32 s3, exec_lo
                                        ; implicit-def: $vgpr4
	v_and_b32_e32 v5, 0x7fffffff, v3
	v_cmpx_gt_u32_e32 0x43f00000, v5
	s_xor_b32 s3, exec_lo, s3
	s_cbranch_execz .LBB154_2375
; %bb.2370:
	s_mov_b32 s4, exec_lo
                                        ; implicit-def: $vgpr4
	v_cmpx_lt_u32_e32 0x3c7fffff, v5
	s_xor_b32 s4, exec_lo, s4
; %bb.2371:
	v_bfe_u32 v4, v3, 20, 1
	v_add3_u32 v4, v3, v4, 0x407ffff
	v_and_b32_e32 v5, 0xff00000, v4
	v_lshrrev_b32_e32 v4, 20, v4
	v_cmp_ne_u32_e32 vcc_lo, 0x7f00000, v5
	v_cndmask_b32_e32 v4, 0x7e, v4, vcc_lo
; %bb.2372:
	s_andn2_saveexec_b32 s4, s4
; %bb.2373:
	v_add_f32_e64 v4, 0x46800000, |v3|
; %bb.2374:
	s_or_b32 exec_lo, exec_lo, s4
                                        ; implicit-def: $vgpr5
.LBB154_2375:
	s_andn2_saveexec_b32 s3, s3
; %bb.2376:
	v_mov_b32_e32 v4, 0x7f
	v_cmp_lt_u32_e32 vcc_lo, 0x7f800000, v5
	v_cndmask_b32_e32 v4, 0x7e, v4, vcc_lo
; %bb.2377:
	s_or_b32 exec_lo, exec_lo, s3
	v_lshrrev_b32_e32 v3, 24, v3
	v_and_or_b32 v3, 0x80, v3, v4
	global_store_byte v[0:1], v3, off
.LBB154_2378:
	s_mov_b32 s3, 0
.LBB154_2379:
	s_andn2_b32 vcc_lo, exec_lo, s3
	s_cbranch_vccnz .LBB154_2389
; %bb.2380:
	v_cvt_f32_f16_e32 v3, v2
	s_mov_b32 s3, exec_lo
                                        ; implicit-def: $vgpr4
	v_and_b32_e32 v5, 0x7fffffff, v3
	v_cmpx_gt_u32_e32 0x47800000, v5
	s_xor_b32 s3, exec_lo, s3
	s_cbranch_execz .LBB154_2386
; %bb.2381:
	s_mov_b32 s4, exec_lo
                                        ; implicit-def: $vgpr4
	v_cmpx_lt_u32_e32 0x387fffff, v5
	s_xor_b32 s4, exec_lo, s4
; %bb.2382:
	v_bfe_u32 v4, v3, 21, 1
	v_add3_u32 v4, v3, v4, 0x80fffff
	v_lshrrev_b32_e32 v4, 21, v4
; %bb.2383:
	s_andn2_saveexec_b32 s4, s4
; %bb.2384:
	v_add_f32_e64 v4, 0x43000000, |v3|
; %bb.2385:
	s_or_b32 exec_lo, exec_lo, s4
                                        ; implicit-def: $vgpr5
.LBB154_2386:
	s_andn2_saveexec_b32 s3, s3
; %bb.2387:
	v_mov_b32_e32 v4, 0x7f
	v_cmp_lt_u32_e32 vcc_lo, 0x7f800000, v5
	v_cndmask_b32_e32 v4, 0x7c, v4, vcc_lo
; %bb.2388:
	s_or_b32 exec_lo, exec_lo, s3
	v_lshrrev_b32_e32 v3, 24, v3
	v_and_or_b32 v3, 0x80, v3, v4
	global_store_byte v[0:1], v3, off
.LBB154_2389:
	s_mov_b32 s3, 0
.LBB154_2390:
	s_andn2_b32 vcc_lo, exec_lo, s3
	s_mov_b32 s3, 0
	s_cbranch_vccnz .LBB154_2397
; %bb.2391:
	s_cmp_gt_i32 s2, 14
	s_mov_b32 s3, -1
	s_cbranch_scc0 .LBB154_2395
; %bb.2392:
	s_cmp_eq_u32 s2, 15
	s_mov_b32 s0, -1
	s_cbranch_scc0 .LBB154_2394
; %bb.2393:
	v_cvt_f32_f16_e32 v3, v2
	v_cmp_o_f16_e32 vcc_lo, v2, v2
	s_mov_b32 s0, 0
	v_bfe_u32 v4, v3, 16, 1
	v_add3_u32 v3, v3, v4, 0x7fff
	v_mov_b32_e32 v4, 0x7fc0
	v_cndmask_b32_sdwa v3, v4, v3, vcc_lo dst_sel:DWORD dst_unused:UNUSED_PAD src0_sel:DWORD src1_sel:WORD_1
	global_store_short v[0:1], v3, off
.LBB154_2394:
	s_mov_b32 s3, 0
.LBB154_2395:
	s_and_b32 vcc_lo, exec_lo, s3
	s_mov_b32 s3, 0
	s_cbranch_vccz .LBB154_2397
; %bb.2396:
	s_cmp_lg_u32 s2, 11
	s_mov_b32 s3, -1
	s_cselect_b32 s0, -1, 0
.LBB154_2397:
	s_and_b32 vcc_lo, exec_lo, s0
	s_cbranch_vccnz .LBB154_2463
.LBB154_2398:
	s_mov_b32 s0, 0
	s_branch .LBB154_2400
.LBB154_2399:
	s_mov_b32 s0, 0
	s_mov_b32 s3, 0
                                        ; implicit-def: $vgpr0_vgpr1
                                        ; implicit-def: $sgpr1
                                        ; implicit-def: $vgpr2
.LBB154_2400:
	s_andn2_b32 s2, s12, exec_lo
	s_and_b32 s4, s5, exec_lo
	s_and_b32 s0, s0, exec_lo
	;; [unrolled: 1-line block ×3, first 2 shown]
	s_or_b32 s12, s2, s4
.LBB154_2401:
	s_or_b32 exec_lo, exec_lo, s13
	s_and_saveexec_b32 s2, s12
	s_cbranch_execz .LBB154_2404
; %bb.2402:
	; divergent unreachable
	s_or_b32 exec_lo, exec_lo, s2
	s_and_saveexec_b32 s2, s26
	s_xor_b32 s2, exec_lo, s2
	s_cbranch_execnz .LBB154_2405
.LBB154_2403:
	s_or_b32 exec_lo, exec_lo, s2
	s_and_saveexec_b32 s2, s0
	s_cbranch_execnz .LBB154_2406
	s_branch .LBB154_2443
.LBB154_2404:
	s_or_b32 exec_lo, exec_lo, s2
	s_and_saveexec_b32 s2, s26
	s_xor_b32 s2, exec_lo, s2
	s_cbranch_execz .LBB154_2403
.LBB154_2405:
	v_cmp_neq_f16_e32 vcc_lo, 0, v2
	s_waitcnt vmcnt(0)
	v_cndmask_b32_e64 v3, 0, 1, vcc_lo
	global_store_byte v[0:1], v3, off
	s_or_b32 exec_lo, exec_lo, s2
	s_and_saveexec_b32 s2, s0
	s_cbranch_execz .LBB154_2443
.LBB154_2406:
	s_sext_i32_i16 s2, s1
	s_mov_b32 s0, -1
	s_cmp_lt_i32 s2, 5
	s_cbranch_scc1 .LBB154_2427
; %bb.2407:
	s_cmp_lt_i32 s2, 8
	s_cbranch_scc1 .LBB154_2417
; %bb.2408:
	;; [unrolled: 3-line block ×3, first 2 shown]
	s_cmp_gt_i32 s2, 9
	s_cbranch_scc0 .LBB154_2411
; %bb.2410:
	s_waitcnt vmcnt(0)
	v_cvt_f32_f16_e32 v3, v2
	v_mov_b32_e32 v5, 0
	s_mov_b32 s0, 0
	v_cvt_f64_f32_e32 v[3:4], v3
	v_mov_b32_e32 v6, v5
	global_store_dwordx4 v[0:1], v[3:6], off
.LBB154_2411:
	s_andn2_b32 vcc_lo, exec_lo, s0
	s_cbranch_vccnz .LBB154_2413
; %bb.2412:
	s_waitcnt vmcnt(0)
	v_cvt_f32_f16_e32 v3, v2
	v_mov_b32_e32 v4, 0
	global_store_dwordx2 v[0:1], v[3:4], off
.LBB154_2413:
	s_mov_b32 s0, 0
.LBB154_2414:
	s_andn2_b32 vcc_lo, exec_lo, s0
	s_cbranch_vccnz .LBB154_2416
; %bb.2415:
	s_waitcnt vmcnt(0)
	v_and_b32_e32 v3, 0xffff, v2
	global_store_dword v[0:1], v3, off
.LBB154_2416:
	s_mov_b32 s0, 0
.LBB154_2417:
	s_andn2_b32 vcc_lo, exec_lo, s0
	s_cbranch_vccnz .LBB154_2426
; %bb.2418:
	s_sext_i32_i16 s2, s1
	s_mov_b32 s0, -1
	s_cmp_lt_i32 s2, 6
	s_cbranch_scc1 .LBB154_2424
; %bb.2419:
	s_cmp_gt_i32 s2, 6
	s_cbranch_scc0 .LBB154_2421
; %bb.2420:
	s_waitcnt vmcnt(0)
	v_cvt_f32_f16_e32 v3, v2
	s_mov_b32 s0, 0
	v_cvt_f64_f32_e32 v[3:4], v3
	global_store_dwordx2 v[0:1], v[3:4], off
.LBB154_2421:
	s_andn2_b32 vcc_lo, exec_lo, s0
	s_cbranch_vccnz .LBB154_2423
; %bb.2422:
	s_waitcnt vmcnt(0)
	v_cvt_f32_f16_e32 v3, v2
	global_store_dword v[0:1], v3, off
.LBB154_2423:
	s_mov_b32 s0, 0
.LBB154_2424:
	s_andn2_b32 vcc_lo, exec_lo, s0
	s_cbranch_vccnz .LBB154_2426
; %bb.2425:
	s_waitcnt vmcnt(0)
	global_store_short v[0:1], v2, off
.LBB154_2426:
	s_mov_b32 s0, 0
.LBB154_2427:
	s_andn2_b32 vcc_lo, exec_lo, s0
	s_cbranch_vccnz .LBB154_2443
; %bb.2428:
	s_sext_i32_i16 s2, s1
	s_mov_b32 s0, -1
	s_cmp_lt_i32 s2, 2
	s_cbranch_scc1 .LBB154_2438
; %bb.2429:
	s_cmp_lt_i32 s2, 3
	s_cbranch_scc1 .LBB154_2435
; %bb.2430:
	s_cmp_gt_i32 s2, 3
	s_cbranch_scc0 .LBB154_2432
; %bb.2431:
	s_waitcnt vmcnt(0)
	v_cvt_f32_f16_e32 v3, v2
	s_mov_b32 s0, 0
	v_cvt_i32_f32_e32 v3, v3
	v_ashrrev_i32_e32 v4, 31, v3
	global_store_dwordx2 v[0:1], v[3:4], off
.LBB154_2432:
	s_andn2_b32 vcc_lo, exec_lo, s0
	s_cbranch_vccnz .LBB154_2434
; %bb.2433:
	s_waitcnt vmcnt(0)
	v_cvt_f32_f16_e32 v3, v2
	v_cvt_i32_f32_e32 v3, v3
	global_store_dword v[0:1], v3, off
.LBB154_2434:
	s_mov_b32 s0, 0
.LBB154_2435:
	s_andn2_b32 vcc_lo, exec_lo, s0
	s_cbranch_vccnz .LBB154_2437
; %bb.2436:
	s_waitcnt vmcnt(0)
	v_cvt_i16_f16_e32 v3, v2
	global_store_short v[0:1], v3, off
.LBB154_2437:
	s_mov_b32 s0, 0
.LBB154_2438:
	s_andn2_b32 vcc_lo, exec_lo, s0
	s_cbranch_vccnz .LBB154_2443
; %bb.2439:
	s_sext_i32_i16 s0, s1
	s_cmp_gt_i32 s0, 0
	s_mov_b32 s0, -1
	s_cbranch_scc0 .LBB154_2441
; %bb.2440:
	s_waitcnt vmcnt(0)
	v_cvt_i16_f16_e32 v3, v2
	s_mov_b32 s0, 0
	global_store_byte v[0:1], v3, off
.LBB154_2441:
	s_andn2_b32 vcc_lo, exec_lo, s0
	s_cbranch_vccnz .LBB154_2443
; %bb.2442:
	v_cvt_f32_f16_e32 v2, v2
	v_cvt_i32_f32_e32 v2, v2
	s_waitcnt vmcnt(0)
	global_store_byte v[0:1], v2, off
	s_endpgm
.LBB154_2443:
	s_endpgm
.LBB154_2444:
	s_mov_b32 s3, 0
	s_mov_b32 s0, -1
	s_branch .LBB154_2400
.LBB154_2445:
	s_or_b32 s5, s5, exec_lo
	s_trap 2
	s_cbranch_execz .LBB154_1876
	s_branch .LBB154_1877
.LBB154_2446:
	s_andn2_saveexec_b32 s15, s15
	s_cbranch_execz .LBB154_1994
.LBB154_2447:
	v_add_f32_e64 v16, 0x46000000, |v3|
	s_andn2_b32 s14, s14, exec_lo
	v_and_b32_e32 v16, 0xff, v16
	v_cmp_ne_u32_e32 vcc_lo, 0, v16
	s_and_b32 s16, vcc_lo, exec_lo
	s_or_b32 s14, s14, s16
	s_or_b32 exec_lo, exec_lo, s15
	v_mov_b32_e32 v17, 0
	s_and_saveexec_b32 s15, s14
	s_cbranch_execnz .LBB154_1995
	s_branch .LBB154_1996
.LBB154_2448:
	s_or_b32 s5, s5, exec_lo
	s_trap 2
	s_cbranch_execz .LBB154_2042
	s_branch .LBB154_2043
.LBB154_2449:
	s_andn2_saveexec_b32 s14, s14
	s_cbranch_execz .LBB154_2007
.LBB154_2450:
	v_add_f32_e64 v16, 0x42800000, |v3|
	s_andn2_b32 s11, s11, exec_lo
	v_and_b32_e32 v16, 0xff, v16
	v_cmp_ne_u32_e32 vcc_lo, 0, v16
	s_and_b32 s15, vcc_lo, exec_lo
	s_or_b32 s11, s11, s15
	s_or_b32 exec_lo, exec_lo, s14
	v_mov_b32_e32 v17, 0
	s_and_saveexec_b32 s14, s11
	s_cbranch_execnz .LBB154_2008
	s_branch .LBB154_2009
.LBB154_2451:
	s_andn2_saveexec_b32 s11, s11
	s_cbranch_execz .LBB154_2113
.LBB154_2452:
	v_add_f32_e64 v6, 0x46000000, |v5|
	s_andn2_b32 s10, s10, exec_lo
	v_and_b32_e32 v6, 0xff, v6
	v_cmp_ne_u32_e32 vcc_lo, 0, v6
	s_and_b32 s14, vcc_lo, exec_lo
	s_or_b32 s10, s10, s14
	s_or_b32 exec_lo, exec_lo, s11
	v_mov_b32_e32 v10, 0
	s_and_saveexec_b32 s11, s10
	s_cbranch_execnz .LBB154_2114
	s_branch .LBB154_2115
.LBB154_2453:
	s_or_b32 s5, s5, exec_lo
	s_trap 2
	s_cbranch_execz .LBB154_2161
	s_branch .LBB154_2162
.LBB154_2454:
	s_andn2_saveexec_b32 s10, s10
	s_cbranch_execz .LBB154_2126
.LBB154_2455:
	v_add_f32_e64 v6, 0x42800000, |v5|
	s_andn2_b32 s7, s7, exec_lo
	v_and_b32_e32 v6, 0xff, v6
	v_cmp_ne_u32_e32 vcc_lo, 0, v6
	s_and_b32 s11, vcc_lo, exec_lo
	s_or_b32 s7, s7, s11
	s_or_b32 exec_lo, exec_lo, s10
	v_mov_b32_e32 v10, 0
	s_and_saveexec_b32 s10, s7
	s_cbranch_execnz .LBB154_2127
	s_branch .LBB154_2128
.LBB154_2456:
	s_andn2_saveexec_b32 s10, s10
	s_cbranch_execz .LBB154_2232
.LBB154_2457:
	v_add_f32_e64 v5, 0x46000000, |v4|
	s_andn2_b32 s7, s7, exec_lo
	v_and_b32_e32 v5, 0xff, v5
	v_cmp_ne_u32_e32 vcc_lo, 0, v5
	s_and_b32 s11, vcc_lo, exec_lo
	s_or_b32 s7, s7, s11
	s_or_b32 exec_lo, exec_lo, s10
	v_mov_b32_e32 v6, 0
	s_and_saveexec_b32 s10, s7
	s_cbranch_execnz .LBB154_2233
	s_branch .LBB154_2234
.LBB154_2458:
	s_or_b32 s5, s5, exec_lo
	s_trap 2
	s_cbranch_execz .LBB154_2280
	s_branch .LBB154_2281
.LBB154_2459:
	s_andn2_saveexec_b32 s7, s7
	s_cbranch_execz .LBB154_2245
.LBB154_2460:
	v_add_f32_e64 v5, 0x42800000, |v4|
	s_andn2_b32 s6, s6, exec_lo
	v_and_b32_e32 v5, 0xff, v5
	v_cmp_ne_u32_e32 vcc_lo, 0, v5
	s_and_b32 s10, vcc_lo, exec_lo
	s_or_b32 s6, s6, s10
	s_or_b32 exec_lo, exec_lo, s7
	v_mov_b32_e32 v6, 0
	s_and_saveexec_b32 s7, s6
	s_cbranch_execnz .LBB154_2246
	s_branch .LBB154_2247
.LBB154_2461:
	s_andn2_saveexec_b32 s7, s7
	s_cbranch_execz .LBB154_2352
.LBB154_2462:
	v_add_f32_e64 v4, 0x46000000, |v3|
	s_andn2_b32 s6, s6, exec_lo
	v_and_b32_e32 v4, 0xff, v4
	v_cmp_ne_u32_e32 vcc_lo, 0, v4
	s_and_b32 s8, vcc_lo, exec_lo
	s_or_b32 s6, s6, s8
	s_or_b32 exec_lo, exec_lo, s7
	v_mov_b32_e32 v5, 0
	s_and_saveexec_b32 s7, s6
	s_cbranch_execnz .LBB154_2353
	s_branch .LBB154_2354
.LBB154_2463:
	s_mov_b32 s3, 0
	s_or_b32 s5, s5, exec_lo
	s_trap 2
	s_branch .LBB154_2398
.LBB154_2464:
	s_andn2_saveexec_b32 s6, s6
	s_cbranch_execz .LBB154_2364
.LBB154_2465:
	v_add_f32_e64 v4, 0x42800000, |v3|
	s_andn2_b32 s4, s4, exec_lo
	v_and_b32_e32 v4, 0xff, v4
	v_cmp_ne_u32_e32 vcc_lo, 0, v4
	s_and_b32 s7, vcc_lo, exec_lo
	s_or_b32 s4, s4, s7
	s_or_b32 exec_lo, exec_lo, s6
	v_mov_b32_e32 v5, 0
	s_and_saveexec_b32 s6, s4
	s_cbranch_execnz .LBB154_2365
	s_branch .LBB154_2366
	.section	.rodata,"a",@progbits
	.p2align	6, 0x0
	.amdhsa_kernel _ZN2at6native32elementwise_kernel_manual_unrollILi128ELi4EZNS0_15gpu_kernel_implIZZZNS0_18lgamma_kernel_cudaERNS_18TensorIteratorBaseEENKUlvE_clEvENKUlvE1_clEvEUlN3c104HalfEE_EEvS4_RKT_EUlibE0_EEviT1_
		.amdhsa_group_segment_fixed_size 0
		.amdhsa_private_segment_fixed_size 0
		.amdhsa_kernarg_size 360
		.amdhsa_user_sgpr_count 6
		.amdhsa_user_sgpr_private_segment_buffer 1
		.amdhsa_user_sgpr_dispatch_ptr 0
		.amdhsa_user_sgpr_queue_ptr 0
		.amdhsa_user_sgpr_kernarg_segment_ptr 1
		.amdhsa_user_sgpr_dispatch_id 0
		.amdhsa_user_sgpr_flat_scratch_init 0
		.amdhsa_user_sgpr_private_segment_size 0
		.amdhsa_wavefront_size32 1
		.amdhsa_uses_dynamic_stack 0
		.amdhsa_system_sgpr_private_segment_wavefront_offset 0
		.amdhsa_system_sgpr_workgroup_id_x 1
		.amdhsa_system_sgpr_workgroup_id_y 0
		.amdhsa_system_sgpr_workgroup_id_z 0
		.amdhsa_system_sgpr_workgroup_info 0
		.amdhsa_system_vgpr_workitem_id 0
		.amdhsa_next_free_vgpr 23
		.amdhsa_next_free_sgpr 68
		.amdhsa_reserve_vcc 1
		.amdhsa_reserve_flat_scratch 0
		.amdhsa_float_round_mode_32 0
		.amdhsa_float_round_mode_16_64 0
		.amdhsa_float_denorm_mode_32 3
		.amdhsa_float_denorm_mode_16_64 3
		.amdhsa_dx10_clamp 1
		.amdhsa_ieee_mode 1
		.amdhsa_fp16_overflow 0
		.amdhsa_workgroup_processor_mode 1
		.amdhsa_memory_ordered 1
		.amdhsa_forward_progress 1
		.amdhsa_shared_vgpr_count 0
		.amdhsa_exception_fp_ieee_invalid_op 0
		.amdhsa_exception_fp_denorm_src 0
		.amdhsa_exception_fp_ieee_div_zero 0
		.amdhsa_exception_fp_ieee_overflow 0
		.amdhsa_exception_fp_ieee_underflow 0
		.amdhsa_exception_fp_ieee_inexact 0
		.amdhsa_exception_int_div_zero 0
	.end_amdhsa_kernel
	.section	.text._ZN2at6native32elementwise_kernel_manual_unrollILi128ELi4EZNS0_15gpu_kernel_implIZZZNS0_18lgamma_kernel_cudaERNS_18TensorIteratorBaseEENKUlvE_clEvENKUlvE1_clEvEUlN3c104HalfEE_EEvS4_RKT_EUlibE0_EEviT1_,"axG",@progbits,_ZN2at6native32elementwise_kernel_manual_unrollILi128ELi4EZNS0_15gpu_kernel_implIZZZNS0_18lgamma_kernel_cudaERNS_18TensorIteratorBaseEENKUlvE_clEvENKUlvE1_clEvEUlN3c104HalfEE_EEvS4_RKT_EUlibE0_EEviT1_,comdat
.Lfunc_end154:
	.size	_ZN2at6native32elementwise_kernel_manual_unrollILi128ELi4EZNS0_15gpu_kernel_implIZZZNS0_18lgamma_kernel_cudaERNS_18TensorIteratorBaseEENKUlvE_clEvENKUlvE1_clEvEUlN3c104HalfEE_EEvS4_RKT_EUlibE0_EEviT1_, .Lfunc_end154-_ZN2at6native32elementwise_kernel_manual_unrollILi128ELi4EZNS0_15gpu_kernel_implIZZZNS0_18lgamma_kernel_cudaERNS_18TensorIteratorBaseEENKUlvE_clEvENKUlvE1_clEvEUlN3c104HalfEE_EEvS4_RKT_EUlibE0_EEviT1_
                                        ; -- End function
	.set _ZN2at6native32elementwise_kernel_manual_unrollILi128ELi4EZNS0_15gpu_kernel_implIZZZNS0_18lgamma_kernel_cudaERNS_18TensorIteratorBaseEENKUlvE_clEvENKUlvE1_clEvEUlN3c104HalfEE_EEvS4_RKT_EUlibE0_EEviT1_.num_vgpr, 23
	.set _ZN2at6native32elementwise_kernel_manual_unrollILi128ELi4EZNS0_15gpu_kernel_implIZZZNS0_18lgamma_kernel_cudaERNS_18TensorIteratorBaseEENKUlvE_clEvENKUlvE1_clEvEUlN3c104HalfEE_EEvS4_RKT_EUlibE0_EEviT1_.num_agpr, 0
	.set _ZN2at6native32elementwise_kernel_manual_unrollILi128ELi4EZNS0_15gpu_kernel_implIZZZNS0_18lgamma_kernel_cudaERNS_18TensorIteratorBaseEENKUlvE_clEvENKUlvE1_clEvEUlN3c104HalfEE_EEvS4_RKT_EUlibE0_EEviT1_.numbered_sgpr, 68
	.set _ZN2at6native32elementwise_kernel_manual_unrollILi128ELi4EZNS0_15gpu_kernel_implIZZZNS0_18lgamma_kernel_cudaERNS_18TensorIteratorBaseEENKUlvE_clEvENKUlvE1_clEvEUlN3c104HalfEE_EEvS4_RKT_EUlibE0_EEviT1_.num_named_barrier, 0
	.set _ZN2at6native32elementwise_kernel_manual_unrollILi128ELi4EZNS0_15gpu_kernel_implIZZZNS0_18lgamma_kernel_cudaERNS_18TensorIteratorBaseEENKUlvE_clEvENKUlvE1_clEvEUlN3c104HalfEE_EEvS4_RKT_EUlibE0_EEviT1_.private_seg_size, 0
	.set _ZN2at6native32elementwise_kernel_manual_unrollILi128ELi4EZNS0_15gpu_kernel_implIZZZNS0_18lgamma_kernel_cudaERNS_18TensorIteratorBaseEENKUlvE_clEvENKUlvE1_clEvEUlN3c104HalfEE_EEvS4_RKT_EUlibE0_EEviT1_.uses_vcc, 1
	.set _ZN2at6native32elementwise_kernel_manual_unrollILi128ELi4EZNS0_15gpu_kernel_implIZZZNS0_18lgamma_kernel_cudaERNS_18TensorIteratorBaseEENKUlvE_clEvENKUlvE1_clEvEUlN3c104HalfEE_EEvS4_RKT_EUlibE0_EEviT1_.uses_flat_scratch, 0
	.set _ZN2at6native32elementwise_kernel_manual_unrollILi128ELi4EZNS0_15gpu_kernel_implIZZZNS0_18lgamma_kernel_cudaERNS_18TensorIteratorBaseEENKUlvE_clEvENKUlvE1_clEvEUlN3c104HalfEE_EEvS4_RKT_EUlibE0_EEviT1_.has_dyn_sized_stack, 0
	.set _ZN2at6native32elementwise_kernel_manual_unrollILi128ELi4EZNS0_15gpu_kernel_implIZZZNS0_18lgamma_kernel_cudaERNS_18TensorIteratorBaseEENKUlvE_clEvENKUlvE1_clEvEUlN3c104HalfEE_EEvS4_RKT_EUlibE0_EEviT1_.has_recursion, 0
	.set _ZN2at6native32elementwise_kernel_manual_unrollILi128ELi4EZNS0_15gpu_kernel_implIZZZNS0_18lgamma_kernel_cudaERNS_18TensorIteratorBaseEENKUlvE_clEvENKUlvE1_clEvEUlN3c104HalfEE_EEvS4_RKT_EUlibE0_EEviT1_.has_indirect_call, 0
	.section	.AMDGPU.csdata,"",@progbits
; Kernel info:
; codeLenInByte = 58392
; TotalNumSgprs: 70
; NumVgprs: 23
; ScratchSize: 0
; MemoryBound: 0
; FloatMode: 240
; IeeeMode: 1
; LDSByteSize: 0 bytes/workgroup (compile time only)
; SGPRBlocks: 0
; VGPRBlocks: 2
; NumSGPRsForWavesPerEU: 70
; NumVGPRsForWavesPerEU: 23
; Occupancy: 16
; WaveLimiterHint : 1
; COMPUTE_PGM_RSRC2:SCRATCH_EN: 0
; COMPUTE_PGM_RSRC2:USER_SGPR: 6
; COMPUTE_PGM_RSRC2:TRAP_HANDLER: 0
; COMPUTE_PGM_RSRC2:TGID_X_EN: 1
; COMPUTE_PGM_RSRC2:TGID_Y_EN: 0
; COMPUTE_PGM_RSRC2:TGID_Z_EN: 0
; COMPUTE_PGM_RSRC2:TIDIG_COMP_CNT: 0
	.text
	.p2align	2                               ; -- Begin function _ZN2at6native25elementwise_kernel_helperILb0EZZZNS0_18lgamma_kernel_cudaERNS_18TensorIteratorBaseEENKUlvE_clEvENKUlvE2_clEvEUlN3c108BFloat16EE_NS0_6memory8policies11unroll_baseILi256ESt5arrayIPcLm2EE23TrivialOffsetCalculatorILi1EjESG_NS9_15LoadWithoutCastENS9_16StoreWithoutCastELi8ELi1EEEEEvT0_T1_
	.type	_ZN2at6native25elementwise_kernel_helperILb0EZZZNS0_18lgamma_kernel_cudaERNS_18TensorIteratorBaseEENKUlvE_clEvENKUlvE2_clEvEUlN3c108BFloat16EE_NS0_6memory8policies11unroll_baseILi256ESt5arrayIPcLm2EE23TrivialOffsetCalculatorILi1EjESG_NS9_15LoadWithoutCastENS9_16StoreWithoutCastELi8ELi1EEEEEvT0_T1_,@function
_ZN2at6native25elementwise_kernel_helperILb0EZZZNS0_18lgamma_kernel_cudaERNS_18TensorIteratorBaseEENKUlvE_clEvENKUlvE2_clEvEUlN3c108BFloat16EE_NS0_6memory8policies11unroll_baseILi256ESt5arrayIPcLm2EE23TrivialOffsetCalculatorILi1EjESG_NS9_15LoadWithoutCastENS9_16StoreWithoutCastELi8ELi1EEEEEvT0_T1_: ; @_ZN2at6native25elementwise_kernel_helperILb0EZZZNS0_18lgamma_kernel_cudaERNS_18TensorIteratorBaseEENKUlvE_clEvENKUlvE2_clEvEUlN3c108BFloat16EE_NS0_6memory8policies11unroll_baseILi256ESt5arrayIPcLm2EE23TrivialOffsetCalculatorILi1EjESG_NS9_15LoadWithoutCastENS9_16StoreWithoutCastELi8ELi1EEEEEvT0_T1_
; %bb.0:
	s_waitcnt vmcnt(0) expcnt(0) lgkmcnt(0)
	v_and_b32_e32 v7, 0x3ff, v31
	s_lshl_b32 s7, s12, 11
	v_mov_b32_e32 v11, 0
	v_mov_b32_e32 v15, 0
	v_cmp_lt_i32_e64 s4, v7, v4
	v_or_b32_e32 v5, s7, v7
	v_add_nc_u32_e32 v8, 0x100, v7
	v_mov_b32_e32 v16, v7
	s_and_saveexec_b32 s5, s4
	s_cbranch_execz .LBB155_2
; %bb.1:
	v_mov_b32_e32 v6, 0
	v_add_nc_u32_e32 v16, 0x100, v7
	v_lshlrev_b64 v[9:10], 1, v[5:6]
	v_add_co_u32 v9, vcc_lo, v2, v9
	v_add_co_ci_u32_e64 v10, null, v3, v10, vcc_lo
	flat_load_ushort v6, v[9:10]
	s_waitcnt vmcnt(0) lgkmcnt(0)
	v_lshlrev_b32_e32 v15, 16, v6
.LBB155_2:
	s_or_b32 exec_lo, exec_lo, s5
	s_mov_b32 s5, exec_lo
	v_cmpx_lt_i32_e64 v16, v4
	s_cbranch_execz .LBB155_4
; %bb.3:
	v_add_nc_u32_e32 v9, s7, v16
	v_mov_b32_e32 v10, 0
	v_add_nc_u32_e32 v16, 0x100, v16
	v_lshlrev_b64 v[9:10], 1, v[9:10]
	v_add_co_u32 v9, vcc_lo, v2, v9
	v_add_co_ci_u32_e64 v10, null, v3, v10, vcc_lo
	flat_load_ushort v6, v[9:10]
	s_waitcnt vmcnt(0) lgkmcnt(0)
	v_lshlrev_b32_e32 v11, 16, v6
.LBB155_4:
	s_or_b32 exec_lo, exec_lo, s5
	v_mov_b32_e32 v13, 0
	v_mov_b32_e32 v14, 0
	s_mov_b32 s5, exec_lo
	v_cmpx_lt_i32_e64 v16, v4
	s_cbranch_execz .LBB155_6
; %bb.5:
	v_add_nc_u32_e32 v9, s7, v16
	v_mov_b32_e32 v10, 0
	v_add_nc_u32_e32 v16, 0x100, v16
	v_lshlrev_b64 v[9:10], 1, v[9:10]
	v_add_co_u32 v9, vcc_lo, v2, v9
	v_add_co_ci_u32_e64 v10, null, v3, v10, vcc_lo
	flat_load_ushort v6, v[9:10]
	s_waitcnt vmcnt(0) lgkmcnt(0)
	v_lshlrev_b32_e32 v14, 16, v6
.LBB155_6:
	s_or_b32 exec_lo, exec_lo, s5
	s_mov_b32 s5, exec_lo
	v_cmpx_lt_i32_e64 v16, v4
	s_cbranch_execz .LBB155_8
; %bb.7:
	v_add_nc_u32_e32 v9, s7, v16
	v_mov_b32_e32 v10, 0
	v_add_nc_u32_e32 v16, 0x100, v16
	v_lshlrev_b64 v[9:10], 1, v[9:10]
	v_add_co_u32 v9, vcc_lo, v2, v9
	v_add_co_ci_u32_e64 v10, null, v3, v10, vcc_lo
	flat_load_ushort v6, v[9:10]
	s_waitcnt vmcnt(0) lgkmcnt(0)
	v_lshlrev_b32_e32 v13, 16, v6
.LBB155_8:
	s_or_b32 exec_lo, exec_lo, s5
	v_mov_b32_e32 v10, 0
	v_mov_b32_e32 v12, 0
	s_mov_b32 s5, exec_lo
	v_cmpx_lt_i32_e64 v16, v4
	s_cbranch_execz .LBB155_10
; %bb.9:
	v_add_nc_u32_e32 v17, s7, v16
	v_mov_b32_e32 v18, 0
	v_add_nc_u32_e32 v16, 0x100, v16
	v_lshlrev_b64 v[17:18], 1, v[17:18]
	v_add_co_u32 v17, vcc_lo, v2, v17
	v_add_co_ci_u32_e64 v18, null, v3, v18, vcc_lo
	flat_load_ushort v6, v[17:18]
	s_waitcnt vmcnt(0) lgkmcnt(0)
	v_lshlrev_b32_e32 v12, 16, v6
.LBB155_10:
	s_or_b32 exec_lo, exec_lo, s5
	s_mov_b32 s5, exec_lo
	v_cmpx_lt_i32_e64 v16, v4
	s_cbranch_execz .LBB155_12
; %bb.11:
	v_add_nc_u32_e32 v9, s7, v16
	v_mov_b32_e32 v10, 0
	v_add_nc_u32_e32 v16, 0x100, v16
	v_lshlrev_b64 v[9:10], 1, v[9:10]
	v_add_co_u32 v9, vcc_lo, v2, v9
	v_add_co_ci_u32_e64 v10, null, v3, v10, vcc_lo
	flat_load_ushort v6, v[9:10]
	s_waitcnt vmcnt(0) lgkmcnt(0)
	v_lshlrev_b32_e32 v10, 16, v6
.LBB155_12:
	s_or_b32 exec_lo, exec_lo, s5
	v_mov_b32_e32 v6, 0
	v_mov_b32_e32 v9, 0
	s_mov_b32 s5, exec_lo
	v_cmpx_lt_i32_e64 v16, v4
	s_cbranch_execz .LBB155_16
; %bb.13:
	v_add_nc_u32_e32 v17, s7, v16
	v_mov_b32_e32 v18, 0
	v_add_nc_u32_e32 v16, 0x100, v16
	v_lshlrev_b64 v[17:18], 1, v[17:18]
	v_add_co_u32 v17, vcc_lo, v2, v17
	v_add_co_ci_u32_e64 v18, null, v3, v18, vcc_lo
	flat_load_ushort v9, v[17:18]
	s_waitcnt vmcnt(0) lgkmcnt(0)
	v_lshlrev_b32_e32 v9, 16, v9
	s_or_b32 exec_lo, exec_lo, s5
	s_mov_b32 s5, exec_lo
	v_cmpx_lt_i32_e64 v16, v4
	s_cbranch_execnz .LBB155_17
.LBB155_14:
	s_or_b32 exec_lo, exec_lo, s5
                                        ; implicit-def: $vgpr2
	s_and_saveexec_b32 s8, s4
	s_cbranch_execnz .LBB155_18
.LBB155_15:
	s_or_b32 exec_lo, exec_lo, s8
	s_mov_b32 s8, exec_lo
                                        ; implicit-def: $vgpr3
	v_cmpx_lt_i32_e64 v8, v4
	s_cbranch_execz .LBB155_96
	s_branch .LBB155_57
.LBB155_16:
	s_or_b32 exec_lo, exec_lo, s5
	s_mov_b32 s5, exec_lo
	v_cmpx_lt_i32_e64 v16, v4
	s_cbranch_execz .LBB155_14
.LBB155_17:
	v_add_nc_u32_e32 v16, s7, v16
	v_mov_b32_e32 v17, 0
	v_lshlrev_b64 v[16:17], 1, v[16:17]
	v_add_co_u32 v2, vcc_lo, v2, v16
	v_add_co_ci_u32_e64 v3, null, v3, v17, vcc_lo
	flat_load_ushort v2, v[2:3]
	s_waitcnt vmcnt(0) lgkmcnt(0)
	v_lshlrev_b32_e32 v6, 16, v2
	s_or_b32 exec_lo, exec_lo, s5
                                        ; implicit-def: $vgpr2
	s_and_saveexec_b32 s8, s4
	s_cbranch_execz .LBB155_15
.LBB155_18:
	v_and_b32_e32 v2, 0x7fffffff, v15
	s_mov_b32 s6, exec_lo
                                        ; implicit-def: $vgpr3
	v_cmpx_ngt_f32_e64 0x3c800000, |v15|
	s_xor_b32 s6, exec_lo, s6
	s_cbranch_execz .LBB155_48
; %bb.19:
	s_mov_b32 s9, exec_lo
                                        ; implicit-def: $vgpr3
	v_cmpx_nlt_f32_e64 |v15|, 2.0
	s_xor_b32 s9, exec_lo, s9
	s_cbranch_execz .LBB155_29
; %bb.20:
	v_cmp_ngt_f32_e64 s5, 0x41000000, |v15|
                                        ; implicit-def: $vgpr3
	s_and_saveexec_b32 s10, s5
	s_xor_b32 s5, exec_lo, s10
	s_cbranch_execz .LBB155_26
; %bb.21:
	v_cmp_ngt_f32_e64 s10, 0x5c800000, |v15|
                                        ; implicit-def: $vgpr3
	s_and_saveexec_b32 s11, s10
	s_xor_b32 s10, exec_lo, s11
	s_cbranch_execz .LBB155_23
; %bb.22:
	v_cmp_gt_f32_e64 s11, 0x800000, |v15|
	v_cndmask_b32_e64 v3, 0, 32, s11
	v_ldexp_f32 v3, |v15|, v3
	v_log_f32_e32 v3, v3
	v_mul_f32_e32 v16, 0x3f317217, v3
	v_cmp_gt_f32_e64 vcc_lo, 0x7f800000, |v3|
	v_fma_f32 v17, 0x3f317217, v3, -v16
	v_fmamk_f32 v17, v3, 0x3377d1cf, v17
	v_add_f32_e32 v16, v16, v17
	v_cndmask_b32_e32 v3, v3, v16, vcc_lo
	v_cndmask_b32_e64 v16, 0, 0x41b17218, s11
	v_sub_f32_e32 v3, v3, v16
	v_fma_f32 v3, |v15|, v3, -|v15|
.LBB155_23:
	s_andn2_saveexec_b32 s10, s10
	s_cbranch_execz .LBB155_25
; %bb.24:
	v_cmp_gt_f32_e64 s11, 0x800000, |v15|
	v_rcp_f32_e64 v16, |v15|
	s_mov_b32 s12, 0xbad5c4e8
	v_cndmask_b32_e64 v3, 0, 32, s11
	v_ldexp_f32 v3, |v15|, v3
	v_mul_f32_e32 v17, v16, v16
	v_log_f32_e32 v3, v3
	v_fmaak_f32 v19, s12, v17, 0x3a5b3dd2
	v_fmaak_f32 v19, v17, v19, 0xba1c065c
	v_mul_f32_e32 v18, 0x3f317217, v3
	v_fmaak_f32 v19, v17, v19, 0x3a500cfd
	v_cmp_gt_f32_e64 vcc_lo, 0x7f800000, |v3|
	v_fma_f32 v20, 0x3f317217, v3, -v18
	v_fmaak_f32 v19, v17, v19, 0xbb360b61
	v_fmamk_f32 v20, v3, 0x3377d1cf, v20
	v_fmaak_f32 v17, v17, v19, 0x3daaaaab
	v_add_f32_e32 v18, v18, v20
	v_cndmask_b32_e32 v3, v3, v18, vcc_lo
	v_cndmask_b32_e64 v18, 0, 0x41b17218, s11
	v_sub_f32_e32 v18, v3, v18
	v_fmaak_f32 v3, v16, v17, 0x3ed67f1d
	v_add_f32_e64 v16, |v15|, -0.5
	v_add_f32_e32 v17, -1.0, v18
	v_fmac_f32_e32 v3, v16, v17
.LBB155_25:
	s_or_b32 exec_lo, exec_lo, s10
.LBB155_26:
	s_andn2_saveexec_b32 s10, s5
	s_cbranch_execz .LBB155_28
; %bb.27:
	v_cvt_i32_f32_e32 v3, v2
	s_mov_b32 s5, 0x36f5d7bd
	s_mov_b32 s11, 0x3805ff67
	v_cvt_f32_i32_e32 v16, v3
	v_cmp_lt_i32_e32 vcc_lo, 2, v3
	v_sub_f32_e64 v16, |v15|, v16
	v_add_f32_e32 v17, 2.0, v16
	v_add_f32_e32 v18, 0x40400000, v16
	v_add_f32_e32 v19, 4.0, v16
	v_add_f32_e32 v20, 0x40a00000, v16
	v_cndmask_b32_e32 v17, 1.0, v17, vcc_lo
	v_cmp_lt_i32_e32 vcc_lo, 3, v3
	v_cndmask_b32_e32 v18, 1.0, v18, vcc_lo
	v_cmp_lt_i32_e32 vcc_lo, 4, v3
	v_mul_f32_e32 v17, v17, v18
	v_cndmask_b32_e32 v19, 1.0, v19, vcc_lo
	v_cmp_lt_i32_e32 vcc_lo, 5, v3
	v_add_f32_e32 v18, 0x40c00000, v16
	v_mul_f32_e32 v17, v19, v17
	v_cndmask_b32_e32 v20, 1.0, v20, vcc_lo
	v_cmp_lt_i32_e32 vcc_lo, 6, v3
	v_fmaak_f32 v19, s11, v16, 0x3af135b4
	v_mul_f32_e32 v17, v20, v17
	v_cndmask_b32_e32 v3, 1.0, v18, vcc_lo
	v_mul_f32_e32 v3, v3, v17
	v_fmaak_f32 v17, s5, v16, 0x3a4beed6
	v_cmp_gt_f32_e32 vcc_lo, 0x800000, v3
	v_fmaak_f32 v17, v16, v17, 0x3c98bf54
	v_cndmask_b32_e64 v18, 0, 32, vcc_lo
	v_fmaak_f32 v17, v16, v17, 0x3e300f6e
	v_ldexp_f32 v3, v3, v18
	v_fmaak_f32 v18, v16, v19, 0x3cda40e4
	v_fmaak_f32 v17, v16, v17, 0x3f38d0c5
	v_log_f32_e32 v3, v3
	v_fmaak_f32 v18, v16, v18, 0x3e15dce6
	v_fmaak_f32 v17, v16, v17, 0x3fb22d3b
	;; [unrolled: 1-line block ×3, first 2 shown]
	v_fma_f32 v17, v16, v17, 1.0
	v_mul_f32_e32 v19, 0x3f317217, v3
	v_fmaak_f32 v18, v16, v18, 0x3e5c245a
	v_rcp_f32_e32 v17, v17
	v_cmp_gt_f32_e64 s5, 0x7f800000, |v3|
	v_fma_f32 v20, 0x3f317217, v3, -v19
	v_fmaak_f32 v18, v16, v18, 0xbd9e233f
	v_fmamk_f32 v20, v3, 0x3377d1cf, v20
	v_mul_f32_e32 v18, v16, v18
	v_add_f32_e32 v19, v19, v20
	v_mul_f32_e32 v17, v18, v17
	v_cndmask_b32_e64 v18, 0, 0x41b17218, vcc_lo
	v_cndmask_b32_e64 v3, v3, v19, s5
	v_fmac_f32_e32 v17, 0.5, v16
	v_sub_f32_e32 v3, v3, v18
	v_add_f32_e32 v3, v3, v17
.LBB155_28:
	s_or_b32 exec_lo, exec_lo, s10
.LBB155_29:
	s_andn2_saveexec_b32 s9, s9
	s_cbranch_execz .LBB155_47
; %bb.30:
	s_mov_b32 s10, exec_lo
                                        ; implicit-def: $vgpr3
                                        ; implicit-def: $vgpr17
                                        ; implicit-def: $vgpr16
	v_cmpx_ge_f32_e64 0x3f666666, |v15|
	s_xor_b32 s10, exec_lo, s10
	s_cbranch_execz .LBB155_32
; %bb.31:
	v_cmp_gt_f32_e64 s5, 0x800000, |v15|
	v_sub_f32_e64 v18, 1.0, |v15|
	v_cmp_gt_f32_e64 vcc_lo, 0x3f3b4a23, |v15|
	v_cndmask_b32_e64 v3, 0, 32, s5
	v_cndmask_b32_e64 v19, 0, 0x41b17218, s5
	v_ldexp_f32 v3, |v15|, v3
	v_log_f32_e32 v3, v3
	v_mul_f32_e32 v16, 0x3f317217, v3
	v_cmp_gt_f32_e64 s5, 0x7f800000, |v3|
	v_fma_f32 v17, 0x3f317217, v3, -v16
	v_fmamk_f32 v17, v3, 0x3377d1cf, v17
	v_add_f32_e32 v16, v16, v17
	v_add_f32_e64 v17, 0xbeec5b0c, |v15|
	v_cndmask_b32_e64 v3, v3, v16, s5
	v_cndmask_b32_e32 v16, v18, v17, vcc_lo
	v_cndmask_b32_e64 v17, 0, 1, vcc_lo
	v_cmp_gt_f32_e64 s5, 0x3e6d3309, |v15|
	v_sub_f32_e32 v3, v3, v19
	v_cndmask_b32_e64 v16, v16, |v15|, s5
	v_cndmask_b32_e64 v17, v17, 2, s5
	v_xor_b32_e32 v3, 0x80000000, v3
.LBB155_32:
	s_andn2_saveexec_b32 s5, s10
	s_cbranch_execz .LBB155_34
; %bb.33:
	v_sub_f32_e64 v3, 2.0, |v15|
	v_add_f32_e64 v16, 0xbfbb16c3, |v15|
	v_cmp_gt_f32_e64 vcc_lo, 0x3fdda512, |v15|
	v_add_f32_e64 v17, |v15|, -1.0
	v_cndmask_b32_e32 v16, v3, v16, vcc_lo
	v_cndmask_b32_e64 v3, v3, 1.0, vcc_lo
	v_cmp_gt_f32_e64 vcc_lo, 0x3f9d70a4, |v15|
	v_cvt_i32_f32_e32 v3, v3
	v_cndmask_b32_e32 v16, v16, v17, vcc_lo
	v_cndmask_b32_e64 v17, v3, 2, vcc_lo
	v_mov_b32_e32 v3, 0
.LBB155_34:
	s_or_b32 exec_lo, exec_lo, s5
	s_mov_b32 s5, exec_lo
	v_cmpx_lt_i32_e32 0, v17
	s_xor_b32 s5, exec_lo, s5
	s_cbranch_execz .LBB155_42
; %bb.35:
	s_mov_b32 s10, exec_lo
	v_cmpx_lt_i32_e32 1, v17
	s_xor_b32 s10, exec_lo, s10
	s_cbranch_execz .LBB155_39
; %bb.36:
	s_mov_b32 s11, exec_lo
	v_cmpx_eq_u32_e32 2, v17
	s_cbranch_execz .LBB155_38
; %bb.37:
	s_mov_b32 s12, 0x3b52d5db
	v_fmaak_f32 v17, s12, v16, 0x3dd572af
	s_mov_b32 s12, 0x3c5b3c5e
	v_fmaak_f32 v18, s12, v16, 0x3e6a7578
	v_fmaak_f32 v17, v16, v17, 0x3f44efdf
	;; [unrolled: 1-line block ×7, first 2 shown]
	v_fma_f32 v17, v16, v17, 1.0
	v_fmaak_f32 v18, v16, v18, 0xbd9e233f
	v_rcp_f32_e32 v17, v17
	v_mul_f32_e32 v18, v16, v18
	v_mul_f32_e32 v17, v18, v17
	v_fmac_f32_e32 v17, -0.5, v16
	v_add_f32_e32 v3, v3, v17
.LBB155_38:
	s_or_b32 exec_lo, exec_lo, s11
                                        ; implicit-def: $vgpr16
.LBB155_39:
	s_andn2_saveexec_b32 s10, s10
	s_cbranch_execz .LBB155_41
; %bb.40:
	v_mul_f32_e32 v17, v16, v16
	s_mov_b32 s11, 0xb9a3f927
	s_mov_b32 s12, 0x39afe9f7
	v_mul_f32_e32 v18, v16, v17
	v_fmaak_f32 v19, s11, v18, 0x3a66f867
	v_fmaak_f32 v20, s12, v18, 0xba0d3085
	s_mov_b32 s11, 0x39a57b6b
	v_fmaak_f32 v21, s11, v18, 0xbab7f476
	v_fmaak_f32 v19, v18, v19, 0xbb7177fe
	v_fmaak_f32 v20, v18, v20, 0x3b141699
	v_fmaak_f32 v21, v18, v21, 0x3bc7e707
	v_fmaak_f32 v19, v18, v19, 0x3c93373d
	v_fmaak_f32 v20, v18, v20, 0xbc28fcfe
	v_fmaak_f32 v21, v18, v21, 0xbd064d47
	v_fmaak_f32 v19, v18, v19, 0xbe17213c
	v_fmaak_f32 v20, v18, v20, 0x3d845a15
	v_fmac_f32_e32 v19, v16, v20
	v_fmaak_f32 v16, v18, v21, 0x3ef7b95e
	v_fma_f32 v18, v18, -v19, 0xa2863e55
	v_fma_f32 v16, v17, v16, -v18
	v_add_f32_e32 v16, 0xbdf8cdce, v16
	v_add_f32_e32 v3, v3, v16
.LBB155_41:
	s_or_b32 exec_lo, exec_lo, s10
                                        ; implicit-def: $vgpr17
                                        ; implicit-def: $vgpr16
.LBB155_42:
	s_andn2_saveexec_b32 s5, s5
	s_cbranch_execz .LBB155_46
; %bb.43:
	s_mov_b32 s10, exec_lo
	v_cmpx_eq_u32_e32 0, v17
	s_cbranch_execz .LBB155_45
; %bb.44:
	v_mul_f32_e32 v17, v16, v16
	s_mov_b32 s11, 0x383c2c75
	v_fmaak_f32 v18, s11, v17, 0x38e28445
	s_mov_b32 s11, 0x37d383a2
	v_fmaak_f32 v19, s11, v17, 0x39679767
	v_fmaak_f32 v18, v17, v18, 0x3a05b634
	;; [unrolled: 1-line block ×9, first 2 shown]
	v_mul_f32_e32 v17, v17, v18
	v_fmac_f32_e32 v17, v16, v19
	v_fmac_f32_e32 v17, -0.5, v16
	v_add_f32_e32 v3, v3, v17
.LBB155_45:
	s_or_b32 exec_lo, exec_lo, s10
.LBB155_46:
	s_or_b32 exec_lo, exec_lo, s5
.LBB155_47:
	s_or_b32 exec_lo, exec_lo, s9
.LBB155_48:
	s_andn2_saveexec_b32 s5, s6
	s_cbranch_execz .LBB155_50
; %bb.49:
	v_cmp_gt_f32_e64 s6, 0x800000, |v15|
	s_mov_b32 s9, 0x3e8a8991
	v_fma_f32 v18, |v15|, s9, 0xbecd26ab
	v_cndmask_b32_e64 v3, 0, 32, s6
	v_ldexp_f32 v3, |v15|, v3
	v_log_f32_e32 v3, v3
	v_mul_f32_e32 v16, 0x3f317217, v3
	v_cmp_gt_f32_e64 vcc_lo, 0x7f800000, |v3|
	v_fma_f32 v17, 0x3f317217, v3, -v16
	v_fmamk_f32 v17, v3, 0x3377d1cf, v17
	v_add_f32_e32 v16, v16, v17
	v_fma_f32 v17, |v15|, v18, 0x3f528d33
	v_cndmask_b32_e32 v3, v3, v16, vcc_lo
	v_cndmask_b32_e64 v16, 0, 0x41b17218, s6
	v_fma_f32 v17, |v15|, v17, 0xbf13c468
	v_sub_f32_e32 v3, v3, v16
	v_fma_f32 v3, |v15|, v17, -v3
.LBB155_50:
	s_or_b32 exec_lo, exec_lo, s5
	v_cmp_le_f32_e32 vcc_lo, 0, v15
	s_mov_b32 s6, exec_lo
	v_cmpx_nle_f32_e32 0, v15
	s_xor_b32 s9, exec_lo, s6
	s_cbranch_execz .LBB155_54
; %bb.51:
	v_cmp_gt_f32_e64 s5, 0x4b000000, |v15|
	v_cmp_lt_f32_e64 s6, 0x35000000, |v15|
	s_and_b32 s5, s5, s6
	s_and_saveexec_b32 s10, s5
	s_cbranch_execz .LBB155_53
; %bb.52:
	v_mul_f32_e64 v16, |v15|, 0.5
	s_mov_b32 s6, 0x3d4be544
	v_floor_f32_e32 v17, v16
	v_cmp_neq_f32_e64 s5, 0x7f800000, v16
	v_sub_f32_e32 v17, v16, v17
	v_min_f32_e32 v17, 0x3f7fffff, v17
	v_add_f32_e32 v17, v17, v17
	v_cndmask_b32_e64 v16, 0, v17, s5
	v_cmp_gt_f32_e64 s5, |v15|, 1.0
	v_cndmask_b32_e64 v16, |v15|, v16, s5
	s_mov_b32 s5, 0x3e75aa41
	v_add_f32_e32 v17, v16, v16
	v_rndne_f32_e32 v17, v17
	v_fmac_f32_e32 v16, -0.5, v17
	v_cvt_i32_f32_e32 v17, v17
	v_mul_f32_e32 v18, v16, v16
	v_fmaak_f32 v19, s5, v18, 0xbf1f24be
	v_fmaak_f32 v20, s6, v18, 0x3e642e9d
	v_mul_f32_e32 v21, v16, v18
	v_fmaak_f32 v19, v18, v19, 0x40234736
	v_fmaak_f32 v20, v18, v20, 0xbfaad1da
	;; [unrolled: 1-line block ×4, first 2 shown]
	v_mul_f32_e32 v19, v21, v19
	v_fmaak_f32 v20, v18, v20, 0xc09de9e6
	v_and_b32_e32 v21, 1, v17
	v_lshlrev_b32_e32 v17, 30, v17
	v_fmamk_f32 v16, v16, 0x40490fdb, v19
	v_fma_f32 v18, v18, v20, 1.0
	v_cmp_eq_u32_e64 s5, 0, v21
	v_and_or_b32 v2, 0x80000000, v17, v2
	v_cndmask_b32_e64 v16, v18, v16, s5
	v_xor3_b32 v2, v2, v16, v15
	v_mul_f32_e32 v2, v15, v2
	v_frexp_mant_f32_e64 v16, |v2|
	v_frexp_exp_i32_f32_e32 v2, v2
	v_rcp_f32_e32 v16, v16
	v_sub_nc_u32_e32 v2, 2, v2
	v_mul_f32_e32 v16, 0x3f490fdb, v16
	v_ldexp_f32 v2, v16, v2
	v_cmp_gt_f32_e64 s5, 0x800000, v2
	v_cndmask_b32_e64 v16, 0, 32, s5
	v_ldexp_f32 v2, v2, v16
	v_log_f32_e32 v2, v2
	v_mul_f32_e32 v16, 0x3f317217, v2
	v_cmp_gt_f32_e64 s6, 0x7f800000, |v2|
	v_fma_f32 v17, 0x3f317217, v2, -v16
	v_fmamk_f32 v17, v2, 0x3377d1cf, v17
	v_add_f32_e32 v16, v16, v17
	v_floor_f32_e32 v17, v15
	v_cndmask_b32_e64 v2, v2, v16, s6
	v_cndmask_b32_e64 v16, 0, 0x41b17218, s5
	v_sub_f32_e32 v17, v15, v17
	v_sub_f32_e32 v2, v2, v16
	v_min_f32_e32 v16, 0x3f7fffff, v17
	v_sub_f32_e32 v2, v2, v3
	v_cmp_neq_f32_e64 s5, 0, v16
	v_cndmask_b32_e64 v3, 0x7f800000, v2, s5
.LBB155_53:
	s_or_b32 exec_lo, exec_lo, s10
.LBB155_54:
	s_andn2_saveexec_b32 s9, s9
; %bb.55:
	v_cmp_eq_f32_e64 s5, 1.0, v15
	v_cmp_eq_f32_e64 s6, 2.0, v15
	s_or_b32 s5, s5, s6
	v_cndmask_b32_e64 v3, v3, 0, s5
; %bb.56:
	s_or_b32 exec_lo, exec_lo, s9
	v_cmp_gt_f32_e64 s5, 0x4b000000, |v15|
	s_or_b32 vcc_lo, vcc_lo, s5
	v_cmp_class_f32_e64 s5, v15, 0x264
	v_cndmask_b32_e32 v2, 0x7f800000, v3, vcc_lo
	v_cmp_u_f32_e32 vcc_lo, v15, v15
	v_cndmask_b32_e64 v2, v2, 0x7f800000, s5
	v_cndmask_b32_e32 v2, v2, v15, vcc_lo
	v_bfe_u32 v3, v2, 16, 1
	v_cmp_o_f32_e32 vcc_lo, v2, v2
	v_add3_u32 v2, v2, v3, 0x7fff
	v_mov_b32_e32 v3, 0x7fc0
	v_cndmask_b32_sdwa v2, v3, v2, vcc_lo dst_sel:DWORD dst_unused:UNUSED_PAD src0_sel:DWORD src1_sel:WORD_1
	s_or_b32 exec_lo, exec_lo, s8
	s_mov_b32 s8, exec_lo
                                        ; implicit-def: $vgpr3
	v_cmpx_lt_i32_e64 v8, v4
	s_cbranch_execz .LBB155_96
.LBB155_57:
	v_and_b32_e32 v3, 0x7fffffff, v11
	s_mov_b32 s6, exec_lo
                                        ; implicit-def: $vgpr15
	v_cmpx_ngt_f32_e64 0x3c800000, |v11|
	s_xor_b32 s6, exec_lo, s6
	s_cbranch_execz .LBB155_87
; %bb.58:
	s_mov_b32 s9, exec_lo
                                        ; implicit-def: $vgpr15
	v_cmpx_nlt_f32_e64 |v11|, 2.0
	s_xor_b32 s9, exec_lo, s9
	s_cbranch_execz .LBB155_68
; %bb.59:
	v_cmp_ngt_f32_e64 s5, 0x41000000, |v11|
                                        ; implicit-def: $vgpr15
	s_and_saveexec_b32 s10, s5
	s_xor_b32 s5, exec_lo, s10
	s_cbranch_execz .LBB155_65
; %bb.60:
	v_cmp_ngt_f32_e64 s10, 0x5c800000, |v11|
                                        ; implicit-def: $vgpr15
	s_and_saveexec_b32 s11, s10
	s_xor_b32 s10, exec_lo, s11
	s_cbranch_execz .LBB155_62
; %bb.61:
	v_cmp_gt_f32_e64 s11, 0x800000, |v11|
	v_cndmask_b32_e64 v15, 0, 32, s11
	v_ldexp_f32 v15, |v11|, v15
	v_log_f32_e32 v15, v15
	v_mul_f32_e32 v16, 0x3f317217, v15
	v_cmp_gt_f32_e64 vcc_lo, 0x7f800000, |v15|
	v_fma_f32 v17, 0x3f317217, v15, -v16
	v_fmamk_f32 v17, v15, 0x3377d1cf, v17
	v_add_f32_e32 v16, v16, v17
	v_cndmask_b32_e32 v15, v15, v16, vcc_lo
	v_cndmask_b32_e64 v16, 0, 0x41b17218, s11
	v_sub_f32_e32 v15, v15, v16
	v_fma_f32 v15, |v11|, v15, -|v11|
.LBB155_62:
	s_andn2_saveexec_b32 s10, s10
	s_cbranch_execz .LBB155_64
; %bb.63:
	v_cmp_gt_f32_e64 s11, 0x800000, |v11|
	v_rcp_f32_e64 v16, |v11|
	s_mov_b32 s12, 0xbad5c4e8
	v_cndmask_b32_e64 v15, 0, 32, s11
	v_ldexp_f32 v15, |v11|, v15
	v_mul_f32_e32 v17, v16, v16
	v_log_f32_e32 v15, v15
	v_fmaak_f32 v19, s12, v17, 0x3a5b3dd2
	v_fmaak_f32 v19, v17, v19, 0xba1c065c
	v_mul_f32_e32 v18, 0x3f317217, v15
	v_fmaak_f32 v19, v17, v19, 0x3a500cfd
	v_cmp_gt_f32_e64 vcc_lo, 0x7f800000, |v15|
	v_fma_f32 v20, 0x3f317217, v15, -v18
	v_fmaak_f32 v19, v17, v19, 0xbb360b61
	v_fmamk_f32 v20, v15, 0x3377d1cf, v20
	v_fmaak_f32 v17, v17, v19, 0x3daaaaab
	v_add_f32_e32 v18, v18, v20
	v_cndmask_b32_e32 v15, v15, v18, vcc_lo
	v_cndmask_b32_e64 v18, 0, 0x41b17218, s11
	v_sub_f32_e32 v18, v15, v18
	v_fmaak_f32 v15, v16, v17, 0x3ed67f1d
	v_add_f32_e64 v16, |v11|, -0.5
	v_add_f32_e32 v17, -1.0, v18
	v_fmac_f32_e32 v15, v16, v17
.LBB155_64:
	s_or_b32 exec_lo, exec_lo, s10
.LBB155_65:
	s_andn2_saveexec_b32 s10, s5
	s_cbranch_execz .LBB155_67
; %bb.66:
	v_cvt_i32_f32_e32 v15, v3
	s_mov_b32 s5, 0x36f5d7bd
	s_mov_b32 s11, 0x3805ff67
	v_cvt_f32_i32_e32 v16, v15
	v_cmp_lt_i32_e32 vcc_lo, 2, v15
	v_sub_f32_e64 v16, |v11|, v16
	v_add_f32_e32 v17, 2.0, v16
	v_add_f32_e32 v18, 0x40400000, v16
	v_add_f32_e32 v19, 4.0, v16
	v_add_f32_e32 v20, 0x40a00000, v16
	v_cndmask_b32_e32 v17, 1.0, v17, vcc_lo
	v_cmp_lt_i32_e32 vcc_lo, 3, v15
	v_cndmask_b32_e32 v18, 1.0, v18, vcc_lo
	v_cmp_lt_i32_e32 vcc_lo, 4, v15
	v_mul_f32_e32 v17, v17, v18
	v_cndmask_b32_e32 v19, 1.0, v19, vcc_lo
	v_cmp_lt_i32_e32 vcc_lo, 5, v15
	v_add_f32_e32 v18, 0x40c00000, v16
	v_mul_f32_e32 v17, v19, v17
	v_cndmask_b32_e32 v20, 1.0, v20, vcc_lo
	v_cmp_lt_i32_e32 vcc_lo, 6, v15
	v_fmaak_f32 v19, s11, v16, 0x3af135b4
	v_mul_f32_e32 v17, v20, v17
	v_cndmask_b32_e32 v15, 1.0, v18, vcc_lo
	v_mul_f32_e32 v15, v15, v17
	v_fmaak_f32 v17, s5, v16, 0x3a4beed6
	v_cmp_gt_f32_e32 vcc_lo, 0x800000, v15
	v_fmaak_f32 v17, v16, v17, 0x3c98bf54
	v_cndmask_b32_e64 v18, 0, 32, vcc_lo
	v_fmaak_f32 v17, v16, v17, 0x3e300f6e
	v_ldexp_f32 v15, v15, v18
	v_fmaak_f32 v18, v16, v19, 0x3cda40e4
	v_fmaak_f32 v17, v16, v17, 0x3f38d0c5
	v_log_f32_e32 v15, v15
	v_fmaak_f32 v18, v16, v18, 0x3e15dce6
	v_fmaak_f32 v17, v16, v17, 0x3fb22d3b
	;; [unrolled: 1-line block ×3, first 2 shown]
	v_fma_f32 v17, v16, v17, 1.0
	v_mul_f32_e32 v19, 0x3f317217, v15
	v_fmaak_f32 v18, v16, v18, 0x3e5c245a
	v_rcp_f32_e32 v17, v17
	v_cmp_gt_f32_e64 s5, 0x7f800000, |v15|
	v_fma_f32 v20, 0x3f317217, v15, -v19
	v_fmaak_f32 v18, v16, v18, 0xbd9e233f
	v_fmamk_f32 v20, v15, 0x3377d1cf, v20
	v_mul_f32_e32 v18, v16, v18
	v_add_f32_e32 v19, v19, v20
	v_mul_f32_e32 v17, v18, v17
	v_cndmask_b32_e64 v18, 0, 0x41b17218, vcc_lo
	v_cndmask_b32_e64 v15, v15, v19, s5
	v_fmac_f32_e32 v17, 0.5, v16
	v_sub_f32_e32 v15, v15, v18
	v_add_f32_e32 v15, v15, v17
.LBB155_67:
	s_or_b32 exec_lo, exec_lo, s10
.LBB155_68:
	s_andn2_saveexec_b32 s9, s9
	s_cbranch_execz .LBB155_86
; %bb.69:
	s_mov_b32 s10, exec_lo
                                        ; implicit-def: $vgpr15
                                        ; implicit-def: $vgpr17
                                        ; implicit-def: $vgpr16
	v_cmpx_ge_f32_e64 0x3f666666, |v11|
	s_xor_b32 s10, exec_lo, s10
	s_cbranch_execz .LBB155_71
; %bb.70:
	v_cmp_gt_f32_e64 s5, 0x800000, |v11|
	v_sub_f32_e64 v18, 1.0, |v11|
	v_cmp_gt_f32_e64 vcc_lo, 0x3f3b4a23, |v11|
	v_cndmask_b32_e64 v15, 0, 32, s5
	v_cndmask_b32_e64 v19, 0, 0x41b17218, s5
	v_ldexp_f32 v15, |v11|, v15
	v_log_f32_e32 v15, v15
	v_mul_f32_e32 v16, 0x3f317217, v15
	v_cmp_gt_f32_e64 s5, 0x7f800000, |v15|
	v_fma_f32 v17, 0x3f317217, v15, -v16
	v_fmamk_f32 v17, v15, 0x3377d1cf, v17
	v_add_f32_e32 v16, v16, v17
	v_add_f32_e64 v17, 0xbeec5b0c, |v11|
	v_cndmask_b32_e64 v15, v15, v16, s5
	v_cndmask_b32_e32 v16, v18, v17, vcc_lo
	v_cndmask_b32_e64 v17, 0, 1, vcc_lo
	v_cmp_gt_f32_e64 s5, 0x3e6d3309, |v11|
	v_sub_f32_e32 v15, v15, v19
	v_cndmask_b32_e64 v16, v16, |v11|, s5
	v_cndmask_b32_e64 v17, v17, 2, s5
	v_xor_b32_e32 v15, 0x80000000, v15
.LBB155_71:
	s_andn2_saveexec_b32 s5, s10
	s_cbranch_execz .LBB155_73
; %bb.72:
	v_sub_f32_e64 v15, 2.0, |v11|
	v_add_f32_e64 v16, 0xbfbb16c3, |v11|
	v_cmp_gt_f32_e64 vcc_lo, 0x3fdda512, |v11|
	v_add_f32_e64 v17, |v11|, -1.0
	v_cndmask_b32_e32 v16, v15, v16, vcc_lo
	v_cndmask_b32_e64 v15, v15, 1.0, vcc_lo
	v_cmp_gt_f32_e64 vcc_lo, 0x3f9d70a4, |v11|
	v_cvt_i32_f32_e32 v15, v15
	v_cndmask_b32_e32 v16, v16, v17, vcc_lo
	v_cndmask_b32_e64 v17, v15, 2, vcc_lo
	v_mov_b32_e32 v15, 0
.LBB155_73:
	s_or_b32 exec_lo, exec_lo, s5
	s_mov_b32 s5, exec_lo
	v_cmpx_lt_i32_e32 0, v17
	s_xor_b32 s5, exec_lo, s5
	s_cbranch_execz .LBB155_81
; %bb.74:
	s_mov_b32 s10, exec_lo
	v_cmpx_lt_i32_e32 1, v17
	s_xor_b32 s10, exec_lo, s10
	s_cbranch_execz .LBB155_78
; %bb.75:
	s_mov_b32 s11, exec_lo
	v_cmpx_eq_u32_e32 2, v17
	s_cbranch_execz .LBB155_77
; %bb.76:
	s_mov_b32 s12, 0x3b52d5db
	v_fmaak_f32 v17, s12, v16, 0x3dd572af
	s_mov_b32 s12, 0x3c5b3c5e
	v_fmaak_f32 v18, s12, v16, 0x3e6a7578
	v_fmaak_f32 v17, v16, v17, 0x3f44efdf
	;; [unrolled: 1-line block ×7, first 2 shown]
	v_fma_f32 v17, v16, v17, 1.0
	v_fmaak_f32 v18, v16, v18, 0xbd9e233f
	v_rcp_f32_e32 v17, v17
	v_mul_f32_e32 v18, v16, v18
	v_mul_f32_e32 v17, v18, v17
	v_fmac_f32_e32 v17, -0.5, v16
	v_add_f32_e32 v15, v15, v17
.LBB155_77:
	s_or_b32 exec_lo, exec_lo, s11
                                        ; implicit-def: $vgpr16
.LBB155_78:
	s_andn2_saveexec_b32 s10, s10
	s_cbranch_execz .LBB155_80
; %bb.79:
	v_mul_f32_e32 v17, v16, v16
	s_mov_b32 s11, 0xb9a3f927
	s_mov_b32 s12, 0x39afe9f7
	v_mul_f32_e32 v18, v16, v17
	v_fmaak_f32 v19, s11, v18, 0x3a66f867
	v_fmaak_f32 v20, s12, v18, 0xba0d3085
	s_mov_b32 s11, 0x39a57b6b
	v_fmaak_f32 v21, s11, v18, 0xbab7f476
	v_fmaak_f32 v19, v18, v19, 0xbb7177fe
	v_fmaak_f32 v20, v18, v20, 0x3b141699
	v_fmaak_f32 v21, v18, v21, 0x3bc7e707
	v_fmaak_f32 v19, v18, v19, 0x3c93373d
	v_fmaak_f32 v20, v18, v20, 0xbc28fcfe
	v_fmaak_f32 v21, v18, v21, 0xbd064d47
	v_fmaak_f32 v19, v18, v19, 0xbe17213c
	v_fmaak_f32 v20, v18, v20, 0x3d845a15
	v_fmac_f32_e32 v19, v16, v20
	v_fmaak_f32 v16, v18, v21, 0x3ef7b95e
	v_fma_f32 v18, v18, -v19, 0xa2863e55
	v_fma_f32 v16, v17, v16, -v18
	v_add_f32_e32 v16, 0xbdf8cdce, v16
	v_add_f32_e32 v15, v15, v16
.LBB155_80:
	s_or_b32 exec_lo, exec_lo, s10
                                        ; implicit-def: $vgpr17
                                        ; implicit-def: $vgpr16
.LBB155_81:
	s_andn2_saveexec_b32 s5, s5
	s_cbranch_execz .LBB155_85
; %bb.82:
	s_mov_b32 s10, exec_lo
	v_cmpx_eq_u32_e32 0, v17
	s_cbranch_execz .LBB155_84
; %bb.83:
	v_mul_f32_e32 v17, v16, v16
	s_mov_b32 s11, 0x383c2c75
	v_fmaak_f32 v18, s11, v17, 0x38e28445
	s_mov_b32 s11, 0x37d383a2
	v_fmaak_f32 v19, s11, v17, 0x39679767
	v_fmaak_f32 v18, v17, v18, 0x3a05b634
	;; [unrolled: 1-line block ×9, first 2 shown]
	v_mul_f32_e32 v17, v17, v18
	v_fmac_f32_e32 v17, v16, v19
	v_fmac_f32_e32 v17, -0.5, v16
	v_add_f32_e32 v15, v15, v17
.LBB155_84:
	s_or_b32 exec_lo, exec_lo, s10
.LBB155_85:
	s_or_b32 exec_lo, exec_lo, s5
.LBB155_86:
	s_or_b32 exec_lo, exec_lo, s9
.LBB155_87:
	s_andn2_saveexec_b32 s5, s6
	s_cbranch_execz .LBB155_89
; %bb.88:
	v_cmp_gt_f32_e64 s6, 0x800000, |v11|
	s_mov_b32 s9, 0x3e8a8991
	v_fma_f32 v18, |v11|, s9, 0xbecd26ab
	v_cndmask_b32_e64 v15, 0, 32, s6
	v_ldexp_f32 v15, |v11|, v15
	v_log_f32_e32 v15, v15
	v_mul_f32_e32 v16, 0x3f317217, v15
	v_cmp_gt_f32_e64 vcc_lo, 0x7f800000, |v15|
	v_fma_f32 v17, 0x3f317217, v15, -v16
	v_fmamk_f32 v17, v15, 0x3377d1cf, v17
	v_add_f32_e32 v16, v16, v17
	v_fma_f32 v17, |v11|, v18, 0x3f528d33
	v_cndmask_b32_e32 v15, v15, v16, vcc_lo
	v_cndmask_b32_e64 v16, 0, 0x41b17218, s6
	v_fma_f32 v17, |v11|, v17, 0xbf13c468
	v_sub_f32_e32 v15, v15, v16
	v_fma_f32 v15, |v11|, v17, -v15
.LBB155_89:
	s_or_b32 exec_lo, exec_lo, s5
	v_cmp_le_f32_e32 vcc_lo, 0, v11
	s_mov_b32 s6, exec_lo
	v_cmpx_nle_f32_e32 0, v11
	s_xor_b32 s9, exec_lo, s6
	s_cbranch_execz .LBB155_93
; %bb.90:
	v_cmp_gt_f32_e64 s5, 0x4b000000, |v11|
	v_cmp_lt_f32_e64 s6, 0x35000000, |v11|
	s_and_b32 s5, s5, s6
	s_and_saveexec_b32 s10, s5
	s_cbranch_execz .LBB155_92
; %bb.91:
	v_mul_f32_e64 v16, |v11|, 0.5
	s_mov_b32 s6, 0x3d4be544
	v_floor_f32_e32 v17, v16
	v_cmp_neq_f32_e64 s5, 0x7f800000, v16
	v_sub_f32_e32 v17, v16, v17
	v_min_f32_e32 v17, 0x3f7fffff, v17
	v_add_f32_e32 v17, v17, v17
	v_cndmask_b32_e64 v16, 0, v17, s5
	v_cmp_gt_f32_e64 s5, |v11|, 1.0
	v_cndmask_b32_e64 v16, |v11|, v16, s5
	s_mov_b32 s5, 0x3e75aa41
	v_add_f32_e32 v17, v16, v16
	v_rndne_f32_e32 v17, v17
	v_fmac_f32_e32 v16, -0.5, v17
	v_cvt_i32_f32_e32 v17, v17
	v_mul_f32_e32 v18, v16, v16
	v_fmaak_f32 v19, s5, v18, 0xbf1f24be
	v_fmaak_f32 v20, s6, v18, 0x3e642e9d
	v_mul_f32_e32 v21, v16, v18
	v_fmaak_f32 v19, v18, v19, 0x40234736
	v_fmaak_f32 v20, v18, v20, 0xbfaad1da
	;; [unrolled: 1-line block ×4, first 2 shown]
	v_mul_f32_e32 v19, v21, v19
	v_fmaak_f32 v20, v18, v20, 0xc09de9e6
	v_and_b32_e32 v21, 1, v17
	v_lshlrev_b32_e32 v17, 30, v17
	v_fmamk_f32 v16, v16, 0x40490fdb, v19
	v_fma_f32 v18, v18, v20, 1.0
	v_cmp_eq_u32_e64 s5, 0, v21
	v_and_or_b32 v3, 0x80000000, v17, v3
	v_cndmask_b32_e64 v16, v18, v16, s5
	v_xor3_b32 v3, v3, v16, v11
	v_mul_f32_e32 v3, v11, v3
	v_frexp_mant_f32_e64 v16, |v3|
	v_frexp_exp_i32_f32_e32 v3, v3
	v_rcp_f32_e32 v16, v16
	v_sub_nc_u32_e32 v3, 2, v3
	v_mul_f32_e32 v16, 0x3f490fdb, v16
	v_ldexp_f32 v3, v16, v3
	v_cmp_gt_f32_e64 s5, 0x800000, v3
	v_cndmask_b32_e64 v16, 0, 32, s5
	v_ldexp_f32 v3, v3, v16
	v_log_f32_e32 v3, v3
	v_mul_f32_e32 v16, 0x3f317217, v3
	v_cmp_gt_f32_e64 s6, 0x7f800000, |v3|
	v_fma_f32 v17, 0x3f317217, v3, -v16
	v_fmamk_f32 v17, v3, 0x3377d1cf, v17
	v_add_f32_e32 v16, v16, v17
	v_floor_f32_e32 v17, v11
	v_cndmask_b32_e64 v3, v3, v16, s6
	v_cndmask_b32_e64 v16, 0, 0x41b17218, s5
	v_sub_f32_e32 v17, v11, v17
	v_sub_f32_e32 v3, v3, v16
	v_min_f32_e32 v16, 0x3f7fffff, v17
	v_sub_f32_e32 v3, v3, v15
	v_cmp_neq_f32_e64 s5, 0, v16
	v_cndmask_b32_e64 v15, 0x7f800000, v3, s5
.LBB155_92:
	s_or_b32 exec_lo, exec_lo, s10
.LBB155_93:
	s_andn2_saveexec_b32 s9, s9
; %bb.94:
	v_cmp_eq_f32_e64 s5, 1.0, v11
	v_cmp_eq_f32_e64 s6, 2.0, v11
	s_or_b32 s5, s5, s6
	v_cndmask_b32_e64 v15, v15, 0, s5
; %bb.95:
	s_or_b32 exec_lo, exec_lo, s9
	v_cmp_gt_f32_e64 s5, 0x4b000000, |v11|
	s_or_b32 vcc_lo, vcc_lo, s5
	v_cmp_class_f32_e64 s5, v11, 0x264
	v_cndmask_b32_e32 v3, 0x7f800000, v15, vcc_lo
	v_cmp_u_f32_e32 vcc_lo, v11, v11
	v_cndmask_b32_e64 v3, v3, 0x7f800000, s5
	v_cndmask_b32_e32 v3, v3, v11, vcc_lo
	v_bfe_u32 v11, v3, 16, 1
	v_cmp_o_f32_e32 vcc_lo, v3, v3
	v_add3_u32 v3, v3, v11, 0x7fff
	v_mov_b32_e32 v11, 0x7fc0
	v_cndmask_b32_sdwa v3, v11, v3, vcc_lo dst_sel:DWORD dst_unused:UNUSED_PAD src0_sel:DWORD src1_sel:WORD_1
.LBB155_96:
	s_or_b32 exec_lo, exec_lo, s8
	v_add_nc_u32_e32 v11, 0x200, v7
	v_cmp_lt_i32_e32 vcc_lo, v11, v4
                                        ; implicit-def: $vgpr11
	s_and_saveexec_b32 s8, vcc_lo
	s_cbranch_execz .LBB155_136
; %bb.97:
	v_and_b32_e32 v11, 0x7fffffff, v14
	s_mov_b32 s6, exec_lo
                                        ; implicit-def: $vgpr15
	v_cmpx_ngt_f32_e64 0x3c800000, |v14|
	s_xor_b32 s6, exec_lo, s6
	s_cbranch_execz .LBB155_127
; %bb.98:
	s_mov_b32 s9, exec_lo
                                        ; implicit-def: $vgpr15
	v_cmpx_nlt_f32_e64 |v14|, 2.0
	s_xor_b32 s9, exec_lo, s9
	s_cbranch_execz .LBB155_108
; %bb.99:
	v_cmp_ngt_f32_e64 s5, 0x41000000, |v14|
                                        ; implicit-def: $vgpr15
	s_and_saveexec_b32 s10, s5
	s_xor_b32 s5, exec_lo, s10
	s_cbranch_execz .LBB155_105
; %bb.100:
	v_cmp_ngt_f32_e64 s10, 0x5c800000, |v14|
                                        ; implicit-def: $vgpr15
	s_and_saveexec_b32 s11, s10
	s_xor_b32 s10, exec_lo, s11
	s_cbranch_execz .LBB155_102
; %bb.101:
	v_cmp_gt_f32_e64 s11, 0x800000, |v14|
	v_cndmask_b32_e64 v15, 0, 32, s11
	v_ldexp_f32 v15, |v14|, v15
	v_log_f32_e32 v15, v15
	v_mul_f32_e32 v16, 0x3f317217, v15
	v_cmp_gt_f32_e64 vcc_lo, 0x7f800000, |v15|
	v_fma_f32 v17, 0x3f317217, v15, -v16
	v_fmamk_f32 v17, v15, 0x3377d1cf, v17
	v_add_f32_e32 v16, v16, v17
	v_cndmask_b32_e32 v15, v15, v16, vcc_lo
	v_cndmask_b32_e64 v16, 0, 0x41b17218, s11
	v_sub_f32_e32 v15, v15, v16
	v_fma_f32 v15, |v14|, v15, -|v14|
.LBB155_102:
	s_andn2_saveexec_b32 s10, s10
	s_cbranch_execz .LBB155_104
; %bb.103:
	v_cmp_gt_f32_e64 s11, 0x800000, |v14|
	v_rcp_f32_e64 v16, |v14|
	s_mov_b32 s12, 0xbad5c4e8
	v_cndmask_b32_e64 v15, 0, 32, s11
	v_ldexp_f32 v15, |v14|, v15
	v_mul_f32_e32 v17, v16, v16
	v_log_f32_e32 v15, v15
	v_fmaak_f32 v19, s12, v17, 0x3a5b3dd2
	v_fmaak_f32 v19, v17, v19, 0xba1c065c
	v_mul_f32_e32 v18, 0x3f317217, v15
	v_fmaak_f32 v19, v17, v19, 0x3a500cfd
	v_cmp_gt_f32_e64 vcc_lo, 0x7f800000, |v15|
	v_fma_f32 v20, 0x3f317217, v15, -v18
	v_fmaak_f32 v19, v17, v19, 0xbb360b61
	v_fmamk_f32 v20, v15, 0x3377d1cf, v20
	v_fmaak_f32 v17, v17, v19, 0x3daaaaab
	v_add_f32_e32 v18, v18, v20
	v_cndmask_b32_e32 v15, v15, v18, vcc_lo
	v_cndmask_b32_e64 v18, 0, 0x41b17218, s11
	v_sub_f32_e32 v18, v15, v18
	v_fmaak_f32 v15, v16, v17, 0x3ed67f1d
	v_add_f32_e64 v16, |v14|, -0.5
	v_add_f32_e32 v17, -1.0, v18
	v_fmac_f32_e32 v15, v16, v17
.LBB155_104:
	s_or_b32 exec_lo, exec_lo, s10
.LBB155_105:
	s_andn2_saveexec_b32 s10, s5
	s_cbranch_execz .LBB155_107
; %bb.106:
	v_cvt_i32_f32_e32 v15, v11
	s_mov_b32 s5, 0x36f5d7bd
	s_mov_b32 s11, 0x3805ff67
	v_cvt_f32_i32_e32 v16, v15
	v_cmp_lt_i32_e32 vcc_lo, 2, v15
	v_sub_f32_e64 v16, |v14|, v16
	v_add_f32_e32 v17, 2.0, v16
	v_add_f32_e32 v18, 0x40400000, v16
	v_add_f32_e32 v19, 4.0, v16
	v_add_f32_e32 v20, 0x40a00000, v16
	v_cndmask_b32_e32 v17, 1.0, v17, vcc_lo
	v_cmp_lt_i32_e32 vcc_lo, 3, v15
	v_cndmask_b32_e32 v18, 1.0, v18, vcc_lo
	v_cmp_lt_i32_e32 vcc_lo, 4, v15
	v_mul_f32_e32 v17, v17, v18
	v_cndmask_b32_e32 v19, 1.0, v19, vcc_lo
	v_cmp_lt_i32_e32 vcc_lo, 5, v15
	v_add_f32_e32 v18, 0x40c00000, v16
	v_mul_f32_e32 v17, v19, v17
	v_cndmask_b32_e32 v20, 1.0, v20, vcc_lo
	v_cmp_lt_i32_e32 vcc_lo, 6, v15
	v_fmaak_f32 v19, s11, v16, 0x3af135b4
	v_mul_f32_e32 v17, v20, v17
	v_cndmask_b32_e32 v15, 1.0, v18, vcc_lo
	v_mul_f32_e32 v15, v15, v17
	v_fmaak_f32 v17, s5, v16, 0x3a4beed6
	v_cmp_gt_f32_e32 vcc_lo, 0x800000, v15
	v_fmaak_f32 v17, v16, v17, 0x3c98bf54
	v_cndmask_b32_e64 v18, 0, 32, vcc_lo
	v_fmaak_f32 v17, v16, v17, 0x3e300f6e
	v_ldexp_f32 v15, v15, v18
	v_fmaak_f32 v18, v16, v19, 0x3cda40e4
	v_fmaak_f32 v17, v16, v17, 0x3f38d0c5
	v_log_f32_e32 v15, v15
	v_fmaak_f32 v18, v16, v18, 0x3e15dce6
	v_fmaak_f32 v17, v16, v17, 0x3fb22d3b
	;; [unrolled: 1-line block ×3, first 2 shown]
	v_fma_f32 v17, v16, v17, 1.0
	v_mul_f32_e32 v19, 0x3f317217, v15
	v_fmaak_f32 v18, v16, v18, 0x3e5c245a
	v_rcp_f32_e32 v17, v17
	v_cmp_gt_f32_e64 s5, 0x7f800000, |v15|
	v_fma_f32 v20, 0x3f317217, v15, -v19
	v_fmaak_f32 v18, v16, v18, 0xbd9e233f
	v_fmamk_f32 v20, v15, 0x3377d1cf, v20
	v_mul_f32_e32 v18, v16, v18
	v_add_f32_e32 v19, v19, v20
	v_mul_f32_e32 v17, v18, v17
	v_cndmask_b32_e64 v18, 0, 0x41b17218, vcc_lo
	v_cndmask_b32_e64 v15, v15, v19, s5
	v_fmac_f32_e32 v17, 0.5, v16
	v_sub_f32_e32 v15, v15, v18
	v_add_f32_e32 v15, v15, v17
.LBB155_107:
	s_or_b32 exec_lo, exec_lo, s10
.LBB155_108:
	s_andn2_saveexec_b32 s9, s9
	s_cbranch_execz .LBB155_126
; %bb.109:
	s_mov_b32 s10, exec_lo
                                        ; implicit-def: $vgpr15
                                        ; implicit-def: $vgpr17
                                        ; implicit-def: $vgpr16
	v_cmpx_ge_f32_e64 0x3f666666, |v14|
	s_xor_b32 s10, exec_lo, s10
	s_cbranch_execz .LBB155_111
; %bb.110:
	v_cmp_gt_f32_e64 s5, 0x800000, |v14|
	v_sub_f32_e64 v18, 1.0, |v14|
	v_cmp_gt_f32_e64 vcc_lo, 0x3f3b4a23, |v14|
	v_cndmask_b32_e64 v15, 0, 32, s5
	v_cndmask_b32_e64 v19, 0, 0x41b17218, s5
	v_ldexp_f32 v15, |v14|, v15
	v_log_f32_e32 v15, v15
	v_mul_f32_e32 v16, 0x3f317217, v15
	v_cmp_gt_f32_e64 s5, 0x7f800000, |v15|
	v_fma_f32 v17, 0x3f317217, v15, -v16
	v_fmamk_f32 v17, v15, 0x3377d1cf, v17
	v_add_f32_e32 v16, v16, v17
	v_add_f32_e64 v17, 0xbeec5b0c, |v14|
	v_cndmask_b32_e64 v15, v15, v16, s5
	v_cndmask_b32_e32 v16, v18, v17, vcc_lo
	v_cndmask_b32_e64 v17, 0, 1, vcc_lo
	v_cmp_gt_f32_e64 s5, 0x3e6d3309, |v14|
	v_sub_f32_e32 v15, v15, v19
	v_cndmask_b32_e64 v16, v16, |v14|, s5
	v_cndmask_b32_e64 v17, v17, 2, s5
	v_xor_b32_e32 v15, 0x80000000, v15
.LBB155_111:
	s_andn2_saveexec_b32 s5, s10
	s_cbranch_execz .LBB155_113
; %bb.112:
	v_sub_f32_e64 v15, 2.0, |v14|
	v_add_f32_e64 v16, 0xbfbb16c3, |v14|
	v_cmp_gt_f32_e64 vcc_lo, 0x3fdda512, |v14|
	v_add_f32_e64 v17, |v14|, -1.0
	v_cndmask_b32_e32 v16, v15, v16, vcc_lo
	v_cndmask_b32_e64 v15, v15, 1.0, vcc_lo
	v_cmp_gt_f32_e64 vcc_lo, 0x3f9d70a4, |v14|
	v_cvt_i32_f32_e32 v15, v15
	v_cndmask_b32_e32 v16, v16, v17, vcc_lo
	v_cndmask_b32_e64 v17, v15, 2, vcc_lo
	v_mov_b32_e32 v15, 0
.LBB155_113:
	s_or_b32 exec_lo, exec_lo, s5
	s_mov_b32 s5, exec_lo
	v_cmpx_lt_i32_e32 0, v17
	s_xor_b32 s5, exec_lo, s5
	s_cbranch_execz .LBB155_121
; %bb.114:
	s_mov_b32 s10, exec_lo
	v_cmpx_lt_i32_e32 1, v17
	s_xor_b32 s10, exec_lo, s10
	s_cbranch_execz .LBB155_118
; %bb.115:
	s_mov_b32 s11, exec_lo
	v_cmpx_eq_u32_e32 2, v17
	s_cbranch_execz .LBB155_117
; %bb.116:
	s_mov_b32 s12, 0x3b52d5db
	v_fmaak_f32 v17, s12, v16, 0x3dd572af
	s_mov_b32 s12, 0x3c5b3c5e
	v_fmaak_f32 v18, s12, v16, 0x3e6a7578
	v_fmaak_f32 v17, v16, v17, 0x3f44efdf
	;; [unrolled: 1-line block ×7, first 2 shown]
	v_fma_f32 v17, v16, v17, 1.0
	v_fmaak_f32 v18, v16, v18, 0xbd9e233f
	v_rcp_f32_e32 v17, v17
	v_mul_f32_e32 v18, v16, v18
	v_mul_f32_e32 v17, v18, v17
	v_fmac_f32_e32 v17, -0.5, v16
	v_add_f32_e32 v15, v15, v17
.LBB155_117:
	s_or_b32 exec_lo, exec_lo, s11
                                        ; implicit-def: $vgpr16
.LBB155_118:
	s_andn2_saveexec_b32 s10, s10
	s_cbranch_execz .LBB155_120
; %bb.119:
	v_mul_f32_e32 v17, v16, v16
	s_mov_b32 s11, 0xb9a3f927
	s_mov_b32 s12, 0x39afe9f7
	v_mul_f32_e32 v18, v16, v17
	v_fmaak_f32 v19, s11, v18, 0x3a66f867
	v_fmaak_f32 v20, s12, v18, 0xba0d3085
	s_mov_b32 s11, 0x39a57b6b
	v_fmaak_f32 v21, s11, v18, 0xbab7f476
	v_fmaak_f32 v19, v18, v19, 0xbb7177fe
	;; [unrolled: 1-line block ×9, first 2 shown]
	v_fmac_f32_e32 v19, v16, v20
	v_fmaak_f32 v16, v18, v21, 0x3ef7b95e
	v_fma_f32 v18, v18, -v19, 0xa2863e55
	v_fma_f32 v16, v17, v16, -v18
	v_add_f32_e32 v16, 0xbdf8cdce, v16
	v_add_f32_e32 v15, v15, v16
.LBB155_120:
	s_or_b32 exec_lo, exec_lo, s10
                                        ; implicit-def: $vgpr17
                                        ; implicit-def: $vgpr16
.LBB155_121:
	s_andn2_saveexec_b32 s5, s5
	s_cbranch_execz .LBB155_125
; %bb.122:
	s_mov_b32 s10, exec_lo
	v_cmpx_eq_u32_e32 0, v17
	s_cbranch_execz .LBB155_124
; %bb.123:
	v_mul_f32_e32 v17, v16, v16
	s_mov_b32 s11, 0x383c2c75
	v_fmaak_f32 v18, s11, v17, 0x38e28445
	s_mov_b32 s11, 0x37d383a2
	v_fmaak_f32 v19, s11, v17, 0x39679767
	v_fmaak_f32 v18, v17, v18, 0x3a05b634
	;; [unrolled: 1-line block ×9, first 2 shown]
	v_mul_f32_e32 v17, v17, v18
	v_fmac_f32_e32 v17, v16, v19
	v_fmac_f32_e32 v17, -0.5, v16
	v_add_f32_e32 v15, v15, v17
.LBB155_124:
	s_or_b32 exec_lo, exec_lo, s10
.LBB155_125:
	s_or_b32 exec_lo, exec_lo, s5
.LBB155_126:
	s_or_b32 exec_lo, exec_lo, s9
.LBB155_127:
	s_andn2_saveexec_b32 s5, s6
	s_cbranch_execz .LBB155_129
; %bb.128:
	v_cmp_gt_f32_e64 s6, 0x800000, |v14|
	s_mov_b32 s9, 0x3e8a8991
	v_fma_f32 v18, |v14|, s9, 0xbecd26ab
	v_cndmask_b32_e64 v15, 0, 32, s6
	v_ldexp_f32 v15, |v14|, v15
	v_log_f32_e32 v15, v15
	v_mul_f32_e32 v16, 0x3f317217, v15
	v_cmp_gt_f32_e64 vcc_lo, 0x7f800000, |v15|
	v_fma_f32 v17, 0x3f317217, v15, -v16
	v_fmamk_f32 v17, v15, 0x3377d1cf, v17
	v_add_f32_e32 v16, v16, v17
	v_fma_f32 v17, |v14|, v18, 0x3f528d33
	v_cndmask_b32_e32 v15, v15, v16, vcc_lo
	v_cndmask_b32_e64 v16, 0, 0x41b17218, s6
	v_fma_f32 v17, |v14|, v17, 0xbf13c468
	v_sub_f32_e32 v15, v15, v16
	v_fma_f32 v15, |v14|, v17, -v15
.LBB155_129:
	s_or_b32 exec_lo, exec_lo, s5
	v_cmp_le_f32_e32 vcc_lo, 0, v14
	s_mov_b32 s6, exec_lo
	v_cmpx_nle_f32_e32 0, v14
	s_xor_b32 s9, exec_lo, s6
	s_cbranch_execz .LBB155_133
; %bb.130:
	v_cmp_gt_f32_e64 s5, 0x4b000000, |v14|
	v_cmp_lt_f32_e64 s6, 0x35000000, |v14|
	s_and_b32 s5, s5, s6
	s_and_saveexec_b32 s10, s5
	s_cbranch_execz .LBB155_132
; %bb.131:
	v_mul_f32_e64 v16, |v14|, 0.5
	s_mov_b32 s6, 0x3d4be544
	v_floor_f32_e32 v17, v16
	v_cmp_neq_f32_e64 s5, 0x7f800000, v16
	v_sub_f32_e32 v17, v16, v17
	v_min_f32_e32 v17, 0x3f7fffff, v17
	v_add_f32_e32 v17, v17, v17
	v_cndmask_b32_e64 v16, 0, v17, s5
	v_cmp_gt_f32_e64 s5, |v14|, 1.0
	v_cndmask_b32_e64 v16, |v14|, v16, s5
	s_mov_b32 s5, 0x3e75aa41
	v_add_f32_e32 v17, v16, v16
	v_rndne_f32_e32 v17, v17
	v_fmac_f32_e32 v16, -0.5, v17
	v_cvt_i32_f32_e32 v17, v17
	v_mul_f32_e32 v18, v16, v16
	v_fmaak_f32 v19, s5, v18, 0xbf1f24be
	v_fmaak_f32 v20, s6, v18, 0x3e642e9d
	v_mul_f32_e32 v21, v16, v18
	v_fmaak_f32 v19, v18, v19, 0x40234736
	v_fmaak_f32 v20, v18, v20, 0xbfaad1da
	;; [unrolled: 1-line block ×4, first 2 shown]
	v_mul_f32_e32 v19, v21, v19
	v_fmaak_f32 v20, v18, v20, 0xc09de9e6
	v_and_b32_e32 v21, 1, v17
	v_lshlrev_b32_e32 v17, 30, v17
	v_fmamk_f32 v16, v16, 0x40490fdb, v19
	v_fma_f32 v18, v18, v20, 1.0
	v_cmp_eq_u32_e64 s5, 0, v21
	v_and_or_b32 v11, 0x80000000, v17, v11
	v_cndmask_b32_e64 v16, v18, v16, s5
	v_xor3_b32 v11, v11, v16, v14
	v_mul_f32_e32 v11, v14, v11
	v_frexp_mant_f32_e64 v16, |v11|
	v_frexp_exp_i32_f32_e32 v11, v11
	v_rcp_f32_e32 v16, v16
	v_sub_nc_u32_e32 v11, 2, v11
	v_mul_f32_e32 v16, 0x3f490fdb, v16
	v_ldexp_f32 v11, v16, v11
	v_cmp_gt_f32_e64 s5, 0x800000, v11
	v_cndmask_b32_e64 v16, 0, 32, s5
	v_ldexp_f32 v11, v11, v16
	v_log_f32_e32 v11, v11
	v_mul_f32_e32 v16, 0x3f317217, v11
	v_cmp_gt_f32_e64 s6, 0x7f800000, |v11|
	v_fma_f32 v17, 0x3f317217, v11, -v16
	v_fmamk_f32 v17, v11, 0x3377d1cf, v17
	v_add_f32_e32 v16, v16, v17
	v_floor_f32_e32 v17, v14
	v_cndmask_b32_e64 v11, v11, v16, s6
	v_cndmask_b32_e64 v16, 0, 0x41b17218, s5
	v_sub_f32_e32 v17, v14, v17
	v_sub_f32_e32 v11, v11, v16
	v_min_f32_e32 v16, 0x3f7fffff, v17
	v_sub_f32_e32 v11, v11, v15
	v_cmp_neq_f32_e64 s5, 0, v16
	v_cndmask_b32_e64 v15, 0x7f800000, v11, s5
.LBB155_132:
	s_or_b32 exec_lo, exec_lo, s10
.LBB155_133:
	s_andn2_saveexec_b32 s9, s9
; %bb.134:
	v_cmp_eq_f32_e64 s5, 1.0, v14
	v_cmp_eq_f32_e64 s6, 2.0, v14
	s_or_b32 s5, s5, s6
	v_cndmask_b32_e64 v15, v15, 0, s5
; %bb.135:
	s_or_b32 exec_lo, exec_lo, s9
	v_cmp_gt_f32_e64 s5, 0x4b000000, |v14|
	s_or_b32 vcc_lo, vcc_lo, s5
	v_cmp_class_f32_e64 s5, v14, 0x264
	v_cndmask_b32_e32 v11, 0x7f800000, v15, vcc_lo
	v_cmp_u_f32_e32 vcc_lo, v14, v14
	v_cndmask_b32_e64 v11, v11, 0x7f800000, s5
	v_cndmask_b32_e32 v11, v11, v14, vcc_lo
	v_bfe_u32 v14, v11, 16, 1
	v_cmp_o_f32_e32 vcc_lo, v11, v11
	v_add3_u32 v11, v11, v14, 0x7fff
	v_mov_b32_e32 v14, 0x7fc0
	v_cndmask_b32_sdwa v11, v14, v11, vcc_lo dst_sel:DWORD dst_unused:UNUSED_PAD src0_sel:DWORD src1_sel:WORD_1
.LBB155_136:
	s_or_b32 exec_lo, exec_lo, s8
	v_add_nc_u32_e32 v14, 0x300, v7
	v_cmp_lt_i32_e32 vcc_lo, v14, v4
                                        ; implicit-def: $vgpr14
	s_and_saveexec_b32 s8, vcc_lo
	s_cbranch_execz .LBB155_176
; %bb.137:
	v_and_b32_e32 v14, 0x7fffffff, v13
	s_mov_b32 s6, exec_lo
                                        ; implicit-def: $vgpr15
	v_cmpx_ngt_f32_e64 0x3c800000, |v13|
	s_xor_b32 s6, exec_lo, s6
	s_cbranch_execz .LBB155_167
; %bb.138:
	s_mov_b32 s9, exec_lo
                                        ; implicit-def: $vgpr15
	v_cmpx_nlt_f32_e64 |v13|, 2.0
	s_xor_b32 s9, exec_lo, s9
	s_cbranch_execz .LBB155_148
; %bb.139:
	v_cmp_ngt_f32_e64 s5, 0x41000000, |v13|
                                        ; implicit-def: $vgpr15
	s_and_saveexec_b32 s10, s5
	s_xor_b32 s5, exec_lo, s10
	s_cbranch_execz .LBB155_145
; %bb.140:
	v_cmp_ngt_f32_e64 s10, 0x5c800000, |v13|
                                        ; implicit-def: $vgpr15
	s_and_saveexec_b32 s11, s10
	s_xor_b32 s10, exec_lo, s11
	s_cbranch_execz .LBB155_142
; %bb.141:
	v_cmp_gt_f32_e64 s11, 0x800000, |v13|
	v_cndmask_b32_e64 v15, 0, 32, s11
	v_ldexp_f32 v15, |v13|, v15
	v_log_f32_e32 v15, v15
	v_mul_f32_e32 v16, 0x3f317217, v15
	v_cmp_gt_f32_e64 vcc_lo, 0x7f800000, |v15|
	v_fma_f32 v17, 0x3f317217, v15, -v16
	v_fmamk_f32 v17, v15, 0x3377d1cf, v17
	v_add_f32_e32 v16, v16, v17
	v_cndmask_b32_e32 v15, v15, v16, vcc_lo
	v_cndmask_b32_e64 v16, 0, 0x41b17218, s11
	v_sub_f32_e32 v15, v15, v16
	v_fma_f32 v15, |v13|, v15, -|v13|
.LBB155_142:
	s_andn2_saveexec_b32 s10, s10
	s_cbranch_execz .LBB155_144
; %bb.143:
	v_cmp_gt_f32_e64 s11, 0x800000, |v13|
	v_rcp_f32_e64 v16, |v13|
	s_mov_b32 s12, 0xbad5c4e8
	v_cndmask_b32_e64 v15, 0, 32, s11
	v_ldexp_f32 v15, |v13|, v15
	v_mul_f32_e32 v17, v16, v16
	v_log_f32_e32 v15, v15
	v_fmaak_f32 v19, s12, v17, 0x3a5b3dd2
	v_fmaak_f32 v19, v17, v19, 0xba1c065c
	v_mul_f32_e32 v18, 0x3f317217, v15
	v_fmaak_f32 v19, v17, v19, 0x3a500cfd
	v_cmp_gt_f32_e64 vcc_lo, 0x7f800000, |v15|
	v_fma_f32 v20, 0x3f317217, v15, -v18
	v_fmaak_f32 v19, v17, v19, 0xbb360b61
	v_fmamk_f32 v20, v15, 0x3377d1cf, v20
	v_fmaak_f32 v17, v17, v19, 0x3daaaaab
	v_add_f32_e32 v18, v18, v20
	v_cndmask_b32_e32 v15, v15, v18, vcc_lo
	v_cndmask_b32_e64 v18, 0, 0x41b17218, s11
	v_sub_f32_e32 v18, v15, v18
	v_fmaak_f32 v15, v16, v17, 0x3ed67f1d
	v_add_f32_e64 v16, |v13|, -0.5
	v_add_f32_e32 v17, -1.0, v18
	v_fmac_f32_e32 v15, v16, v17
.LBB155_144:
	s_or_b32 exec_lo, exec_lo, s10
.LBB155_145:
	s_andn2_saveexec_b32 s10, s5
	s_cbranch_execz .LBB155_147
; %bb.146:
	v_cvt_i32_f32_e32 v15, v14
	s_mov_b32 s5, 0x36f5d7bd
	s_mov_b32 s11, 0x3805ff67
	v_cvt_f32_i32_e32 v16, v15
	v_cmp_lt_i32_e32 vcc_lo, 2, v15
	v_sub_f32_e64 v16, |v13|, v16
	v_add_f32_e32 v17, 2.0, v16
	v_add_f32_e32 v18, 0x40400000, v16
	v_add_f32_e32 v19, 4.0, v16
	v_add_f32_e32 v20, 0x40a00000, v16
	v_cndmask_b32_e32 v17, 1.0, v17, vcc_lo
	v_cmp_lt_i32_e32 vcc_lo, 3, v15
	v_cndmask_b32_e32 v18, 1.0, v18, vcc_lo
	v_cmp_lt_i32_e32 vcc_lo, 4, v15
	v_mul_f32_e32 v17, v17, v18
	v_cndmask_b32_e32 v19, 1.0, v19, vcc_lo
	v_cmp_lt_i32_e32 vcc_lo, 5, v15
	v_add_f32_e32 v18, 0x40c00000, v16
	v_mul_f32_e32 v17, v19, v17
	v_cndmask_b32_e32 v20, 1.0, v20, vcc_lo
	v_cmp_lt_i32_e32 vcc_lo, 6, v15
	v_fmaak_f32 v19, s11, v16, 0x3af135b4
	v_mul_f32_e32 v17, v20, v17
	v_cndmask_b32_e32 v15, 1.0, v18, vcc_lo
	v_mul_f32_e32 v15, v15, v17
	v_fmaak_f32 v17, s5, v16, 0x3a4beed6
	v_cmp_gt_f32_e32 vcc_lo, 0x800000, v15
	v_fmaak_f32 v17, v16, v17, 0x3c98bf54
	v_cndmask_b32_e64 v18, 0, 32, vcc_lo
	v_fmaak_f32 v17, v16, v17, 0x3e300f6e
	v_ldexp_f32 v15, v15, v18
	v_fmaak_f32 v18, v16, v19, 0x3cda40e4
	v_fmaak_f32 v17, v16, v17, 0x3f38d0c5
	v_log_f32_e32 v15, v15
	v_fmaak_f32 v18, v16, v18, 0x3e15dce6
	v_fmaak_f32 v17, v16, v17, 0x3fb22d3b
	;; [unrolled: 1-line block ×3, first 2 shown]
	v_fma_f32 v17, v16, v17, 1.0
	v_mul_f32_e32 v19, 0x3f317217, v15
	v_fmaak_f32 v18, v16, v18, 0x3e5c245a
	v_rcp_f32_e32 v17, v17
	v_cmp_gt_f32_e64 s5, 0x7f800000, |v15|
	v_fma_f32 v20, 0x3f317217, v15, -v19
	v_fmaak_f32 v18, v16, v18, 0xbd9e233f
	v_fmamk_f32 v20, v15, 0x3377d1cf, v20
	v_mul_f32_e32 v18, v16, v18
	v_add_f32_e32 v19, v19, v20
	v_mul_f32_e32 v17, v18, v17
	v_cndmask_b32_e64 v18, 0, 0x41b17218, vcc_lo
	v_cndmask_b32_e64 v15, v15, v19, s5
	v_fmac_f32_e32 v17, 0.5, v16
	v_sub_f32_e32 v15, v15, v18
	v_add_f32_e32 v15, v15, v17
.LBB155_147:
	s_or_b32 exec_lo, exec_lo, s10
.LBB155_148:
	s_andn2_saveexec_b32 s9, s9
	s_cbranch_execz .LBB155_166
; %bb.149:
	s_mov_b32 s10, exec_lo
                                        ; implicit-def: $vgpr15
                                        ; implicit-def: $vgpr17
                                        ; implicit-def: $vgpr16
	v_cmpx_ge_f32_e64 0x3f666666, |v13|
	s_xor_b32 s10, exec_lo, s10
	s_cbranch_execz .LBB155_151
; %bb.150:
	v_cmp_gt_f32_e64 s5, 0x800000, |v13|
	v_sub_f32_e64 v18, 1.0, |v13|
	v_cmp_gt_f32_e64 vcc_lo, 0x3f3b4a23, |v13|
	v_cndmask_b32_e64 v15, 0, 32, s5
	v_cndmask_b32_e64 v19, 0, 0x41b17218, s5
	v_ldexp_f32 v15, |v13|, v15
	v_log_f32_e32 v15, v15
	v_mul_f32_e32 v16, 0x3f317217, v15
	v_cmp_gt_f32_e64 s5, 0x7f800000, |v15|
	v_fma_f32 v17, 0x3f317217, v15, -v16
	v_fmamk_f32 v17, v15, 0x3377d1cf, v17
	v_add_f32_e32 v16, v16, v17
	v_add_f32_e64 v17, 0xbeec5b0c, |v13|
	v_cndmask_b32_e64 v15, v15, v16, s5
	v_cndmask_b32_e32 v16, v18, v17, vcc_lo
	v_cndmask_b32_e64 v17, 0, 1, vcc_lo
	v_cmp_gt_f32_e64 s5, 0x3e6d3309, |v13|
	v_sub_f32_e32 v15, v15, v19
	v_cndmask_b32_e64 v16, v16, |v13|, s5
	v_cndmask_b32_e64 v17, v17, 2, s5
	v_xor_b32_e32 v15, 0x80000000, v15
.LBB155_151:
	s_andn2_saveexec_b32 s5, s10
	s_cbranch_execz .LBB155_153
; %bb.152:
	v_sub_f32_e64 v15, 2.0, |v13|
	v_add_f32_e64 v16, 0xbfbb16c3, |v13|
	v_cmp_gt_f32_e64 vcc_lo, 0x3fdda512, |v13|
	v_add_f32_e64 v17, |v13|, -1.0
	v_cndmask_b32_e32 v16, v15, v16, vcc_lo
	v_cndmask_b32_e64 v15, v15, 1.0, vcc_lo
	v_cmp_gt_f32_e64 vcc_lo, 0x3f9d70a4, |v13|
	v_cvt_i32_f32_e32 v15, v15
	v_cndmask_b32_e32 v16, v16, v17, vcc_lo
	v_cndmask_b32_e64 v17, v15, 2, vcc_lo
	v_mov_b32_e32 v15, 0
.LBB155_153:
	s_or_b32 exec_lo, exec_lo, s5
	s_mov_b32 s5, exec_lo
	v_cmpx_lt_i32_e32 0, v17
	s_xor_b32 s5, exec_lo, s5
	s_cbranch_execz .LBB155_161
; %bb.154:
	s_mov_b32 s10, exec_lo
	v_cmpx_lt_i32_e32 1, v17
	s_xor_b32 s10, exec_lo, s10
	s_cbranch_execz .LBB155_158
; %bb.155:
	s_mov_b32 s11, exec_lo
	v_cmpx_eq_u32_e32 2, v17
	s_cbranch_execz .LBB155_157
; %bb.156:
	s_mov_b32 s12, 0x3b52d5db
	v_fmaak_f32 v17, s12, v16, 0x3dd572af
	s_mov_b32 s12, 0x3c5b3c5e
	v_fmaak_f32 v18, s12, v16, 0x3e6a7578
	v_fmaak_f32 v17, v16, v17, 0x3f44efdf
	;; [unrolled: 1-line block ×7, first 2 shown]
	v_fma_f32 v17, v16, v17, 1.0
	v_fmaak_f32 v18, v16, v18, 0xbd9e233f
	v_rcp_f32_e32 v17, v17
	v_mul_f32_e32 v18, v16, v18
	v_mul_f32_e32 v17, v18, v17
	v_fmac_f32_e32 v17, -0.5, v16
	v_add_f32_e32 v15, v15, v17
.LBB155_157:
	s_or_b32 exec_lo, exec_lo, s11
                                        ; implicit-def: $vgpr16
.LBB155_158:
	s_andn2_saveexec_b32 s10, s10
	s_cbranch_execz .LBB155_160
; %bb.159:
	v_mul_f32_e32 v17, v16, v16
	s_mov_b32 s11, 0xb9a3f927
	s_mov_b32 s12, 0x39afe9f7
	v_mul_f32_e32 v18, v16, v17
	v_fmaak_f32 v19, s11, v18, 0x3a66f867
	v_fmaak_f32 v20, s12, v18, 0xba0d3085
	s_mov_b32 s11, 0x39a57b6b
	v_fmaak_f32 v21, s11, v18, 0xbab7f476
	v_fmaak_f32 v19, v18, v19, 0xbb7177fe
	;; [unrolled: 1-line block ×9, first 2 shown]
	v_fmac_f32_e32 v19, v16, v20
	v_fmaak_f32 v16, v18, v21, 0x3ef7b95e
	v_fma_f32 v18, v18, -v19, 0xa2863e55
	v_fma_f32 v16, v17, v16, -v18
	v_add_f32_e32 v16, 0xbdf8cdce, v16
	v_add_f32_e32 v15, v15, v16
.LBB155_160:
	s_or_b32 exec_lo, exec_lo, s10
                                        ; implicit-def: $vgpr17
                                        ; implicit-def: $vgpr16
.LBB155_161:
	s_andn2_saveexec_b32 s5, s5
	s_cbranch_execz .LBB155_165
; %bb.162:
	s_mov_b32 s10, exec_lo
	v_cmpx_eq_u32_e32 0, v17
	s_cbranch_execz .LBB155_164
; %bb.163:
	v_mul_f32_e32 v17, v16, v16
	s_mov_b32 s11, 0x383c2c75
	v_fmaak_f32 v18, s11, v17, 0x38e28445
	s_mov_b32 s11, 0x37d383a2
	v_fmaak_f32 v19, s11, v17, 0x39679767
	v_fmaak_f32 v18, v17, v18, 0x3a05b634
	;; [unrolled: 1-line block ×9, first 2 shown]
	v_mul_f32_e32 v17, v17, v18
	v_fmac_f32_e32 v17, v16, v19
	v_fmac_f32_e32 v17, -0.5, v16
	v_add_f32_e32 v15, v15, v17
.LBB155_164:
	s_or_b32 exec_lo, exec_lo, s10
.LBB155_165:
	s_or_b32 exec_lo, exec_lo, s5
.LBB155_166:
	s_or_b32 exec_lo, exec_lo, s9
.LBB155_167:
	s_andn2_saveexec_b32 s5, s6
	s_cbranch_execz .LBB155_169
; %bb.168:
	v_cmp_gt_f32_e64 s6, 0x800000, |v13|
	s_mov_b32 s9, 0x3e8a8991
	v_fma_f32 v18, |v13|, s9, 0xbecd26ab
	v_cndmask_b32_e64 v15, 0, 32, s6
	v_ldexp_f32 v15, |v13|, v15
	v_log_f32_e32 v15, v15
	v_mul_f32_e32 v16, 0x3f317217, v15
	v_cmp_gt_f32_e64 vcc_lo, 0x7f800000, |v15|
	v_fma_f32 v17, 0x3f317217, v15, -v16
	v_fmamk_f32 v17, v15, 0x3377d1cf, v17
	v_add_f32_e32 v16, v16, v17
	v_fma_f32 v17, |v13|, v18, 0x3f528d33
	v_cndmask_b32_e32 v15, v15, v16, vcc_lo
	v_cndmask_b32_e64 v16, 0, 0x41b17218, s6
	v_fma_f32 v17, |v13|, v17, 0xbf13c468
	v_sub_f32_e32 v15, v15, v16
	v_fma_f32 v15, |v13|, v17, -v15
.LBB155_169:
	s_or_b32 exec_lo, exec_lo, s5
	v_cmp_le_f32_e32 vcc_lo, 0, v13
	s_mov_b32 s6, exec_lo
	v_cmpx_nle_f32_e32 0, v13
	s_xor_b32 s9, exec_lo, s6
	s_cbranch_execz .LBB155_173
; %bb.170:
	v_cmp_gt_f32_e64 s5, 0x4b000000, |v13|
	v_cmp_lt_f32_e64 s6, 0x35000000, |v13|
	s_and_b32 s5, s5, s6
	s_and_saveexec_b32 s10, s5
	s_cbranch_execz .LBB155_172
; %bb.171:
	v_mul_f32_e64 v16, |v13|, 0.5
	s_mov_b32 s6, 0x3d4be544
	v_floor_f32_e32 v17, v16
	v_cmp_neq_f32_e64 s5, 0x7f800000, v16
	v_sub_f32_e32 v17, v16, v17
	v_min_f32_e32 v17, 0x3f7fffff, v17
	v_add_f32_e32 v17, v17, v17
	v_cndmask_b32_e64 v16, 0, v17, s5
	v_cmp_gt_f32_e64 s5, |v13|, 1.0
	v_cndmask_b32_e64 v16, |v13|, v16, s5
	s_mov_b32 s5, 0x3e75aa41
	v_add_f32_e32 v17, v16, v16
	v_rndne_f32_e32 v17, v17
	v_fmac_f32_e32 v16, -0.5, v17
	v_cvt_i32_f32_e32 v17, v17
	v_mul_f32_e32 v18, v16, v16
	v_fmaak_f32 v19, s5, v18, 0xbf1f24be
	v_fmaak_f32 v20, s6, v18, 0x3e642e9d
	v_mul_f32_e32 v21, v16, v18
	v_fmaak_f32 v19, v18, v19, 0x40234736
	v_fmaak_f32 v20, v18, v20, 0xbfaad1da
	;; [unrolled: 1-line block ×4, first 2 shown]
	v_mul_f32_e32 v19, v21, v19
	v_fmaak_f32 v20, v18, v20, 0xc09de9e6
	v_and_b32_e32 v21, 1, v17
	v_lshlrev_b32_e32 v17, 30, v17
	v_fmamk_f32 v16, v16, 0x40490fdb, v19
	v_fma_f32 v18, v18, v20, 1.0
	v_cmp_eq_u32_e64 s5, 0, v21
	v_and_or_b32 v14, 0x80000000, v17, v14
	v_cndmask_b32_e64 v16, v18, v16, s5
	v_xor3_b32 v14, v14, v16, v13
	v_mul_f32_e32 v14, v13, v14
	v_frexp_mant_f32_e64 v16, |v14|
	v_frexp_exp_i32_f32_e32 v14, v14
	v_rcp_f32_e32 v16, v16
	v_sub_nc_u32_e32 v14, 2, v14
	v_mul_f32_e32 v16, 0x3f490fdb, v16
	v_ldexp_f32 v14, v16, v14
	v_cmp_gt_f32_e64 s5, 0x800000, v14
	v_cndmask_b32_e64 v16, 0, 32, s5
	v_ldexp_f32 v14, v14, v16
	v_log_f32_e32 v14, v14
	v_mul_f32_e32 v16, 0x3f317217, v14
	v_cmp_gt_f32_e64 s6, 0x7f800000, |v14|
	v_fma_f32 v17, 0x3f317217, v14, -v16
	v_fmamk_f32 v17, v14, 0x3377d1cf, v17
	v_add_f32_e32 v16, v16, v17
	v_floor_f32_e32 v17, v13
	v_cndmask_b32_e64 v14, v14, v16, s6
	v_cndmask_b32_e64 v16, 0, 0x41b17218, s5
	v_sub_f32_e32 v17, v13, v17
	v_sub_f32_e32 v14, v14, v16
	v_min_f32_e32 v16, 0x3f7fffff, v17
	v_sub_f32_e32 v14, v14, v15
	v_cmp_neq_f32_e64 s5, 0, v16
	v_cndmask_b32_e64 v15, 0x7f800000, v14, s5
.LBB155_172:
	s_or_b32 exec_lo, exec_lo, s10
.LBB155_173:
	s_andn2_saveexec_b32 s9, s9
; %bb.174:
	v_cmp_eq_f32_e64 s5, 1.0, v13
	v_cmp_eq_f32_e64 s6, 2.0, v13
	s_or_b32 s5, s5, s6
	v_cndmask_b32_e64 v15, v15, 0, s5
; %bb.175:
	s_or_b32 exec_lo, exec_lo, s9
	v_cmp_gt_f32_e64 s5, 0x4b000000, |v13|
	s_or_b32 vcc_lo, vcc_lo, s5
	v_cmp_class_f32_e64 s5, v13, 0x264
	v_cndmask_b32_e32 v14, 0x7f800000, v15, vcc_lo
	v_cmp_u_f32_e32 vcc_lo, v13, v13
	v_cndmask_b32_e64 v14, v14, 0x7f800000, s5
	v_cndmask_b32_e32 v13, v14, v13, vcc_lo
	v_bfe_u32 v14, v13, 16, 1
	v_cmp_o_f32_e32 vcc_lo, v13, v13
	v_add3_u32 v13, v13, v14, 0x7fff
	v_mov_b32_e32 v14, 0x7fc0
	v_cndmask_b32_sdwa v14, v14, v13, vcc_lo dst_sel:DWORD dst_unused:UNUSED_PAD src0_sel:DWORD src1_sel:WORD_1
.LBB155_176:
	s_or_b32 exec_lo, exec_lo, s8
	v_or_b32_e32 v13, 0x400, v7
	v_cmp_lt_i32_e32 vcc_lo, v13, v4
                                        ; implicit-def: $vgpr13
	s_and_saveexec_b32 s8, vcc_lo
	s_cbranch_execz .LBB155_216
; %bb.177:
	v_and_b32_e32 v13, 0x7fffffff, v12
	s_mov_b32 s6, exec_lo
                                        ; implicit-def: $vgpr15
	v_cmpx_ngt_f32_e64 0x3c800000, |v12|
	s_xor_b32 s6, exec_lo, s6
	s_cbranch_execz .LBB155_207
; %bb.178:
	s_mov_b32 s9, exec_lo
                                        ; implicit-def: $vgpr15
	v_cmpx_nlt_f32_e64 |v12|, 2.0
	s_xor_b32 s9, exec_lo, s9
	s_cbranch_execz .LBB155_188
; %bb.179:
	v_cmp_ngt_f32_e64 s5, 0x41000000, |v12|
                                        ; implicit-def: $vgpr15
	s_and_saveexec_b32 s10, s5
	s_xor_b32 s5, exec_lo, s10
	s_cbranch_execz .LBB155_185
; %bb.180:
	v_cmp_ngt_f32_e64 s10, 0x5c800000, |v12|
                                        ; implicit-def: $vgpr15
	s_and_saveexec_b32 s11, s10
	s_xor_b32 s10, exec_lo, s11
	s_cbranch_execz .LBB155_182
; %bb.181:
	v_cmp_gt_f32_e64 s11, 0x800000, |v12|
	v_cndmask_b32_e64 v15, 0, 32, s11
	v_ldexp_f32 v15, |v12|, v15
	v_log_f32_e32 v15, v15
	v_mul_f32_e32 v16, 0x3f317217, v15
	v_cmp_gt_f32_e64 vcc_lo, 0x7f800000, |v15|
	v_fma_f32 v17, 0x3f317217, v15, -v16
	v_fmamk_f32 v17, v15, 0x3377d1cf, v17
	v_add_f32_e32 v16, v16, v17
	v_cndmask_b32_e32 v15, v15, v16, vcc_lo
	v_cndmask_b32_e64 v16, 0, 0x41b17218, s11
	v_sub_f32_e32 v15, v15, v16
	v_fma_f32 v15, |v12|, v15, -|v12|
.LBB155_182:
	s_andn2_saveexec_b32 s10, s10
	s_cbranch_execz .LBB155_184
; %bb.183:
	v_cmp_gt_f32_e64 s11, 0x800000, |v12|
	v_rcp_f32_e64 v16, |v12|
	s_mov_b32 s12, 0xbad5c4e8
	v_cndmask_b32_e64 v15, 0, 32, s11
	v_ldexp_f32 v15, |v12|, v15
	v_mul_f32_e32 v17, v16, v16
	v_log_f32_e32 v15, v15
	v_fmaak_f32 v19, s12, v17, 0x3a5b3dd2
	v_fmaak_f32 v19, v17, v19, 0xba1c065c
	v_mul_f32_e32 v18, 0x3f317217, v15
	v_fmaak_f32 v19, v17, v19, 0x3a500cfd
	v_cmp_gt_f32_e64 vcc_lo, 0x7f800000, |v15|
	v_fma_f32 v20, 0x3f317217, v15, -v18
	v_fmaak_f32 v19, v17, v19, 0xbb360b61
	v_fmamk_f32 v20, v15, 0x3377d1cf, v20
	v_fmaak_f32 v17, v17, v19, 0x3daaaaab
	v_add_f32_e32 v18, v18, v20
	v_cndmask_b32_e32 v15, v15, v18, vcc_lo
	v_cndmask_b32_e64 v18, 0, 0x41b17218, s11
	v_sub_f32_e32 v18, v15, v18
	v_fmaak_f32 v15, v16, v17, 0x3ed67f1d
	v_add_f32_e64 v16, |v12|, -0.5
	v_add_f32_e32 v17, -1.0, v18
	v_fmac_f32_e32 v15, v16, v17
.LBB155_184:
	s_or_b32 exec_lo, exec_lo, s10
.LBB155_185:
	s_andn2_saveexec_b32 s10, s5
	s_cbranch_execz .LBB155_187
; %bb.186:
	v_cvt_i32_f32_e32 v15, v13
	s_mov_b32 s5, 0x36f5d7bd
	s_mov_b32 s11, 0x3805ff67
	v_cvt_f32_i32_e32 v16, v15
	v_cmp_lt_i32_e32 vcc_lo, 2, v15
	v_sub_f32_e64 v16, |v12|, v16
	v_add_f32_e32 v17, 2.0, v16
	v_add_f32_e32 v18, 0x40400000, v16
	v_add_f32_e32 v19, 4.0, v16
	v_add_f32_e32 v20, 0x40a00000, v16
	v_cndmask_b32_e32 v17, 1.0, v17, vcc_lo
	v_cmp_lt_i32_e32 vcc_lo, 3, v15
	v_cndmask_b32_e32 v18, 1.0, v18, vcc_lo
	v_cmp_lt_i32_e32 vcc_lo, 4, v15
	v_mul_f32_e32 v17, v17, v18
	v_cndmask_b32_e32 v19, 1.0, v19, vcc_lo
	v_cmp_lt_i32_e32 vcc_lo, 5, v15
	v_add_f32_e32 v18, 0x40c00000, v16
	v_mul_f32_e32 v17, v19, v17
	v_cndmask_b32_e32 v20, 1.0, v20, vcc_lo
	v_cmp_lt_i32_e32 vcc_lo, 6, v15
	v_fmaak_f32 v19, s11, v16, 0x3af135b4
	v_mul_f32_e32 v17, v20, v17
	v_cndmask_b32_e32 v15, 1.0, v18, vcc_lo
	v_mul_f32_e32 v15, v15, v17
	v_fmaak_f32 v17, s5, v16, 0x3a4beed6
	v_cmp_gt_f32_e32 vcc_lo, 0x800000, v15
	v_fmaak_f32 v17, v16, v17, 0x3c98bf54
	v_cndmask_b32_e64 v18, 0, 32, vcc_lo
	v_fmaak_f32 v17, v16, v17, 0x3e300f6e
	v_ldexp_f32 v15, v15, v18
	v_fmaak_f32 v18, v16, v19, 0x3cda40e4
	v_fmaak_f32 v17, v16, v17, 0x3f38d0c5
	v_log_f32_e32 v15, v15
	v_fmaak_f32 v18, v16, v18, 0x3e15dce6
	v_fmaak_f32 v17, v16, v17, 0x3fb22d3b
	;; [unrolled: 1-line block ×3, first 2 shown]
	v_fma_f32 v17, v16, v17, 1.0
	v_mul_f32_e32 v19, 0x3f317217, v15
	v_fmaak_f32 v18, v16, v18, 0x3e5c245a
	v_rcp_f32_e32 v17, v17
	v_cmp_gt_f32_e64 s5, 0x7f800000, |v15|
	v_fma_f32 v20, 0x3f317217, v15, -v19
	v_fmaak_f32 v18, v16, v18, 0xbd9e233f
	v_fmamk_f32 v20, v15, 0x3377d1cf, v20
	v_mul_f32_e32 v18, v16, v18
	v_add_f32_e32 v19, v19, v20
	v_mul_f32_e32 v17, v18, v17
	v_cndmask_b32_e64 v18, 0, 0x41b17218, vcc_lo
	v_cndmask_b32_e64 v15, v15, v19, s5
	v_fmac_f32_e32 v17, 0.5, v16
	v_sub_f32_e32 v15, v15, v18
	v_add_f32_e32 v15, v15, v17
.LBB155_187:
	s_or_b32 exec_lo, exec_lo, s10
.LBB155_188:
	s_andn2_saveexec_b32 s9, s9
	s_cbranch_execz .LBB155_206
; %bb.189:
	s_mov_b32 s10, exec_lo
                                        ; implicit-def: $vgpr15
                                        ; implicit-def: $vgpr17
                                        ; implicit-def: $vgpr16
	v_cmpx_ge_f32_e64 0x3f666666, |v12|
	s_xor_b32 s10, exec_lo, s10
	s_cbranch_execz .LBB155_191
; %bb.190:
	v_cmp_gt_f32_e64 s5, 0x800000, |v12|
	v_sub_f32_e64 v18, 1.0, |v12|
	v_cmp_gt_f32_e64 vcc_lo, 0x3f3b4a23, |v12|
	v_cndmask_b32_e64 v15, 0, 32, s5
	v_cndmask_b32_e64 v19, 0, 0x41b17218, s5
	v_ldexp_f32 v15, |v12|, v15
	v_log_f32_e32 v15, v15
	v_mul_f32_e32 v16, 0x3f317217, v15
	v_cmp_gt_f32_e64 s5, 0x7f800000, |v15|
	v_fma_f32 v17, 0x3f317217, v15, -v16
	v_fmamk_f32 v17, v15, 0x3377d1cf, v17
	v_add_f32_e32 v16, v16, v17
	v_add_f32_e64 v17, 0xbeec5b0c, |v12|
	v_cndmask_b32_e64 v15, v15, v16, s5
	v_cndmask_b32_e32 v16, v18, v17, vcc_lo
	v_cndmask_b32_e64 v17, 0, 1, vcc_lo
	v_cmp_gt_f32_e64 s5, 0x3e6d3309, |v12|
	v_sub_f32_e32 v15, v15, v19
	v_cndmask_b32_e64 v16, v16, |v12|, s5
	v_cndmask_b32_e64 v17, v17, 2, s5
	v_xor_b32_e32 v15, 0x80000000, v15
.LBB155_191:
	s_andn2_saveexec_b32 s5, s10
	s_cbranch_execz .LBB155_193
; %bb.192:
	v_sub_f32_e64 v15, 2.0, |v12|
	v_add_f32_e64 v16, 0xbfbb16c3, |v12|
	v_cmp_gt_f32_e64 vcc_lo, 0x3fdda512, |v12|
	v_add_f32_e64 v17, |v12|, -1.0
	v_cndmask_b32_e32 v16, v15, v16, vcc_lo
	v_cndmask_b32_e64 v15, v15, 1.0, vcc_lo
	v_cmp_gt_f32_e64 vcc_lo, 0x3f9d70a4, |v12|
	v_cvt_i32_f32_e32 v15, v15
	v_cndmask_b32_e32 v16, v16, v17, vcc_lo
	v_cndmask_b32_e64 v17, v15, 2, vcc_lo
	v_mov_b32_e32 v15, 0
.LBB155_193:
	s_or_b32 exec_lo, exec_lo, s5
	s_mov_b32 s5, exec_lo
	v_cmpx_lt_i32_e32 0, v17
	s_xor_b32 s5, exec_lo, s5
	s_cbranch_execz .LBB155_201
; %bb.194:
	s_mov_b32 s10, exec_lo
	v_cmpx_lt_i32_e32 1, v17
	s_xor_b32 s10, exec_lo, s10
	s_cbranch_execz .LBB155_198
; %bb.195:
	s_mov_b32 s11, exec_lo
	v_cmpx_eq_u32_e32 2, v17
	s_cbranch_execz .LBB155_197
; %bb.196:
	s_mov_b32 s12, 0x3b52d5db
	v_fmaak_f32 v17, s12, v16, 0x3dd572af
	s_mov_b32 s12, 0x3c5b3c5e
	v_fmaak_f32 v18, s12, v16, 0x3e6a7578
	v_fmaak_f32 v17, v16, v17, 0x3f44efdf
	;; [unrolled: 1-line block ×7, first 2 shown]
	v_fma_f32 v17, v16, v17, 1.0
	v_fmaak_f32 v18, v16, v18, 0xbd9e233f
	v_rcp_f32_e32 v17, v17
	v_mul_f32_e32 v18, v16, v18
	v_mul_f32_e32 v17, v18, v17
	v_fmac_f32_e32 v17, -0.5, v16
	v_add_f32_e32 v15, v15, v17
.LBB155_197:
	s_or_b32 exec_lo, exec_lo, s11
                                        ; implicit-def: $vgpr16
.LBB155_198:
	s_andn2_saveexec_b32 s10, s10
	s_cbranch_execz .LBB155_200
; %bb.199:
	v_mul_f32_e32 v17, v16, v16
	s_mov_b32 s11, 0xb9a3f927
	s_mov_b32 s12, 0x39afe9f7
	v_mul_f32_e32 v18, v16, v17
	v_fmaak_f32 v19, s11, v18, 0x3a66f867
	v_fmaak_f32 v20, s12, v18, 0xba0d3085
	s_mov_b32 s11, 0x39a57b6b
	v_fmaak_f32 v21, s11, v18, 0xbab7f476
	v_fmaak_f32 v19, v18, v19, 0xbb7177fe
	;; [unrolled: 1-line block ×9, first 2 shown]
	v_fmac_f32_e32 v19, v16, v20
	v_fmaak_f32 v16, v18, v21, 0x3ef7b95e
	v_fma_f32 v18, v18, -v19, 0xa2863e55
	v_fma_f32 v16, v17, v16, -v18
	v_add_f32_e32 v16, 0xbdf8cdce, v16
	v_add_f32_e32 v15, v15, v16
.LBB155_200:
	s_or_b32 exec_lo, exec_lo, s10
                                        ; implicit-def: $vgpr17
                                        ; implicit-def: $vgpr16
.LBB155_201:
	s_andn2_saveexec_b32 s5, s5
	s_cbranch_execz .LBB155_205
; %bb.202:
	s_mov_b32 s10, exec_lo
	v_cmpx_eq_u32_e32 0, v17
	s_cbranch_execz .LBB155_204
; %bb.203:
	v_mul_f32_e32 v17, v16, v16
	s_mov_b32 s11, 0x383c2c75
	v_fmaak_f32 v18, s11, v17, 0x38e28445
	s_mov_b32 s11, 0x37d383a2
	v_fmaak_f32 v19, s11, v17, 0x39679767
	v_fmaak_f32 v18, v17, v18, 0x3a05b634
	;; [unrolled: 1-line block ×9, first 2 shown]
	v_mul_f32_e32 v17, v17, v18
	v_fmac_f32_e32 v17, v16, v19
	v_fmac_f32_e32 v17, -0.5, v16
	v_add_f32_e32 v15, v15, v17
.LBB155_204:
	s_or_b32 exec_lo, exec_lo, s10
.LBB155_205:
	s_or_b32 exec_lo, exec_lo, s5
.LBB155_206:
	s_or_b32 exec_lo, exec_lo, s9
.LBB155_207:
	s_andn2_saveexec_b32 s5, s6
	s_cbranch_execz .LBB155_209
; %bb.208:
	v_cmp_gt_f32_e64 s6, 0x800000, |v12|
	s_mov_b32 s9, 0x3e8a8991
	v_fma_f32 v18, |v12|, s9, 0xbecd26ab
	v_cndmask_b32_e64 v15, 0, 32, s6
	v_ldexp_f32 v15, |v12|, v15
	v_log_f32_e32 v15, v15
	v_mul_f32_e32 v16, 0x3f317217, v15
	v_cmp_gt_f32_e64 vcc_lo, 0x7f800000, |v15|
	v_fma_f32 v17, 0x3f317217, v15, -v16
	v_fmamk_f32 v17, v15, 0x3377d1cf, v17
	v_add_f32_e32 v16, v16, v17
	v_fma_f32 v17, |v12|, v18, 0x3f528d33
	v_cndmask_b32_e32 v15, v15, v16, vcc_lo
	v_cndmask_b32_e64 v16, 0, 0x41b17218, s6
	v_fma_f32 v17, |v12|, v17, 0xbf13c468
	v_sub_f32_e32 v15, v15, v16
	v_fma_f32 v15, |v12|, v17, -v15
.LBB155_209:
	s_or_b32 exec_lo, exec_lo, s5
	v_cmp_le_f32_e32 vcc_lo, 0, v12
	s_mov_b32 s6, exec_lo
	v_cmpx_nle_f32_e32 0, v12
	s_xor_b32 s9, exec_lo, s6
	s_cbranch_execz .LBB155_213
; %bb.210:
	v_cmp_gt_f32_e64 s5, 0x4b000000, |v12|
	v_cmp_lt_f32_e64 s6, 0x35000000, |v12|
	s_and_b32 s5, s5, s6
	s_and_saveexec_b32 s10, s5
	s_cbranch_execz .LBB155_212
; %bb.211:
	v_mul_f32_e64 v16, |v12|, 0.5
	s_mov_b32 s6, 0x3d4be544
	v_floor_f32_e32 v17, v16
	v_cmp_neq_f32_e64 s5, 0x7f800000, v16
	v_sub_f32_e32 v17, v16, v17
	v_min_f32_e32 v17, 0x3f7fffff, v17
	v_add_f32_e32 v17, v17, v17
	v_cndmask_b32_e64 v16, 0, v17, s5
	v_cmp_gt_f32_e64 s5, |v12|, 1.0
	v_cndmask_b32_e64 v16, |v12|, v16, s5
	s_mov_b32 s5, 0x3e75aa41
	v_add_f32_e32 v17, v16, v16
	v_rndne_f32_e32 v17, v17
	v_fmac_f32_e32 v16, -0.5, v17
	v_cvt_i32_f32_e32 v17, v17
	v_mul_f32_e32 v18, v16, v16
	v_fmaak_f32 v19, s5, v18, 0xbf1f24be
	v_fmaak_f32 v20, s6, v18, 0x3e642e9d
	v_mul_f32_e32 v21, v16, v18
	v_fmaak_f32 v19, v18, v19, 0x40234736
	v_fmaak_f32 v20, v18, v20, 0xbfaad1da
	;; [unrolled: 1-line block ×4, first 2 shown]
	v_mul_f32_e32 v19, v21, v19
	v_fmaak_f32 v20, v18, v20, 0xc09de9e6
	v_and_b32_e32 v21, 1, v17
	v_lshlrev_b32_e32 v17, 30, v17
	v_fmamk_f32 v16, v16, 0x40490fdb, v19
	v_fma_f32 v18, v18, v20, 1.0
	v_cmp_eq_u32_e64 s5, 0, v21
	v_and_or_b32 v13, 0x80000000, v17, v13
	v_cndmask_b32_e64 v16, v18, v16, s5
	v_xor3_b32 v13, v13, v16, v12
	v_mul_f32_e32 v13, v12, v13
	v_frexp_mant_f32_e64 v16, |v13|
	v_frexp_exp_i32_f32_e32 v13, v13
	v_rcp_f32_e32 v16, v16
	v_sub_nc_u32_e32 v13, 2, v13
	v_mul_f32_e32 v16, 0x3f490fdb, v16
	v_ldexp_f32 v13, v16, v13
	v_cmp_gt_f32_e64 s5, 0x800000, v13
	v_cndmask_b32_e64 v16, 0, 32, s5
	v_ldexp_f32 v13, v13, v16
	v_log_f32_e32 v13, v13
	v_mul_f32_e32 v16, 0x3f317217, v13
	v_cmp_gt_f32_e64 s6, 0x7f800000, |v13|
	v_fma_f32 v17, 0x3f317217, v13, -v16
	v_fmamk_f32 v17, v13, 0x3377d1cf, v17
	v_add_f32_e32 v16, v16, v17
	v_floor_f32_e32 v17, v12
	v_cndmask_b32_e64 v13, v13, v16, s6
	v_cndmask_b32_e64 v16, 0, 0x41b17218, s5
	v_sub_f32_e32 v17, v12, v17
	v_sub_f32_e32 v13, v13, v16
	v_min_f32_e32 v16, 0x3f7fffff, v17
	v_sub_f32_e32 v13, v13, v15
	v_cmp_neq_f32_e64 s5, 0, v16
	v_cndmask_b32_e64 v15, 0x7f800000, v13, s5
.LBB155_212:
	s_or_b32 exec_lo, exec_lo, s10
.LBB155_213:
	s_andn2_saveexec_b32 s9, s9
; %bb.214:
	v_cmp_eq_f32_e64 s5, 1.0, v12
	v_cmp_eq_f32_e64 s6, 2.0, v12
	s_or_b32 s5, s5, s6
	v_cndmask_b32_e64 v15, v15, 0, s5
; %bb.215:
	s_or_b32 exec_lo, exec_lo, s9
	v_cmp_gt_f32_e64 s5, 0x4b000000, |v12|
	s_or_b32 vcc_lo, vcc_lo, s5
	v_cmp_class_f32_e64 s5, v12, 0x264
	v_cndmask_b32_e32 v13, 0x7f800000, v15, vcc_lo
	v_cmp_u_f32_e32 vcc_lo, v12, v12
	v_cndmask_b32_e64 v13, v13, 0x7f800000, s5
	v_cndmask_b32_e32 v12, v13, v12, vcc_lo
	v_bfe_u32 v13, v12, 16, 1
	v_cmp_o_f32_e32 vcc_lo, v12, v12
	v_add3_u32 v12, v12, v13, 0x7fff
	v_mov_b32_e32 v13, 0x7fc0
	v_cndmask_b32_sdwa v13, v13, v12, vcc_lo dst_sel:DWORD dst_unused:UNUSED_PAD src0_sel:DWORD src1_sel:WORD_1
.LBB155_216:
	s_or_b32 exec_lo, exec_lo, s8
	v_add_nc_u32_e32 v12, 0x500, v7
	v_cmp_lt_i32_e32 vcc_lo, v12, v4
                                        ; implicit-def: $vgpr12
	s_and_saveexec_b32 s8, vcc_lo
	s_cbranch_execz .LBB155_256
; %bb.217:
	v_and_b32_e32 v12, 0x7fffffff, v10
	s_mov_b32 s6, exec_lo
                                        ; implicit-def: $vgpr15
	v_cmpx_ngt_f32_e64 0x3c800000, |v10|
	s_xor_b32 s6, exec_lo, s6
	s_cbranch_execz .LBB155_247
; %bb.218:
	s_mov_b32 s9, exec_lo
                                        ; implicit-def: $vgpr15
	v_cmpx_nlt_f32_e64 |v10|, 2.0
	s_xor_b32 s9, exec_lo, s9
	s_cbranch_execz .LBB155_228
; %bb.219:
	v_cmp_ngt_f32_e64 s5, 0x41000000, |v10|
                                        ; implicit-def: $vgpr15
	s_and_saveexec_b32 s10, s5
	s_xor_b32 s5, exec_lo, s10
	s_cbranch_execz .LBB155_225
; %bb.220:
	v_cmp_ngt_f32_e64 s10, 0x5c800000, |v10|
                                        ; implicit-def: $vgpr15
	s_and_saveexec_b32 s11, s10
	s_xor_b32 s10, exec_lo, s11
	s_cbranch_execz .LBB155_222
; %bb.221:
	v_cmp_gt_f32_e64 s11, 0x800000, |v10|
	v_cndmask_b32_e64 v15, 0, 32, s11
	v_ldexp_f32 v15, |v10|, v15
	v_log_f32_e32 v15, v15
	v_mul_f32_e32 v16, 0x3f317217, v15
	v_cmp_gt_f32_e64 vcc_lo, 0x7f800000, |v15|
	v_fma_f32 v17, 0x3f317217, v15, -v16
	v_fmamk_f32 v17, v15, 0x3377d1cf, v17
	v_add_f32_e32 v16, v16, v17
	v_cndmask_b32_e32 v15, v15, v16, vcc_lo
	v_cndmask_b32_e64 v16, 0, 0x41b17218, s11
	v_sub_f32_e32 v15, v15, v16
	v_fma_f32 v15, |v10|, v15, -|v10|
.LBB155_222:
	s_andn2_saveexec_b32 s10, s10
	s_cbranch_execz .LBB155_224
; %bb.223:
	v_cmp_gt_f32_e64 s11, 0x800000, |v10|
	v_rcp_f32_e64 v16, |v10|
	s_mov_b32 s12, 0xbad5c4e8
	v_cndmask_b32_e64 v15, 0, 32, s11
	v_ldexp_f32 v15, |v10|, v15
	v_mul_f32_e32 v17, v16, v16
	v_log_f32_e32 v15, v15
	v_fmaak_f32 v19, s12, v17, 0x3a5b3dd2
	v_fmaak_f32 v19, v17, v19, 0xba1c065c
	v_mul_f32_e32 v18, 0x3f317217, v15
	v_fmaak_f32 v19, v17, v19, 0x3a500cfd
	v_cmp_gt_f32_e64 vcc_lo, 0x7f800000, |v15|
	v_fma_f32 v20, 0x3f317217, v15, -v18
	v_fmaak_f32 v19, v17, v19, 0xbb360b61
	v_fmamk_f32 v20, v15, 0x3377d1cf, v20
	v_fmaak_f32 v17, v17, v19, 0x3daaaaab
	v_add_f32_e32 v18, v18, v20
	v_cndmask_b32_e32 v15, v15, v18, vcc_lo
	v_cndmask_b32_e64 v18, 0, 0x41b17218, s11
	v_sub_f32_e32 v18, v15, v18
	v_fmaak_f32 v15, v16, v17, 0x3ed67f1d
	v_add_f32_e64 v16, |v10|, -0.5
	v_add_f32_e32 v17, -1.0, v18
	v_fmac_f32_e32 v15, v16, v17
.LBB155_224:
	s_or_b32 exec_lo, exec_lo, s10
.LBB155_225:
	s_andn2_saveexec_b32 s10, s5
	s_cbranch_execz .LBB155_227
; %bb.226:
	v_cvt_i32_f32_e32 v15, v12
	s_mov_b32 s5, 0x36f5d7bd
	s_mov_b32 s11, 0x3805ff67
	v_cvt_f32_i32_e32 v16, v15
	v_cmp_lt_i32_e32 vcc_lo, 2, v15
	v_sub_f32_e64 v16, |v10|, v16
	v_add_f32_e32 v17, 2.0, v16
	v_add_f32_e32 v18, 0x40400000, v16
	v_add_f32_e32 v19, 4.0, v16
	v_add_f32_e32 v20, 0x40a00000, v16
	v_cndmask_b32_e32 v17, 1.0, v17, vcc_lo
	v_cmp_lt_i32_e32 vcc_lo, 3, v15
	v_cndmask_b32_e32 v18, 1.0, v18, vcc_lo
	v_cmp_lt_i32_e32 vcc_lo, 4, v15
	v_mul_f32_e32 v17, v17, v18
	v_cndmask_b32_e32 v19, 1.0, v19, vcc_lo
	v_cmp_lt_i32_e32 vcc_lo, 5, v15
	v_add_f32_e32 v18, 0x40c00000, v16
	v_mul_f32_e32 v17, v19, v17
	v_cndmask_b32_e32 v20, 1.0, v20, vcc_lo
	v_cmp_lt_i32_e32 vcc_lo, 6, v15
	v_fmaak_f32 v19, s11, v16, 0x3af135b4
	v_mul_f32_e32 v17, v20, v17
	v_cndmask_b32_e32 v15, 1.0, v18, vcc_lo
	v_mul_f32_e32 v15, v15, v17
	v_fmaak_f32 v17, s5, v16, 0x3a4beed6
	v_cmp_gt_f32_e32 vcc_lo, 0x800000, v15
	v_fmaak_f32 v17, v16, v17, 0x3c98bf54
	v_cndmask_b32_e64 v18, 0, 32, vcc_lo
	v_fmaak_f32 v17, v16, v17, 0x3e300f6e
	v_ldexp_f32 v15, v15, v18
	v_fmaak_f32 v18, v16, v19, 0x3cda40e4
	v_fmaak_f32 v17, v16, v17, 0x3f38d0c5
	v_log_f32_e32 v15, v15
	v_fmaak_f32 v18, v16, v18, 0x3e15dce6
	v_fmaak_f32 v17, v16, v17, 0x3fb22d3b
	v_fmaak_f32 v18, v16, v18, 0x3ea6cc7a
	v_fma_f32 v17, v16, v17, 1.0
	v_mul_f32_e32 v19, 0x3f317217, v15
	v_fmaak_f32 v18, v16, v18, 0x3e5c245a
	v_rcp_f32_e32 v17, v17
	v_cmp_gt_f32_e64 s5, 0x7f800000, |v15|
	v_fma_f32 v20, 0x3f317217, v15, -v19
	v_fmaak_f32 v18, v16, v18, 0xbd9e233f
	v_fmamk_f32 v20, v15, 0x3377d1cf, v20
	v_mul_f32_e32 v18, v16, v18
	v_add_f32_e32 v19, v19, v20
	v_mul_f32_e32 v17, v18, v17
	v_cndmask_b32_e64 v18, 0, 0x41b17218, vcc_lo
	v_cndmask_b32_e64 v15, v15, v19, s5
	v_fmac_f32_e32 v17, 0.5, v16
	v_sub_f32_e32 v15, v15, v18
	v_add_f32_e32 v15, v15, v17
.LBB155_227:
	s_or_b32 exec_lo, exec_lo, s10
.LBB155_228:
	s_andn2_saveexec_b32 s9, s9
	s_cbranch_execz .LBB155_246
; %bb.229:
	s_mov_b32 s10, exec_lo
                                        ; implicit-def: $vgpr15
                                        ; implicit-def: $vgpr17
                                        ; implicit-def: $vgpr16
	v_cmpx_ge_f32_e64 0x3f666666, |v10|
	s_xor_b32 s10, exec_lo, s10
	s_cbranch_execz .LBB155_231
; %bb.230:
	v_cmp_gt_f32_e64 s5, 0x800000, |v10|
	v_sub_f32_e64 v18, 1.0, |v10|
	v_cmp_gt_f32_e64 vcc_lo, 0x3f3b4a23, |v10|
	v_cndmask_b32_e64 v15, 0, 32, s5
	v_cndmask_b32_e64 v19, 0, 0x41b17218, s5
	v_ldexp_f32 v15, |v10|, v15
	v_log_f32_e32 v15, v15
	v_mul_f32_e32 v16, 0x3f317217, v15
	v_cmp_gt_f32_e64 s5, 0x7f800000, |v15|
	v_fma_f32 v17, 0x3f317217, v15, -v16
	v_fmamk_f32 v17, v15, 0x3377d1cf, v17
	v_add_f32_e32 v16, v16, v17
	v_add_f32_e64 v17, 0xbeec5b0c, |v10|
	v_cndmask_b32_e64 v15, v15, v16, s5
	v_cndmask_b32_e32 v16, v18, v17, vcc_lo
	v_cndmask_b32_e64 v17, 0, 1, vcc_lo
	v_cmp_gt_f32_e64 s5, 0x3e6d3309, |v10|
	v_sub_f32_e32 v15, v15, v19
	v_cndmask_b32_e64 v16, v16, |v10|, s5
	v_cndmask_b32_e64 v17, v17, 2, s5
	v_xor_b32_e32 v15, 0x80000000, v15
.LBB155_231:
	s_andn2_saveexec_b32 s5, s10
	s_cbranch_execz .LBB155_233
; %bb.232:
	v_sub_f32_e64 v15, 2.0, |v10|
	v_add_f32_e64 v16, 0xbfbb16c3, |v10|
	v_cmp_gt_f32_e64 vcc_lo, 0x3fdda512, |v10|
	v_add_f32_e64 v17, |v10|, -1.0
	v_cndmask_b32_e32 v16, v15, v16, vcc_lo
	v_cndmask_b32_e64 v15, v15, 1.0, vcc_lo
	v_cmp_gt_f32_e64 vcc_lo, 0x3f9d70a4, |v10|
	v_cvt_i32_f32_e32 v15, v15
	v_cndmask_b32_e32 v16, v16, v17, vcc_lo
	v_cndmask_b32_e64 v17, v15, 2, vcc_lo
	v_mov_b32_e32 v15, 0
.LBB155_233:
	s_or_b32 exec_lo, exec_lo, s5
	s_mov_b32 s5, exec_lo
	v_cmpx_lt_i32_e32 0, v17
	s_xor_b32 s5, exec_lo, s5
	s_cbranch_execz .LBB155_241
; %bb.234:
	s_mov_b32 s10, exec_lo
	v_cmpx_lt_i32_e32 1, v17
	s_xor_b32 s10, exec_lo, s10
	s_cbranch_execz .LBB155_238
; %bb.235:
	s_mov_b32 s11, exec_lo
	v_cmpx_eq_u32_e32 2, v17
	s_cbranch_execz .LBB155_237
; %bb.236:
	s_mov_b32 s12, 0x3b52d5db
	v_fmaak_f32 v17, s12, v16, 0x3dd572af
	s_mov_b32 s12, 0x3c5b3c5e
	v_fmaak_f32 v18, s12, v16, 0x3e6a7578
	v_fmaak_f32 v17, v16, v17, 0x3f44efdf
	;; [unrolled: 1-line block ×7, first 2 shown]
	v_fma_f32 v17, v16, v17, 1.0
	v_fmaak_f32 v18, v16, v18, 0xbd9e233f
	v_rcp_f32_e32 v17, v17
	v_mul_f32_e32 v18, v16, v18
	v_mul_f32_e32 v17, v18, v17
	v_fmac_f32_e32 v17, -0.5, v16
	v_add_f32_e32 v15, v15, v17
.LBB155_237:
	s_or_b32 exec_lo, exec_lo, s11
                                        ; implicit-def: $vgpr16
.LBB155_238:
	s_andn2_saveexec_b32 s10, s10
	s_cbranch_execz .LBB155_240
; %bb.239:
	v_mul_f32_e32 v17, v16, v16
	s_mov_b32 s11, 0xb9a3f927
	s_mov_b32 s12, 0x39afe9f7
	v_mul_f32_e32 v18, v16, v17
	v_fmaak_f32 v19, s11, v18, 0x3a66f867
	v_fmaak_f32 v20, s12, v18, 0xba0d3085
	s_mov_b32 s11, 0x39a57b6b
	v_fmaak_f32 v21, s11, v18, 0xbab7f476
	v_fmaak_f32 v19, v18, v19, 0xbb7177fe
	;; [unrolled: 1-line block ×9, first 2 shown]
	v_fmac_f32_e32 v19, v16, v20
	v_fmaak_f32 v16, v18, v21, 0x3ef7b95e
	v_fma_f32 v18, v18, -v19, 0xa2863e55
	v_fma_f32 v16, v17, v16, -v18
	v_add_f32_e32 v16, 0xbdf8cdce, v16
	v_add_f32_e32 v15, v15, v16
.LBB155_240:
	s_or_b32 exec_lo, exec_lo, s10
                                        ; implicit-def: $vgpr17
                                        ; implicit-def: $vgpr16
.LBB155_241:
	s_andn2_saveexec_b32 s5, s5
	s_cbranch_execz .LBB155_245
; %bb.242:
	s_mov_b32 s10, exec_lo
	v_cmpx_eq_u32_e32 0, v17
	s_cbranch_execz .LBB155_244
; %bb.243:
	v_mul_f32_e32 v17, v16, v16
	s_mov_b32 s11, 0x383c2c75
	v_fmaak_f32 v18, s11, v17, 0x38e28445
	s_mov_b32 s11, 0x37d383a2
	v_fmaak_f32 v19, s11, v17, 0x39679767
	v_fmaak_f32 v18, v17, v18, 0x3a05b634
	;; [unrolled: 1-line block ×9, first 2 shown]
	v_mul_f32_e32 v17, v17, v18
	v_fmac_f32_e32 v17, v16, v19
	v_fmac_f32_e32 v17, -0.5, v16
	v_add_f32_e32 v15, v15, v17
.LBB155_244:
	s_or_b32 exec_lo, exec_lo, s10
.LBB155_245:
	s_or_b32 exec_lo, exec_lo, s5
.LBB155_246:
	s_or_b32 exec_lo, exec_lo, s9
.LBB155_247:
	s_andn2_saveexec_b32 s5, s6
	s_cbranch_execz .LBB155_249
; %bb.248:
	v_cmp_gt_f32_e64 s6, 0x800000, |v10|
	s_mov_b32 s9, 0x3e8a8991
	v_fma_f32 v18, |v10|, s9, 0xbecd26ab
	v_cndmask_b32_e64 v15, 0, 32, s6
	v_ldexp_f32 v15, |v10|, v15
	v_log_f32_e32 v15, v15
	v_mul_f32_e32 v16, 0x3f317217, v15
	v_cmp_gt_f32_e64 vcc_lo, 0x7f800000, |v15|
	v_fma_f32 v17, 0x3f317217, v15, -v16
	v_fmamk_f32 v17, v15, 0x3377d1cf, v17
	v_add_f32_e32 v16, v16, v17
	v_fma_f32 v17, |v10|, v18, 0x3f528d33
	v_cndmask_b32_e32 v15, v15, v16, vcc_lo
	v_cndmask_b32_e64 v16, 0, 0x41b17218, s6
	v_fma_f32 v17, |v10|, v17, 0xbf13c468
	v_sub_f32_e32 v15, v15, v16
	v_fma_f32 v15, |v10|, v17, -v15
.LBB155_249:
	s_or_b32 exec_lo, exec_lo, s5
	v_cmp_le_f32_e32 vcc_lo, 0, v10
	s_mov_b32 s6, exec_lo
	v_cmpx_nle_f32_e32 0, v10
	s_xor_b32 s9, exec_lo, s6
	s_cbranch_execz .LBB155_253
; %bb.250:
	v_cmp_gt_f32_e64 s5, 0x4b000000, |v10|
	v_cmp_lt_f32_e64 s6, 0x35000000, |v10|
	s_and_b32 s5, s5, s6
	s_and_saveexec_b32 s10, s5
	s_cbranch_execz .LBB155_252
; %bb.251:
	v_mul_f32_e64 v16, |v10|, 0.5
	s_mov_b32 s6, 0x3d4be544
	v_floor_f32_e32 v17, v16
	v_cmp_neq_f32_e64 s5, 0x7f800000, v16
	v_sub_f32_e32 v17, v16, v17
	v_min_f32_e32 v17, 0x3f7fffff, v17
	v_add_f32_e32 v17, v17, v17
	v_cndmask_b32_e64 v16, 0, v17, s5
	v_cmp_gt_f32_e64 s5, |v10|, 1.0
	v_cndmask_b32_e64 v16, |v10|, v16, s5
	s_mov_b32 s5, 0x3e75aa41
	v_add_f32_e32 v17, v16, v16
	v_rndne_f32_e32 v17, v17
	v_fmac_f32_e32 v16, -0.5, v17
	v_cvt_i32_f32_e32 v17, v17
	v_mul_f32_e32 v18, v16, v16
	v_fmaak_f32 v19, s5, v18, 0xbf1f24be
	v_fmaak_f32 v20, s6, v18, 0x3e642e9d
	v_mul_f32_e32 v21, v16, v18
	v_fmaak_f32 v19, v18, v19, 0x40234736
	v_fmaak_f32 v20, v18, v20, 0xbfaad1da
	;; [unrolled: 1-line block ×4, first 2 shown]
	v_mul_f32_e32 v19, v21, v19
	v_fmaak_f32 v20, v18, v20, 0xc09de9e6
	v_and_b32_e32 v21, 1, v17
	v_lshlrev_b32_e32 v17, 30, v17
	v_fmamk_f32 v16, v16, 0x40490fdb, v19
	v_fma_f32 v18, v18, v20, 1.0
	v_cmp_eq_u32_e64 s5, 0, v21
	v_and_or_b32 v12, 0x80000000, v17, v12
	v_cndmask_b32_e64 v16, v18, v16, s5
	v_xor3_b32 v12, v12, v16, v10
	v_mul_f32_e32 v12, v10, v12
	v_frexp_mant_f32_e64 v16, |v12|
	v_frexp_exp_i32_f32_e32 v12, v12
	v_rcp_f32_e32 v16, v16
	v_sub_nc_u32_e32 v12, 2, v12
	v_mul_f32_e32 v16, 0x3f490fdb, v16
	v_ldexp_f32 v12, v16, v12
	v_cmp_gt_f32_e64 s5, 0x800000, v12
	v_cndmask_b32_e64 v16, 0, 32, s5
	v_ldexp_f32 v12, v12, v16
	v_log_f32_e32 v12, v12
	v_mul_f32_e32 v16, 0x3f317217, v12
	v_cmp_gt_f32_e64 s6, 0x7f800000, |v12|
	v_fma_f32 v17, 0x3f317217, v12, -v16
	v_fmamk_f32 v17, v12, 0x3377d1cf, v17
	v_add_f32_e32 v16, v16, v17
	v_floor_f32_e32 v17, v10
	v_cndmask_b32_e64 v12, v12, v16, s6
	v_cndmask_b32_e64 v16, 0, 0x41b17218, s5
	v_sub_f32_e32 v17, v10, v17
	v_sub_f32_e32 v12, v12, v16
	v_min_f32_e32 v16, 0x3f7fffff, v17
	v_sub_f32_e32 v12, v12, v15
	v_cmp_neq_f32_e64 s5, 0, v16
	v_cndmask_b32_e64 v15, 0x7f800000, v12, s5
.LBB155_252:
	s_or_b32 exec_lo, exec_lo, s10
.LBB155_253:
	s_andn2_saveexec_b32 s9, s9
; %bb.254:
	v_cmp_eq_f32_e64 s5, 1.0, v10
	v_cmp_eq_f32_e64 s6, 2.0, v10
	s_or_b32 s5, s5, s6
	v_cndmask_b32_e64 v15, v15, 0, s5
; %bb.255:
	s_or_b32 exec_lo, exec_lo, s9
	v_cmp_gt_f32_e64 s5, 0x4b000000, |v10|
	s_or_b32 vcc_lo, vcc_lo, s5
	v_cmp_class_f32_e64 s5, v10, 0x264
	v_cndmask_b32_e32 v12, 0x7f800000, v15, vcc_lo
	v_cmp_u_f32_e32 vcc_lo, v10, v10
	v_cndmask_b32_e64 v12, v12, 0x7f800000, s5
	v_cndmask_b32_e32 v10, v12, v10, vcc_lo
	v_bfe_u32 v12, v10, 16, 1
	v_cmp_o_f32_e32 vcc_lo, v10, v10
	v_add3_u32 v10, v10, v12, 0x7fff
	v_mov_b32_e32 v12, 0x7fc0
	v_cndmask_b32_sdwa v12, v12, v10, vcc_lo dst_sel:DWORD dst_unused:UNUSED_PAD src0_sel:DWORD src1_sel:WORD_1
.LBB155_256:
	s_or_b32 exec_lo, exec_lo, s8
	v_add_nc_u32_e32 v10, 0x600, v7
	v_cmp_lt_i32_e32 vcc_lo, v10, v4
                                        ; implicit-def: $vgpr10
	s_and_saveexec_b32 s8, vcc_lo
	s_cbranch_execz .LBB155_296
; %bb.257:
	v_and_b32_e32 v10, 0x7fffffff, v9
	s_mov_b32 s6, exec_lo
                                        ; implicit-def: $vgpr15
	v_cmpx_ngt_f32_e64 0x3c800000, |v9|
	s_xor_b32 s6, exec_lo, s6
	s_cbranch_execz .LBB155_287
; %bb.258:
	s_mov_b32 s9, exec_lo
                                        ; implicit-def: $vgpr15
	v_cmpx_nlt_f32_e64 |v9|, 2.0
	s_xor_b32 s9, exec_lo, s9
	s_cbranch_execz .LBB155_268
; %bb.259:
	v_cmp_ngt_f32_e64 s5, 0x41000000, |v9|
                                        ; implicit-def: $vgpr15
	s_and_saveexec_b32 s10, s5
	s_xor_b32 s5, exec_lo, s10
	s_cbranch_execz .LBB155_265
; %bb.260:
	v_cmp_ngt_f32_e64 s10, 0x5c800000, |v9|
                                        ; implicit-def: $vgpr15
	s_and_saveexec_b32 s11, s10
	s_xor_b32 s10, exec_lo, s11
	s_cbranch_execz .LBB155_262
; %bb.261:
	v_cmp_gt_f32_e64 s11, 0x800000, |v9|
	v_cndmask_b32_e64 v15, 0, 32, s11
	v_ldexp_f32 v15, |v9|, v15
	v_log_f32_e32 v15, v15
	v_mul_f32_e32 v16, 0x3f317217, v15
	v_cmp_gt_f32_e64 vcc_lo, 0x7f800000, |v15|
	v_fma_f32 v17, 0x3f317217, v15, -v16
	v_fmamk_f32 v17, v15, 0x3377d1cf, v17
	v_add_f32_e32 v16, v16, v17
	v_cndmask_b32_e32 v15, v15, v16, vcc_lo
	v_cndmask_b32_e64 v16, 0, 0x41b17218, s11
	v_sub_f32_e32 v15, v15, v16
	v_fma_f32 v15, |v9|, v15, -|v9|
.LBB155_262:
	s_andn2_saveexec_b32 s10, s10
	s_cbranch_execz .LBB155_264
; %bb.263:
	v_cmp_gt_f32_e64 s11, 0x800000, |v9|
	v_rcp_f32_e64 v16, |v9|
	s_mov_b32 s12, 0xbad5c4e8
	v_cndmask_b32_e64 v15, 0, 32, s11
	v_ldexp_f32 v15, |v9|, v15
	v_mul_f32_e32 v17, v16, v16
	v_log_f32_e32 v15, v15
	v_fmaak_f32 v19, s12, v17, 0x3a5b3dd2
	v_fmaak_f32 v19, v17, v19, 0xba1c065c
	v_mul_f32_e32 v18, 0x3f317217, v15
	v_fmaak_f32 v19, v17, v19, 0x3a500cfd
	v_cmp_gt_f32_e64 vcc_lo, 0x7f800000, |v15|
	v_fma_f32 v20, 0x3f317217, v15, -v18
	v_fmaak_f32 v19, v17, v19, 0xbb360b61
	v_fmamk_f32 v20, v15, 0x3377d1cf, v20
	v_fmaak_f32 v17, v17, v19, 0x3daaaaab
	v_add_f32_e32 v18, v18, v20
	v_cndmask_b32_e32 v15, v15, v18, vcc_lo
	v_cndmask_b32_e64 v18, 0, 0x41b17218, s11
	v_sub_f32_e32 v18, v15, v18
	v_fmaak_f32 v15, v16, v17, 0x3ed67f1d
	v_add_f32_e64 v16, |v9|, -0.5
	v_add_f32_e32 v17, -1.0, v18
	v_fmac_f32_e32 v15, v16, v17
.LBB155_264:
	s_or_b32 exec_lo, exec_lo, s10
.LBB155_265:
	s_andn2_saveexec_b32 s10, s5
	s_cbranch_execz .LBB155_267
; %bb.266:
	v_cvt_i32_f32_e32 v15, v10
	s_mov_b32 s5, 0x36f5d7bd
	s_mov_b32 s11, 0x3805ff67
	v_cvt_f32_i32_e32 v16, v15
	v_cmp_lt_i32_e32 vcc_lo, 2, v15
	v_sub_f32_e64 v16, |v9|, v16
	v_add_f32_e32 v17, 2.0, v16
	v_add_f32_e32 v18, 0x40400000, v16
	v_add_f32_e32 v19, 4.0, v16
	v_add_f32_e32 v20, 0x40a00000, v16
	v_cndmask_b32_e32 v17, 1.0, v17, vcc_lo
	v_cmp_lt_i32_e32 vcc_lo, 3, v15
	v_cndmask_b32_e32 v18, 1.0, v18, vcc_lo
	v_cmp_lt_i32_e32 vcc_lo, 4, v15
	v_mul_f32_e32 v17, v17, v18
	v_cndmask_b32_e32 v19, 1.0, v19, vcc_lo
	v_cmp_lt_i32_e32 vcc_lo, 5, v15
	v_add_f32_e32 v18, 0x40c00000, v16
	v_mul_f32_e32 v17, v19, v17
	v_cndmask_b32_e32 v20, 1.0, v20, vcc_lo
	v_cmp_lt_i32_e32 vcc_lo, 6, v15
	v_fmaak_f32 v19, s11, v16, 0x3af135b4
	v_mul_f32_e32 v17, v20, v17
	v_cndmask_b32_e32 v15, 1.0, v18, vcc_lo
	v_mul_f32_e32 v15, v15, v17
	v_fmaak_f32 v17, s5, v16, 0x3a4beed6
	v_cmp_gt_f32_e32 vcc_lo, 0x800000, v15
	v_fmaak_f32 v17, v16, v17, 0x3c98bf54
	v_cndmask_b32_e64 v18, 0, 32, vcc_lo
	v_fmaak_f32 v17, v16, v17, 0x3e300f6e
	v_ldexp_f32 v15, v15, v18
	v_fmaak_f32 v18, v16, v19, 0x3cda40e4
	v_fmaak_f32 v17, v16, v17, 0x3f38d0c5
	v_log_f32_e32 v15, v15
	v_fmaak_f32 v18, v16, v18, 0x3e15dce6
	v_fmaak_f32 v17, v16, v17, 0x3fb22d3b
	;; [unrolled: 1-line block ×3, first 2 shown]
	v_fma_f32 v17, v16, v17, 1.0
	v_mul_f32_e32 v19, 0x3f317217, v15
	v_fmaak_f32 v18, v16, v18, 0x3e5c245a
	v_rcp_f32_e32 v17, v17
	v_cmp_gt_f32_e64 s5, 0x7f800000, |v15|
	v_fma_f32 v20, 0x3f317217, v15, -v19
	v_fmaak_f32 v18, v16, v18, 0xbd9e233f
	v_fmamk_f32 v20, v15, 0x3377d1cf, v20
	v_mul_f32_e32 v18, v16, v18
	v_add_f32_e32 v19, v19, v20
	v_mul_f32_e32 v17, v18, v17
	v_cndmask_b32_e64 v18, 0, 0x41b17218, vcc_lo
	v_cndmask_b32_e64 v15, v15, v19, s5
	v_fmac_f32_e32 v17, 0.5, v16
	v_sub_f32_e32 v15, v15, v18
	v_add_f32_e32 v15, v15, v17
.LBB155_267:
	s_or_b32 exec_lo, exec_lo, s10
.LBB155_268:
	s_andn2_saveexec_b32 s9, s9
	s_cbranch_execz .LBB155_286
; %bb.269:
	s_mov_b32 s10, exec_lo
                                        ; implicit-def: $vgpr15
                                        ; implicit-def: $vgpr17
                                        ; implicit-def: $vgpr16
	v_cmpx_ge_f32_e64 0x3f666666, |v9|
	s_xor_b32 s10, exec_lo, s10
	s_cbranch_execz .LBB155_271
; %bb.270:
	v_cmp_gt_f32_e64 s5, 0x800000, |v9|
	v_sub_f32_e64 v18, 1.0, |v9|
	v_cmp_gt_f32_e64 vcc_lo, 0x3f3b4a23, |v9|
	v_cndmask_b32_e64 v15, 0, 32, s5
	v_cndmask_b32_e64 v19, 0, 0x41b17218, s5
	v_ldexp_f32 v15, |v9|, v15
	v_log_f32_e32 v15, v15
	v_mul_f32_e32 v16, 0x3f317217, v15
	v_cmp_gt_f32_e64 s5, 0x7f800000, |v15|
	v_fma_f32 v17, 0x3f317217, v15, -v16
	v_fmamk_f32 v17, v15, 0x3377d1cf, v17
	v_add_f32_e32 v16, v16, v17
	v_add_f32_e64 v17, 0xbeec5b0c, |v9|
	v_cndmask_b32_e64 v15, v15, v16, s5
	v_cndmask_b32_e32 v16, v18, v17, vcc_lo
	v_cndmask_b32_e64 v17, 0, 1, vcc_lo
	v_cmp_gt_f32_e64 s5, 0x3e6d3309, |v9|
	v_sub_f32_e32 v15, v15, v19
	v_cndmask_b32_e64 v16, v16, |v9|, s5
	v_cndmask_b32_e64 v17, v17, 2, s5
	v_xor_b32_e32 v15, 0x80000000, v15
.LBB155_271:
	s_andn2_saveexec_b32 s5, s10
	s_cbranch_execz .LBB155_273
; %bb.272:
	v_sub_f32_e64 v15, 2.0, |v9|
	v_add_f32_e64 v16, 0xbfbb16c3, |v9|
	v_cmp_gt_f32_e64 vcc_lo, 0x3fdda512, |v9|
	v_add_f32_e64 v17, |v9|, -1.0
	v_cndmask_b32_e32 v16, v15, v16, vcc_lo
	v_cndmask_b32_e64 v15, v15, 1.0, vcc_lo
	v_cmp_gt_f32_e64 vcc_lo, 0x3f9d70a4, |v9|
	v_cvt_i32_f32_e32 v15, v15
	v_cndmask_b32_e32 v16, v16, v17, vcc_lo
	v_cndmask_b32_e64 v17, v15, 2, vcc_lo
	v_mov_b32_e32 v15, 0
.LBB155_273:
	s_or_b32 exec_lo, exec_lo, s5
	s_mov_b32 s5, exec_lo
	v_cmpx_lt_i32_e32 0, v17
	s_xor_b32 s5, exec_lo, s5
	s_cbranch_execz .LBB155_281
; %bb.274:
	s_mov_b32 s10, exec_lo
	v_cmpx_lt_i32_e32 1, v17
	s_xor_b32 s10, exec_lo, s10
	s_cbranch_execz .LBB155_278
; %bb.275:
	s_mov_b32 s11, exec_lo
	v_cmpx_eq_u32_e32 2, v17
	s_cbranch_execz .LBB155_277
; %bb.276:
	s_mov_b32 s12, 0x3b52d5db
	v_fmaak_f32 v17, s12, v16, 0x3dd572af
	s_mov_b32 s12, 0x3c5b3c5e
	v_fmaak_f32 v18, s12, v16, 0x3e6a7578
	v_fmaak_f32 v17, v16, v17, 0x3f44efdf
	;; [unrolled: 1-line block ×7, first 2 shown]
	v_fma_f32 v17, v16, v17, 1.0
	v_fmaak_f32 v18, v16, v18, 0xbd9e233f
	v_rcp_f32_e32 v17, v17
	v_mul_f32_e32 v18, v16, v18
	v_mul_f32_e32 v17, v18, v17
	v_fmac_f32_e32 v17, -0.5, v16
	v_add_f32_e32 v15, v15, v17
.LBB155_277:
	s_or_b32 exec_lo, exec_lo, s11
                                        ; implicit-def: $vgpr16
.LBB155_278:
	s_andn2_saveexec_b32 s10, s10
	s_cbranch_execz .LBB155_280
; %bb.279:
	v_mul_f32_e32 v17, v16, v16
	s_mov_b32 s11, 0xb9a3f927
	s_mov_b32 s12, 0x39afe9f7
	v_mul_f32_e32 v18, v16, v17
	v_fmaak_f32 v19, s11, v18, 0x3a66f867
	v_fmaak_f32 v20, s12, v18, 0xba0d3085
	s_mov_b32 s11, 0x39a57b6b
	v_fmaak_f32 v21, s11, v18, 0xbab7f476
	v_fmaak_f32 v19, v18, v19, 0xbb7177fe
	;; [unrolled: 1-line block ×9, first 2 shown]
	v_fmac_f32_e32 v19, v16, v20
	v_fmaak_f32 v16, v18, v21, 0x3ef7b95e
	v_fma_f32 v18, v18, -v19, 0xa2863e55
	v_fma_f32 v16, v17, v16, -v18
	v_add_f32_e32 v16, 0xbdf8cdce, v16
	v_add_f32_e32 v15, v15, v16
.LBB155_280:
	s_or_b32 exec_lo, exec_lo, s10
                                        ; implicit-def: $vgpr17
                                        ; implicit-def: $vgpr16
.LBB155_281:
	s_andn2_saveexec_b32 s5, s5
	s_cbranch_execz .LBB155_285
; %bb.282:
	s_mov_b32 s10, exec_lo
	v_cmpx_eq_u32_e32 0, v17
	s_cbranch_execz .LBB155_284
; %bb.283:
	v_mul_f32_e32 v17, v16, v16
	s_mov_b32 s11, 0x383c2c75
	v_fmaak_f32 v18, s11, v17, 0x38e28445
	s_mov_b32 s11, 0x37d383a2
	v_fmaak_f32 v19, s11, v17, 0x39679767
	v_fmaak_f32 v18, v17, v18, 0x3a05b634
	;; [unrolled: 1-line block ×9, first 2 shown]
	v_mul_f32_e32 v17, v17, v18
	v_fmac_f32_e32 v17, v16, v19
	v_fmac_f32_e32 v17, -0.5, v16
	v_add_f32_e32 v15, v15, v17
.LBB155_284:
	s_or_b32 exec_lo, exec_lo, s10
.LBB155_285:
	s_or_b32 exec_lo, exec_lo, s5
.LBB155_286:
	s_or_b32 exec_lo, exec_lo, s9
.LBB155_287:
	s_andn2_saveexec_b32 s5, s6
	s_cbranch_execz .LBB155_289
; %bb.288:
	v_cmp_gt_f32_e64 s6, 0x800000, |v9|
	s_mov_b32 s9, 0x3e8a8991
	v_fma_f32 v18, |v9|, s9, 0xbecd26ab
	v_cndmask_b32_e64 v15, 0, 32, s6
	v_ldexp_f32 v15, |v9|, v15
	v_log_f32_e32 v15, v15
	v_mul_f32_e32 v16, 0x3f317217, v15
	v_cmp_gt_f32_e64 vcc_lo, 0x7f800000, |v15|
	v_fma_f32 v17, 0x3f317217, v15, -v16
	v_fmamk_f32 v17, v15, 0x3377d1cf, v17
	v_add_f32_e32 v16, v16, v17
	v_fma_f32 v17, |v9|, v18, 0x3f528d33
	v_cndmask_b32_e32 v15, v15, v16, vcc_lo
	v_cndmask_b32_e64 v16, 0, 0x41b17218, s6
	v_fma_f32 v17, |v9|, v17, 0xbf13c468
	v_sub_f32_e32 v15, v15, v16
	v_fma_f32 v15, |v9|, v17, -v15
.LBB155_289:
	s_or_b32 exec_lo, exec_lo, s5
	v_cmp_le_f32_e32 vcc_lo, 0, v9
	s_mov_b32 s6, exec_lo
	v_cmpx_nle_f32_e32 0, v9
	s_xor_b32 s9, exec_lo, s6
	s_cbranch_execz .LBB155_293
; %bb.290:
	v_cmp_gt_f32_e64 s5, 0x4b000000, |v9|
	v_cmp_lt_f32_e64 s6, 0x35000000, |v9|
	s_and_b32 s5, s5, s6
	s_and_saveexec_b32 s10, s5
	s_cbranch_execz .LBB155_292
; %bb.291:
	v_mul_f32_e64 v16, |v9|, 0.5
	s_mov_b32 s6, 0x3d4be544
	v_floor_f32_e32 v17, v16
	v_cmp_neq_f32_e64 s5, 0x7f800000, v16
	v_sub_f32_e32 v17, v16, v17
	v_min_f32_e32 v17, 0x3f7fffff, v17
	v_add_f32_e32 v17, v17, v17
	v_cndmask_b32_e64 v16, 0, v17, s5
	v_cmp_gt_f32_e64 s5, |v9|, 1.0
	v_cndmask_b32_e64 v16, |v9|, v16, s5
	s_mov_b32 s5, 0x3e75aa41
	v_add_f32_e32 v17, v16, v16
	v_rndne_f32_e32 v17, v17
	v_fmac_f32_e32 v16, -0.5, v17
	v_cvt_i32_f32_e32 v17, v17
	v_mul_f32_e32 v18, v16, v16
	v_fmaak_f32 v19, s5, v18, 0xbf1f24be
	v_fmaak_f32 v20, s6, v18, 0x3e642e9d
	v_mul_f32_e32 v21, v16, v18
	v_fmaak_f32 v19, v18, v19, 0x40234736
	v_fmaak_f32 v20, v18, v20, 0xbfaad1da
	;; [unrolled: 1-line block ×4, first 2 shown]
	v_mul_f32_e32 v19, v21, v19
	v_fmaak_f32 v20, v18, v20, 0xc09de9e6
	v_and_b32_e32 v21, 1, v17
	v_lshlrev_b32_e32 v17, 30, v17
	v_fmamk_f32 v16, v16, 0x40490fdb, v19
	v_fma_f32 v18, v18, v20, 1.0
	v_cmp_eq_u32_e64 s5, 0, v21
	v_and_or_b32 v10, 0x80000000, v17, v10
	v_cndmask_b32_e64 v16, v18, v16, s5
	v_xor3_b32 v10, v10, v16, v9
	v_mul_f32_e32 v10, v9, v10
	v_frexp_mant_f32_e64 v16, |v10|
	v_frexp_exp_i32_f32_e32 v10, v10
	v_rcp_f32_e32 v16, v16
	v_sub_nc_u32_e32 v10, 2, v10
	v_mul_f32_e32 v16, 0x3f490fdb, v16
	v_ldexp_f32 v10, v16, v10
	v_cmp_gt_f32_e64 s5, 0x800000, v10
	v_cndmask_b32_e64 v16, 0, 32, s5
	v_ldexp_f32 v10, v10, v16
	v_log_f32_e32 v10, v10
	v_mul_f32_e32 v16, 0x3f317217, v10
	v_cmp_gt_f32_e64 s6, 0x7f800000, |v10|
	v_fma_f32 v17, 0x3f317217, v10, -v16
	v_fmamk_f32 v17, v10, 0x3377d1cf, v17
	v_add_f32_e32 v16, v16, v17
	v_floor_f32_e32 v17, v9
	v_cndmask_b32_e64 v10, v10, v16, s6
	v_cndmask_b32_e64 v16, 0, 0x41b17218, s5
	v_sub_f32_e32 v17, v9, v17
	v_sub_f32_e32 v10, v10, v16
	v_min_f32_e32 v16, 0x3f7fffff, v17
	v_sub_f32_e32 v10, v10, v15
	v_cmp_neq_f32_e64 s5, 0, v16
	v_cndmask_b32_e64 v15, 0x7f800000, v10, s5
.LBB155_292:
	s_or_b32 exec_lo, exec_lo, s10
.LBB155_293:
	s_andn2_saveexec_b32 s9, s9
; %bb.294:
	v_cmp_eq_f32_e64 s5, 1.0, v9
	v_cmp_eq_f32_e64 s6, 2.0, v9
	s_or_b32 s5, s5, s6
	v_cndmask_b32_e64 v15, v15, 0, s5
; %bb.295:
	s_or_b32 exec_lo, exec_lo, s9
	v_cmp_gt_f32_e64 s5, 0x4b000000, |v9|
	s_or_b32 vcc_lo, vcc_lo, s5
	v_cmp_class_f32_e64 s5, v9, 0x264
	v_cndmask_b32_e32 v10, 0x7f800000, v15, vcc_lo
	v_cmp_u_f32_e32 vcc_lo, v9, v9
	v_cndmask_b32_e64 v10, v10, 0x7f800000, s5
	v_cndmask_b32_e32 v9, v10, v9, vcc_lo
	v_bfe_u32 v10, v9, 16, 1
	v_cmp_o_f32_e32 vcc_lo, v9, v9
	v_add3_u32 v9, v9, v10, 0x7fff
	v_mov_b32_e32 v10, 0x7fc0
	v_cndmask_b32_sdwa v10, v10, v9, vcc_lo dst_sel:DWORD dst_unused:UNUSED_PAD src0_sel:DWORD src1_sel:WORD_1
.LBB155_296:
	s_or_b32 exec_lo, exec_lo, s8
	v_add_nc_u32_e32 v9, 0x700, v7
	v_cmp_lt_i32_e32 vcc_lo, v9, v4
                                        ; implicit-def: $vgpr9
	s_and_saveexec_b32 s8, vcc_lo
	s_cbranch_execz .LBB155_344
; %bb.297:
	v_and_b32_e32 v9, 0x7fffffff, v6
	s_mov_b32 s6, exec_lo
                                        ; implicit-def: $vgpr15
	v_cmpx_ngt_f32_e64 0x3c800000, |v6|
	s_xor_b32 s6, exec_lo, s6
	s_cbranch_execz .LBB155_327
; %bb.298:
	s_mov_b32 s9, exec_lo
                                        ; implicit-def: $vgpr15
	v_cmpx_nlt_f32_e64 |v6|, 2.0
	s_xor_b32 s9, exec_lo, s9
	s_cbranch_execz .LBB155_308
; %bb.299:
	v_cmp_ngt_f32_e64 s5, 0x41000000, |v6|
                                        ; implicit-def: $vgpr15
	s_and_saveexec_b32 s10, s5
	s_xor_b32 s5, exec_lo, s10
	s_cbranch_execz .LBB155_305
; %bb.300:
	v_cmp_ngt_f32_e64 s10, 0x5c800000, |v6|
                                        ; implicit-def: $vgpr15
	s_and_saveexec_b32 s11, s10
	s_xor_b32 s10, exec_lo, s11
	s_cbranch_execz .LBB155_302
; %bb.301:
	v_cmp_gt_f32_e64 s11, 0x800000, |v6|
	v_cndmask_b32_e64 v15, 0, 32, s11
	v_ldexp_f32 v15, |v6|, v15
	v_log_f32_e32 v15, v15
	v_mul_f32_e32 v16, 0x3f317217, v15
	v_cmp_gt_f32_e64 vcc_lo, 0x7f800000, |v15|
	v_fma_f32 v17, 0x3f317217, v15, -v16
	v_fmamk_f32 v17, v15, 0x3377d1cf, v17
	v_add_f32_e32 v16, v16, v17
	v_cndmask_b32_e32 v15, v15, v16, vcc_lo
	v_cndmask_b32_e64 v16, 0, 0x41b17218, s11
	v_sub_f32_e32 v15, v15, v16
	v_fma_f32 v15, |v6|, v15, -|v6|
.LBB155_302:
	s_andn2_saveexec_b32 s10, s10
	s_cbranch_execz .LBB155_304
; %bb.303:
	v_cmp_gt_f32_e64 s11, 0x800000, |v6|
	v_rcp_f32_e64 v16, |v6|
	s_mov_b32 s12, 0xbad5c4e8
	v_cndmask_b32_e64 v15, 0, 32, s11
	v_ldexp_f32 v15, |v6|, v15
	v_mul_f32_e32 v17, v16, v16
	v_log_f32_e32 v15, v15
	v_fmaak_f32 v19, s12, v17, 0x3a5b3dd2
	v_fmaak_f32 v19, v17, v19, 0xba1c065c
	v_mul_f32_e32 v18, 0x3f317217, v15
	v_fmaak_f32 v19, v17, v19, 0x3a500cfd
	v_cmp_gt_f32_e64 vcc_lo, 0x7f800000, |v15|
	v_fma_f32 v20, 0x3f317217, v15, -v18
	v_fmaak_f32 v19, v17, v19, 0xbb360b61
	v_fmamk_f32 v20, v15, 0x3377d1cf, v20
	v_fmaak_f32 v17, v17, v19, 0x3daaaaab
	v_add_f32_e32 v18, v18, v20
	v_cndmask_b32_e32 v15, v15, v18, vcc_lo
	v_cndmask_b32_e64 v18, 0, 0x41b17218, s11
	v_sub_f32_e32 v18, v15, v18
	v_fmaak_f32 v15, v16, v17, 0x3ed67f1d
	v_add_f32_e64 v16, |v6|, -0.5
	v_add_f32_e32 v17, -1.0, v18
	v_fmac_f32_e32 v15, v16, v17
.LBB155_304:
	s_or_b32 exec_lo, exec_lo, s10
.LBB155_305:
	s_andn2_saveexec_b32 s10, s5
	s_cbranch_execz .LBB155_307
; %bb.306:
	v_cvt_i32_f32_e32 v15, v9
	s_mov_b32 s5, 0x36f5d7bd
	s_mov_b32 s11, 0x3805ff67
	v_cvt_f32_i32_e32 v16, v15
	v_cmp_lt_i32_e32 vcc_lo, 2, v15
	v_sub_f32_e64 v16, |v6|, v16
	v_add_f32_e32 v17, 2.0, v16
	v_add_f32_e32 v18, 0x40400000, v16
	v_add_f32_e32 v19, 4.0, v16
	v_add_f32_e32 v20, 0x40a00000, v16
	v_cndmask_b32_e32 v17, 1.0, v17, vcc_lo
	v_cmp_lt_i32_e32 vcc_lo, 3, v15
	v_cndmask_b32_e32 v18, 1.0, v18, vcc_lo
	v_cmp_lt_i32_e32 vcc_lo, 4, v15
	v_mul_f32_e32 v17, v17, v18
	v_cndmask_b32_e32 v19, 1.0, v19, vcc_lo
	v_cmp_lt_i32_e32 vcc_lo, 5, v15
	v_add_f32_e32 v18, 0x40c00000, v16
	v_mul_f32_e32 v17, v19, v17
	v_cndmask_b32_e32 v20, 1.0, v20, vcc_lo
	v_cmp_lt_i32_e32 vcc_lo, 6, v15
	v_fmaak_f32 v19, s11, v16, 0x3af135b4
	v_mul_f32_e32 v17, v20, v17
	v_cndmask_b32_e32 v15, 1.0, v18, vcc_lo
	v_mul_f32_e32 v15, v15, v17
	v_fmaak_f32 v17, s5, v16, 0x3a4beed6
	v_cmp_gt_f32_e32 vcc_lo, 0x800000, v15
	v_fmaak_f32 v17, v16, v17, 0x3c98bf54
	v_cndmask_b32_e64 v18, 0, 32, vcc_lo
	v_fmaak_f32 v17, v16, v17, 0x3e300f6e
	v_ldexp_f32 v15, v15, v18
	v_fmaak_f32 v18, v16, v19, 0x3cda40e4
	v_fmaak_f32 v17, v16, v17, 0x3f38d0c5
	v_log_f32_e32 v15, v15
	v_fmaak_f32 v18, v16, v18, 0x3e15dce6
	v_fmaak_f32 v17, v16, v17, 0x3fb22d3b
	;; [unrolled: 1-line block ×3, first 2 shown]
	v_fma_f32 v17, v16, v17, 1.0
	v_mul_f32_e32 v19, 0x3f317217, v15
	v_fmaak_f32 v18, v16, v18, 0x3e5c245a
	v_rcp_f32_e32 v17, v17
	v_cmp_gt_f32_e64 s5, 0x7f800000, |v15|
	v_fma_f32 v20, 0x3f317217, v15, -v19
	v_fmaak_f32 v18, v16, v18, 0xbd9e233f
	v_fmamk_f32 v20, v15, 0x3377d1cf, v20
	v_mul_f32_e32 v18, v16, v18
	v_add_f32_e32 v19, v19, v20
	v_mul_f32_e32 v17, v18, v17
	v_cndmask_b32_e64 v18, 0, 0x41b17218, vcc_lo
	v_cndmask_b32_e64 v15, v15, v19, s5
	v_fmac_f32_e32 v17, 0.5, v16
	v_sub_f32_e32 v15, v15, v18
	v_add_f32_e32 v15, v15, v17
.LBB155_307:
	s_or_b32 exec_lo, exec_lo, s10
.LBB155_308:
	s_andn2_saveexec_b32 s9, s9
	s_cbranch_execz .LBB155_326
; %bb.309:
	s_mov_b32 s10, exec_lo
                                        ; implicit-def: $vgpr15
                                        ; implicit-def: $vgpr17
                                        ; implicit-def: $vgpr16
	v_cmpx_ge_f32_e64 0x3f666666, |v6|
	s_xor_b32 s10, exec_lo, s10
	s_cbranch_execz .LBB155_311
; %bb.310:
	v_cmp_gt_f32_e64 s5, 0x800000, |v6|
	v_sub_f32_e64 v18, 1.0, |v6|
	v_cmp_gt_f32_e64 vcc_lo, 0x3f3b4a23, |v6|
	v_cndmask_b32_e64 v15, 0, 32, s5
	v_cndmask_b32_e64 v19, 0, 0x41b17218, s5
	v_ldexp_f32 v15, |v6|, v15
	v_log_f32_e32 v15, v15
	v_mul_f32_e32 v16, 0x3f317217, v15
	v_cmp_gt_f32_e64 s5, 0x7f800000, |v15|
	v_fma_f32 v17, 0x3f317217, v15, -v16
	v_fmamk_f32 v17, v15, 0x3377d1cf, v17
	v_add_f32_e32 v16, v16, v17
	v_add_f32_e64 v17, 0xbeec5b0c, |v6|
	v_cndmask_b32_e64 v15, v15, v16, s5
	v_cndmask_b32_e32 v16, v18, v17, vcc_lo
	v_cndmask_b32_e64 v17, 0, 1, vcc_lo
	v_cmp_gt_f32_e64 s5, 0x3e6d3309, |v6|
	v_sub_f32_e32 v15, v15, v19
	v_cndmask_b32_e64 v16, v16, |v6|, s5
	v_cndmask_b32_e64 v17, v17, 2, s5
	v_xor_b32_e32 v15, 0x80000000, v15
.LBB155_311:
	s_andn2_saveexec_b32 s5, s10
	s_cbranch_execz .LBB155_313
; %bb.312:
	v_sub_f32_e64 v15, 2.0, |v6|
	v_add_f32_e64 v16, 0xbfbb16c3, |v6|
	v_cmp_gt_f32_e64 vcc_lo, 0x3fdda512, |v6|
	v_add_f32_e64 v17, |v6|, -1.0
	v_cndmask_b32_e32 v16, v15, v16, vcc_lo
	v_cndmask_b32_e64 v15, v15, 1.0, vcc_lo
	v_cmp_gt_f32_e64 vcc_lo, 0x3f9d70a4, |v6|
	v_cvt_i32_f32_e32 v15, v15
	v_cndmask_b32_e32 v16, v16, v17, vcc_lo
	v_cndmask_b32_e64 v17, v15, 2, vcc_lo
	v_mov_b32_e32 v15, 0
.LBB155_313:
	s_or_b32 exec_lo, exec_lo, s5
	s_mov_b32 s5, exec_lo
	v_cmpx_lt_i32_e32 0, v17
	s_xor_b32 s5, exec_lo, s5
	s_cbranch_execz .LBB155_321
; %bb.314:
	s_mov_b32 s10, exec_lo
	v_cmpx_lt_i32_e32 1, v17
	s_xor_b32 s10, exec_lo, s10
	s_cbranch_execz .LBB155_318
; %bb.315:
	s_mov_b32 s11, exec_lo
	v_cmpx_eq_u32_e32 2, v17
	s_cbranch_execz .LBB155_317
; %bb.316:
	s_mov_b32 s12, 0x3b52d5db
	v_fmaak_f32 v17, s12, v16, 0x3dd572af
	s_mov_b32 s12, 0x3c5b3c5e
	v_fmaak_f32 v18, s12, v16, 0x3e6a7578
	v_fmaak_f32 v17, v16, v17, 0x3f44efdf
	;; [unrolled: 1-line block ×7, first 2 shown]
	v_fma_f32 v17, v16, v17, 1.0
	v_fmaak_f32 v18, v16, v18, 0xbd9e233f
	v_rcp_f32_e32 v17, v17
	v_mul_f32_e32 v18, v16, v18
	v_mul_f32_e32 v17, v18, v17
	v_fmac_f32_e32 v17, -0.5, v16
	v_add_f32_e32 v15, v15, v17
.LBB155_317:
	s_or_b32 exec_lo, exec_lo, s11
                                        ; implicit-def: $vgpr16
.LBB155_318:
	s_andn2_saveexec_b32 s10, s10
	s_cbranch_execz .LBB155_320
; %bb.319:
	v_mul_f32_e32 v17, v16, v16
	s_mov_b32 s11, 0xb9a3f927
	s_mov_b32 s12, 0x39afe9f7
	v_mul_f32_e32 v18, v16, v17
	v_fmaak_f32 v19, s11, v18, 0x3a66f867
	v_fmaak_f32 v20, s12, v18, 0xba0d3085
	s_mov_b32 s11, 0x39a57b6b
	v_fmaak_f32 v21, s11, v18, 0xbab7f476
	v_fmaak_f32 v19, v18, v19, 0xbb7177fe
	;; [unrolled: 1-line block ×9, first 2 shown]
	v_fmac_f32_e32 v19, v16, v20
	v_fmaak_f32 v16, v18, v21, 0x3ef7b95e
	v_fma_f32 v18, v18, -v19, 0xa2863e55
	v_fma_f32 v16, v17, v16, -v18
	v_add_f32_e32 v16, 0xbdf8cdce, v16
	v_add_f32_e32 v15, v15, v16
.LBB155_320:
	s_or_b32 exec_lo, exec_lo, s10
                                        ; implicit-def: $vgpr17
                                        ; implicit-def: $vgpr16
.LBB155_321:
	s_andn2_saveexec_b32 s5, s5
	s_cbranch_execz .LBB155_325
; %bb.322:
	s_mov_b32 s10, exec_lo
	v_cmpx_eq_u32_e32 0, v17
	s_cbranch_execz .LBB155_324
; %bb.323:
	v_mul_f32_e32 v17, v16, v16
	s_mov_b32 s11, 0x383c2c75
	v_fmaak_f32 v18, s11, v17, 0x38e28445
	s_mov_b32 s11, 0x37d383a2
	v_fmaak_f32 v19, s11, v17, 0x39679767
	v_fmaak_f32 v18, v17, v18, 0x3a05b634
	;; [unrolled: 1-line block ×9, first 2 shown]
	v_mul_f32_e32 v17, v17, v18
	v_fmac_f32_e32 v17, v16, v19
	v_fmac_f32_e32 v17, -0.5, v16
	v_add_f32_e32 v15, v15, v17
.LBB155_324:
	s_or_b32 exec_lo, exec_lo, s10
.LBB155_325:
	s_or_b32 exec_lo, exec_lo, s5
.LBB155_326:
	s_or_b32 exec_lo, exec_lo, s9
.LBB155_327:
	s_andn2_saveexec_b32 s5, s6
	s_cbranch_execz .LBB155_329
; %bb.328:
	v_cmp_gt_f32_e64 s6, 0x800000, |v6|
	s_mov_b32 s9, 0x3e8a8991
	v_fma_f32 v18, |v6|, s9, 0xbecd26ab
	v_cndmask_b32_e64 v15, 0, 32, s6
	v_ldexp_f32 v15, |v6|, v15
	v_log_f32_e32 v15, v15
	v_mul_f32_e32 v16, 0x3f317217, v15
	v_cmp_gt_f32_e64 vcc_lo, 0x7f800000, |v15|
	v_fma_f32 v17, 0x3f317217, v15, -v16
	v_fmamk_f32 v17, v15, 0x3377d1cf, v17
	v_add_f32_e32 v16, v16, v17
	v_fma_f32 v17, |v6|, v18, 0x3f528d33
	v_cndmask_b32_e32 v15, v15, v16, vcc_lo
	v_cndmask_b32_e64 v16, 0, 0x41b17218, s6
	v_fma_f32 v17, |v6|, v17, 0xbf13c468
	v_sub_f32_e32 v15, v15, v16
	v_fma_f32 v15, |v6|, v17, -v15
.LBB155_329:
	s_or_b32 exec_lo, exec_lo, s5
	v_cmp_le_f32_e32 vcc_lo, 0, v6
	s_mov_b32 s6, exec_lo
	v_cmpx_nle_f32_e32 0, v6
	s_xor_b32 s9, exec_lo, s6
	s_cbranch_execz .LBB155_333
; %bb.330:
	v_cmp_gt_f32_e64 s5, 0x4b000000, |v6|
	v_cmp_lt_f32_e64 s6, 0x35000000, |v6|
	s_and_b32 s5, s5, s6
	s_and_saveexec_b32 s10, s5
	s_cbranch_execz .LBB155_332
; %bb.331:
	v_mul_f32_e64 v16, |v6|, 0.5
	s_mov_b32 s6, 0x3d4be544
	v_floor_f32_e32 v17, v16
	v_cmp_neq_f32_e64 s5, 0x7f800000, v16
	v_sub_f32_e32 v17, v16, v17
	v_min_f32_e32 v17, 0x3f7fffff, v17
	v_add_f32_e32 v17, v17, v17
	v_cndmask_b32_e64 v16, 0, v17, s5
	v_cmp_gt_f32_e64 s5, |v6|, 1.0
	v_cndmask_b32_e64 v16, |v6|, v16, s5
	s_mov_b32 s5, 0x3e75aa41
	v_add_f32_e32 v17, v16, v16
	v_rndne_f32_e32 v17, v17
	v_fmac_f32_e32 v16, -0.5, v17
	v_cvt_i32_f32_e32 v17, v17
	v_mul_f32_e32 v18, v16, v16
	v_fmaak_f32 v19, s5, v18, 0xbf1f24be
	v_fmaak_f32 v20, s6, v18, 0x3e642e9d
	v_mul_f32_e32 v21, v16, v18
	v_fmaak_f32 v19, v18, v19, 0x40234736
	v_fmaak_f32 v20, v18, v20, 0xbfaad1da
	;; [unrolled: 1-line block ×4, first 2 shown]
	v_mul_f32_e32 v19, v21, v19
	v_fmaak_f32 v20, v18, v20, 0xc09de9e6
	v_and_b32_e32 v21, 1, v17
	v_lshlrev_b32_e32 v17, 30, v17
	v_fmamk_f32 v16, v16, 0x40490fdb, v19
	v_fma_f32 v18, v18, v20, 1.0
	v_cmp_eq_u32_e64 s5, 0, v21
	v_and_or_b32 v9, 0x80000000, v17, v9
	v_cndmask_b32_e64 v16, v18, v16, s5
	v_xor3_b32 v9, v9, v16, v6
	v_mul_f32_e32 v9, v6, v9
	v_frexp_mant_f32_e64 v16, |v9|
	v_frexp_exp_i32_f32_e32 v9, v9
	v_rcp_f32_e32 v16, v16
	v_sub_nc_u32_e32 v9, 2, v9
	v_mul_f32_e32 v16, 0x3f490fdb, v16
	v_ldexp_f32 v9, v16, v9
	v_cmp_gt_f32_e64 s5, 0x800000, v9
	v_cndmask_b32_e64 v16, 0, 32, s5
	v_ldexp_f32 v9, v9, v16
	v_log_f32_e32 v9, v9
	v_mul_f32_e32 v16, 0x3f317217, v9
	v_cmp_gt_f32_e64 s6, 0x7f800000, |v9|
	v_fma_f32 v17, 0x3f317217, v9, -v16
	v_fmamk_f32 v17, v9, 0x3377d1cf, v17
	v_add_f32_e32 v16, v16, v17
	v_floor_f32_e32 v17, v6
	v_cndmask_b32_e64 v9, v9, v16, s6
	v_cndmask_b32_e64 v16, 0, 0x41b17218, s5
	v_sub_f32_e32 v17, v6, v17
	v_sub_f32_e32 v9, v9, v16
	v_min_f32_e32 v16, 0x3f7fffff, v17
	v_sub_f32_e32 v9, v9, v15
	v_cmp_neq_f32_e64 s5, 0, v16
	v_cndmask_b32_e64 v15, 0x7f800000, v9, s5
.LBB155_332:
	s_or_b32 exec_lo, exec_lo, s10
.LBB155_333:
	s_andn2_saveexec_b32 s9, s9
; %bb.334:
	v_cmp_eq_f32_e64 s5, 1.0, v6
	v_cmp_eq_f32_e64 s6, 2.0, v6
	s_or_b32 s5, s5, s6
	v_cndmask_b32_e64 v15, v15, 0, s5
; %bb.335:
	s_or_b32 exec_lo, exec_lo, s9
	v_cmp_gt_f32_e64 s5, 0x4b000000, |v6|
	s_or_b32 vcc_lo, vcc_lo, s5
	v_cmp_class_f32_e64 s5, v6, 0x264
	v_cndmask_b32_e32 v9, 0x7f800000, v15, vcc_lo
	v_cmp_u_f32_e32 vcc_lo, v6, v6
	v_cndmask_b32_e64 v9, v9, 0x7f800000, s5
	v_cndmask_b32_e32 v6, v9, v6, vcc_lo
	v_bfe_u32 v9, v6, 16, 1
	v_cmp_o_f32_e32 vcc_lo, v6, v6
	v_add3_u32 v6, v6, v9, 0x7fff
	v_mov_b32_e32 v9, 0x7fc0
	v_cndmask_b32_sdwa v9, v9, v6, vcc_lo dst_sel:DWORD dst_unused:UNUSED_PAD src0_sel:DWORD src1_sel:WORD_1
	s_or_b32 exec_lo, exec_lo, s8
	s_and_saveexec_b32 s5, s4
	s_xor_b32 s4, exec_lo, s5
	s_cbranch_execnz .LBB155_345
.LBB155_336:
	s_or_b32 exec_lo, exec_lo, s4
	s_mov_b32 s4, exec_lo
	v_cmpx_lt_i32_e64 v7, v4
	s_cbranch_execz .LBB155_346
.LBB155_337:
	v_add_nc_u32_e32 v5, s7, v7
	v_mov_b32_e32 v6, 0
	v_add_nc_u32_e32 v7, 0x100, v7
	v_lshlrev_b64 v[5:6], 1, v[5:6]
	v_add_co_u32 v5, vcc_lo, v0, v5
	v_add_co_ci_u32_e64 v6, null, v1, v6, vcc_lo
	flat_store_short v[5:6], v3
	s_or_b32 exec_lo, exec_lo, s4
	s_mov_b32 s4, exec_lo
	v_cmpx_lt_i32_e64 v7, v4
	s_cbranch_execnz .LBB155_347
.LBB155_338:
	s_or_b32 exec_lo, exec_lo, s4
	s_mov_b32 s4, exec_lo
	v_cmpx_lt_i32_e64 v7, v4
	s_cbranch_execz .LBB155_348
.LBB155_339:
	v_add_nc_u32_e32 v2, s7, v7
	v_mov_b32_e32 v3, 0
	v_add_nc_u32_e32 v7, 0x100, v7
	v_lshlrev_b64 v[2:3], 1, v[2:3]
	v_add_co_u32 v2, vcc_lo, v0, v2
	v_add_co_ci_u32_e64 v3, null, v1, v3, vcc_lo
	flat_store_short v[2:3], v14
	s_or_b32 exec_lo, exec_lo, s4
	s_mov_b32 s4, exec_lo
	v_cmpx_lt_i32_e64 v7, v4
	s_cbranch_execnz .LBB155_349
.LBB155_340:
	s_or_b32 exec_lo, exec_lo, s4
	s_mov_b32 s4, exec_lo
	v_cmpx_lt_i32_e64 v7, v4
	s_cbranch_execz .LBB155_350
.LBB155_341:
	v_add_nc_u32_e32 v2, s7, v7
	v_mov_b32_e32 v3, 0
	v_add_nc_u32_e32 v7, 0x100, v7
	v_lshlrev_b64 v[2:3], 1, v[2:3]
	v_add_co_u32 v2, vcc_lo, v0, v2
	v_add_co_ci_u32_e64 v3, null, v1, v3, vcc_lo
	flat_store_short v[2:3], v12
	s_or_b32 exec_lo, exec_lo, s4
	s_mov_b32 s4, exec_lo
	v_cmpx_lt_i32_e64 v7, v4
	s_cbranch_execnz .LBB155_351
.LBB155_342:
	s_or_b32 exec_lo, exec_lo, s4
	s_mov_b32 s4, exec_lo
	v_cmpx_lt_i32_e64 v7, v4
	s_cbranch_execz .LBB155_352
.LBB155_343:
	v_add_nc_u32_e32 v2, s7, v7
	v_mov_b32_e32 v3, 0
	v_lshlrev_b64 v[2:3], 1, v[2:3]
	v_add_co_u32 v0, vcc_lo, v0, v2
	v_add_co_ci_u32_e64 v1, null, v1, v3, vcc_lo
	flat_store_short v[0:1], v9
	s_or_b32 exec_lo, exec_lo, s4
	s_waitcnt lgkmcnt(0)
	s_setpc_b64 s[30:31]
.LBB155_344:
	s_or_b32 exec_lo, exec_lo, s8
	s_and_saveexec_b32 s5, s4
	s_xor_b32 s4, exec_lo, s5
	s_cbranch_execz .LBB155_336
.LBB155_345:
	v_mov_b32_e32 v6, 0
	v_mov_b32_e32 v7, v8
	v_lshlrev_b64 v[5:6], 1, v[5:6]
	v_add_co_u32 v5, vcc_lo, v0, v5
	v_add_co_ci_u32_e64 v6, null, v1, v6, vcc_lo
	flat_store_short v[5:6], v2
	s_or_b32 exec_lo, exec_lo, s4
	s_mov_b32 s4, exec_lo
	v_cmpx_lt_i32_e64 v7, v4
	s_cbranch_execnz .LBB155_337
.LBB155_346:
	s_or_b32 exec_lo, exec_lo, s4
	s_mov_b32 s4, exec_lo
	v_cmpx_lt_i32_e64 v7, v4
	s_cbranch_execz .LBB155_338
.LBB155_347:
	v_add_nc_u32_e32 v2, s7, v7
	v_mov_b32_e32 v3, 0
	v_add_nc_u32_e32 v7, 0x100, v7
	v_lshlrev_b64 v[2:3], 1, v[2:3]
	v_add_co_u32 v2, vcc_lo, v0, v2
	v_add_co_ci_u32_e64 v3, null, v1, v3, vcc_lo
	flat_store_short v[2:3], v11
	s_or_b32 exec_lo, exec_lo, s4
	s_mov_b32 s4, exec_lo
	v_cmpx_lt_i32_e64 v7, v4
	s_cbranch_execnz .LBB155_339
.LBB155_348:
	s_or_b32 exec_lo, exec_lo, s4
	s_mov_b32 s4, exec_lo
	v_cmpx_lt_i32_e64 v7, v4
	s_cbranch_execz .LBB155_340
.LBB155_349:
	v_add_nc_u32_e32 v2, s7, v7
	v_mov_b32_e32 v3, 0
	v_add_nc_u32_e32 v7, 0x100, v7
	v_lshlrev_b64 v[2:3], 1, v[2:3]
	v_add_co_u32 v2, vcc_lo, v0, v2
	v_add_co_ci_u32_e64 v3, null, v1, v3, vcc_lo
	flat_store_short v[2:3], v13
	s_or_b32 exec_lo, exec_lo, s4
	s_mov_b32 s4, exec_lo
	v_cmpx_lt_i32_e64 v7, v4
	s_cbranch_execnz .LBB155_341
.LBB155_350:
	s_or_b32 exec_lo, exec_lo, s4
	s_mov_b32 s4, exec_lo
	v_cmpx_lt_i32_e64 v7, v4
	s_cbranch_execz .LBB155_342
.LBB155_351:
	v_add_nc_u32_e32 v2, s7, v7
	v_mov_b32_e32 v3, 0
	v_add_nc_u32_e32 v7, 0x100, v7
	v_lshlrev_b64 v[2:3], 1, v[2:3]
	v_add_co_u32 v2, vcc_lo, v0, v2
	v_add_co_ci_u32_e64 v3, null, v1, v3, vcc_lo
	flat_store_short v[2:3], v10
	s_or_b32 exec_lo, exec_lo, s4
	s_mov_b32 s4, exec_lo
	v_cmpx_lt_i32_e64 v7, v4
	s_cbranch_execnz .LBB155_343
.LBB155_352:
	s_or_b32 exec_lo, exec_lo, s4
	s_waitcnt lgkmcnt(0)
	s_setpc_b64 s[30:31]
.Lfunc_end155:
	.size	_ZN2at6native25elementwise_kernel_helperILb0EZZZNS0_18lgamma_kernel_cudaERNS_18TensorIteratorBaseEENKUlvE_clEvENKUlvE2_clEvEUlN3c108BFloat16EE_NS0_6memory8policies11unroll_baseILi256ESt5arrayIPcLm2EE23TrivialOffsetCalculatorILi1EjESG_NS9_15LoadWithoutCastENS9_16StoreWithoutCastELi8ELi1EEEEEvT0_T1_, .Lfunc_end155-_ZN2at6native25elementwise_kernel_helperILb0EZZZNS0_18lgamma_kernel_cudaERNS_18TensorIteratorBaseEENKUlvE_clEvENKUlvE2_clEvEUlN3c108BFloat16EE_NS0_6memory8policies11unroll_baseILi256ESt5arrayIPcLm2EE23TrivialOffsetCalculatorILi1EjESG_NS9_15LoadWithoutCastENS9_16StoreWithoutCastELi8ELi1EEEEEvT0_T1_
                                        ; -- End function
	.set .L_ZN2at6native25elementwise_kernel_helperILb0EZZZNS0_18lgamma_kernel_cudaERNS_18TensorIteratorBaseEENKUlvE_clEvENKUlvE2_clEvEUlN3c108BFloat16EE_NS0_6memory8policies11unroll_baseILi256ESt5arrayIPcLm2EE23TrivialOffsetCalculatorILi1EjESG_NS9_15LoadWithoutCastENS9_16StoreWithoutCastELi8ELi1EEEEEvT0_T1_.num_vgpr, 32
	.set .L_ZN2at6native25elementwise_kernel_helperILb0EZZZNS0_18lgamma_kernel_cudaERNS_18TensorIteratorBaseEENKUlvE_clEvENKUlvE2_clEvEUlN3c108BFloat16EE_NS0_6memory8policies11unroll_baseILi256ESt5arrayIPcLm2EE23TrivialOffsetCalculatorILi1EjESG_NS9_15LoadWithoutCastENS9_16StoreWithoutCastELi8ELi1EEEEEvT0_T1_.num_agpr, 0
	.set .L_ZN2at6native25elementwise_kernel_helperILb0EZZZNS0_18lgamma_kernel_cudaERNS_18TensorIteratorBaseEENKUlvE_clEvENKUlvE2_clEvEUlN3c108BFloat16EE_NS0_6memory8policies11unroll_baseILi256ESt5arrayIPcLm2EE23TrivialOffsetCalculatorILi1EjESG_NS9_15LoadWithoutCastENS9_16StoreWithoutCastELi8ELi1EEEEEvT0_T1_.numbered_sgpr, 32
	.set .L_ZN2at6native25elementwise_kernel_helperILb0EZZZNS0_18lgamma_kernel_cudaERNS_18TensorIteratorBaseEENKUlvE_clEvENKUlvE2_clEvEUlN3c108BFloat16EE_NS0_6memory8policies11unroll_baseILi256ESt5arrayIPcLm2EE23TrivialOffsetCalculatorILi1EjESG_NS9_15LoadWithoutCastENS9_16StoreWithoutCastELi8ELi1EEEEEvT0_T1_.num_named_barrier, 0
	.set .L_ZN2at6native25elementwise_kernel_helperILb0EZZZNS0_18lgamma_kernel_cudaERNS_18TensorIteratorBaseEENKUlvE_clEvENKUlvE2_clEvEUlN3c108BFloat16EE_NS0_6memory8policies11unroll_baseILi256ESt5arrayIPcLm2EE23TrivialOffsetCalculatorILi1EjESG_NS9_15LoadWithoutCastENS9_16StoreWithoutCastELi8ELi1EEEEEvT0_T1_.private_seg_size, 0
	.set .L_ZN2at6native25elementwise_kernel_helperILb0EZZZNS0_18lgamma_kernel_cudaERNS_18TensorIteratorBaseEENKUlvE_clEvENKUlvE2_clEvEUlN3c108BFloat16EE_NS0_6memory8policies11unroll_baseILi256ESt5arrayIPcLm2EE23TrivialOffsetCalculatorILi1EjESG_NS9_15LoadWithoutCastENS9_16StoreWithoutCastELi8ELi1EEEEEvT0_T1_.uses_vcc, 1
	.set .L_ZN2at6native25elementwise_kernel_helperILb0EZZZNS0_18lgamma_kernel_cudaERNS_18TensorIteratorBaseEENKUlvE_clEvENKUlvE2_clEvEUlN3c108BFloat16EE_NS0_6memory8policies11unroll_baseILi256ESt5arrayIPcLm2EE23TrivialOffsetCalculatorILi1EjESG_NS9_15LoadWithoutCastENS9_16StoreWithoutCastELi8ELi1EEEEEvT0_T1_.uses_flat_scratch, 0
	.set .L_ZN2at6native25elementwise_kernel_helperILb0EZZZNS0_18lgamma_kernel_cudaERNS_18TensorIteratorBaseEENKUlvE_clEvENKUlvE2_clEvEUlN3c108BFloat16EE_NS0_6memory8policies11unroll_baseILi256ESt5arrayIPcLm2EE23TrivialOffsetCalculatorILi1EjESG_NS9_15LoadWithoutCastENS9_16StoreWithoutCastELi8ELi1EEEEEvT0_T1_.has_dyn_sized_stack, 0
	.set .L_ZN2at6native25elementwise_kernel_helperILb0EZZZNS0_18lgamma_kernel_cudaERNS_18TensorIteratorBaseEENKUlvE_clEvENKUlvE2_clEvEUlN3c108BFloat16EE_NS0_6memory8policies11unroll_baseILi256ESt5arrayIPcLm2EE23TrivialOffsetCalculatorILi1EjESG_NS9_15LoadWithoutCastENS9_16StoreWithoutCastELi8ELi1EEEEEvT0_T1_.has_recursion, 0
	.set .L_ZN2at6native25elementwise_kernel_helperILb0EZZZNS0_18lgamma_kernel_cudaERNS_18TensorIteratorBaseEENKUlvE_clEvENKUlvE2_clEvEUlN3c108BFloat16EE_NS0_6memory8policies11unroll_baseILi256ESt5arrayIPcLm2EE23TrivialOffsetCalculatorILi1EjESG_NS9_15LoadWithoutCastENS9_16StoreWithoutCastELi8ELi1EEEEEvT0_T1_.has_indirect_call, 0
	.section	.AMDGPU.csdata,"",@progbits
; Function info:
; codeLenInByte = 19928
; TotalNumSgprs: 34
; NumVgprs: 32
; ScratchSize: 0
; MemoryBound: 0
	.text
	.p2align	2                               ; -- Begin function _ZN2at6native25elementwise_kernel_helperILb0EZZZNS0_18lgamma_kernel_cudaERNS_18TensorIteratorBaseEENKUlvE_clEvENKUlvE2_clEvEUlN3c108BFloat16EE_NS0_6memory8policies10vectorizedILi8ESt5arrayIPcLm2EELi8EEEEEvT0_T1_
	.type	_ZN2at6native25elementwise_kernel_helperILb0EZZZNS0_18lgamma_kernel_cudaERNS_18TensorIteratorBaseEENKUlvE_clEvENKUlvE2_clEvEUlN3c108BFloat16EE_NS0_6memory8policies10vectorizedILi8ESt5arrayIPcLm2EELi8EEEEEvT0_T1_,@function
_ZN2at6native25elementwise_kernel_helperILb0EZZZNS0_18lgamma_kernel_cudaERNS_18TensorIteratorBaseEENKUlvE_clEvENKUlvE2_clEvEUlN3c108BFloat16EE_NS0_6memory8policies10vectorizedILi8ESt5arrayIPcLm2EELi8EEEEEvT0_T1_: ; @_ZN2at6native25elementwise_kernel_helperILb0EZZZNS0_18lgamma_kernel_cudaERNS_18TensorIteratorBaseEENKUlvE_clEvENKUlvE2_clEvEUlN3c108BFloat16EE_NS0_6memory8policies10vectorizedILi8ESt5arrayIPcLm2EELi8EEEEEvT0_T1_
; %bb.0:
	s_waitcnt vmcnt(0) expcnt(0) lgkmcnt(0)
	s_lshl_b32 s4, s12, 11
	v_and_b32_e32 v4, 0x3ff, v31
	s_ashr_i32 s5, s4, 31
                                        ; implicit-def: $vgpr8
	s_lshl_b64 s[14:15], s[4:5], 1
	s_mov_b32 s5, exec_lo
	v_lshlrev_b32_e32 v6, 4, v4
	v_add_co_u32 v2, vcc_lo, v2, s14
	v_add_co_ci_u32_e64 v3, null, s15, v3, vcc_lo
	v_add_co_u32 v2, vcc_lo, v2, v6
	v_add_co_ci_u32_e64 v3, null, 0, v3, vcc_lo
	flat_load_dwordx4 v[2:5], v[2:3]
	s_waitcnt vmcnt(0) lgkmcnt(0)
	v_lshlrev_b32_e32 v7, 16, v2
	v_and_b32_e32 v9, 0x7fffffff, v7
	v_cmpx_ngt_f32_e64 0x3c800000, |v7|
	s_xor_b32 s5, exec_lo, s5
	s_cbranch_execz .LBB156_30
; %bb.1:
	s_mov_b32 s6, exec_lo
                                        ; implicit-def: $vgpr8
	v_cmpx_nlt_f32_e64 |v7|, 2.0
	s_xor_b32 s6, exec_lo, s6
	s_cbranch_execz .LBB156_11
; %bb.2:
	v_cmp_ngt_f32_e64 s4, 0x41000000, |v7|
                                        ; implicit-def: $vgpr8
	s_and_saveexec_b32 s7, s4
	s_xor_b32 s4, exec_lo, s7
	s_cbranch_execz .LBB156_8
; %bb.3:
	v_cmp_ngt_f32_e64 s7, 0x5c800000, |v7|
                                        ; implicit-def: $vgpr8
	s_and_saveexec_b32 s8, s7
	s_xor_b32 s7, exec_lo, s8
	s_cbranch_execz .LBB156_5
; %bb.4:
	v_cmp_gt_f32_e64 s8, 0x800000, |v7|
	v_cndmask_b32_e64 v8, 0, 32, s8
	v_ldexp_f32 v8, |v7|, v8
	v_log_f32_e32 v8, v8
	v_mul_f32_e32 v10, 0x3f317217, v8
	v_cmp_gt_f32_e64 vcc_lo, 0x7f800000, |v8|
	v_fma_f32 v11, 0x3f317217, v8, -v10
	v_fmamk_f32 v11, v8, 0x3377d1cf, v11
	v_add_f32_e32 v10, v10, v11
	v_cndmask_b32_e32 v8, v8, v10, vcc_lo
	v_cndmask_b32_e64 v10, 0, 0x41b17218, s8
	v_sub_f32_e32 v8, v8, v10
	v_fma_f32 v8, |v7|, v8, -|v7|
.LBB156_5:
	s_andn2_saveexec_b32 s7, s7
	s_cbranch_execz .LBB156_7
; %bb.6:
	v_cmp_gt_f32_e64 s8, 0x800000, |v7|
	v_rcp_f32_e64 v10, |v7|
	s_mov_b32 s9, 0xbad5c4e8
	v_cndmask_b32_e64 v8, 0, 32, s8
	v_ldexp_f32 v8, |v7|, v8
	v_mul_f32_e32 v11, v10, v10
	v_log_f32_e32 v8, v8
	v_fmaak_f32 v13, s9, v11, 0x3a5b3dd2
	v_fmaak_f32 v13, v11, v13, 0xba1c065c
	v_mul_f32_e32 v12, 0x3f317217, v8
	v_fmaak_f32 v13, v11, v13, 0x3a500cfd
	v_cmp_gt_f32_e64 vcc_lo, 0x7f800000, |v8|
	v_fma_f32 v14, 0x3f317217, v8, -v12
	v_fmaak_f32 v13, v11, v13, 0xbb360b61
	v_fmamk_f32 v14, v8, 0x3377d1cf, v14
	v_fmaak_f32 v11, v11, v13, 0x3daaaaab
	v_add_f32_e32 v12, v12, v14
	v_cndmask_b32_e32 v8, v8, v12, vcc_lo
	v_cndmask_b32_e64 v12, 0, 0x41b17218, s8
	v_sub_f32_e32 v12, v8, v12
	v_fmaak_f32 v8, v10, v11, 0x3ed67f1d
	v_add_f32_e64 v10, |v7|, -0.5
	v_add_f32_e32 v11, -1.0, v12
	v_fmac_f32_e32 v8, v10, v11
.LBB156_7:
	s_or_b32 exec_lo, exec_lo, s7
.LBB156_8:
	s_andn2_saveexec_b32 s7, s4
	s_cbranch_execz .LBB156_10
; %bb.9:
	v_cvt_i32_f32_e32 v8, v9
	s_mov_b32 s4, 0x36f5d7bd
	s_mov_b32 s8, 0x3805ff67
	v_cvt_f32_i32_e32 v10, v8
	v_cmp_lt_i32_e32 vcc_lo, 2, v8
	v_sub_f32_e64 v10, |v7|, v10
	v_add_f32_e32 v11, 2.0, v10
	v_add_f32_e32 v12, 0x40400000, v10
	v_add_f32_e32 v13, 4.0, v10
	v_add_f32_e32 v14, 0x40a00000, v10
	v_cndmask_b32_e32 v11, 1.0, v11, vcc_lo
	v_cmp_lt_i32_e32 vcc_lo, 3, v8
	v_cndmask_b32_e32 v12, 1.0, v12, vcc_lo
	v_cmp_lt_i32_e32 vcc_lo, 4, v8
	v_mul_f32_e32 v11, v11, v12
	v_cndmask_b32_e32 v13, 1.0, v13, vcc_lo
	v_cmp_lt_i32_e32 vcc_lo, 5, v8
	v_add_f32_e32 v12, 0x40c00000, v10
	v_mul_f32_e32 v11, v13, v11
	v_cndmask_b32_e32 v14, 1.0, v14, vcc_lo
	v_cmp_lt_i32_e32 vcc_lo, 6, v8
	v_fmaak_f32 v13, s8, v10, 0x3af135b4
	v_mul_f32_e32 v11, v14, v11
	v_cndmask_b32_e32 v8, 1.0, v12, vcc_lo
	v_mul_f32_e32 v8, v8, v11
	v_fmaak_f32 v11, s4, v10, 0x3a4beed6
	v_cmp_gt_f32_e32 vcc_lo, 0x800000, v8
	v_fmaak_f32 v11, v10, v11, 0x3c98bf54
	v_cndmask_b32_e64 v12, 0, 32, vcc_lo
	v_fmaak_f32 v11, v10, v11, 0x3e300f6e
	v_ldexp_f32 v8, v8, v12
	v_fmaak_f32 v12, v10, v13, 0x3cda40e4
	v_fmaak_f32 v11, v10, v11, 0x3f38d0c5
	v_log_f32_e32 v8, v8
	v_fmaak_f32 v12, v10, v12, 0x3e15dce6
	v_fmaak_f32 v11, v10, v11, 0x3fb22d3b
	;; [unrolled: 1-line block ×3, first 2 shown]
	v_fma_f32 v11, v10, v11, 1.0
	v_mul_f32_e32 v13, 0x3f317217, v8
	v_fmaak_f32 v12, v10, v12, 0x3e5c245a
	v_rcp_f32_e32 v11, v11
	v_cmp_gt_f32_e64 s4, 0x7f800000, |v8|
	v_fma_f32 v14, 0x3f317217, v8, -v13
	v_fmaak_f32 v12, v10, v12, 0xbd9e233f
	v_fmamk_f32 v14, v8, 0x3377d1cf, v14
	v_mul_f32_e32 v12, v10, v12
	v_add_f32_e32 v13, v13, v14
	v_mul_f32_e32 v11, v12, v11
	v_cndmask_b32_e64 v12, 0, 0x41b17218, vcc_lo
	v_cndmask_b32_e64 v8, v8, v13, s4
	v_fmac_f32_e32 v11, 0.5, v10
	v_sub_f32_e32 v8, v8, v12
	v_add_f32_e32 v8, v8, v11
.LBB156_10:
	s_or_b32 exec_lo, exec_lo, s7
.LBB156_11:
	s_andn2_saveexec_b32 s6, s6
	s_cbranch_execz .LBB156_29
; %bb.12:
	s_mov_b32 s7, exec_lo
                                        ; implicit-def: $vgpr8
                                        ; implicit-def: $vgpr11
                                        ; implicit-def: $vgpr10
	v_cmpx_ge_f32_e64 0x3f666666, |v7|
	s_xor_b32 s7, exec_lo, s7
	s_cbranch_execz .LBB156_14
; %bb.13:
	v_cmp_gt_f32_e64 s4, 0x800000, |v7|
	v_sub_f32_e64 v12, 1.0, |v7|
	v_cmp_gt_f32_e64 vcc_lo, 0x3f3b4a23, |v7|
	v_cndmask_b32_e64 v8, 0, 32, s4
	v_cndmask_b32_e64 v13, 0, 0x41b17218, s4
	v_ldexp_f32 v8, |v7|, v8
	v_log_f32_e32 v8, v8
	v_mul_f32_e32 v10, 0x3f317217, v8
	v_cmp_gt_f32_e64 s4, 0x7f800000, |v8|
	v_fma_f32 v11, 0x3f317217, v8, -v10
	v_fmamk_f32 v11, v8, 0x3377d1cf, v11
	v_add_f32_e32 v10, v10, v11
	v_add_f32_e64 v11, 0xbeec5b0c, |v7|
	v_cndmask_b32_e64 v8, v8, v10, s4
	v_cndmask_b32_e32 v10, v12, v11, vcc_lo
	v_cndmask_b32_e64 v11, 0, 1, vcc_lo
	v_cmp_gt_f32_e64 s4, 0x3e6d3309, |v7|
	v_sub_f32_e32 v8, v8, v13
	v_cndmask_b32_e64 v10, v10, |v7|, s4
	v_cndmask_b32_e64 v11, v11, 2, s4
	v_xor_b32_e32 v8, 0x80000000, v8
.LBB156_14:
	s_andn2_saveexec_b32 s4, s7
	s_cbranch_execz .LBB156_16
; %bb.15:
	v_sub_f32_e64 v8, 2.0, |v7|
	v_add_f32_e64 v10, 0xbfbb16c3, |v7|
	v_cmp_gt_f32_e64 vcc_lo, 0x3fdda512, |v7|
	v_add_f32_e64 v11, |v7|, -1.0
	v_cndmask_b32_e32 v10, v8, v10, vcc_lo
	v_cndmask_b32_e64 v8, v8, 1.0, vcc_lo
	v_cmp_gt_f32_e64 vcc_lo, 0x3f9d70a4, |v7|
	v_cvt_i32_f32_e32 v8, v8
	v_cndmask_b32_e32 v10, v10, v11, vcc_lo
	v_cndmask_b32_e64 v11, v8, 2, vcc_lo
	v_mov_b32_e32 v8, 0
.LBB156_16:
	s_or_b32 exec_lo, exec_lo, s4
	s_mov_b32 s4, exec_lo
	v_cmpx_lt_i32_e32 0, v11
	s_xor_b32 s4, exec_lo, s4
	s_cbranch_execz .LBB156_24
; %bb.17:
	s_mov_b32 s7, exec_lo
	v_cmpx_lt_i32_e32 1, v11
	s_xor_b32 s7, exec_lo, s7
	s_cbranch_execz .LBB156_21
; %bb.18:
	s_mov_b32 s8, exec_lo
	v_cmpx_eq_u32_e32 2, v11
	s_cbranch_execz .LBB156_20
; %bb.19:
	s_mov_b32 s9, 0x3b52d5db
	v_fmaak_f32 v11, s9, v10, 0x3dd572af
	s_mov_b32 s9, 0x3c5b3c5e
	v_fmaak_f32 v12, s9, v10, 0x3e6a7578
	v_fmaak_f32 v11, v10, v11, 0x3f44efdf
	;; [unrolled: 1-line block ×7, first 2 shown]
	v_fma_f32 v11, v10, v11, 1.0
	v_fmaak_f32 v12, v10, v12, 0xbd9e233f
	v_rcp_f32_e32 v11, v11
	v_mul_f32_e32 v12, v10, v12
	v_mul_f32_e32 v11, v12, v11
	v_fmac_f32_e32 v11, -0.5, v10
	v_add_f32_e32 v8, v8, v11
.LBB156_20:
	s_or_b32 exec_lo, exec_lo, s8
                                        ; implicit-def: $vgpr10
.LBB156_21:
	s_andn2_saveexec_b32 s7, s7
	s_cbranch_execz .LBB156_23
; %bb.22:
	v_mul_f32_e32 v11, v10, v10
	s_mov_b32 s8, 0xb9a3f927
	s_mov_b32 s9, 0x39afe9f7
	v_mul_f32_e32 v12, v10, v11
	v_fmaak_f32 v13, s8, v12, 0x3a66f867
	v_fmaak_f32 v14, s9, v12, 0xba0d3085
	s_mov_b32 s8, 0x39a57b6b
	v_fmaak_f32 v15, s8, v12, 0xbab7f476
	v_fmaak_f32 v13, v12, v13, 0xbb7177fe
	;; [unrolled: 1-line block ×9, first 2 shown]
	v_fmac_f32_e32 v13, v10, v14
	v_fmaak_f32 v10, v12, v15, 0x3ef7b95e
	v_fma_f32 v12, v12, -v13, 0xa2863e55
	v_fma_f32 v10, v11, v10, -v12
	v_add_f32_e32 v10, 0xbdf8cdce, v10
	v_add_f32_e32 v8, v8, v10
.LBB156_23:
	s_or_b32 exec_lo, exec_lo, s7
                                        ; implicit-def: $vgpr11
                                        ; implicit-def: $vgpr10
.LBB156_24:
	s_andn2_saveexec_b32 s4, s4
	s_cbranch_execz .LBB156_28
; %bb.25:
	s_mov_b32 s7, exec_lo
	v_cmpx_eq_u32_e32 0, v11
	s_cbranch_execz .LBB156_27
; %bb.26:
	v_mul_f32_e32 v11, v10, v10
	s_mov_b32 s8, 0x383c2c75
	v_fmaak_f32 v12, s8, v11, 0x38e28445
	s_mov_b32 s8, 0x37d383a2
	v_fmaak_f32 v13, s8, v11, 0x39679767
	v_fmaak_f32 v12, v11, v12, 0x3a05b634
	;; [unrolled: 1-line block ×9, first 2 shown]
	v_mul_f32_e32 v11, v11, v12
	v_fmac_f32_e32 v11, v10, v13
	v_fmac_f32_e32 v11, -0.5, v10
	v_add_f32_e32 v8, v8, v11
.LBB156_27:
	s_or_b32 exec_lo, exec_lo, s7
.LBB156_28:
	s_or_b32 exec_lo, exec_lo, s4
.LBB156_29:
	s_or_b32 exec_lo, exec_lo, s6
.LBB156_30:
	s_andn2_saveexec_b32 s4, s5
	s_cbranch_execz .LBB156_32
; %bb.31:
	v_cmp_gt_f32_e64 s5, 0x800000, |v7|
	s_mov_b32 s6, 0x3e8a8991
	v_fma_f32 v12, |v7|, s6, 0xbecd26ab
	v_cndmask_b32_e64 v8, 0, 32, s5
	v_ldexp_f32 v8, |v7|, v8
	v_log_f32_e32 v8, v8
	v_mul_f32_e32 v10, 0x3f317217, v8
	v_cmp_gt_f32_e64 vcc_lo, 0x7f800000, |v8|
	v_fma_f32 v11, 0x3f317217, v8, -v10
	v_fmamk_f32 v11, v8, 0x3377d1cf, v11
	v_add_f32_e32 v10, v10, v11
	v_fma_f32 v11, |v7|, v12, 0x3f528d33
	v_cndmask_b32_e32 v8, v8, v10, vcc_lo
	v_cndmask_b32_e64 v10, 0, 0x41b17218, s5
	v_fma_f32 v11, |v7|, v11, 0xbf13c468
	v_sub_f32_e32 v8, v8, v10
	v_fma_f32 v8, |v7|, v11, -v8
.LBB156_32:
	s_or_b32 exec_lo, exec_lo, s4
	v_cmp_le_f32_e32 vcc_lo, 0, v7
	s_mov_b32 s5, exec_lo
	v_cmpx_nle_f32_e32 0, v7
	s_xor_b32 s6, exec_lo, s5
	s_cbranch_execz .LBB156_36
; %bb.33:
	v_cmp_gt_f32_e64 s4, 0x4b000000, |v7|
	v_cmp_lt_f32_e64 s5, 0x35000000, |v7|
	s_and_b32 s4, s4, s5
	s_and_saveexec_b32 s7, s4
	s_cbranch_execz .LBB156_35
; %bb.34:
	v_mul_f32_e64 v10, |v7|, 0.5
	s_mov_b32 s5, 0x3d4be544
	v_floor_f32_e32 v11, v10
	v_cmp_neq_f32_e64 s4, 0x7f800000, v10
	v_sub_f32_e32 v11, v10, v11
	v_min_f32_e32 v11, 0x3f7fffff, v11
	v_add_f32_e32 v11, v11, v11
	v_cndmask_b32_e64 v10, 0, v11, s4
	v_cmp_gt_f32_e64 s4, |v7|, 1.0
	v_cndmask_b32_e64 v10, |v7|, v10, s4
	s_mov_b32 s4, 0x3e75aa41
	v_add_f32_e32 v11, v10, v10
	v_rndne_f32_e32 v11, v11
	v_fmac_f32_e32 v10, -0.5, v11
	v_cvt_i32_f32_e32 v11, v11
	v_mul_f32_e32 v12, v10, v10
	v_fmaak_f32 v13, s4, v12, 0xbf1f24be
	v_fmaak_f32 v14, s5, v12, 0x3e642e9d
	v_mul_f32_e32 v15, v10, v12
	v_fmaak_f32 v13, v12, v13, 0x40234736
	v_fmaak_f32 v14, v12, v14, 0xbfaad1da
	;; [unrolled: 1-line block ×4, first 2 shown]
	v_mul_f32_e32 v13, v15, v13
	v_fmaak_f32 v14, v12, v14, 0xc09de9e6
	v_and_b32_e32 v15, 1, v11
	v_lshlrev_b32_e32 v11, 30, v11
	v_fmamk_f32 v10, v10, 0x40490fdb, v13
	v_fma_f32 v12, v12, v14, 1.0
	v_cmp_eq_u32_e64 s4, 0, v15
	v_and_or_b32 v9, 0x80000000, v11, v9
	v_cndmask_b32_e64 v10, v12, v10, s4
	v_xor3_b32 v9, v9, v10, v7
	v_mul_f32_e32 v9, v7, v9
	v_frexp_mant_f32_e64 v10, |v9|
	v_frexp_exp_i32_f32_e32 v9, v9
	v_rcp_f32_e32 v10, v10
	v_sub_nc_u32_e32 v9, 2, v9
	v_mul_f32_e32 v10, 0x3f490fdb, v10
	v_ldexp_f32 v9, v10, v9
	v_cmp_gt_f32_e64 s4, 0x800000, v9
	v_cndmask_b32_e64 v10, 0, 32, s4
	v_ldexp_f32 v9, v9, v10
	v_log_f32_e32 v9, v9
	v_mul_f32_e32 v10, 0x3f317217, v9
	v_cmp_gt_f32_e64 s5, 0x7f800000, |v9|
	v_fma_f32 v11, 0x3f317217, v9, -v10
	v_fmamk_f32 v11, v9, 0x3377d1cf, v11
	v_add_f32_e32 v10, v10, v11
	v_floor_f32_e32 v11, v7
	v_cndmask_b32_e64 v9, v9, v10, s5
	v_cndmask_b32_e64 v10, 0, 0x41b17218, s4
	v_sub_f32_e32 v11, v7, v11
	v_sub_f32_e32 v9, v9, v10
	v_min_f32_e32 v10, 0x3f7fffff, v11
	v_sub_f32_e32 v8, v9, v8
	v_cmp_neq_f32_e64 s4, 0, v10
	v_cndmask_b32_e64 v8, 0x7f800000, v8, s4
.LBB156_35:
	s_or_b32 exec_lo, exec_lo, s7
.LBB156_36:
	s_andn2_saveexec_b32 s6, s6
; %bb.37:
	v_cmp_eq_f32_e64 s4, 1.0, v7
	v_cmp_eq_f32_e64 s5, 2.0, v7
	s_or_b32 s4, s4, s5
	v_cndmask_b32_e64 v8, v8, 0, s4
; %bb.38:
	s_or_b32 exec_lo, exec_lo, s6
	v_and_b32_e32 v2, 0xffff0000, v2
                                        ; implicit-def: $vgpr9
	s_mov_b32 s5, exec_lo
	v_and_b32_e32 v10, 0x7fffffff, v2
	v_cmpx_ngt_f32_e64 0x3c800000, |v2|
	s_xor_b32 s6, exec_lo, s5
	s_cbranch_execz .LBB156_68
; %bb.39:
                                        ; implicit-def: $vgpr9
	s_mov_b32 s5, exec_lo
	v_cmpx_nlt_f32_e64 |v2|, 2.0
	s_xor_b32 s7, exec_lo, s5
	s_cbranch_execz .LBB156_49
; %bb.40:
	s_mov_b32 s5, exec_lo
                                        ; implicit-def: $vgpr9
	v_cmpx_ngt_f32_e64 0x41000000, |v2|
	s_xor_b32 s5, exec_lo, s5
	s_cbranch_execz .LBB156_46
; %bb.41:
	s_mov_b32 s8, exec_lo
                                        ; implicit-def: $vgpr9
	v_cmpx_ngt_f32_e64 0x5c800000, |v2|
	s_xor_b32 s8, exec_lo, s8
	s_cbranch_execz .LBB156_43
; %bb.42:
	v_cmp_gt_f32_e64 s9, 0x800000, |v2|
	v_cndmask_b32_e64 v9, 0, 32, s9
	v_ldexp_f32 v9, |v2|, v9
	v_log_f32_e32 v9, v9
	v_mul_f32_e32 v11, 0x3f317217, v9
	v_cmp_gt_f32_e64 s4, 0x7f800000, |v9|
	v_fma_f32 v12, 0x3f317217, v9, -v11
	v_fmamk_f32 v12, v9, 0x3377d1cf, v12
	v_add_f32_e32 v11, v11, v12
	v_cndmask_b32_e64 v9, v9, v11, s4
	v_cndmask_b32_e64 v11, 0, 0x41b17218, s9
	v_sub_f32_e32 v9, v9, v11
	v_fma_f32 v9, |v2|, v9, -|v2|
.LBB156_43:
	s_andn2_saveexec_b32 s8, s8
	s_cbranch_execz .LBB156_45
; %bb.44:
	v_cmp_gt_f32_e64 s9, 0x800000, |v2|
	v_rcp_f32_e64 v11, |v2|
	s_mov_b32 s4, 0xbad5c4e8
	v_cndmask_b32_e64 v9, 0, 32, s9
	v_ldexp_f32 v9, |v2|, v9
	v_mul_f32_e32 v12, v11, v11
	v_log_f32_e32 v9, v9
	v_fmaak_f32 v14, s4, v12, 0x3a5b3dd2
	v_fmaak_f32 v14, v12, v14, 0xba1c065c
	v_mul_f32_e32 v13, 0x3f317217, v9
	v_fmaak_f32 v14, v12, v14, 0x3a500cfd
	v_cmp_gt_f32_e64 s4, 0x7f800000, |v9|
	v_fma_f32 v15, 0x3f317217, v9, -v13
	v_fmaak_f32 v14, v12, v14, 0xbb360b61
	v_fmamk_f32 v15, v9, 0x3377d1cf, v15
	v_fmaak_f32 v12, v12, v14, 0x3daaaaab
	v_add_f32_e32 v13, v13, v15
	v_cndmask_b32_e64 v9, v9, v13, s4
	v_cndmask_b32_e64 v13, 0, 0x41b17218, s9
	v_sub_f32_e32 v13, v9, v13
	v_fmaak_f32 v9, v11, v12, 0x3ed67f1d
	v_add_f32_e64 v11, |v2|, -0.5
	v_add_f32_e32 v12, -1.0, v13
	v_fmac_f32_e32 v9, v11, v12
.LBB156_45:
	s_or_b32 exec_lo, exec_lo, s8
.LBB156_46:
	s_andn2_saveexec_b32 s8, s5
	s_cbranch_execz .LBB156_48
; %bb.47:
	v_cvt_i32_f32_e32 v9, v10
	s_mov_b32 s5, 0x3805ff67
	v_cvt_f32_i32_e32 v11, v9
	v_cmp_lt_i32_e64 s4, 2, v9
	v_sub_f32_e64 v11, |v2|, v11
	v_add_f32_e32 v12, 2.0, v11
	v_add_f32_e32 v13, 0x40400000, v11
	v_add_f32_e32 v14, 4.0, v11
	v_add_f32_e32 v15, 0x40a00000, v11
	v_cndmask_b32_e64 v12, 1.0, v12, s4
	v_cmp_lt_i32_e64 s4, 3, v9
	v_cndmask_b32_e64 v13, 1.0, v13, s4
	v_cmp_lt_i32_e64 s4, 4, v9
	v_mul_f32_e32 v12, v12, v13
	v_cndmask_b32_e64 v14, 1.0, v14, s4
	v_cmp_lt_i32_e64 s4, 5, v9
	v_add_f32_e32 v13, 0x40c00000, v11
	v_mul_f32_e32 v12, v14, v12
	v_cndmask_b32_e64 v15, 1.0, v15, s4
	v_cmp_lt_i32_e64 s4, 6, v9
	v_fmaak_f32 v14, s5, v11, 0x3af135b4
	v_mul_f32_e32 v12, v15, v12
	v_cndmask_b32_e64 v9, 1.0, v13, s4
	s_mov_b32 s4, 0x36f5d7bd
	v_mul_f32_e32 v9, v9, v12
	v_fmaak_f32 v12, s4, v11, 0x3a4beed6
	v_cmp_gt_f32_e64 s4, 0x800000, v9
	v_fmaak_f32 v12, v11, v12, 0x3c98bf54
	v_cndmask_b32_e64 v13, 0, 32, s4
	v_fmaak_f32 v12, v11, v12, 0x3e300f6e
	v_ldexp_f32 v9, v9, v13
	v_fmaak_f32 v13, v11, v14, 0x3cda40e4
	v_fmaak_f32 v12, v11, v12, 0x3f38d0c5
	v_log_f32_e32 v9, v9
	v_fmaak_f32 v13, v11, v13, 0x3e15dce6
	v_fmaak_f32 v12, v11, v12, 0x3fb22d3b
	;; [unrolled: 1-line block ×3, first 2 shown]
	v_fma_f32 v12, v11, v12, 1.0
	v_mul_f32_e32 v14, 0x3f317217, v9
	v_fmaak_f32 v13, v11, v13, 0x3e5c245a
	v_rcp_f32_e32 v12, v12
	v_cmp_gt_f32_e64 s5, 0x7f800000, |v9|
	v_fma_f32 v15, 0x3f317217, v9, -v14
	v_fmaak_f32 v13, v11, v13, 0xbd9e233f
	v_fmamk_f32 v15, v9, 0x3377d1cf, v15
	v_mul_f32_e32 v13, v11, v13
	v_add_f32_e32 v14, v14, v15
	v_mul_f32_e32 v12, v13, v12
	v_cndmask_b32_e64 v13, 0, 0x41b17218, s4
	v_cndmask_b32_e64 v9, v9, v14, s5
	v_fmac_f32_e32 v12, 0.5, v11
	v_sub_f32_e32 v9, v9, v13
	v_add_f32_e32 v9, v9, v12
.LBB156_48:
	s_or_b32 exec_lo, exec_lo, s8
.LBB156_49:
	s_andn2_saveexec_b32 s7, s7
	s_cbranch_execz .LBB156_67
; %bb.50:
                                        ; implicit-def: $vgpr9
                                        ; implicit-def: $vgpr12
                                        ; implicit-def: $vgpr11
	s_mov_b32 s5, exec_lo
	v_cmpx_ge_f32_e64 0x3f666666, |v2|
	s_xor_b32 s8, exec_lo, s5
	s_cbranch_execz .LBB156_52
; %bb.51:
	v_cmp_gt_f32_e64 s5, 0x800000, |v2|
	v_sub_f32_e64 v13, 1.0, |v2|
	v_cmp_gt_f32_e64 s4, 0x3f3b4a23, |v2|
	v_cndmask_b32_e64 v9, 0, 32, s5
	v_cndmask_b32_e64 v14, 0, 0x41b17218, s5
	v_ldexp_f32 v9, |v2|, v9
	v_log_f32_e32 v9, v9
	v_mul_f32_e32 v11, 0x3f317217, v9
	v_cmp_gt_f32_e64 s5, 0x7f800000, |v9|
	v_fma_f32 v12, 0x3f317217, v9, -v11
	v_fmamk_f32 v12, v9, 0x3377d1cf, v12
	v_add_f32_e32 v11, v11, v12
	v_add_f32_e64 v12, 0xbeec5b0c, |v2|
	v_cndmask_b32_e64 v9, v9, v11, s5
	v_cndmask_b32_e64 v11, v13, v12, s4
	;; [unrolled: 1-line block ×3, first 2 shown]
	v_cmp_gt_f32_e64 s4, 0x3e6d3309, |v2|
	v_sub_f32_e32 v9, v9, v14
	v_cndmask_b32_e64 v11, v11, |v2|, s4
	v_cndmask_b32_e64 v12, v12, 2, s4
	v_xor_b32_e32 v9, 0x80000000, v9
.LBB156_52:
	s_andn2_saveexec_b32 s5, s8
	s_cbranch_execz .LBB156_54
; %bb.53:
	v_sub_f32_e64 v9, 2.0, |v2|
	v_add_f32_e64 v11, 0xbfbb16c3, |v2|
	v_cmp_gt_f32_e64 s4, 0x3fdda512, |v2|
	v_add_f32_e64 v12, |v2|, -1.0
	v_cndmask_b32_e64 v11, v9, v11, s4
	v_cndmask_b32_e64 v9, v9, 1.0, s4
	v_cmp_gt_f32_e64 s4, 0x3f9d70a4, |v2|
	v_cvt_i32_f32_e32 v9, v9
	v_cndmask_b32_e64 v11, v11, v12, s4
	v_cndmask_b32_e64 v12, v9, 2, s4
	v_mov_b32_e32 v9, 0
.LBB156_54:
	s_or_b32 exec_lo, exec_lo, s5
	s_mov_b32 s5, exec_lo
	v_cmpx_lt_i32_e32 0, v12
	s_xor_b32 s5, exec_lo, s5
	s_cbranch_execz .LBB156_62
; %bb.55:
	s_mov_b32 s8, exec_lo
	v_cmpx_lt_i32_e32 1, v12
	s_xor_b32 s8, exec_lo, s8
	s_cbranch_execz .LBB156_59
; %bb.56:
	s_mov_b32 s9, exec_lo
	v_cmpx_eq_u32_e32 2, v12
	s_cbranch_execz .LBB156_58
; %bb.57:
	s_mov_b32 s4, 0x3b52d5db
	v_fmaak_f32 v12, s4, v11, 0x3dd572af
	s_mov_b32 s4, 0x3c5b3c5e
	v_fmaak_f32 v13, s4, v11, 0x3e6a7578
	v_fmaak_f32 v12, v11, v12, 0x3f44efdf
	;; [unrolled: 1-line block ×7, first 2 shown]
	v_fma_f32 v12, v11, v12, 1.0
	v_fmaak_f32 v13, v11, v13, 0xbd9e233f
	v_rcp_f32_e32 v12, v12
	v_mul_f32_e32 v13, v11, v13
	v_mul_f32_e32 v12, v13, v12
	v_fmac_f32_e32 v12, -0.5, v11
	v_add_f32_e32 v9, v9, v12
.LBB156_58:
	s_or_b32 exec_lo, exec_lo, s9
                                        ; implicit-def: $vgpr11
.LBB156_59:
	s_andn2_saveexec_b32 s4, s8
	s_cbranch_execz .LBB156_61
; %bb.60:
	v_mul_f32_e32 v12, v11, v11
	s_mov_b32 s8, 0xb9a3f927
	s_mov_b32 s9, 0x39afe9f7
	v_mul_f32_e32 v13, v11, v12
	v_fmaak_f32 v14, s8, v13, 0x3a66f867
	v_fmaak_f32 v15, s9, v13, 0xba0d3085
	s_mov_b32 s8, 0x39a57b6b
	v_fmaak_f32 v16, s8, v13, 0xbab7f476
	v_fmaak_f32 v14, v13, v14, 0xbb7177fe
	;; [unrolled: 1-line block ×9, first 2 shown]
	v_fmac_f32_e32 v14, v11, v15
	v_fmaak_f32 v11, v13, v16, 0x3ef7b95e
	v_fma_f32 v13, v13, -v14, 0xa2863e55
	v_fma_f32 v11, v12, v11, -v13
	v_add_f32_e32 v11, 0xbdf8cdce, v11
	v_add_f32_e32 v9, v9, v11
.LBB156_61:
	s_or_b32 exec_lo, exec_lo, s4
                                        ; implicit-def: $vgpr12
                                        ; implicit-def: $vgpr11
.LBB156_62:
	s_andn2_saveexec_b32 s5, s5
	s_cbranch_execz .LBB156_66
; %bb.63:
	s_mov_b32 s8, exec_lo
	v_cmpx_eq_u32_e32 0, v12
	s_cbranch_execz .LBB156_65
; %bb.64:
	v_mul_f32_e32 v12, v11, v11
	s_mov_b32 s4, 0x383c2c75
	v_fmaak_f32 v13, s4, v12, 0x38e28445
	s_mov_b32 s4, 0x37d383a2
	v_fmaak_f32 v14, s4, v12, 0x39679767
	v_fmaak_f32 v13, v12, v13, 0x3a05b634
	;; [unrolled: 1-line block ×9, first 2 shown]
	v_mul_f32_e32 v12, v12, v13
	v_fmac_f32_e32 v12, v11, v14
	v_fmac_f32_e32 v12, -0.5, v11
	v_add_f32_e32 v9, v9, v12
.LBB156_65:
	s_or_b32 exec_lo, exec_lo, s8
.LBB156_66:
	s_or_b32 exec_lo, exec_lo, s5
.LBB156_67:
	s_or_b32 exec_lo, exec_lo, s7
.LBB156_68:
	s_andn2_saveexec_b32 s5, s6
	s_cbranch_execz .LBB156_70
; %bb.69:
	v_cmp_gt_f32_e64 s6, 0x800000, |v2|
	s_mov_b32 s4, 0x3e8a8991
	v_fma_f32 v13, |v2|, s4, 0xbecd26ab
	v_cndmask_b32_e64 v9, 0, 32, s6
	v_ldexp_f32 v9, |v2|, v9
	v_log_f32_e32 v9, v9
	v_mul_f32_e32 v11, 0x3f317217, v9
	v_cmp_gt_f32_e64 s4, 0x7f800000, |v9|
	v_fma_f32 v12, 0x3f317217, v9, -v11
	v_fmamk_f32 v12, v9, 0x3377d1cf, v12
	v_add_f32_e32 v11, v11, v12
	v_fma_f32 v12, |v2|, v13, 0x3f528d33
	v_cndmask_b32_e64 v9, v9, v11, s4
	v_cndmask_b32_e64 v11, 0, 0x41b17218, s6
	v_fma_f32 v12, |v2|, v12, 0xbf13c468
	v_sub_f32_e32 v9, v9, v11
	v_fma_f32 v9, |v2|, v12, -v9
.LBB156_70:
	s_or_b32 exec_lo, exec_lo, s5
	v_cmp_le_f32_e64 s4, 0, v2
	s_mov_b32 s6, exec_lo
	v_cmpx_nle_f32_e32 0, v2
	s_xor_b32 s7, exec_lo, s6
	s_cbranch_execz .LBB156_74
; %bb.71:
	v_cmp_gt_f32_e64 s5, 0x4b000000, |v2|
	v_cmp_lt_f32_e64 s6, 0x35000000, |v2|
	s_and_b32 s5, s5, s6
	s_and_saveexec_b32 s8, s5
	s_cbranch_execz .LBB156_73
; %bb.72:
	v_mul_f32_e64 v11, |v2|, 0.5
	s_mov_b32 s6, 0x3d4be544
	v_floor_f32_e32 v12, v11
	v_cmp_neq_f32_e64 s5, 0x7f800000, v11
	v_sub_f32_e32 v12, v11, v12
	v_min_f32_e32 v12, 0x3f7fffff, v12
	v_add_f32_e32 v12, v12, v12
	v_cndmask_b32_e64 v11, 0, v12, s5
	v_cmp_gt_f32_e64 s5, |v2|, 1.0
	v_cndmask_b32_e64 v11, |v2|, v11, s5
	s_mov_b32 s5, 0x3e75aa41
	v_add_f32_e32 v12, v11, v11
	v_rndne_f32_e32 v12, v12
	v_fmac_f32_e32 v11, -0.5, v12
	v_cvt_i32_f32_e32 v12, v12
	v_mul_f32_e32 v13, v11, v11
	v_fmaak_f32 v14, s5, v13, 0xbf1f24be
	v_fmaak_f32 v15, s6, v13, 0x3e642e9d
	v_mul_f32_e32 v16, v11, v13
	v_fmaak_f32 v14, v13, v14, 0x40234736
	v_fmaak_f32 v15, v13, v15, 0xbfaad1da
	;; [unrolled: 1-line block ×4, first 2 shown]
	v_mul_f32_e32 v14, v16, v14
	v_fmaak_f32 v15, v13, v15, 0xc09de9e6
	v_and_b32_e32 v16, 1, v12
	v_lshlrev_b32_e32 v12, 30, v12
	v_fmamk_f32 v11, v11, 0x40490fdb, v14
	v_fma_f32 v13, v13, v15, 1.0
	v_cmp_eq_u32_e64 s5, 0, v16
	v_and_or_b32 v10, 0x80000000, v12, v10
	v_cndmask_b32_e64 v11, v13, v11, s5
	v_xor3_b32 v10, v10, v11, v2
	v_mul_f32_e32 v10, v2, v10
	v_frexp_mant_f32_e64 v11, |v10|
	v_frexp_exp_i32_f32_e32 v10, v10
	v_rcp_f32_e32 v11, v11
	v_sub_nc_u32_e32 v10, 2, v10
	v_mul_f32_e32 v11, 0x3f490fdb, v11
	v_ldexp_f32 v10, v11, v10
	v_cmp_gt_f32_e64 s5, 0x800000, v10
	v_cndmask_b32_e64 v11, 0, 32, s5
	v_ldexp_f32 v10, v10, v11
	v_log_f32_e32 v10, v10
	v_mul_f32_e32 v11, 0x3f317217, v10
	v_cmp_gt_f32_e64 s6, 0x7f800000, |v10|
	v_fma_f32 v12, 0x3f317217, v10, -v11
	v_fmamk_f32 v12, v10, 0x3377d1cf, v12
	v_add_f32_e32 v11, v11, v12
	v_floor_f32_e32 v12, v2
	v_cndmask_b32_e64 v10, v10, v11, s6
	v_cndmask_b32_e64 v11, 0, 0x41b17218, s5
	v_sub_f32_e32 v12, v2, v12
	v_sub_f32_e32 v10, v10, v11
	v_min_f32_e32 v11, 0x3f7fffff, v12
	v_sub_f32_e32 v9, v10, v9
	v_cmp_neq_f32_e64 s5, 0, v11
	v_cndmask_b32_e64 v9, 0x7f800000, v9, s5
.LBB156_73:
	s_or_b32 exec_lo, exec_lo, s8
.LBB156_74:
	s_andn2_saveexec_b32 s7, s7
; %bb.75:
	v_cmp_eq_f32_e64 s5, 1.0, v2
	v_cmp_eq_f32_e64 s6, 2.0, v2
	s_or_b32 s5, s5, s6
	v_cndmask_b32_e64 v9, v9, 0, s5
; %bb.76:
	s_or_b32 exec_lo, exec_lo, s7
	v_lshlrev_b32_e32 v10, 16, v3
                                        ; implicit-def: $vgpr11
	s_mov_b32 s6, exec_lo
	v_and_b32_e32 v12, 0x7fffffff, v10
	v_cmpx_ngt_f32_e64 0x3c800000, |v10|
	s_xor_b32 s7, exec_lo, s6
	s_cbranch_execz .LBB156_106
; %bb.77:
                                        ; implicit-def: $vgpr11
	s_mov_b32 s6, exec_lo
	v_cmpx_nlt_f32_e64 |v10|, 2.0
	s_xor_b32 s8, exec_lo, s6
	s_cbranch_execz .LBB156_87
; %bb.78:
	s_mov_b32 s6, exec_lo
                                        ; implicit-def: $vgpr11
	v_cmpx_ngt_f32_e64 0x41000000, |v10|
	s_xor_b32 s6, exec_lo, s6
	s_cbranch_execz .LBB156_84
; %bb.79:
	s_mov_b32 s9, exec_lo
                                        ; implicit-def: $vgpr11
	v_cmpx_ngt_f32_e64 0x5c800000, |v10|
	s_xor_b32 s9, exec_lo, s9
	s_cbranch_execz .LBB156_81
; %bb.80:
	v_cmp_gt_f32_e64 s10, 0x800000, |v10|
	v_cndmask_b32_e64 v11, 0, 32, s10
	v_ldexp_f32 v11, |v10|, v11
	v_log_f32_e32 v11, v11
	v_mul_f32_e32 v13, 0x3f317217, v11
	v_cmp_gt_f32_e64 s5, 0x7f800000, |v11|
	v_fma_f32 v14, 0x3f317217, v11, -v13
	v_fmamk_f32 v14, v11, 0x3377d1cf, v14
	v_add_f32_e32 v13, v13, v14
	v_cndmask_b32_e64 v11, v11, v13, s5
	v_cndmask_b32_e64 v13, 0, 0x41b17218, s10
	v_sub_f32_e32 v11, v11, v13
	v_fma_f32 v11, |v10|, v11, -|v10|
.LBB156_81:
	s_andn2_saveexec_b32 s9, s9
	s_cbranch_execz .LBB156_83
; %bb.82:
	v_cmp_gt_f32_e64 s10, 0x800000, |v10|
	v_rcp_f32_e64 v13, |v10|
	s_mov_b32 s5, 0xbad5c4e8
	v_cndmask_b32_e64 v11, 0, 32, s10
	v_ldexp_f32 v11, |v10|, v11
	v_mul_f32_e32 v14, v13, v13
	v_log_f32_e32 v11, v11
	v_fmaak_f32 v16, s5, v14, 0x3a5b3dd2
	v_fmaak_f32 v16, v14, v16, 0xba1c065c
	v_mul_f32_e32 v15, 0x3f317217, v11
	v_fmaak_f32 v16, v14, v16, 0x3a500cfd
	v_cmp_gt_f32_e64 s5, 0x7f800000, |v11|
	v_fma_f32 v17, 0x3f317217, v11, -v15
	v_fmaak_f32 v16, v14, v16, 0xbb360b61
	v_fmamk_f32 v17, v11, 0x3377d1cf, v17
	v_fmaak_f32 v14, v14, v16, 0x3daaaaab
	v_add_f32_e32 v15, v15, v17
	v_cndmask_b32_e64 v11, v11, v15, s5
	v_cndmask_b32_e64 v15, 0, 0x41b17218, s10
	v_sub_f32_e32 v15, v11, v15
	v_fmaak_f32 v11, v13, v14, 0x3ed67f1d
	v_add_f32_e64 v13, |v10|, -0.5
	v_add_f32_e32 v14, -1.0, v15
	v_fmac_f32_e32 v11, v13, v14
.LBB156_83:
	s_or_b32 exec_lo, exec_lo, s9
.LBB156_84:
	s_andn2_saveexec_b32 s9, s6
	s_cbranch_execz .LBB156_86
; %bb.85:
	v_cvt_i32_f32_e32 v11, v12
	s_mov_b32 s6, 0x3805ff67
	v_cvt_f32_i32_e32 v13, v11
	v_cmp_lt_i32_e64 s5, 2, v11
	v_sub_f32_e64 v13, |v10|, v13
	v_add_f32_e32 v14, 2.0, v13
	v_add_f32_e32 v15, 0x40400000, v13
	v_add_f32_e32 v16, 4.0, v13
	v_add_f32_e32 v17, 0x40a00000, v13
	v_cndmask_b32_e64 v14, 1.0, v14, s5
	v_cmp_lt_i32_e64 s5, 3, v11
	v_cndmask_b32_e64 v15, 1.0, v15, s5
	v_cmp_lt_i32_e64 s5, 4, v11
	v_mul_f32_e32 v14, v14, v15
	v_cndmask_b32_e64 v16, 1.0, v16, s5
	v_cmp_lt_i32_e64 s5, 5, v11
	v_add_f32_e32 v15, 0x40c00000, v13
	v_mul_f32_e32 v14, v16, v14
	v_cndmask_b32_e64 v17, 1.0, v17, s5
	v_cmp_lt_i32_e64 s5, 6, v11
	v_fmaak_f32 v16, s6, v13, 0x3af135b4
	v_mul_f32_e32 v14, v17, v14
	v_cndmask_b32_e64 v11, 1.0, v15, s5
	s_mov_b32 s5, 0x36f5d7bd
	v_mul_f32_e32 v11, v11, v14
	v_fmaak_f32 v14, s5, v13, 0x3a4beed6
	v_cmp_gt_f32_e64 s5, 0x800000, v11
	v_fmaak_f32 v14, v13, v14, 0x3c98bf54
	v_cndmask_b32_e64 v15, 0, 32, s5
	v_fmaak_f32 v14, v13, v14, 0x3e300f6e
	v_ldexp_f32 v11, v11, v15
	v_fmaak_f32 v15, v13, v16, 0x3cda40e4
	v_fmaak_f32 v14, v13, v14, 0x3f38d0c5
	v_log_f32_e32 v11, v11
	v_fmaak_f32 v15, v13, v15, 0x3e15dce6
	v_fmaak_f32 v14, v13, v14, 0x3fb22d3b
	;; [unrolled: 1-line block ×3, first 2 shown]
	v_fma_f32 v14, v13, v14, 1.0
	v_mul_f32_e32 v16, 0x3f317217, v11
	v_fmaak_f32 v15, v13, v15, 0x3e5c245a
	v_rcp_f32_e32 v14, v14
	v_cmp_gt_f32_e64 s6, 0x7f800000, |v11|
	v_fma_f32 v17, 0x3f317217, v11, -v16
	v_fmaak_f32 v15, v13, v15, 0xbd9e233f
	v_fmamk_f32 v17, v11, 0x3377d1cf, v17
	v_mul_f32_e32 v15, v13, v15
	v_add_f32_e32 v16, v16, v17
	v_mul_f32_e32 v14, v15, v14
	v_cndmask_b32_e64 v15, 0, 0x41b17218, s5
	v_cndmask_b32_e64 v11, v11, v16, s6
	v_fmac_f32_e32 v14, 0.5, v13
	v_sub_f32_e32 v11, v11, v15
	v_add_f32_e32 v11, v11, v14
.LBB156_86:
	s_or_b32 exec_lo, exec_lo, s9
.LBB156_87:
	s_andn2_saveexec_b32 s8, s8
	s_cbranch_execz .LBB156_105
; %bb.88:
                                        ; implicit-def: $vgpr11
                                        ; implicit-def: $vgpr14
                                        ; implicit-def: $vgpr13
	s_mov_b32 s6, exec_lo
	v_cmpx_ge_f32_e64 0x3f666666, |v10|
	s_xor_b32 s9, exec_lo, s6
	s_cbranch_execz .LBB156_90
; %bb.89:
	v_cmp_gt_f32_e64 s6, 0x800000, |v10|
	v_sub_f32_e64 v15, 1.0, |v10|
	v_cmp_gt_f32_e64 s5, 0x3f3b4a23, |v10|
	v_cndmask_b32_e64 v11, 0, 32, s6
	v_cndmask_b32_e64 v16, 0, 0x41b17218, s6
	v_ldexp_f32 v11, |v10|, v11
	v_log_f32_e32 v11, v11
	v_mul_f32_e32 v13, 0x3f317217, v11
	v_cmp_gt_f32_e64 s6, 0x7f800000, |v11|
	v_fma_f32 v14, 0x3f317217, v11, -v13
	v_fmamk_f32 v14, v11, 0x3377d1cf, v14
	v_add_f32_e32 v13, v13, v14
	v_add_f32_e64 v14, 0xbeec5b0c, |v10|
	v_cndmask_b32_e64 v11, v11, v13, s6
	v_cndmask_b32_e64 v13, v15, v14, s5
	;; [unrolled: 1-line block ×3, first 2 shown]
	v_cmp_gt_f32_e64 s5, 0x3e6d3309, |v10|
	v_sub_f32_e32 v11, v11, v16
	v_cndmask_b32_e64 v13, v13, |v10|, s5
	v_cndmask_b32_e64 v14, v14, 2, s5
	v_xor_b32_e32 v11, 0x80000000, v11
.LBB156_90:
	s_andn2_saveexec_b32 s6, s9
	s_cbranch_execz .LBB156_92
; %bb.91:
	v_sub_f32_e64 v11, 2.0, |v10|
	v_add_f32_e64 v13, 0xbfbb16c3, |v10|
	v_cmp_gt_f32_e64 s5, 0x3fdda512, |v10|
	v_add_f32_e64 v14, |v10|, -1.0
	v_cndmask_b32_e64 v13, v11, v13, s5
	v_cndmask_b32_e64 v11, v11, 1.0, s5
	v_cmp_gt_f32_e64 s5, 0x3f9d70a4, |v10|
	v_cvt_i32_f32_e32 v11, v11
	v_cndmask_b32_e64 v13, v13, v14, s5
	v_cndmask_b32_e64 v14, v11, 2, s5
	v_mov_b32_e32 v11, 0
.LBB156_92:
	s_or_b32 exec_lo, exec_lo, s6
	s_mov_b32 s6, exec_lo
	v_cmpx_lt_i32_e32 0, v14
	s_xor_b32 s6, exec_lo, s6
	s_cbranch_execz .LBB156_100
; %bb.93:
	s_mov_b32 s9, exec_lo
	v_cmpx_lt_i32_e32 1, v14
	s_xor_b32 s9, exec_lo, s9
	s_cbranch_execz .LBB156_97
; %bb.94:
	s_mov_b32 s10, exec_lo
	v_cmpx_eq_u32_e32 2, v14
	s_cbranch_execz .LBB156_96
; %bb.95:
	s_mov_b32 s5, 0x3b52d5db
	v_fmaak_f32 v14, s5, v13, 0x3dd572af
	s_mov_b32 s5, 0x3c5b3c5e
	v_fmaak_f32 v15, s5, v13, 0x3e6a7578
	v_fmaak_f32 v14, v13, v14, 0x3f44efdf
	;; [unrolled: 1-line block ×7, first 2 shown]
	v_fma_f32 v14, v13, v14, 1.0
	v_fmaak_f32 v15, v13, v15, 0xbd9e233f
	v_rcp_f32_e32 v14, v14
	v_mul_f32_e32 v15, v13, v15
	v_mul_f32_e32 v14, v15, v14
	v_fmac_f32_e32 v14, -0.5, v13
	v_add_f32_e32 v11, v11, v14
.LBB156_96:
	s_or_b32 exec_lo, exec_lo, s10
                                        ; implicit-def: $vgpr13
.LBB156_97:
	s_andn2_saveexec_b32 s5, s9
	s_cbranch_execz .LBB156_99
; %bb.98:
	v_mul_f32_e32 v14, v13, v13
	s_mov_b32 s9, 0xb9a3f927
	s_mov_b32 s10, 0x39afe9f7
	v_mul_f32_e32 v15, v13, v14
	v_fmaak_f32 v16, s9, v15, 0x3a66f867
	v_fmaak_f32 v17, s10, v15, 0xba0d3085
	s_mov_b32 s9, 0x39a57b6b
	v_fmaak_f32 v18, s9, v15, 0xbab7f476
	v_fmaak_f32 v16, v15, v16, 0xbb7177fe
	;; [unrolled: 1-line block ×9, first 2 shown]
	v_fmac_f32_e32 v16, v13, v17
	v_fmaak_f32 v13, v15, v18, 0x3ef7b95e
	v_fma_f32 v15, v15, -v16, 0xa2863e55
	v_fma_f32 v13, v14, v13, -v15
	v_add_f32_e32 v13, 0xbdf8cdce, v13
	v_add_f32_e32 v11, v11, v13
.LBB156_99:
	s_or_b32 exec_lo, exec_lo, s5
                                        ; implicit-def: $vgpr14
                                        ; implicit-def: $vgpr13
.LBB156_100:
	s_andn2_saveexec_b32 s6, s6
	s_cbranch_execz .LBB156_104
; %bb.101:
	s_mov_b32 s9, exec_lo
	v_cmpx_eq_u32_e32 0, v14
	s_cbranch_execz .LBB156_103
; %bb.102:
	v_mul_f32_e32 v14, v13, v13
	s_mov_b32 s5, 0x383c2c75
	v_fmaak_f32 v15, s5, v14, 0x38e28445
	s_mov_b32 s5, 0x37d383a2
	v_fmaak_f32 v16, s5, v14, 0x39679767
	v_fmaak_f32 v15, v14, v15, 0x3a05b634
	;; [unrolled: 1-line block ×9, first 2 shown]
	v_mul_f32_e32 v14, v14, v15
	v_fmac_f32_e32 v14, v13, v16
	v_fmac_f32_e32 v14, -0.5, v13
	v_add_f32_e32 v11, v11, v14
.LBB156_103:
	s_or_b32 exec_lo, exec_lo, s9
.LBB156_104:
	s_or_b32 exec_lo, exec_lo, s6
.LBB156_105:
	s_or_b32 exec_lo, exec_lo, s8
.LBB156_106:
	s_andn2_saveexec_b32 s6, s7
	s_cbranch_execz .LBB156_108
; %bb.107:
	v_cmp_gt_f32_e64 s7, 0x800000, |v10|
	s_mov_b32 s5, 0x3e8a8991
	v_fma_f32 v15, |v10|, s5, 0xbecd26ab
	v_cndmask_b32_e64 v11, 0, 32, s7
	v_ldexp_f32 v11, |v10|, v11
	v_log_f32_e32 v11, v11
	v_mul_f32_e32 v13, 0x3f317217, v11
	v_cmp_gt_f32_e64 s5, 0x7f800000, |v11|
	v_fma_f32 v14, 0x3f317217, v11, -v13
	v_fmamk_f32 v14, v11, 0x3377d1cf, v14
	v_add_f32_e32 v13, v13, v14
	v_fma_f32 v14, |v10|, v15, 0x3f528d33
	v_cndmask_b32_e64 v11, v11, v13, s5
	v_cndmask_b32_e64 v13, 0, 0x41b17218, s7
	v_fma_f32 v14, |v10|, v14, 0xbf13c468
	v_sub_f32_e32 v11, v11, v13
	v_fma_f32 v11, |v10|, v14, -v11
.LBB156_108:
	s_or_b32 exec_lo, exec_lo, s6
	v_cmp_le_f32_e64 s5, 0, v10
	s_mov_b32 s7, exec_lo
	v_cmpx_nle_f32_e32 0, v10
	s_xor_b32 s8, exec_lo, s7
	s_cbranch_execz .LBB156_112
; %bb.109:
	v_cmp_gt_f32_e64 s6, 0x4b000000, |v10|
	v_cmp_lt_f32_e64 s7, 0x35000000, |v10|
	s_and_b32 s6, s6, s7
	s_and_saveexec_b32 s9, s6
	s_cbranch_execz .LBB156_111
; %bb.110:
	v_mul_f32_e64 v13, |v10|, 0.5
	s_mov_b32 s7, 0x3d4be544
	v_floor_f32_e32 v14, v13
	v_cmp_neq_f32_e64 s6, 0x7f800000, v13
	v_sub_f32_e32 v14, v13, v14
	v_min_f32_e32 v14, 0x3f7fffff, v14
	v_add_f32_e32 v14, v14, v14
	v_cndmask_b32_e64 v13, 0, v14, s6
	v_cmp_gt_f32_e64 s6, |v10|, 1.0
	v_cndmask_b32_e64 v13, |v10|, v13, s6
	s_mov_b32 s6, 0x3e75aa41
	v_add_f32_e32 v14, v13, v13
	v_rndne_f32_e32 v14, v14
	v_fmac_f32_e32 v13, -0.5, v14
	v_cvt_i32_f32_e32 v14, v14
	v_mul_f32_e32 v15, v13, v13
	v_fmaak_f32 v16, s6, v15, 0xbf1f24be
	v_fmaak_f32 v17, s7, v15, 0x3e642e9d
	v_mul_f32_e32 v18, v13, v15
	v_fmaak_f32 v16, v15, v16, 0x40234736
	v_fmaak_f32 v17, v15, v17, 0xbfaad1da
	;; [unrolled: 1-line block ×4, first 2 shown]
	v_mul_f32_e32 v16, v18, v16
	v_fmaak_f32 v17, v15, v17, 0xc09de9e6
	v_and_b32_e32 v18, 1, v14
	v_lshlrev_b32_e32 v14, 30, v14
	v_fmamk_f32 v13, v13, 0x40490fdb, v16
	v_fma_f32 v15, v15, v17, 1.0
	v_cmp_eq_u32_e64 s6, 0, v18
	v_and_or_b32 v12, 0x80000000, v14, v12
	v_cndmask_b32_e64 v13, v15, v13, s6
	v_xor3_b32 v12, v12, v13, v10
	v_mul_f32_e32 v12, v10, v12
	v_frexp_mant_f32_e64 v13, |v12|
	v_frexp_exp_i32_f32_e32 v12, v12
	v_rcp_f32_e32 v13, v13
	v_sub_nc_u32_e32 v12, 2, v12
	v_mul_f32_e32 v13, 0x3f490fdb, v13
	v_ldexp_f32 v12, v13, v12
	v_cmp_gt_f32_e64 s6, 0x800000, v12
	v_cndmask_b32_e64 v13, 0, 32, s6
	v_ldexp_f32 v12, v12, v13
	v_log_f32_e32 v12, v12
	v_mul_f32_e32 v13, 0x3f317217, v12
	v_cmp_gt_f32_e64 s7, 0x7f800000, |v12|
	v_fma_f32 v14, 0x3f317217, v12, -v13
	v_fmamk_f32 v14, v12, 0x3377d1cf, v14
	v_add_f32_e32 v13, v13, v14
	v_floor_f32_e32 v14, v10
	v_cndmask_b32_e64 v12, v12, v13, s7
	v_cndmask_b32_e64 v13, 0, 0x41b17218, s6
	v_sub_f32_e32 v14, v10, v14
	v_sub_f32_e32 v12, v12, v13
	v_min_f32_e32 v13, 0x3f7fffff, v14
	v_sub_f32_e32 v11, v12, v11
	v_cmp_neq_f32_e64 s6, 0, v13
	v_cndmask_b32_e64 v11, 0x7f800000, v11, s6
.LBB156_111:
	s_or_b32 exec_lo, exec_lo, s9
.LBB156_112:
	s_andn2_saveexec_b32 s8, s8
; %bb.113:
	v_cmp_eq_f32_e64 s6, 1.0, v10
	v_cmp_eq_f32_e64 s7, 2.0, v10
	s_or_b32 s6, s6, s7
	v_cndmask_b32_e64 v11, v11, 0, s6
; %bb.114:
	s_or_b32 exec_lo, exec_lo, s8
	v_and_b32_e32 v3, 0xffff0000, v3
                                        ; implicit-def: $vgpr12
	s_mov_b32 s7, exec_lo
	v_and_b32_e32 v13, 0x7fffffff, v3
	v_cmpx_ngt_f32_e64 0x3c800000, |v3|
	s_xor_b32 s8, exec_lo, s7
	s_cbranch_execz .LBB156_144
; %bb.115:
                                        ; implicit-def: $vgpr12
	s_mov_b32 s7, exec_lo
	v_cmpx_nlt_f32_e64 |v3|, 2.0
	s_xor_b32 s9, exec_lo, s7
	s_cbranch_execz .LBB156_125
; %bb.116:
	s_mov_b32 s7, exec_lo
                                        ; implicit-def: $vgpr12
	v_cmpx_ngt_f32_e64 0x41000000, |v3|
	s_xor_b32 s7, exec_lo, s7
	s_cbranch_execz .LBB156_122
; %bb.117:
	s_mov_b32 s10, exec_lo
                                        ; implicit-def: $vgpr12
	v_cmpx_ngt_f32_e64 0x5c800000, |v3|
	s_xor_b32 s10, exec_lo, s10
	s_cbranch_execz .LBB156_119
; %bb.118:
	v_cmp_gt_f32_e64 s11, 0x800000, |v3|
	v_cndmask_b32_e64 v12, 0, 32, s11
	v_ldexp_f32 v12, |v3|, v12
	v_log_f32_e32 v12, v12
	v_mul_f32_e32 v14, 0x3f317217, v12
	v_cmp_gt_f32_e64 s6, 0x7f800000, |v12|
	v_fma_f32 v15, 0x3f317217, v12, -v14
	v_fmamk_f32 v15, v12, 0x3377d1cf, v15
	v_add_f32_e32 v14, v14, v15
	v_cndmask_b32_e64 v12, v12, v14, s6
	v_cndmask_b32_e64 v14, 0, 0x41b17218, s11
	v_sub_f32_e32 v12, v12, v14
	v_fma_f32 v12, |v3|, v12, -|v3|
.LBB156_119:
	s_andn2_saveexec_b32 s10, s10
	s_cbranch_execz .LBB156_121
; %bb.120:
	v_cmp_gt_f32_e64 s11, 0x800000, |v3|
	v_rcp_f32_e64 v14, |v3|
	s_mov_b32 s6, 0xbad5c4e8
	v_cndmask_b32_e64 v12, 0, 32, s11
	v_ldexp_f32 v12, |v3|, v12
	v_mul_f32_e32 v15, v14, v14
	v_log_f32_e32 v12, v12
	v_fmaak_f32 v17, s6, v15, 0x3a5b3dd2
	v_fmaak_f32 v17, v15, v17, 0xba1c065c
	v_mul_f32_e32 v16, 0x3f317217, v12
	v_fmaak_f32 v17, v15, v17, 0x3a500cfd
	v_cmp_gt_f32_e64 s6, 0x7f800000, |v12|
	v_fma_f32 v18, 0x3f317217, v12, -v16
	v_fmaak_f32 v17, v15, v17, 0xbb360b61
	v_fmamk_f32 v18, v12, 0x3377d1cf, v18
	v_fmaak_f32 v15, v15, v17, 0x3daaaaab
	v_add_f32_e32 v16, v16, v18
	v_cndmask_b32_e64 v12, v12, v16, s6
	v_cndmask_b32_e64 v16, 0, 0x41b17218, s11
	v_sub_f32_e32 v16, v12, v16
	v_fmaak_f32 v12, v14, v15, 0x3ed67f1d
	v_add_f32_e64 v14, |v3|, -0.5
	v_add_f32_e32 v15, -1.0, v16
	v_fmac_f32_e32 v12, v14, v15
.LBB156_121:
	s_or_b32 exec_lo, exec_lo, s10
.LBB156_122:
	s_andn2_saveexec_b32 s10, s7
	s_cbranch_execz .LBB156_124
; %bb.123:
	v_cvt_i32_f32_e32 v12, v13
	s_mov_b32 s7, 0x3805ff67
	v_cvt_f32_i32_e32 v14, v12
	v_cmp_lt_i32_e64 s6, 2, v12
	v_sub_f32_e64 v14, |v3|, v14
	v_add_f32_e32 v15, 2.0, v14
	v_add_f32_e32 v16, 0x40400000, v14
	v_add_f32_e32 v17, 4.0, v14
	v_add_f32_e32 v18, 0x40a00000, v14
	v_cndmask_b32_e64 v15, 1.0, v15, s6
	v_cmp_lt_i32_e64 s6, 3, v12
	v_cndmask_b32_e64 v16, 1.0, v16, s6
	v_cmp_lt_i32_e64 s6, 4, v12
	v_mul_f32_e32 v15, v15, v16
	v_cndmask_b32_e64 v17, 1.0, v17, s6
	v_cmp_lt_i32_e64 s6, 5, v12
	v_add_f32_e32 v16, 0x40c00000, v14
	v_mul_f32_e32 v15, v17, v15
	v_cndmask_b32_e64 v18, 1.0, v18, s6
	v_cmp_lt_i32_e64 s6, 6, v12
	v_fmaak_f32 v17, s7, v14, 0x3af135b4
	v_mul_f32_e32 v15, v18, v15
	v_cndmask_b32_e64 v12, 1.0, v16, s6
	s_mov_b32 s6, 0x36f5d7bd
	v_mul_f32_e32 v12, v12, v15
	v_fmaak_f32 v15, s6, v14, 0x3a4beed6
	v_cmp_gt_f32_e64 s6, 0x800000, v12
	v_fmaak_f32 v15, v14, v15, 0x3c98bf54
	v_cndmask_b32_e64 v16, 0, 32, s6
	v_fmaak_f32 v15, v14, v15, 0x3e300f6e
	v_ldexp_f32 v12, v12, v16
	v_fmaak_f32 v16, v14, v17, 0x3cda40e4
	v_fmaak_f32 v15, v14, v15, 0x3f38d0c5
	v_log_f32_e32 v12, v12
	v_fmaak_f32 v16, v14, v16, 0x3e15dce6
	v_fmaak_f32 v15, v14, v15, 0x3fb22d3b
	;; [unrolled: 1-line block ×3, first 2 shown]
	v_fma_f32 v15, v14, v15, 1.0
	v_mul_f32_e32 v17, 0x3f317217, v12
	v_fmaak_f32 v16, v14, v16, 0x3e5c245a
	v_rcp_f32_e32 v15, v15
	v_cmp_gt_f32_e64 s7, 0x7f800000, |v12|
	v_fma_f32 v18, 0x3f317217, v12, -v17
	v_fmaak_f32 v16, v14, v16, 0xbd9e233f
	v_fmamk_f32 v18, v12, 0x3377d1cf, v18
	v_mul_f32_e32 v16, v14, v16
	v_add_f32_e32 v17, v17, v18
	v_mul_f32_e32 v15, v16, v15
	v_cndmask_b32_e64 v16, 0, 0x41b17218, s6
	v_cndmask_b32_e64 v12, v12, v17, s7
	v_fmac_f32_e32 v15, 0.5, v14
	v_sub_f32_e32 v12, v12, v16
	v_add_f32_e32 v12, v12, v15
.LBB156_124:
	s_or_b32 exec_lo, exec_lo, s10
.LBB156_125:
	s_andn2_saveexec_b32 s9, s9
	s_cbranch_execz .LBB156_143
; %bb.126:
                                        ; implicit-def: $vgpr12
                                        ; implicit-def: $vgpr15
                                        ; implicit-def: $vgpr14
	s_mov_b32 s7, exec_lo
	v_cmpx_ge_f32_e64 0x3f666666, |v3|
	s_xor_b32 s10, exec_lo, s7
	s_cbranch_execz .LBB156_128
; %bb.127:
	v_cmp_gt_f32_e64 s7, 0x800000, |v3|
	v_sub_f32_e64 v16, 1.0, |v3|
	v_cmp_gt_f32_e64 s6, 0x3f3b4a23, |v3|
	v_cndmask_b32_e64 v12, 0, 32, s7
	v_cndmask_b32_e64 v17, 0, 0x41b17218, s7
	v_ldexp_f32 v12, |v3|, v12
	v_log_f32_e32 v12, v12
	v_mul_f32_e32 v14, 0x3f317217, v12
	v_cmp_gt_f32_e64 s7, 0x7f800000, |v12|
	v_fma_f32 v15, 0x3f317217, v12, -v14
	v_fmamk_f32 v15, v12, 0x3377d1cf, v15
	v_add_f32_e32 v14, v14, v15
	v_add_f32_e64 v15, 0xbeec5b0c, |v3|
	v_cndmask_b32_e64 v12, v12, v14, s7
	v_cndmask_b32_e64 v14, v16, v15, s6
	;; [unrolled: 1-line block ×3, first 2 shown]
	v_cmp_gt_f32_e64 s6, 0x3e6d3309, |v3|
	v_sub_f32_e32 v12, v12, v17
	v_cndmask_b32_e64 v14, v14, |v3|, s6
	v_cndmask_b32_e64 v15, v15, 2, s6
	v_xor_b32_e32 v12, 0x80000000, v12
.LBB156_128:
	s_andn2_saveexec_b32 s7, s10
	s_cbranch_execz .LBB156_130
; %bb.129:
	v_sub_f32_e64 v12, 2.0, |v3|
	v_add_f32_e64 v14, 0xbfbb16c3, |v3|
	v_cmp_gt_f32_e64 s6, 0x3fdda512, |v3|
	v_add_f32_e64 v15, |v3|, -1.0
	v_cndmask_b32_e64 v14, v12, v14, s6
	v_cndmask_b32_e64 v12, v12, 1.0, s6
	v_cmp_gt_f32_e64 s6, 0x3f9d70a4, |v3|
	v_cvt_i32_f32_e32 v12, v12
	v_cndmask_b32_e64 v14, v14, v15, s6
	v_cndmask_b32_e64 v15, v12, 2, s6
	v_mov_b32_e32 v12, 0
.LBB156_130:
	s_or_b32 exec_lo, exec_lo, s7
	s_mov_b32 s7, exec_lo
	v_cmpx_lt_i32_e32 0, v15
	s_xor_b32 s7, exec_lo, s7
	s_cbranch_execz .LBB156_138
; %bb.131:
	s_mov_b32 s10, exec_lo
	v_cmpx_lt_i32_e32 1, v15
	s_xor_b32 s10, exec_lo, s10
	s_cbranch_execz .LBB156_135
; %bb.132:
	s_mov_b32 s11, exec_lo
	v_cmpx_eq_u32_e32 2, v15
	s_cbranch_execz .LBB156_134
; %bb.133:
	s_mov_b32 s6, 0x3b52d5db
	v_fmaak_f32 v15, s6, v14, 0x3dd572af
	s_mov_b32 s6, 0x3c5b3c5e
	v_fmaak_f32 v16, s6, v14, 0x3e6a7578
	v_fmaak_f32 v15, v14, v15, 0x3f44efdf
	v_fmaak_f32 v16, v14, v16, 0x3f7a4bb2
	v_fmaak_f32 v15, v14, v15, 0x4008392d
	v_fmaak_f32 v16, v14, v16, 0x3fba3ae7
	v_fmaak_f32 v15, v14, v15, 0x401d2ebe
	v_fmaak_f32 v16, v14, v16, 0x3f2200f4
	v_fma_f32 v15, v14, v15, 1.0
	v_fmaak_f32 v16, v14, v16, 0xbd9e233f
	v_rcp_f32_e32 v15, v15
	v_mul_f32_e32 v16, v14, v16
	v_mul_f32_e32 v15, v16, v15
	v_fmac_f32_e32 v15, -0.5, v14
	v_add_f32_e32 v12, v12, v15
.LBB156_134:
	s_or_b32 exec_lo, exec_lo, s11
                                        ; implicit-def: $vgpr14
.LBB156_135:
	s_andn2_saveexec_b32 s6, s10
	s_cbranch_execz .LBB156_137
; %bb.136:
	v_mul_f32_e32 v15, v14, v14
	s_mov_b32 s10, 0xb9a3f927
	s_mov_b32 s11, 0x39afe9f7
	v_mul_f32_e32 v16, v14, v15
	v_fmaak_f32 v17, s10, v16, 0x3a66f867
	v_fmaak_f32 v18, s11, v16, 0xba0d3085
	s_mov_b32 s10, 0x39a57b6b
	v_fmaak_f32 v19, s10, v16, 0xbab7f476
	v_fmaak_f32 v17, v16, v17, 0xbb7177fe
	;; [unrolled: 1-line block ×9, first 2 shown]
	v_fmac_f32_e32 v17, v14, v18
	v_fmaak_f32 v14, v16, v19, 0x3ef7b95e
	v_fma_f32 v16, v16, -v17, 0xa2863e55
	v_fma_f32 v14, v15, v14, -v16
	v_add_f32_e32 v14, 0xbdf8cdce, v14
	v_add_f32_e32 v12, v12, v14
.LBB156_137:
	s_or_b32 exec_lo, exec_lo, s6
                                        ; implicit-def: $vgpr15
                                        ; implicit-def: $vgpr14
.LBB156_138:
	s_andn2_saveexec_b32 s7, s7
	s_cbranch_execz .LBB156_142
; %bb.139:
	s_mov_b32 s10, exec_lo
	v_cmpx_eq_u32_e32 0, v15
	s_cbranch_execz .LBB156_141
; %bb.140:
	v_mul_f32_e32 v15, v14, v14
	s_mov_b32 s6, 0x383c2c75
	v_fmaak_f32 v16, s6, v15, 0x38e28445
	s_mov_b32 s6, 0x37d383a2
	v_fmaak_f32 v17, s6, v15, 0x39679767
	v_fmaak_f32 v16, v15, v16, 0x3a05b634
	;; [unrolled: 1-line block ×9, first 2 shown]
	v_mul_f32_e32 v15, v15, v16
	v_fmac_f32_e32 v15, v14, v17
	v_fmac_f32_e32 v15, -0.5, v14
	v_add_f32_e32 v12, v12, v15
.LBB156_141:
	s_or_b32 exec_lo, exec_lo, s10
.LBB156_142:
	s_or_b32 exec_lo, exec_lo, s7
.LBB156_143:
	s_or_b32 exec_lo, exec_lo, s9
.LBB156_144:
	s_andn2_saveexec_b32 s7, s8
	s_cbranch_execz .LBB156_146
; %bb.145:
	v_cmp_gt_f32_e64 s8, 0x800000, |v3|
	s_mov_b32 s6, 0x3e8a8991
	v_fma_f32 v16, |v3|, s6, 0xbecd26ab
	v_cndmask_b32_e64 v12, 0, 32, s8
	v_ldexp_f32 v12, |v3|, v12
	v_log_f32_e32 v12, v12
	v_mul_f32_e32 v14, 0x3f317217, v12
	v_cmp_gt_f32_e64 s6, 0x7f800000, |v12|
	v_fma_f32 v15, 0x3f317217, v12, -v14
	v_fmamk_f32 v15, v12, 0x3377d1cf, v15
	v_add_f32_e32 v14, v14, v15
	v_fma_f32 v15, |v3|, v16, 0x3f528d33
	v_cndmask_b32_e64 v12, v12, v14, s6
	v_cndmask_b32_e64 v14, 0, 0x41b17218, s8
	v_fma_f32 v15, |v3|, v15, 0xbf13c468
	v_sub_f32_e32 v12, v12, v14
	v_fma_f32 v12, |v3|, v15, -v12
.LBB156_146:
	s_or_b32 exec_lo, exec_lo, s7
	v_cmp_le_f32_e64 s6, 0, v3
	s_mov_b32 s8, exec_lo
	v_cmpx_nle_f32_e32 0, v3
	s_xor_b32 s9, exec_lo, s8
	s_cbranch_execz .LBB156_150
; %bb.147:
	v_cmp_gt_f32_e64 s7, 0x4b000000, |v3|
	v_cmp_lt_f32_e64 s8, 0x35000000, |v3|
	s_and_b32 s7, s7, s8
	s_and_saveexec_b32 s10, s7
	s_cbranch_execz .LBB156_149
; %bb.148:
	v_mul_f32_e64 v14, |v3|, 0.5
	s_mov_b32 s8, 0x3d4be544
	v_floor_f32_e32 v15, v14
	v_cmp_neq_f32_e64 s7, 0x7f800000, v14
	v_sub_f32_e32 v15, v14, v15
	v_min_f32_e32 v15, 0x3f7fffff, v15
	v_add_f32_e32 v15, v15, v15
	v_cndmask_b32_e64 v14, 0, v15, s7
	v_cmp_gt_f32_e64 s7, |v3|, 1.0
	v_cndmask_b32_e64 v14, |v3|, v14, s7
	s_mov_b32 s7, 0x3e75aa41
	v_add_f32_e32 v15, v14, v14
	v_rndne_f32_e32 v15, v15
	v_fmac_f32_e32 v14, -0.5, v15
	v_cvt_i32_f32_e32 v15, v15
	v_mul_f32_e32 v16, v14, v14
	v_fmaak_f32 v17, s7, v16, 0xbf1f24be
	v_fmaak_f32 v18, s8, v16, 0x3e642e9d
	v_mul_f32_e32 v19, v14, v16
	v_fmaak_f32 v17, v16, v17, 0x40234736
	v_fmaak_f32 v18, v16, v18, 0xbfaad1da
	v_fmaak_f32 v17, v16, v17, 0xc0a55e0e
	v_fmaak_f32 v18, v16, v18, 0x4081e0d3
	v_mul_f32_e32 v17, v19, v17
	v_fmaak_f32 v18, v16, v18, 0xc09de9e6
	v_and_b32_e32 v19, 1, v15
	v_lshlrev_b32_e32 v15, 30, v15
	v_fmamk_f32 v14, v14, 0x40490fdb, v17
	v_fma_f32 v16, v16, v18, 1.0
	v_cmp_eq_u32_e64 s7, 0, v19
	v_and_or_b32 v13, 0x80000000, v15, v13
	v_cndmask_b32_e64 v14, v16, v14, s7
	v_xor3_b32 v13, v13, v14, v3
	v_mul_f32_e32 v13, v3, v13
	v_frexp_mant_f32_e64 v14, |v13|
	v_frexp_exp_i32_f32_e32 v13, v13
	v_rcp_f32_e32 v14, v14
	v_sub_nc_u32_e32 v13, 2, v13
	v_mul_f32_e32 v14, 0x3f490fdb, v14
	v_ldexp_f32 v13, v14, v13
	v_cmp_gt_f32_e64 s7, 0x800000, v13
	v_cndmask_b32_e64 v14, 0, 32, s7
	v_ldexp_f32 v13, v13, v14
	v_log_f32_e32 v13, v13
	v_mul_f32_e32 v14, 0x3f317217, v13
	v_cmp_gt_f32_e64 s8, 0x7f800000, |v13|
	v_fma_f32 v15, 0x3f317217, v13, -v14
	v_fmamk_f32 v15, v13, 0x3377d1cf, v15
	v_add_f32_e32 v14, v14, v15
	v_floor_f32_e32 v15, v3
	v_cndmask_b32_e64 v13, v13, v14, s8
	v_cndmask_b32_e64 v14, 0, 0x41b17218, s7
	v_sub_f32_e32 v15, v3, v15
	v_sub_f32_e32 v13, v13, v14
	v_min_f32_e32 v14, 0x3f7fffff, v15
	v_sub_f32_e32 v12, v13, v12
	v_cmp_neq_f32_e64 s7, 0, v14
	v_cndmask_b32_e64 v12, 0x7f800000, v12, s7
.LBB156_149:
	s_or_b32 exec_lo, exec_lo, s10
.LBB156_150:
	s_andn2_saveexec_b32 s9, s9
; %bb.151:
	v_cmp_eq_f32_e64 s7, 1.0, v3
	v_cmp_eq_f32_e64 s8, 2.0, v3
	s_or_b32 s7, s7, s8
	v_cndmask_b32_e64 v12, v12, 0, s7
; %bb.152:
	s_or_b32 exec_lo, exec_lo, s9
	v_lshlrev_b32_e32 v13, 16, v4
                                        ; implicit-def: $vgpr14
	s_mov_b32 s8, exec_lo
	v_and_b32_e32 v15, 0x7fffffff, v13
	v_cmpx_ngt_f32_e64 0x3c800000, |v13|
	s_xor_b32 s9, exec_lo, s8
	s_cbranch_execz .LBB156_182
; %bb.153:
                                        ; implicit-def: $vgpr14
	s_mov_b32 s8, exec_lo
	v_cmpx_nlt_f32_e64 |v13|, 2.0
	s_xor_b32 s10, exec_lo, s8
	s_cbranch_execz .LBB156_163
; %bb.154:
	s_mov_b32 s8, exec_lo
                                        ; implicit-def: $vgpr14
	v_cmpx_ngt_f32_e64 0x41000000, |v13|
	s_xor_b32 s8, exec_lo, s8
	s_cbranch_execz .LBB156_160
; %bb.155:
	s_mov_b32 s11, exec_lo
                                        ; implicit-def: $vgpr14
	v_cmpx_ngt_f32_e64 0x5c800000, |v13|
	s_xor_b32 s11, exec_lo, s11
	s_cbranch_execz .LBB156_157
; %bb.156:
	v_cmp_gt_f32_e64 s12, 0x800000, |v13|
	v_cndmask_b32_e64 v14, 0, 32, s12
	v_ldexp_f32 v14, |v13|, v14
	v_log_f32_e32 v14, v14
	v_mul_f32_e32 v16, 0x3f317217, v14
	v_cmp_gt_f32_e64 s7, 0x7f800000, |v14|
	v_fma_f32 v17, 0x3f317217, v14, -v16
	v_fmamk_f32 v17, v14, 0x3377d1cf, v17
	v_add_f32_e32 v16, v16, v17
	v_cndmask_b32_e64 v14, v14, v16, s7
	v_cndmask_b32_e64 v16, 0, 0x41b17218, s12
	v_sub_f32_e32 v14, v14, v16
	v_fma_f32 v14, |v13|, v14, -|v13|
.LBB156_157:
	s_andn2_saveexec_b32 s11, s11
	s_cbranch_execz .LBB156_159
; %bb.158:
	v_cmp_gt_f32_e64 s12, 0x800000, |v13|
	v_rcp_f32_e64 v16, |v13|
	s_mov_b32 s7, 0xbad5c4e8
	v_cndmask_b32_e64 v14, 0, 32, s12
	v_ldexp_f32 v14, |v13|, v14
	v_mul_f32_e32 v17, v16, v16
	v_log_f32_e32 v14, v14
	v_fmaak_f32 v19, s7, v17, 0x3a5b3dd2
	v_fmaak_f32 v19, v17, v19, 0xba1c065c
	v_mul_f32_e32 v18, 0x3f317217, v14
	v_fmaak_f32 v19, v17, v19, 0x3a500cfd
	v_cmp_gt_f32_e64 s7, 0x7f800000, |v14|
	v_fma_f32 v20, 0x3f317217, v14, -v18
	v_fmaak_f32 v19, v17, v19, 0xbb360b61
	v_fmamk_f32 v20, v14, 0x3377d1cf, v20
	v_fmaak_f32 v17, v17, v19, 0x3daaaaab
	v_add_f32_e32 v18, v18, v20
	v_cndmask_b32_e64 v14, v14, v18, s7
	v_cndmask_b32_e64 v18, 0, 0x41b17218, s12
	v_sub_f32_e32 v18, v14, v18
	v_fmaak_f32 v14, v16, v17, 0x3ed67f1d
	v_add_f32_e64 v16, |v13|, -0.5
	v_add_f32_e32 v17, -1.0, v18
	v_fmac_f32_e32 v14, v16, v17
.LBB156_159:
	s_or_b32 exec_lo, exec_lo, s11
.LBB156_160:
	s_andn2_saveexec_b32 s11, s8
	s_cbranch_execz .LBB156_162
; %bb.161:
	v_cvt_i32_f32_e32 v14, v15
	s_mov_b32 s8, 0x3805ff67
	v_cvt_f32_i32_e32 v16, v14
	v_cmp_lt_i32_e64 s7, 2, v14
	v_sub_f32_e64 v16, |v13|, v16
	v_add_f32_e32 v17, 2.0, v16
	v_add_f32_e32 v18, 0x40400000, v16
	v_add_f32_e32 v19, 4.0, v16
	v_add_f32_e32 v20, 0x40a00000, v16
	v_cndmask_b32_e64 v17, 1.0, v17, s7
	v_cmp_lt_i32_e64 s7, 3, v14
	v_cndmask_b32_e64 v18, 1.0, v18, s7
	v_cmp_lt_i32_e64 s7, 4, v14
	v_mul_f32_e32 v17, v17, v18
	v_cndmask_b32_e64 v19, 1.0, v19, s7
	v_cmp_lt_i32_e64 s7, 5, v14
	v_add_f32_e32 v18, 0x40c00000, v16
	v_mul_f32_e32 v17, v19, v17
	v_cndmask_b32_e64 v20, 1.0, v20, s7
	v_cmp_lt_i32_e64 s7, 6, v14
	v_fmaak_f32 v19, s8, v16, 0x3af135b4
	v_mul_f32_e32 v17, v20, v17
	v_cndmask_b32_e64 v14, 1.0, v18, s7
	s_mov_b32 s7, 0x36f5d7bd
	v_mul_f32_e32 v14, v14, v17
	v_fmaak_f32 v17, s7, v16, 0x3a4beed6
	v_cmp_gt_f32_e64 s7, 0x800000, v14
	v_fmaak_f32 v17, v16, v17, 0x3c98bf54
	v_cndmask_b32_e64 v18, 0, 32, s7
	v_fmaak_f32 v17, v16, v17, 0x3e300f6e
	v_ldexp_f32 v14, v14, v18
	v_fmaak_f32 v18, v16, v19, 0x3cda40e4
	v_fmaak_f32 v17, v16, v17, 0x3f38d0c5
	v_log_f32_e32 v14, v14
	v_fmaak_f32 v18, v16, v18, 0x3e15dce6
	v_fmaak_f32 v17, v16, v17, 0x3fb22d3b
	v_fmaak_f32 v18, v16, v18, 0x3ea6cc7a
	v_fma_f32 v17, v16, v17, 1.0
	v_mul_f32_e32 v19, 0x3f317217, v14
	v_fmaak_f32 v18, v16, v18, 0x3e5c245a
	v_rcp_f32_e32 v17, v17
	v_cmp_gt_f32_e64 s8, 0x7f800000, |v14|
	v_fma_f32 v20, 0x3f317217, v14, -v19
	v_fmaak_f32 v18, v16, v18, 0xbd9e233f
	v_fmamk_f32 v20, v14, 0x3377d1cf, v20
	v_mul_f32_e32 v18, v16, v18
	v_add_f32_e32 v19, v19, v20
	v_mul_f32_e32 v17, v18, v17
	v_cndmask_b32_e64 v18, 0, 0x41b17218, s7
	v_cndmask_b32_e64 v14, v14, v19, s8
	v_fmac_f32_e32 v17, 0.5, v16
	v_sub_f32_e32 v14, v14, v18
	v_add_f32_e32 v14, v14, v17
.LBB156_162:
	s_or_b32 exec_lo, exec_lo, s11
.LBB156_163:
	s_andn2_saveexec_b32 s10, s10
	s_cbranch_execz .LBB156_181
; %bb.164:
                                        ; implicit-def: $vgpr14
                                        ; implicit-def: $vgpr17
                                        ; implicit-def: $vgpr16
	s_mov_b32 s8, exec_lo
	v_cmpx_ge_f32_e64 0x3f666666, |v13|
	s_xor_b32 s11, exec_lo, s8
	s_cbranch_execz .LBB156_166
; %bb.165:
	v_cmp_gt_f32_e64 s8, 0x800000, |v13|
	v_sub_f32_e64 v18, 1.0, |v13|
	v_cmp_gt_f32_e64 s7, 0x3f3b4a23, |v13|
	v_cndmask_b32_e64 v14, 0, 32, s8
	v_cndmask_b32_e64 v19, 0, 0x41b17218, s8
	v_ldexp_f32 v14, |v13|, v14
	v_log_f32_e32 v14, v14
	v_mul_f32_e32 v16, 0x3f317217, v14
	v_cmp_gt_f32_e64 s8, 0x7f800000, |v14|
	v_fma_f32 v17, 0x3f317217, v14, -v16
	v_fmamk_f32 v17, v14, 0x3377d1cf, v17
	v_add_f32_e32 v16, v16, v17
	v_add_f32_e64 v17, 0xbeec5b0c, |v13|
	v_cndmask_b32_e64 v14, v14, v16, s8
	v_cndmask_b32_e64 v16, v18, v17, s7
	;; [unrolled: 1-line block ×3, first 2 shown]
	v_cmp_gt_f32_e64 s7, 0x3e6d3309, |v13|
	v_sub_f32_e32 v14, v14, v19
	v_cndmask_b32_e64 v16, v16, |v13|, s7
	v_cndmask_b32_e64 v17, v17, 2, s7
	v_xor_b32_e32 v14, 0x80000000, v14
.LBB156_166:
	s_andn2_saveexec_b32 s8, s11
	s_cbranch_execz .LBB156_168
; %bb.167:
	v_sub_f32_e64 v14, 2.0, |v13|
	v_add_f32_e64 v16, 0xbfbb16c3, |v13|
	v_cmp_gt_f32_e64 s7, 0x3fdda512, |v13|
	v_add_f32_e64 v17, |v13|, -1.0
	v_cndmask_b32_e64 v16, v14, v16, s7
	v_cndmask_b32_e64 v14, v14, 1.0, s7
	v_cmp_gt_f32_e64 s7, 0x3f9d70a4, |v13|
	v_cvt_i32_f32_e32 v14, v14
	v_cndmask_b32_e64 v16, v16, v17, s7
	v_cndmask_b32_e64 v17, v14, 2, s7
	v_mov_b32_e32 v14, 0
.LBB156_168:
	s_or_b32 exec_lo, exec_lo, s8
	s_mov_b32 s8, exec_lo
	v_cmpx_lt_i32_e32 0, v17
	s_xor_b32 s8, exec_lo, s8
	s_cbranch_execz .LBB156_176
; %bb.169:
	s_mov_b32 s11, exec_lo
	v_cmpx_lt_i32_e32 1, v17
	s_xor_b32 s11, exec_lo, s11
	s_cbranch_execz .LBB156_173
; %bb.170:
	s_mov_b32 s12, exec_lo
	v_cmpx_eq_u32_e32 2, v17
	s_cbranch_execz .LBB156_172
; %bb.171:
	s_mov_b32 s7, 0x3b52d5db
	v_fmaak_f32 v17, s7, v16, 0x3dd572af
	s_mov_b32 s7, 0x3c5b3c5e
	v_fmaak_f32 v18, s7, v16, 0x3e6a7578
	v_fmaak_f32 v17, v16, v17, 0x3f44efdf
	;; [unrolled: 1-line block ×7, first 2 shown]
	v_fma_f32 v17, v16, v17, 1.0
	v_fmaak_f32 v18, v16, v18, 0xbd9e233f
	v_rcp_f32_e32 v17, v17
	v_mul_f32_e32 v18, v16, v18
	v_mul_f32_e32 v17, v18, v17
	v_fmac_f32_e32 v17, -0.5, v16
	v_add_f32_e32 v14, v14, v17
.LBB156_172:
	s_or_b32 exec_lo, exec_lo, s12
                                        ; implicit-def: $vgpr16
.LBB156_173:
	s_andn2_saveexec_b32 s7, s11
	s_cbranch_execz .LBB156_175
; %bb.174:
	v_mul_f32_e32 v17, v16, v16
	s_mov_b32 s11, 0xb9a3f927
	s_mov_b32 s12, 0x39afe9f7
	v_mul_f32_e32 v18, v16, v17
	v_fmaak_f32 v19, s11, v18, 0x3a66f867
	v_fmaak_f32 v20, s12, v18, 0xba0d3085
	s_mov_b32 s11, 0x39a57b6b
	v_fmaak_f32 v21, s11, v18, 0xbab7f476
	v_fmaak_f32 v19, v18, v19, 0xbb7177fe
	;; [unrolled: 1-line block ×9, first 2 shown]
	v_fmac_f32_e32 v19, v16, v20
	v_fmaak_f32 v16, v18, v21, 0x3ef7b95e
	v_fma_f32 v18, v18, -v19, 0xa2863e55
	v_fma_f32 v16, v17, v16, -v18
	v_add_f32_e32 v16, 0xbdf8cdce, v16
	v_add_f32_e32 v14, v14, v16
.LBB156_175:
	s_or_b32 exec_lo, exec_lo, s7
                                        ; implicit-def: $vgpr17
                                        ; implicit-def: $vgpr16
.LBB156_176:
	s_andn2_saveexec_b32 s8, s8
	s_cbranch_execz .LBB156_180
; %bb.177:
	s_mov_b32 s11, exec_lo
	v_cmpx_eq_u32_e32 0, v17
	s_cbranch_execz .LBB156_179
; %bb.178:
	v_mul_f32_e32 v17, v16, v16
	s_mov_b32 s7, 0x383c2c75
	v_fmaak_f32 v18, s7, v17, 0x38e28445
	s_mov_b32 s7, 0x37d383a2
	v_fmaak_f32 v19, s7, v17, 0x39679767
	v_fmaak_f32 v18, v17, v18, 0x3a05b634
	v_fmaak_f32 v19, v17, v19, 0x3a9c54a1
	v_fmaak_f32 v18, v17, v18, 0x3b3d6ec6
	v_fmaak_f32 v19, v17, v19, 0x3bf2027e
	v_fmaak_f32 v18, v17, v18, 0x3ca89915
	v_fmaak_f32 v19, v17, v19, 0x3d89f001
	v_fmaak_f32 v18, v17, v18, 0x3ea51a66
	v_fmaak_f32 v19, v17, v19, 0x3d9e233f
	v_mul_f32_e32 v17, v17, v18
	v_fmac_f32_e32 v17, v16, v19
	v_fmac_f32_e32 v17, -0.5, v16
	v_add_f32_e32 v14, v14, v17
.LBB156_179:
	s_or_b32 exec_lo, exec_lo, s11
.LBB156_180:
	s_or_b32 exec_lo, exec_lo, s8
.LBB156_181:
	s_or_b32 exec_lo, exec_lo, s10
.LBB156_182:
	s_andn2_saveexec_b32 s8, s9
	s_cbranch_execz .LBB156_184
; %bb.183:
	v_cmp_gt_f32_e64 s9, 0x800000, |v13|
	s_mov_b32 s7, 0x3e8a8991
	v_fma_f32 v18, |v13|, s7, 0xbecd26ab
	v_cndmask_b32_e64 v14, 0, 32, s9
	v_ldexp_f32 v14, |v13|, v14
	v_log_f32_e32 v14, v14
	v_mul_f32_e32 v16, 0x3f317217, v14
	v_cmp_gt_f32_e64 s7, 0x7f800000, |v14|
	v_fma_f32 v17, 0x3f317217, v14, -v16
	v_fmamk_f32 v17, v14, 0x3377d1cf, v17
	v_add_f32_e32 v16, v16, v17
	v_fma_f32 v17, |v13|, v18, 0x3f528d33
	v_cndmask_b32_e64 v14, v14, v16, s7
	v_cndmask_b32_e64 v16, 0, 0x41b17218, s9
	v_fma_f32 v17, |v13|, v17, 0xbf13c468
	v_sub_f32_e32 v14, v14, v16
	v_fma_f32 v14, |v13|, v17, -v14
.LBB156_184:
	s_or_b32 exec_lo, exec_lo, s8
	v_cmp_le_f32_e64 s7, 0, v13
	s_mov_b32 s9, exec_lo
	v_cmpx_nle_f32_e32 0, v13
	s_xor_b32 s10, exec_lo, s9
	s_cbranch_execz .LBB156_188
; %bb.185:
	v_cmp_gt_f32_e64 s8, 0x4b000000, |v13|
	v_cmp_lt_f32_e64 s9, 0x35000000, |v13|
	s_and_b32 s8, s8, s9
	s_and_saveexec_b32 s11, s8
	s_cbranch_execz .LBB156_187
; %bb.186:
	v_mul_f32_e64 v16, |v13|, 0.5
	s_mov_b32 s9, 0x3d4be544
	v_floor_f32_e32 v17, v16
	v_cmp_neq_f32_e64 s8, 0x7f800000, v16
	v_sub_f32_e32 v17, v16, v17
	v_min_f32_e32 v17, 0x3f7fffff, v17
	v_add_f32_e32 v17, v17, v17
	v_cndmask_b32_e64 v16, 0, v17, s8
	v_cmp_gt_f32_e64 s8, |v13|, 1.0
	v_cndmask_b32_e64 v16, |v13|, v16, s8
	s_mov_b32 s8, 0x3e75aa41
	v_add_f32_e32 v17, v16, v16
	v_rndne_f32_e32 v17, v17
	v_fmac_f32_e32 v16, -0.5, v17
	v_cvt_i32_f32_e32 v17, v17
	v_mul_f32_e32 v18, v16, v16
	v_fmaak_f32 v19, s8, v18, 0xbf1f24be
	v_fmaak_f32 v20, s9, v18, 0x3e642e9d
	v_mul_f32_e32 v21, v16, v18
	v_fmaak_f32 v19, v18, v19, 0x40234736
	v_fmaak_f32 v20, v18, v20, 0xbfaad1da
	;; [unrolled: 1-line block ×4, first 2 shown]
	v_mul_f32_e32 v19, v21, v19
	v_fmaak_f32 v20, v18, v20, 0xc09de9e6
	v_and_b32_e32 v21, 1, v17
	v_lshlrev_b32_e32 v17, 30, v17
	v_fmamk_f32 v16, v16, 0x40490fdb, v19
	v_fma_f32 v18, v18, v20, 1.0
	v_cmp_eq_u32_e64 s8, 0, v21
	v_and_or_b32 v15, 0x80000000, v17, v15
	v_cndmask_b32_e64 v16, v18, v16, s8
	v_xor3_b32 v15, v15, v16, v13
	v_mul_f32_e32 v15, v13, v15
	v_frexp_mant_f32_e64 v16, |v15|
	v_frexp_exp_i32_f32_e32 v15, v15
	v_rcp_f32_e32 v16, v16
	v_sub_nc_u32_e32 v15, 2, v15
	v_mul_f32_e32 v16, 0x3f490fdb, v16
	v_ldexp_f32 v15, v16, v15
	v_cmp_gt_f32_e64 s8, 0x800000, v15
	v_cndmask_b32_e64 v16, 0, 32, s8
	v_ldexp_f32 v15, v15, v16
	v_log_f32_e32 v15, v15
	v_mul_f32_e32 v16, 0x3f317217, v15
	v_cmp_gt_f32_e64 s9, 0x7f800000, |v15|
	v_fma_f32 v17, 0x3f317217, v15, -v16
	v_fmamk_f32 v17, v15, 0x3377d1cf, v17
	v_add_f32_e32 v16, v16, v17
	v_floor_f32_e32 v17, v13
	v_cndmask_b32_e64 v15, v15, v16, s9
	v_cndmask_b32_e64 v16, 0, 0x41b17218, s8
	v_sub_f32_e32 v17, v13, v17
	v_sub_f32_e32 v15, v15, v16
	v_min_f32_e32 v16, 0x3f7fffff, v17
	v_sub_f32_e32 v14, v15, v14
	v_cmp_neq_f32_e64 s8, 0, v16
	v_cndmask_b32_e64 v14, 0x7f800000, v14, s8
.LBB156_187:
	s_or_b32 exec_lo, exec_lo, s11
.LBB156_188:
	s_andn2_saveexec_b32 s10, s10
; %bb.189:
	v_cmp_eq_f32_e64 s8, 1.0, v13
	v_cmp_eq_f32_e64 s9, 2.0, v13
	s_or_b32 s8, s8, s9
	v_cndmask_b32_e64 v14, v14, 0, s8
; %bb.190:
	s_or_b32 exec_lo, exec_lo, s10
	v_and_b32_e32 v4, 0xffff0000, v4
                                        ; implicit-def: $vgpr15
	s_mov_b32 s9, exec_lo
	v_and_b32_e32 v16, 0x7fffffff, v4
	v_cmpx_ngt_f32_e64 0x3c800000, |v4|
	s_xor_b32 s10, exec_lo, s9
	s_cbranch_execz .LBB156_220
; %bb.191:
                                        ; implicit-def: $vgpr15
	s_mov_b32 s9, exec_lo
	v_cmpx_nlt_f32_e64 |v4|, 2.0
	s_xor_b32 s11, exec_lo, s9
	s_cbranch_execz .LBB156_201
; %bb.192:
	s_mov_b32 s9, exec_lo
                                        ; implicit-def: $vgpr15
	v_cmpx_ngt_f32_e64 0x41000000, |v4|
	s_xor_b32 s9, exec_lo, s9
	s_cbranch_execz .LBB156_198
; %bb.193:
	s_mov_b32 s12, exec_lo
                                        ; implicit-def: $vgpr15
	v_cmpx_ngt_f32_e64 0x5c800000, |v4|
	s_xor_b32 s12, exec_lo, s12
	s_cbranch_execz .LBB156_195
; %bb.194:
	v_cmp_gt_f32_e64 s13, 0x800000, |v4|
	v_cndmask_b32_e64 v15, 0, 32, s13
	v_ldexp_f32 v15, |v4|, v15
	v_log_f32_e32 v15, v15
	v_mul_f32_e32 v17, 0x3f317217, v15
	v_cmp_gt_f32_e64 s8, 0x7f800000, |v15|
	v_fma_f32 v18, 0x3f317217, v15, -v17
	v_fmamk_f32 v18, v15, 0x3377d1cf, v18
	v_add_f32_e32 v17, v17, v18
	v_cndmask_b32_e64 v15, v15, v17, s8
	v_cndmask_b32_e64 v17, 0, 0x41b17218, s13
	v_sub_f32_e32 v15, v15, v17
	v_fma_f32 v15, |v4|, v15, -|v4|
.LBB156_195:
	s_andn2_saveexec_b32 s12, s12
	s_cbranch_execz .LBB156_197
; %bb.196:
	v_cmp_gt_f32_e64 s13, 0x800000, |v4|
	v_rcp_f32_e64 v17, |v4|
	s_mov_b32 s8, 0xbad5c4e8
	v_cndmask_b32_e64 v15, 0, 32, s13
	v_ldexp_f32 v15, |v4|, v15
	v_mul_f32_e32 v18, v17, v17
	v_log_f32_e32 v15, v15
	v_fmaak_f32 v20, s8, v18, 0x3a5b3dd2
	v_fmaak_f32 v20, v18, v20, 0xba1c065c
	v_mul_f32_e32 v19, 0x3f317217, v15
	v_fmaak_f32 v20, v18, v20, 0x3a500cfd
	v_cmp_gt_f32_e64 s8, 0x7f800000, |v15|
	v_fma_f32 v21, 0x3f317217, v15, -v19
	v_fmaak_f32 v20, v18, v20, 0xbb360b61
	v_fmamk_f32 v21, v15, 0x3377d1cf, v21
	v_fmaak_f32 v18, v18, v20, 0x3daaaaab
	v_add_f32_e32 v19, v19, v21
	v_cndmask_b32_e64 v15, v15, v19, s8
	v_cndmask_b32_e64 v19, 0, 0x41b17218, s13
	v_sub_f32_e32 v19, v15, v19
	v_fmaak_f32 v15, v17, v18, 0x3ed67f1d
	v_add_f32_e64 v17, |v4|, -0.5
	v_add_f32_e32 v18, -1.0, v19
	v_fmac_f32_e32 v15, v17, v18
.LBB156_197:
	s_or_b32 exec_lo, exec_lo, s12
.LBB156_198:
	s_andn2_saveexec_b32 s12, s9
	s_cbranch_execz .LBB156_200
; %bb.199:
	v_cvt_i32_f32_e32 v15, v16
	s_mov_b32 s9, 0x3805ff67
	v_cvt_f32_i32_e32 v17, v15
	v_cmp_lt_i32_e64 s8, 2, v15
	v_sub_f32_e64 v17, |v4|, v17
	v_add_f32_e32 v18, 2.0, v17
	v_add_f32_e32 v19, 0x40400000, v17
	v_add_f32_e32 v20, 4.0, v17
	v_add_f32_e32 v21, 0x40a00000, v17
	v_cndmask_b32_e64 v18, 1.0, v18, s8
	v_cmp_lt_i32_e64 s8, 3, v15
	v_cndmask_b32_e64 v19, 1.0, v19, s8
	v_cmp_lt_i32_e64 s8, 4, v15
	v_mul_f32_e32 v18, v18, v19
	v_cndmask_b32_e64 v20, 1.0, v20, s8
	v_cmp_lt_i32_e64 s8, 5, v15
	v_add_f32_e32 v19, 0x40c00000, v17
	v_mul_f32_e32 v18, v20, v18
	v_cndmask_b32_e64 v21, 1.0, v21, s8
	v_cmp_lt_i32_e64 s8, 6, v15
	v_fmaak_f32 v20, s9, v17, 0x3af135b4
	v_mul_f32_e32 v18, v21, v18
	v_cndmask_b32_e64 v15, 1.0, v19, s8
	s_mov_b32 s8, 0x36f5d7bd
	v_mul_f32_e32 v15, v15, v18
	v_fmaak_f32 v18, s8, v17, 0x3a4beed6
	v_cmp_gt_f32_e64 s8, 0x800000, v15
	v_fmaak_f32 v18, v17, v18, 0x3c98bf54
	v_cndmask_b32_e64 v19, 0, 32, s8
	v_fmaak_f32 v18, v17, v18, 0x3e300f6e
	v_ldexp_f32 v15, v15, v19
	v_fmaak_f32 v19, v17, v20, 0x3cda40e4
	v_fmaak_f32 v18, v17, v18, 0x3f38d0c5
	v_log_f32_e32 v15, v15
	v_fmaak_f32 v19, v17, v19, 0x3e15dce6
	v_fmaak_f32 v18, v17, v18, 0x3fb22d3b
	;; [unrolled: 1-line block ×3, first 2 shown]
	v_fma_f32 v18, v17, v18, 1.0
	v_mul_f32_e32 v20, 0x3f317217, v15
	v_fmaak_f32 v19, v17, v19, 0x3e5c245a
	v_rcp_f32_e32 v18, v18
	v_cmp_gt_f32_e64 s9, 0x7f800000, |v15|
	v_fma_f32 v21, 0x3f317217, v15, -v20
	v_fmaak_f32 v19, v17, v19, 0xbd9e233f
	v_fmamk_f32 v21, v15, 0x3377d1cf, v21
	v_mul_f32_e32 v19, v17, v19
	v_add_f32_e32 v20, v20, v21
	v_mul_f32_e32 v18, v19, v18
	v_cndmask_b32_e64 v19, 0, 0x41b17218, s8
	v_cndmask_b32_e64 v15, v15, v20, s9
	v_fmac_f32_e32 v18, 0.5, v17
	v_sub_f32_e32 v15, v15, v19
	v_add_f32_e32 v15, v15, v18
.LBB156_200:
	s_or_b32 exec_lo, exec_lo, s12
.LBB156_201:
	s_andn2_saveexec_b32 s11, s11
	s_cbranch_execz .LBB156_219
; %bb.202:
                                        ; implicit-def: $vgpr15
                                        ; implicit-def: $vgpr18
                                        ; implicit-def: $vgpr17
	s_mov_b32 s9, exec_lo
	v_cmpx_ge_f32_e64 0x3f666666, |v4|
	s_xor_b32 s12, exec_lo, s9
	s_cbranch_execz .LBB156_204
; %bb.203:
	v_cmp_gt_f32_e64 s9, 0x800000, |v4|
	v_sub_f32_e64 v19, 1.0, |v4|
	v_cmp_gt_f32_e64 s8, 0x3f3b4a23, |v4|
	v_cndmask_b32_e64 v15, 0, 32, s9
	v_cndmask_b32_e64 v20, 0, 0x41b17218, s9
	v_ldexp_f32 v15, |v4|, v15
	v_log_f32_e32 v15, v15
	v_mul_f32_e32 v17, 0x3f317217, v15
	v_cmp_gt_f32_e64 s9, 0x7f800000, |v15|
	v_fma_f32 v18, 0x3f317217, v15, -v17
	v_fmamk_f32 v18, v15, 0x3377d1cf, v18
	v_add_f32_e32 v17, v17, v18
	v_add_f32_e64 v18, 0xbeec5b0c, |v4|
	v_cndmask_b32_e64 v15, v15, v17, s9
	v_cndmask_b32_e64 v17, v19, v18, s8
	;; [unrolled: 1-line block ×3, first 2 shown]
	v_cmp_gt_f32_e64 s8, 0x3e6d3309, |v4|
	v_sub_f32_e32 v15, v15, v20
	v_cndmask_b32_e64 v17, v17, |v4|, s8
	v_cndmask_b32_e64 v18, v18, 2, s8
	v_xor_b32_e32 v15, 0x80000000, v15
.LBB156_204:
	s_andn2_saveexec_b32 s9, s12
	s_cbranch_execz .LBB156_206
; %bb.205:
	v_sub_f32_e64 v15, 2.0, |v4|
	v_add_f32_e64 v17, 0xbfbb16c3, |v4|
	v_cmp_gt_f32_e64 s8, 0x3fdda512, |v4|
	v_add_f32_e64 v18, |v4|, -1.0
	v_cndmask_b32_e64 v17, v15, v17, s8
	v_cndmask_b32_e64 v15, v15, 1.0, s8
	v_cmp_gt_f32_e64 s8, 0x3f9d70a4, |v4|
	v_cvt_i32_f32_e32 v15, v15
	v_cndmask_b32_e64 v17, v17, v18, s8
	v_cndmask_b32_e64 v18, v15, 2, s8
	v_mov_b32_e32 v15, 0
.LBB156_206:
	s_or_b32 exec_lo, exec_lo, s9
	s_mov_b32 s9, exec_lo
	v_cmpx_lt_i32_e32 0, v18
	s_xor_b32 s9, exec_lo, s9
	s_cbranch_execz .LBB156_214
; %bb.207:
	s_mov_b32 s12, exec_lo
	v_cmpx_lt_i32_e32 1, v18
	s_xor_b32 s12, exec_lo, s12
	s_cbranch_execz .LBB156_211
; %bb.208:
	s_mov_b32 s13, exec_lo
	v_cmpx_eq_u32_e32 2, v18
	s_cbranch_execz .LBB156_210
; %bb.209:
	s_mov_b32 s8, 0x3b52d5db
	v_fmaak_f32 v18, s8, v17, 0x3dd572af
	s_mov_b32 s8, 0x3c5b3c5e
	v_fmaak_f32 v19, s8, v17, 0x3e6a7578
	v_fmaak_f32 v18, v17, v18, 0x3f44efdf
	;; [unrolled: 1-line block ×7, first 2 shown]
	v_fma_f32 v18, v17, v18, 1.0
	v_fmaak_f32 v19, v17, v19, 0xbd9e233f
	v_rcp_f32_e32 v18, v18
	v_mul_f32_e32 v19, v17, v19
	v_mul_f32_e32 v18, v19, v18
	v_fmac_f32_e32 v18, -0.5, v17
	v_add_f32_e32 v15, v15, v18
.LBB156_210:
	s_or_b32 exec_lo, exec_lo, s13
                                        ; implicit-def: $vgpr17
.LBB156_211:
	s_andn2_saveexec_b32 s8, s12
	s_cbranch_execz .LBB156_213
; %bb.212:
	v_mul_f32_e32 v18, v17, v17
	s_mov_b32 s12, 0xb9a3f927
	s_mov_b32 s13, 0x39afe9f7
	v_mul_f32_e32 v19, v17, v18
	v_fmaak_f32 v20, s12, v19, 0x3a66f867
	v_fmaak_f32 v21, s13, v19, 0xba0d3085
	s_mov_b32 s12, 0x39a57b6b
	v_fmaak_f32 v22, s12, v19, 0xbab7f476
	v_fmaak_f32 v20, v19, v20, 0xbb7177fe
	;; [unrolled: 1-line block ×9, first 2 shown]
	v_fmac_f32_e32 v20, v17, v21
	v_fmaak_f32 v17, v19, v22, 0x3ef7b95e
	v_fma_f32 v19, v19, -v20, 0xa2863e55
	v_fma_f32 v17, v18, v17, -v19
	v_add_f32_e32 v17, 0xbdf8cdce, v17
	v_add_f32_e32 v15, v15, v17
.LBB156_213:
	s_or_b32 exec_lo, exec_lo, s8
                                        ; implicit-def: $vgpr18
                                        ; implicit-def: $vgpr17
.LBB156_214:
	s_andn2_saveexec_b32 s9, s9
	s_cbranch_execz .LBB156_218
; %bb.215:
	s_mov_b32 s12, exec_lo
	v_cmpx_eq_u32_e32 0, v18
	s_cbranch_execz .LBB156_217
; %bb.216:
	v_mul_f32_e32 v18, v17, v17
	s_mov_b32 s8, 0x383c2c75
	v_fmaak_f32 v19, s8, v18, 0x38e28445
	s_mov_b32 s8, 0x37d383a2
	v_fmaak_f32 v20, s8, v18, 0x39679767
	v_fmaak_f32 v19, v18, v19, 0x3a05b634
	;; [unrolled: 1-line block ×9, first 2 shown]
	v_mul_f32_e32 v18, v18, v19
	v_fmac_f32_e32 v18, v17, v20
	v_fmac_f32_e32 v18, -0.5, v17
	v_add_f32_e32 v15, v15, v18
.LBB156_217:
	s_or_b32 exec_lo, exec_lo, s12
.LBB156_218:
	s_or_b32 exec_lo, exec_lo, s9
.LBB156_219:
	s_or_b32 exec_lo, exec_lo, s11
.LBB156_220:
	s_andn2_saveexec_b32 s9, s10
	s_cbranch_execz .LBB156_222
; %bb.221:
	v_cmp_gt_f32_e64 s10, 0x800000, |v4|
	s_mov_b32 s8, 0x3e8a8991
	v_fma_f32 v19, |v4|, s8, 0xbecd26ab
	v_cndmask_b32_e64 v15, 0, 32, s10
	v_ldexp_f32 v15, |v4|, v15
	v_log_f32_e32 v15, v15
	v_mul_f32_e32 v17, 0x3f317217, v15
	v_cmp_gt_f32_e64 s8, 0x7f800000, |v15|
	v_fma_f32 v18, 0x3f317217, v15, -v17
	v_fmamk_f32 v18, v15, 0x3377d1cf, v18
	v_add_f32_e32 v17, v17, v18
	v_fma_f32 v18, |v4|, v19, 0x3f528d33
	v_cndmask_b32_e64 v15, v15, v17, s8
	v_cndmask_b32_e64 v17, 0, 0x41b17218, s10
	v_fma_f32 v18, |v4|, v18, 0xbf13c468
	v_sub_f32_e32 v15, v15, v17
	v_fma_f32 v15, |v4|, v18, -v15
.LBB156_222:
	s_or_b32 exec_lo, exec_lo, s9
	v_cmp_le_f32_e64 s8, 0, v4
	s_mov_b32 s10, exec_lo
	v_cmpx_nle_f32_e32 0, v4
	s_xor_b32 s11, exec_lo, s10
	s_cbranch_execz .LBB156_226
; %bb.223:
	v_cmp_gt_f32_e64 s9, 0x4b000000, |v4|
	v_cmp_lt_f32_e64 s10, 0x35000000, |v4|
	s_and_b32 s9, s9, s10
	s_and_saveexec_b32 s12, s9
	s_cbranch_execz .LBB156_225
; %bb.224:
	v_mul_f32_e64 v17, |v4|, 0.5
	s_mov_b32 s10, 0x3d4be544
	v_floor_f32_e32 v18, v17
	v_cmp_neq_f32_e64 s9, 0x7f800000, v17
	v_sub_f32_e32 v18, v17, v18
	v_min_f32_e32 v18, 0x3f7fffff, v18
	v_add_f32_e32 v18, v18, v18
	v_cndmask_b32_e64 v17, 0, v18, s9
	v_cmp_gt_f32_e64 s9, |v4|, 1.0
	v_cndmask_b32_e64 v17, |v4|, v17, s9
	s_mov_b32 s9, 0x3e75aa41
	v_add_f32_e32 v18, v17, v17
	v_rndne_f32_e32 v18, v18
	v_fmac_f32_e32 v17, -0.5, v18
	v_cvt_i32_f32_e32 v18, v18
	v_mul_f32_e32 v19, v17, v17
	v_fmaak_f32 v20, s9, v19, 0xbf1f24be
	v_fmaak_f32 v21, s10, v19, 0x3e642e9d
	v_mul_f32_e32 v22, v17, v19
	v_fmaak_f32 v20, v19, v20, 0x40234736
	v_fmaak_f32 v21, v19, v21, 0xbfaad1da
	;; [unrolled: 1-line block ×4, first 2 shown]
	v_mul_f32_e32 v20, v22, v20
	v_fmaak_f32 v21, v19, v21, 0xc09de9e6
	v_and_b32_e32 v22, 1, v18
	v_lshlrev_b32_e32 v18, 30, v18
	v_fmamk_f32 v17, v17, 0x40490fdb, v20
	v_fma_f32 v19, v19, v21, 1.0
	v_cmp_eq_u32_e64 s9, 0, v22
	v_and_or_b32 v16, 0x80000000, v18, v16
	v_cndmask_b32_e64 v17, v19, v17, s9
	v_xor3_b32 v16, v16, v17, v4
	v_mul_f32_e32 v16, v4, v16
	v_frexp_mant_f32_e64 v17, |v16|
	v_frexp_exp_i32_f32_e32 v16, v16
	v_rcp_f32_e32 v17, v17
	v_sub_nc_u32_e32 v16, 2, v16
	v_mul_f32_e32 v17, 0x3f490fdb, v17
	v_ldexp_f32 v16, v17, v16
	v_cmp_gt_f32_e64 s9, 0x800000, v16
	v_cndmask_b32_e64 v17, 0, 32, s9
	v_ldexp_f32 v16, v16, v17
	v_log_f32_e32 v16, v16
	v_mul_f32_e32 v17, 0x3f317217, v16
	v_cmp_gt_f32_e64 s10, 0x7f800000, |v16|
	v_fma_f32 v18, 0x3f317217, v16, -v17
	v_fmamk_f32 v18, v16, 0x3377d1cf, v18
	v_add_f32_e32 v17, v17, v18
	v_floor_f32_e32 v18, v4
	v_cndmask_b32_e64 v16, v16, v17, s10
	v_cndmask_b32_e64 v17, 0, 0x41b17218, s9
	v_sub_f32_e32 v18, v4, v18
	v_sub_f32_e32 v16, v16, v17
	v_min_f32_e32 v17, 0x3f7fffff, v18
	v_sub_f32_e32 v15, v16, v15
	v_cmp_neq_f32_e64 s9, 0, v17
	v_cndmask_b32_e64 v15, 0x7f800000, v15, s9
.LBB156_225:
	s_or_b32 exec_lo, exec_lo, s12
.LBB156_226:
	s_andn2_saveexec_b32 s11, s11
; %bb.227:
	v_cmp_eq_f32_e64 s9, 1.0, v4
	v_cmp_eq_f32_e64 s10, 2.0, v4
	s_or_b32 s9, s9, s10
	v_cndmask_b32_e64 v15, v15, 0, s9
; %bb.228:
	s_or_b32 exec_lo, exec_lo, s11
	v_lshlrev_b32_e32 v16, 16, v5
                                        ; implicit-def: $vgpr17
	s_mov_b32 s10, exec_lo
	v_and_b32_e32 v18, 0x7fffffff, v16
	v_cmpx_ngt_f32_e64 0x3c800000, |v16|
	s_xor_b32 s11, exec_lo, s10
	s_cbranch_execz .LBB156_258
; %bb.229:
                                        ; implicit-def: $vgpr17
	s_mov_b32 s10, exec_lo
	v_cmpx_nlt_f32_e64 |v16|, 2.0
	s_xor_b32 s12, exec_lo, s10
	s_cbranch_execz .LBB156_239
; %bb.230:
	s_mov_b32 s10, exec_lo
                                        ; implicit-def: $vgpr17
	v_cmpx_ngt_f32_e64 0x41000000, |v16|
	s_xor_b32 s10, exec_lo, s10
	s_cbranch_execz .LBB156_236
; %bb.231:
	s_mov_b32 s13, exec_lo
                                        ; implicit-def: $vgpr17
	v_cmpx_ngt_f32_e64 0x5c800000, |v16|
	s_xor_b32 s13, exec_lo, s13
	s_cbranch_execz .LBB156_233
; %bb.232:
	v_cmp_gt_f32_e64 s16, 0x800000, |v16|
	v_cndmask_b32_e64 v17, 0, 32, s16
	v_ldexp_f32 v17, |v16|, v17
	v_log_f32_e32 v17, v17
	v_mul_f32_e32 v19, 0x3f317217, v17
	v_cmp_gt_f32_e64 s9, 0x7f800000, |v17|
	v_fma_f32 v20, 0x3f317217, v17, -v19
	v_fmamk_f32 v20, v17, 0x3377d1cf, v20
	v_add_f32_e32 v19, v19, v20
	v_cndmask_b32_e64 v17, v17, v19, s9
	v_cndmask_b32_e64 v19, 0, 0x41b17218, s16
	v_sub_f32_e32 v17, v17, v19
	v_fma_f32 v17, |v16|, v17, -|v16|
.LBB156_233:
	s_andn2_saveexec_b32 s13, s13
	s_cbranch_execz .LBB156_235
; %bb.234:
	v_cmp_gt_f32_e64 s16, 0x800000, |v16|
	v_rcp_f32_e64 v19, |v16|
	s_mov_b32 s9, 0xbad5c4e8
	v_cndmask_b32_e64 v17, 0, 32, s16
	v_ldexp_f32 v17, |v16|, v17
	v_mul_f32_e32 v20, v19, v19
	v_log_f32_e32 v17, v17
	v_fmaak_f32 v22, s9, v20, 0x3a5b3dd2
	v_fmaak_f32 v22, v20, v22, 0xba1c065c
	v_mul_f32_e32 v21, 0x3f317217, v17
	v_fmaak_f32 v22, v20, v22, 0x3a500cfd
	v_cmp_gt_f32_e64 s9, 0x7f800000, |v17|
	v_fma_f32 v23, 0x3f317217, v17, -v21
	v_fmaak_f32 v22, v20, v22, 0xbb360b61
	v_fmamk_f32 v23, v17, 0x3377d1cf, v23
	v_fmaak_f32 v20, v20, v22, 0x3daaaaab
	v_add_f32_e32 v21, v21, v23
	v_cndmask_b32_e64 v17, v17, v21, s9
	v_cndmask_b32_e64 v21, 0, 0x41b17218, s16
	v_sub_f32_e32 v21, v17, v21
	v_fmaak_f32 v17, v19, v20, 0x3ed67f1d
	v_add_f32_e64 v19, |v16|, -0.5
	v_add_f32_e32 v20, -1.0, v21
	v_fmac_f32_e32 v17, v19, v20
.LBB156_235:
	s_or_b32 exec_lo, exec_lo, s13
.LBB156_236:
	s_andn2_saveexec_b32 s13, s10
	s_cbranch_execz .LBB156_238
; %bb.237:
	v_cvt_i32_f32_e32 v17, v18
	s_mov_b32 s10, 0x3805ff67
	v_cvt_f32_i32_e32 v19, v17
	v_cmp_lt_i32_e64 s9, 2, v17
	v_sub_f32_e64 v19, |v16|, v19
	v_add_f32_e32 v20, 2.0, v19
	v_add_f32_e32 v21, 0x40400000, v19
	v_add_f32_e32 v22, 4.0, v19
	v_add_f32_e32 v23, 0x40a00000, v19
	v_cndmask_b32_e64 v20, 1.0, v20, s9
	v_cmp_lt_i32_e64 s9, 3, v17
	v_cndmask_b32_e64 v21, 1.0, v21, s9
	v_cmp_lt_i32_e64 s9, 4, v17
	v_mul_f32_e32 v20, v20, v21
	v_cndmask_b32_e64 v22, 1.0, v22, s9
	v_cmp_lt_i32_e64 s9, 5, v17
	v_add_f32_e32 v21, 0x40c00000, v19
	v_mul_f32_e32 v20, v22, v20
	v_cndmask_b32_e64 v23, 1.0, v23, s9
	v_cmp_lt_i32_e64 s9, 6, v17
	v_fmaak_f32 v22, s10, v19, 0x3af135b4
	v_mul_f32_e32 v20, v23, v20
	v_cndmask_b32_e64 v17, 1.0, v21, s9
	s_mov_b32 s9, 0x36f5d7bd
	v_mul_f32_e32 v17, v17, v20
	v_fmaak_f32 v20, s9, v19, 0x3a4beed6
	v_cmp_gt_f32_e64 s9, 0x800000, v17
	v_fmaak_f32 v20, v19, v20, 0x3c98bf54
	v_cndmask_b32_e64 v21, 0, 32, s9
	v_fmaak_f32 v20, v19, v20, 0x3e300f6e
	v_ldexp_f32 v17, v17, v21
	v_fmaak_f32 v21, v19, v22, 0x3cda40e4
	v_fmaak_f32 v20, v19, v20, 0x3f38d0c5
	v_log_f32_e32 v17, v17
	v_fmaak_f32 v21, v19, v21, 0x3e15dce6
	v_fmaak_f32 v20, v19, v20, 0x3fb22d3b
	;; [unrolled: 1-line block ×3, first 2 shown]
	v_fma_f32 v20, v19, v20, 1.0
	v_mul_f32_e32 v22, 0x3f317217, v17
	v_fmaak_f32 v21, v19, v21, 0x3e5c245a
	v_rcp_f32_e32 v20, v20
	v_cmp_gt_f32_e64 s10, 0x7f800000, |v17|
	v_fma_f32 v23, 0x3f317217, v17, -v22
	v_fmaak_f32 v21, v19, v21, 0xbd9e233f
	v_fmamk_f32 v23, v17, 0x3377d1cf, v23
	v_mul_f32_e32 v21, v19, v21
	v_add_f32_e32 v22, v22, v23
	v_mul_f32_e32 v20, v21, v20
	v_cndmask_b32_e64 v21, 0, 0x41b17218, s9
	v_cndmask_b32_e64 v17, v17, v22, s10
	v_fmac_f32_e32 v20, 0.5, v19
	v_sub_f32_e32 v17, v17, v21
	v_add_f32_e32 v17, v17, v20
.LBB156_238:
	s_or_b32 exec_lo, exec_lo, s13
.LBB156_239:
	s_andn2_saveexec_b32 s12, s12
	s_cbranch_execz .LBB156_257
; %bb.240:
                                        ; implicit-def: $vgpr17
                                        ; implicit-def: $vgpr20
                                        ; implicit-def: $vgpr19
	s_mov_b32 s10, exec_lo
	v_cmpx_ge_f32_e64 0x3f666666, |v16|
	s_xor_b32 s13, exec_lo, s10
	s_cbranch_execz .LBB156_242
; %bb.241:
	v_cmp_gt_f32_e64 s10, 0x800000, |v16|
	v_sub_f32_e64 v21, 1.0, |v16|
	v_cmp_gt_f32_e64 s9, 0x3f3b4a23, |v16|
	v_cndmask_b32_e64 v17, 0, 32, s10
	v_cndmask_b32_e64 v22, 0, 0x41b17218, s10
	v_ldexp_f32 v17, |v16|, v17
	v_log_f32_e32 v17, v17
	v_mul_f32_e32 v19, 0x3f317217, v17
	v_cmp_gt_f32_e64 s10, 0x7f800000, |v17|
	v_fma_f32 v20, 0x3f317217, v17, -v19
	v_fmamk_f32 v20, v17, 0x3377d1cf, v20
	v_add_f32_e32 v19, v19, v20
	v_add_f32_e64 v20, 0xbeec5b0c, |v16|
	v_cndmask_b32_e64 v17, v17, v19, s10
	v_cndmask_b32_e64 v19, v21, v20, s9
	;; [unrolled: 1-line block ×3, first 2 shown]
	v_cmp_gt_f32_e64 s9, 0x3e6d3309, |v16|
	v_sub_f32_e32 v17, v17, v22
	v_cndmask_b32_e64 v19, v19, |v16|, s9
	v_cndmask_b32_e64 v20, v20, 2, s9
	v_xor_b32_e32 v17, 0x80000000, v17
.LBB156_242:
	s_andn2_saveexec_b32 s10, s13
	s_cbranch_execz .LBB156_244
; %bb.243:
	v_sub_f32_e64 v17, 2.0, |v16|
	v_add_f32_e64 v19, 0xbfbb16c3, |v16|
	v_cmp_gt_f32_e64 s9, 0x3fdda512, |v16|
	v_add_f32_e64 v20, |v16|, -1.0
	v_cndmask_b32_e64 v19, v17, v19, s9
	v_cndmask_b32_e64 v17, v17, 1.0, s9
	v_cmp_gt_f32_e64 s9, 0x3f9d70a4, |v16|
	v_cvt_i32_f32_e32 v17, v17
	v_cndmask_b32_e64 v19, v19, v20, s9
	v_cndmask_b32_e64 v20, v17, 2, s9
	v_mov_b32_e32 v17, 0
.LBB156_244:
	s_or_b32 exec_lo, exec_lo, s10
	s_mov_b32 s10, exec_lo
	v_cmpx_lt_i32_e32 0, v20
	s_xor_b32 s10, exec_lo, s10
	s_cbranch_execz .LBB156_252
; %bb.245:
	s_mov_b32 s13, exec_lo
	v_cmpx_lt_i32_e32 1, v20
	s_xor_b32 s13, exec_lo, s13
	s_cbranch_execz .LBB156_249
; %bb.246:
	s_mov_b32 s16, exec_lo
	v_cmpx_eq_u32_e32 2, v20
	s_cbranch_execz .LBB156_248
; %bb.247:
	s_mov_b32 s9, 0x3b52d5db
	v_fmaak_f32 v20, s9, v19, 0x3dd572af
	s_mov_b32 s9, 0x3c5b3c5e
	v_fmaak_f32 v21, s9, v19, 0x3e6a7578
	v_fmaak_f32 v20, v19, v20, 0x3f44efdf
	;; [unrolled: 1-line block ×7, first 2 shown]
	v_fma_f32 v20, v19, v20, 1.0
	v_fmaak_f32 v21, v19, v21, 0xbd9e233f
	v_rcp_f32_e32 v20, v20
	v_mul_f32_e32 v21, v19, v21
	v_mul_f32_e32 v20, v21, v20
	v_fmac_f32_e32 v20, -0.5, v19
	v_add_f32_e32 v17, v17, v20
.LBB156_248:
	s_or_b32 exec_lo, exec_lo, s16
                                        ; implicit-def: $vgpr19
.LBB156_249:
	s_andn2_saveexec_b32 s9, s13
	s_cbranch_execz .LBB156_251
; %bb.250:
	v_mul_f32_e32 v20, v19, v19
	s_mov_b32 s13, 0xb9a3f927
	s_mov_b32 s16, 0x39afe9f7
	v_mul_f32_e32 v21, v19, v20
	v_fmaak_f32 v22, s13, v21, 0x3a66f867
	v_fmaak_f32 v23, s16, v21, 0xba0d3085
	s_mov_b32 s13, 0x39a57b6b
	v_fmaak_f32 v24, s13, v21, 0xbab7f476
	v_fmaak_f32 v22, v21, v22, 0xbb7177fe
	;; [unrolled: 1-line block ×9, first 2 shown]
	v_fmac_f32_e32 v22, v19, v23
	v_fmaak_f32 v19, v21, v24, 0x3ef7b95e
	v_fma_f32 v21, v21, -v22, 0xa2863e55
	v_fma_f32 v19, v20, v19, -v21
	v_add_f32_e32 v19, 0xbdf8cdce, v19
	v_add_f32_e32 v17, v17, v19
.LBB156_251:
	s_or_b32 exec_lo, exec_lo, s9
                                        ; implicit-def: $vgpr20
                                        ; implicit-def: $vgpr19
.LBB156_252:
	s_andn2_saveexec_b32 s10, s10
	s_cbranch_execz .LBB156_256
; %bb.253:
	s_mov_b32 s13, exec_lo
	v_cmpx_eq_u32_e32 0, v20
	s_cbranch_execz .LBB156_255
; %bb.254:
	v_mul_f32_e32 v20, v19, v19
	s_mov_b32 s9, 0x383c2c75
	v_fmaak_f32 v21, s9, v20, 0x38e28445
	s_mov_b32 s9, 0x37d383a2
	v_fmaak_f32 v22, s9, v20, 0x39679767
	v_fmaak_f32 v21, v20, v21, 0x3a05b634
	;; [unrolled: 1-line block ×9, first 2 shown]
	v_mul_f32_e32 v20, v20, v21
	v_fmac_f32_e32 v20, v19, v22
	v_fmac_f32_e32 v20, -0.5, v19
	v_add_f32_e32 v17, v17, v20
.LBB156_255:
	s_or_b32 exec_lo, exec_lo, s13
.LBB156_256:
	s_or_b32 exec_lo, exec_lo, s10
.LBB156_257:
	s_or_b32 exec_lo, exec_lo, s12
.LBB156_258:
	s_andn2_saveexec_b32 s10, s11
	s_cbranch_execz .LBB156_260
; %bb.259:
	v_cmp_gt_f32_e64 s11, 0x800000, |v16|
	s_mov_b32 s9, 0x3e8a8991
	v_fma_f32 v21, |v16|, s9, 0xbecd26ab
	v_cndmask_b32_e64 v17, 0, 32, s11
	v_ldexp_f32 v17, |v16|, v17
	v_log_f32_e32 v17, v17
	v_mul_f32_e32 v19, 0x3f317217, v17
	v_cmp_gt_f32_e64 s9, 0x7f800000, |v17|
	v_fma_f32 v20, 0x3f317217, v17, -v19
	v_fmamk_f32 v20, v17, 0x3377d1cf, v20
	v_add_f32_e32 v19, v19, v20
	v_fma_f32 v20, |v16|, v21, 0x3f528d33
	v_cndmask_b32_e64 v17, v17, v19, s9
	v_cndmask_b32_e64 v19, 0, 0x41b17218, s11
	v_fma_f32 v20, |v16|, v20, 0xbf13c468
	v_sub_f32_e32 v17, v17, v19
	v_fma_f32 v17, |v16|, v20, -v17
.LBB156_260:
	s_or_b32 exec_lo, exec_lo, s10
	v_cmp_le_f32_e64 s9, 0, v16
	s_mov_b32 s11, exec_lo
	v_cmpx_nle_f32_e32 0, v16
	s_xor_b32 s12, exec_lo, s11
	s_cbranch_execz .LBB156_264
; %bb.261:
	v_cmp_gt_f32_e64 s10, 0x4b000000, |v16|
	v_cmp_lt_f32_e64 s11, 0x35000000, |v16|
	s_and_b32 s10, s10, s11
	s_and_saveexec_b32 s13, s10
	s_cbranch_execz .LBB156_263
; %bb.262:
	v_mul_f32_e64 v19, |v16|, 0.5
	s_mov_b32 s11, 0x3d4be544
	v_floor_f32_e32 v20, v19
	v_cmp_neq_f32_e64 s10, 0x7f800000, v19
	v_sub_f32_e32 v20, v19, v20
	v_min_f32_e32 v20, 0x3f7fffff, v20
	v_add_f32_e32 v20, v20, v20
	v_cndmask_b32_e64 v19, 0, v20, s10
	v_cmp_gt_f32_e64 s10, |v16|, 1.0
	v_cndmask_b32_e64 v19, |v16|, v19, s10
	s_mov_b32 s10, 0x3e75aa41
	v_add_f32_e32 v20, v19, v19
	v_rndne_f32_e32 v20, v20
	v_fmac_f32_e32 v19, -0.5, v20
	v_cvt_i32_f32_e32 v20, v20
	v_mul_f32_e32 v21, v19, v19
	v_fmaak_f32 v22, s10, v21, 0xbf1f24be
	v_fmaak_f32 v23, s11, v21, 0x3e642e9d
	v_mul_f32_e32 v24, v19, v21
	v_fmaak_f32 v22, v21, v22, 0x40234736
	v_fmaak_f32 v23, v21, v23, 0xbfaad1da
	;; [unrolled: 1-line block ×4, first 2 shown]
	v_mul_f32_e32 v22, v24, v22
	v_fmaak_f32 v23, v21, v23, 0xc09de9e6
	v_and_b32_e32 v24, 1, v20
	v_lshlrev_b32_e32 v20, 30, v20
	v_fmamk_f32 v19, v19, 0x40490fdb, v22
	v_fma_f32 v21, v21, v23, 1.0
	v_cmp_eq_u32_e64 s10, 0, v24
	v_and_or_b32 v18, 0x80000000, v20, v18
	v_cndmask_b32_e64 v19, v21, v19, s10
	v_xor3_b32 v18, v18, v19, v16
	v_mul_f32_e32 v18, v16, v18
	v_frexp_mant_f32_e64 v19, |v18|
	v_frexp_exp_i32_f32_e32 v18, v18
	v_rcp_f32_e32 v19, v19
	v_sub_nc_u32_e32 v18, 2, v18
	v_mul_f32_e32 v19, 0x3f490fdb, v19
	v_ldexp_f32 v18, v19, v18
	v_cmp_gt_f32_e64 s10, 0x800000, v18
	v_cndmask_b32_e64 v19, 0, 32, s10
	v_ldexp_f32 v18, v18, v19
	v_log_f32_e32 v18, v18
	v_mul_f32_e32 v19, 0x3f317217, v18
	v_cmp_gt_f32_e64 s11, 0x7f800000, |v18|
	v_fma_f32 v20, 0x3f317217, v18, -v19
	v_fmamk_f32 v20, v18, 0x3377d1cf, v20
	v_add_f32_e32 v19, v19, v20
	v_floor_f32_e32 v20, v16
	v_cndmask_b32_e64 v18, v18, v19, s11
	v_cndmask_b32_e64 v19, 0, 0x41b17218, s10
	v_sub_f32_e32 v20, v16, v20
	v_sub_f32_e32 v18, v18, v19
	v_min_f32_e32 v19, 0x3f7fffff, v20
	v_sub_f32_e32 v17, v18, v17
	v_cmp_neq_f32_e64 s10, 0, v19
	v_cndmask_b32_e64 v17, 0x7f800000, v17, s10
.LBB156_263:
	s_or_b32 exec_lo, exec_lo, s13
.LBB156_264:
	s_andn2_saveexec_b32 s12, s12
; %bb.265:
	v_cmp_eq_f32_e64 s10, 1.0, v16
	v_cmp_eq_f32_e64 s11, 2.0, v16
	s_or_b32 s10, s10, s11
	v_cndmask_b32_e64 v17, v17, 0, s10
; %bb.266:
	s_or_b32 exec_lo, exec_lo, s12
	v_and_b32_e32 v5, 0xffff0000, v5
                                        ; implicit-def: $vgpr18
	s_mov_b32 s11, exec_lo
	v_and_b32_e32 v19, 0x7fffffff, v5
	v_cmpx_ngt_f32_e64 0x3c800000, |v5|
	s_xor_b32 s12, exec_lo, s11
	s_cbranch_execz .LBB156_296
; %bb.267:
                                        ; implicit-def: $vgpr18
	s_mov_b32 s11, exec_lo
	v_cmpx_nlt_f32_e64 |v5|, 2.0
	s_xor_b32 s13, exec_lo, s11
	s_cbranch_execz .LBB156_277
; %bb.268:
	s_mov_b32 s11, exec_lo
                                        ; implicit-def: $vgpr18
	v_cmpx_ngt_f32_e64 0x41000000, |v5|
	s_xor_b32 s11, exec_lo, s11
	s_cbranch_execz .LBB156_274
; %bb.269:
	s_mov_b32 s16, exec_lo
                                        ; implicit-def: $vgpr18
	v_cmpx_ngt_f32_e64 0x5c800000, |v5|
	s_xor_b32 s16, exec_lo, s16
	s_cbranch_execz .LBB156_271
; %bb.270:
	v_cmp_gt_f32_e64 s17, 0x800000, |v5|
	v_cndmask_b32_e64 v18, 0, 32, s17
	v_ldexp_f32 v18, |v5|, v18
	v_log_f32_e32 v18, v18
	v_mul_f32_e32 v20, 0x3f317217, v18
	v_cmp_gt_f32_e64 s10, 0x7f800000, |v18|
	v_fma_f32 v21, 0x3f317217, v18, -v20
	v_fmamk_f32 v21, v18, 0x3377d1cf, v21
	v_add_f32_e32 v20, v20, v21
	v_cndmask_b32_e64 v18, v18, v20, s10
	v_cndmask_b32_e64 v20, 0, 0x41b17218, s17
	v_sub_f32_e32 v18, v18, v20
	v_fma_f32 v18, |v5|, v18, -|v5|
.LBB156_271:
	s_andn2_saveexec_b32 s16, s16
	s_cbranch_execz .LBB156_273
; %bb.272:
	v_cmp_gt_f32_e64 s17, 0x800000, |v5|
	v_rcp_f32_e64 v20, |v5|
	s_mov_b32 s10, 0xbad5c4e8
	v_cndmask_b32_e64 v18, 0, 32, s17
	v_ldexp_f32 v18, |v5|, v18
	v_mul_f32_e32 v21, v20, v20
	v_log_f32_e32 v18, v18
	v_fmaak_f32 v23, s10, v21, 0x3a5b3dd2
	v_fmaak_f32 v23, v21, v23, 0xba1c065c
	v_mul_f32_e32 v22, 0x3f317217, v18
	v_fmaak_f32 v23, v21, v23, 0x3a500cfd
	v_cmp_gt_f32_e64 s10, 0x7f800000, |v18|
	v_fma_f32 v24, 0x3f317217, v18, -v22
	v_fmaak_f32 v23, v21, v23, 0xbb360b61
	v_fmamk_f32 v24, v18, 0x3377d1cf, v24
	v_fmaak_f32 v21, v21, v23, 0x3daaaaab
	v_add_f32_e32 v22, v22, v24
	v_cndmask_b32_e64 v18, v18, v22, s10
	v_cndmask_b32_e64 v22, 0, 0x41b17218, s17
	v_sub_f32_e32 v22, v18, v22
	v_fmaak_f32 v18, v20, v21, 0x3ed67f1d
	v_add_f32_e64 v20, |v5|, -0.5
	v_add_f32_e32 v21, -1.0, v22
	v_fmac_f32_e32 v18, v20, v21
.LBB156_273:
	s_or_b32 exec_lo, exec_lo, s16
.LBB156_274:
	s_andn2_saveexec_b32 s16, s11
	s_cbranch_execz .LBB156_276
; %bb.275:
	v_cvt_i32_f32_e32 v18, v19
	s_mov_b32 s11, 0x3805ff67
	v_cvt_f32_i32_e32 v20, v18
	v_cmp_lt_i32_e64 s10, 2, v18
	v_sub_f32_e64 v20, |v5|, v20
	v_add_f32_e32 v21, 2.0, v20
	v_add_f32_e32 v22, 0x40400000, v20
	v_add_f32_e32 v23, 4.0, v20
	v_add_f32_e32 v24, 0x40a00000, v20
	v_cndmask_b32_e64 v21, 1.0, v21, s10
	v_cmp_lt_i32_e64 s10, 3, v18
	v_cndmask_b32_e64 v22, 1.0, v22, s10
	v_cmp_lt_i32_e64 s10, 4, v18
	v_mul_f32_e32 v21, v21, v22
	v_cndmask_b32_e64 v23, 1.0, v23, s10
	v_cmp_lt_i32_e64 s10, 5, v18
	v_add_f32_e32 v22, 0x40c00000, v20
	v_mul_f32_e32 v21, v23, v21
	v_cndmask_b32_e64 v24, 1.0, v24, s10
	v_cmp_lt_i32_e64 s10, 6, v18
	v_fmaak_f32 v23, s11, v20, 0x3af135b4
	v_mul_f32_e32 v21, v24, v21
	v_cndmask_b32_e64 v18, 1.0, v22, s10
	s_mov_b32 s10, 0x36f5d7bd
	v_mul_f32_e32 v18, v18, v21
	v_fmaak_f32 v21, s10, v20, 0x3a4beed6
	v_cmp_gt_f32_e64 s10, 0x800000, v18
	v_fmaak_f32 v21, v20, v21, 0x3c98bf54
	v_cndmask_b32_e64 v22, 0, 32, s10
	v_fmaak_f32 v21, v20, v21, 0x3e300f6e
	v_ldexp_f32 v18, v18, v22
	v_fmaak_f32 v22, v20, v23, 0x3cda40e4
	v_fmaak_f32 v21, v20, v21, 0x3f38d0c5
	v_log_f32_e32 v18, v18
	v_fmaak_f32 v22, v20, v22, 0x3e15dce6
	v_fmaak_f32 v21, v20, v21, 0x3fb22d3b
	;; [unrolled: 1-line block ×3, first 2 shown]
	v_fma_f32 v21, v20, v21, 1.0
	v_mul_f32_e32 v23, 0x3f317217, v18
	v_fmaak_f32 v22, v20, v22, 0x3e5c245a
	v_rcp_f32_e32 v21, v21
	v_cmp_gt_f32_e64 s11, 0x7f800000, |v18|
	v_fma_f32 v24, 0x3f317217, v18, -v23
	v_fmaak_f32 v22, v20, v22, 0xbd9e233f
	v_fmamk_f32 v24, v18, 0x3377d1cf, v24
	v_mul_f32_e32 v22, v20, v22
	v_add_f32_e32 v23, v23, v24
	v_mul_f32_e32 v21, v22, v21
	v_cndmask_b32_e64 v22, 0, 0x41b17218, s10
	v_cndmask_b32_e64 v18, v18, v23, s11
	v_fmac_f32_e32 v21, 0.5, v20
	v_sub_f32_e32 v18, v18, v22
	v_add_f32_e32 v18, v18, v21
.LBB156_276:
	s_or_b32 exec_lo, exec_lo, s16
.LBB156_277:
	s_andn2_saveexec_b32 s13, s13
	s_cbranch_execz .LBB156_295
; %bb.278:
                                        ; implicit-def: $vgpr18
                                        ; implicit-def: $vgpr21
                                        ; implicit-def: $vgpr20
	s_mov_b32 s11, exec_lo
	v_cmpx_ge_f32_e64 0x3f666666, |v5|
	s_xor_b32 s16, exec_lo, s11
	s_cbranch_execz .LBB156_280
; %bb.279:
	v_cmp_gt_f32_e64 s11, 0x800000, |v5|
	v_sub_f32_e64 v22, 1.0, |v5|
	v_cmp_gt_f32_e64 s10, 0x3f3b4a23, |v5|
	v_cndmask_b32_e64 v18, 0, 32, s11
	v_cndmask_b32_e64 v23, 0, 0x41b17218, s11
	v_ldexp_f32 v18, |v5|, v18
	v_log_f32_e32 v18, v18
	v_mul_f32_e32 v20, 0x3f317217, v18
	v_cmp_gt_f32_e64 s11, 0x7f800000, |v18|
	v_fma_f32 v21, 0x3f317217, v18, -v20
	v_fmamk_f32 v21, v18, 0x3377d1cf, v21
	v_add_f32_e32 v20, v20, v21
	v_add_f32_e64 v21, 0xbeec5b0c, |v5|
	v_cndmask_b32_e64 v18, v18, v20, s11
	v_cndmask_b32_e64 v20, v22, v21, s10
	;; [unrolled: 1-line block ×3, first 2 shown]
	v_cmp_gt_f32_e64 s10, 0x3e6d3309, |v5|
	v_sub_f32_e32 v18, v18, v23
	v_cndmask_b32_e64 v20, v20, |v5|, s10
	v_cndmask_b32_e64 v21, v21, 2, s10
	v_xor_b32_e32 v18, 0x80000000, v18
.LBB156_280:
	s_andn2_saveexec_b32 s11, s16
	s_cbranch_execz .LBB156_282
; %bb.281:
	v_sub_f32_e64 v18, 2.0, |v5|
	v_add_f32_e64 v20, 0xbfbb16c3, |v5|
	v_cmp_gt_f32_e64 s10, 0x3fdda512, |v5|
	v_add_f32_e64 v21, |v5|, -1.0
	v_cndmask_b32_e64 v20, v18, v20, s10
	v_cndmask_b32_e64 v18, v18, 1.0, s10
	v_cmp_gt_f32_e64 s10, 0x3f9d70a4, |v5|
	v_cvt_i32_f32_e32 v18, v18
	v_cndmask_b32_e64 v20, v20, v21, s10
	v_cndmask_b32_e64 v21, v18, 2, s10
	v_mov_b32_e32 v18, 0
.LBB156_282:
	s_or_b32 exec_lo, exec_lo, s11
	s_mov_b32 s11, exec_lo
	v_cmpx_lt_i32_e32 0, v21
	s_xor_b32 s11, exec_lo, s11
	s_cbranch_execz .LBB156_290
; %bb.283:
	s_mov_b32 s16, exec_lo
	v_cmpx_lt_i32_e32 1, v21
	s_xor_b32 s16, exec_lo, s16
	s_cbranch_execz .LBB156_287
; %bb.284:
	s_mov_b32 s17, exec_lo
	v_cmpx_eq_u32_e32 2, v21
	s_cbranch_execz .LBB156_286
; %bb.285:
	s_mov_b32 s10, 0x3b52d5db
	v_fmaak_f32 v21, s10, v20, 0x3dd572af
	s_mov_b32 s10, 0x3c5b3c5e
	v_fmaak_f32 v22, s10, v20, 0x3e6a7578
	v_fmaak_f32 v21, v20, v21, 0x3f44efdf
	;; [unrolled: 1-line block ×7, first 2 shown]
	v_fma_f32 v21, v20, v21, 1.0
	v_fmaak_f32 v22, v20, v22, 0xbd9e233f
	v_rcp_f32_e32 v21, v21
	v_mul_f32_e32 v22, v20, v22
	v_mul_f32_e32 v21, v22, v21
	v_fmac_f32_e32 v21, -0.5, v20
	v_add_f32_e32 v18, v18, v21
.LBB156_286:
	s_or_b32 exec_lo, exec_lo, s17
                                        ; implicit-def: $vgpr20
.LBB156_287:
	s_andn2_saveexec_b32 s10, s16
	s_cbranch_execz .LBB156_289
; %bb.288:
	v_mul_f32_e32 v21, v20, v20
	s_mov_b32 s16, 0xb9a3f927
	s_mov_b32 s17, 0x39afe9f7
	v_mul_f32_e32 v22, v20, v21
	v_fmaak_f32 v23, s16, v22, 0x3a66f867
	v_fmaak_f32 v24, s17, v22, 0xba0d3085
	s_mov_b32 s16, 0x39a57b6b
	v_fmaak_f32 v25, s16, v22, 0xbab7f476
	v_fmaak_f32 v23, v22, v23, 0xbb7177fe
	;; [unrolled: 1-line block ×9, first 2 shown]
	v_fmac_f32_e32 v23, v20, v24
	v_fmaak_f32 v20, v22, v25, 0x3ef7b95e
	v_fma_f32 v22, v22, -v23, 0xa2863e55
	v_fma_f32 v20, v21, v20, -v22
	v_add_f32_e32 v20, 0xbdf8cdce, v20
	v_add_f32_e32 v18, v18, v20
.LBB156_289:
	s_or_b32 exec_lo, exec_lo, s10
                                        ; implicit-def: $vgpr21
                                        ; implicit-def: $vgpr20
.LBB156_290:
	s_andn2_saveexec_b32 s11, s11
	s_cbranch_execz .LBB156_294
; %bb.291:
	s_mov_b32 s16, exec_lo
	v_cmpx_eq_u32_e32 0, v21
	s_cbranch_execz .LBB156_293
; %bb.292:
	v_mul_f32_e32 v21, v20, v20
	s_mov_b32 s10, 0x383c2c75
	v_fmaak_f32 v22, s10, v21, 0x38e28445
	s_mov_b32 s10, 0x37d383a2
	v_fmaak_f32 v23, s10, v21, 0x39679767
	v_fmaak_f32 v22, v21, v22, 0x3a05b634
	;; [unrolled: 1-line block ×9, first 2 shown]
	v_mul_f32_e32 v21, v21, v22
	v_fmac_f32_e32 v21, v20, v23
	v_fmac_f32_e32 v21, -0.5, v20
	v_add_f32_e32 v18, v18, v21
.LBB156_293:
	s_or_b32 exec_lo, exec_lo, s16
.LBB156_294:
	s_or_b32 exec_lo, exec_lo, s11
.LBB156_295:
	s_or_b32 exec_lo, exec_lo, s13
.LBB156_296:
	s_andn2_saveexec_b32 s11, s12
	s_cbranch_execz .LBB156_298
; %bb.297:
	v_cmp_gt_f32_e64 s12, 0x800000, |v5|
	s_mov_b32 s10, 0x3e8a8991
	v_fma_f32 v22, |v5|, s10, 0xbecd26ab
	v_cndmask_b32_e64 v18, 0, 32, s12
	v_ldexp_f32 v18, |v5|, v18
	v_log_f32_e32 v18, v18
	v_mul_f32_e32 v20, 0x3f317217, v18
	v_cmp_gt_f32_e64 s10, 0x7f800000, |v18|
	v_fma_f32 v21, 0x3f317217, v18, -v20
	v_fmamk_f32 v21, v18, 0x3377d1cf, v21
	v_add_f32_e32 v20, v20, v21
	v_fma_f32 v21, |v5|, v22, 0x3f528d33
	v_cndmask_b32_e64 v18, v18, v20, s10
	v_cndmask_b32_e64 v20, 0, 0x41b17218, s12
	v_fma_f32 v21, |v5|, v21, 0xbf13c468
	v_sub_f32_e32 v18, v18, v20
	v_fma_f32 v18, |v5|, v21, -v18
.LBB156_298:
	s_or_b32 exec_lo, exec_lo, s11
	v_cmp_le_f32_e64 s10, 0, v5
	s_mov_b32 s12, exec_lo
	v_cmpx_nle_f32_e32 0, v5
	s_xor_b32 s13, exec_lo, s12
	s_cbranch_execz .LBB156_302
; %bb.299:
	v_cmp_gt_f32_e64 s11, 0x4b000000, |v5|
	v_cmp_lt_f32_e64 s12, 0x35000000, |v5|
	s_and_b32 s11, s11, s12
	s_and_saveexec_b32 s16, s11
	s_cbranch_execz .LBB156_301
; %bb.300:
	v_mul_f32_e64 v20, |v5|, 0.5
	s_mov_b32 s12, 0x3d4be544
	v_floor_f32_e32 v21, v20
	v_cmp_neq_f32_e64 s11, 0x7f800000, v20
	v_sub_f32_e32 v21, v20, v21
	v_min_f32_e32 v21, 0x3f7fffff, v21
	v_add_f32_e32 v21, v21, v21
	v_cndmask_b32_e64 v20, 0, v21, s11
	v_cmp_gt_f32_e64 s11, |v5|, 1.0
	v_cndmask_b32_e64 v20, |v5|, v20, s11
	s_mov_b32 s11, 0x3e75aa41
	v_add_f32_e32 v21, v20, v20
	v_rndne_f32_e32 v21, v21
	v_fmac_f32_e32 v20, -0.5, v21
	v_cvt_i32_f32_e32 v21, v21
	v_mul_f32_e32 v22, v20, v20
	v_fmaak_f32 v23, s11, v22, 0xbf1f24be
	v_fmaak_f32 v24, s12, v22, 0x3e642e9d
	v_mul_f32_e32 v25, v20, v22
	v_fmaak_f32 v23, v22, v23, 0x40234736
	v_fmaak_f32 v24, v22, v24, 0xbfaad1da
	;; [unrolled: 1-line block ×4, first 2 shown]
	v_mul_f32_e32 v23, v25, v23
	v_fmaak_f32 v24, v22, v24, 0xc09de9e6
	v_and_b32_e32 v25, 1, v21
	v_lshlrev_b32_e32 v21, 30, v21
	v_fmamk_f32 v20, v20, 0x40490fdb, v23
	v_fma_f32 v22, v22, v24, 1.0
	v_cmp_eq_u32_e64 s11, 0, v25
	v_and_or_b32 v19, 0x80000000, v21, v19
	v_cndmask_b32_e64 v20, v22, v20, s11
	v_xor3_b32 v19, v19, v20, v5
	v_mul_f32_e32 v19, v5, v19
	v_frexp_mant_f32_e64 v20, |v19|
	v_frexp_exp_i32_f32_e32 v19, v19
	v_rcp_f32_e32 v20, v20
	v_sub_nc_u32_e32 v19, 2, v19
	v_mul_f32_e32 v20, 0x3f490fdb, v20
	v_ldexp_f32 v19, v20, v19
	v_cmp_gt_f32_e64 s11, 0x800000, v19
	v_cndmask_b32_e64 v20, 0, 32, s11
	v_ldexp_f32 v19, v19, v20
	v_log_f32_e32 v19, v19
	v_mul_f32_e32 v20, 0x3f317217, v19
	v_cmp_gt_f32_e64 s12, 0x7f800000, |v19|
	v_fma_f32 v21, 0x3f317217, v19, -v20
	v_fmamk_f32 v21, v19, 0x3377d1cf, v21
	v_add_f32_e32 v20, v20, v21
	v_floor_f32_e32 v21, v5
	v_cndmask_b32_e64 v19, v19, v20, s12
	v_cndmask_b32_e64 v20, 0, 0x41b17218, s11
	v_sub_f32_e32 v21, v5, v21
	v_sub_f32_e32 v19, v19, v20
	v_min_f32_e32 v20, 0x3f7fffff, v21
	v_sub_f32_e32 v18, v19, v18
	v_cmp_neq_f32_e64 s11, 0, v20
	v_cndmask_b32_e64 v18, 0x7f800000, v18, s11
.LBB156_301:
	s_or_b32 exec_lo, exec_lo, s16
.LBB156_302:
	s_andn2_saveexec_b32 s13, s13
; %bb.303:
	v_cmp_eq_f32_e64 s11, 1.0, v5
	v_cmp_eq_f32_e64 s12, 2.0, v5
	s_or_b32 s11, s11, s12
	v_cndmask_b32_e64 v18, v18, 0, s11
; %bb.304:
	s_or_b32 exec_lo, exec_lo, s13
	v_cmp_gt_f32_e64 s11, 0x4b000000, |v16|
	v_cmp_gt_f32_e64 s12, 0x4b000000, |v4|
	;; [unrolled: 1-line block ×3, first 2 shown]
	s_or_b32 s9, s9, s11
	s_or_b32 s8, s8, s12
	v_cndmask_b32_e64 v17, 0x7f800000, v17, s9
	v_cmp_class_f32_e64 s9, v16, 0x264
	s_or_b32 s7, s7, s13
	v_cndmask_b32_e64 v15, 0x7f800000, v15, s8
	v_cndmask_b32_e64 v14, 0x7f800000, v14, s7
	v_cmp_u_f32_e64 s7, v16, v16
	v_cndmask_b32_e64 v17, v17, 0x7f800000, s9
	v_cmp_class_f32_e64 s9, v4, 0x264
	v_cmp_gt_f32_e64 s8, 0x4b000000, |v3|
	v_cndmask_b32_e64 v16, v17, v16, s7
	v_cndmask_b32_e64 v15, v15, 0x7f800000, s9
	v_cmp_u_f32_e64 s7, v4, v4
	s_or_b32 s6, s6, s8
	v_cmp_gt_f32_e64 s9, 0x4b000000, |v10|
	v_cndmask_b32_e64 v12, 0x7f800000, v12, s6
	v_cmp_class_f32_e64 s6, v3, 0x264
	v_cndmask_b32_e64 v4, v15, v4, s7
	v_cmp_class_f32_e64 s7, v13, 0x264
	v_bfe_u32 v15, v16, 16, 1
	s_or_b32 s5, s5, s9
	v_cndmask_b32_e64 v12, v12, 0x7f800000, s6
	v_bfe_u32 v17, v4, 16, 1
	v_cndmask_b32_e64 v14, v14, 0x7f800000, s7
	v_cmp_u_f32_e64 s7, v13, v13
	v_cmp_o_f32_e64 s6, v16, v16
	v_cndmask_b32_e64 v11, 0x7f800000, v11, s5
	v_cmp_o_f32_e64 s5, v4, v4
	v_cndmask_b32_e64 v13, v14, v13, s7
	v_add3_u32 v14, v16, v15, 0x7fff
	v_add3_u32 v15, v4, v17, 0x7fff
	v_bfe_u32 v17, v13, 16, 1
	v_lshrrev_b32_e32 v14, 16, v14
	v_lshrrev_b32_e32 v15, 16, v15
	v_add3_u32 v16, v13, v17, 0x7fff
	v_cndmask_b32_e64 v14, 0x7fc0, v14, s6
	v_cmp_u_f32_e64 s6, v3, v3
	v_lshrrev_b32_e32 v4, 16, v16
	v_cndmask_b32_e64 v3, v12, v3, s6
	v_cndmask_b32_e64 v12, 0x7fc0, v15, s5
	v_cmp_class_f32_e64 s5, v10, 0x264
	v_cmp_gt_f32_e64 s6, 0x4b000000, |v2|
	v_bfe_u32 v15, v3, 16, 1
	v_cndmask_b32_e64 v11, v11, 0x7f800000, s5
	v_cmp_o_f32_e64 s5, v13, v13
	s_or_b32 s4, s4, s6
	v_cndmask_b32_e64 v9, 0x7f800000, v9, s4
	v_cmp_gt_f32_e64 s4, 0x4b000000, |v7|
	v_cndmask_b32_e64 v13, 0x7fc0, v4, s5
	v_cmp_u_f32_e64 s5, v10, v10
	v_add3_u32 v4, v3, v15, 0x7fff
	s_or_b32 vcc_lo, vcc_lo, s4
	v_cmp_gt_f32_e64 s4, 0x4b000000, |v5|
	v_cndmask_b32_e64 v10, v11, v10, s5
	v_cmp_class_f32_e64 s5, v2, 0x264
	v_cndmask_b32_e32 v8, 0x7f800000, v8, vcc_lo
	v_cmp_u_f32_e32 vcc_lo, v2, v2
	v_lshrrev_b32_e32 v4, 16, v4
	v_bfe_u32 v11, v10, 16, 1
	v_cndmask_b32_e64 v9, v9, 0x7f800000, s5
	v_cmp_class_f32_e64 s5, v7, 0x264
	v_cndmask_b32_e32 v2, v9, v2, vcc_lo
	s_or_b32 vcc_lo, s10, s4
	v_cndmask_b32_e64 v8, v8, 0x7f800000, s5
	v_cndmask_b32_e32 v9, 0x7f800000, v18, vcc_lo
	v_cmp_u_f32_e32 vcc_lo, v7, v7
	v_cmp_class_f32_e64 s4, v5, 0x264
	v_bfe_u32 v15, v2, 16, 1
	v_cndmask_b32_e32 v7, v8, v7, vcc_lo
	v_cndmask_b32_e64 v8, v9, 0x7f800000, s4
	v_cmp_u_f32_e32 vcc_lo, v5, v5
	v_add3_u32 v9, v10, v11, 0x7fff
	v_add3_u32 v11, v2, v15, 0x7fff
	v_bfe_u32 v15, v7, 16, 1
	v_cndmask_b32_e32 v5, v8, v5, vcc_lo
	v_cmp_o_f32_e32 vcc_lo, v3, v3
	v_lshrrev_b32_e32 v3, 16, v9
	v_lshrrev_b32_e32 v11, 16, v11
	v_bfe_u32 v9, v5, 16, 1
	v_cndmask_b32_e32 v8, 0x7fc0, v4, vcc_lo
	v_cmp_o_f32_e32 vcc_lo, v10, v10
	v_add3_u32 v4, v7, v15, 0x7fff
	v_cndmask_b32_e32 v10, 0x7fc0, v3, vcc_lo
	v_cmp_o_f32_e32 vcc_lo, v2, v2
	v_lshrrev_b32_e32 v3, 16, v4
	v_add3_u32 v4, v5, v9, 0x7fff
	v_cndmask_b32_e32 v9, 0x7fc0, v11, vcc_lo
	v_cmp_o_f32_e32 vcc_lo, v7, v7
	v_lshrrev_b32_e32 v2, 16, v4
	v_cndmask_b32_e32 v7, 0x7fc0, v3, vcc_lo
	v_add_co_u32 v0, vcc_lo, v0, s14
	v_add_co_ci_u32_e64 v1, null, s15, v1, vcc_lo
	v_cmp_o_f32_e32 vcc_lo, v5, v5
	v_cndmask_b32_e32 v2, 0x7fc0, v2, vcc_lo
	v_add_co_u32 v4, vcc_lo, v0, v6
	v_add_co_ci_u32_e64 v5, null, 0, v1, vcc_lo
	v_perm_b32 v3, v2, v14, 0x5040100
	v_perm_b32 v2, v12, v13, 0x5040100
	;; [unrolled: 1-line block ×4, first 2 shown]
	flat_store_dwordx4 v[4:5], v[0:3]
	s_waitcnt lgkmcnt(0)
	s_setpc_b64 s[30:31]
.Lfunc_end156:
	.size	_ZN2at6native25elementwise_kernel_helperILb0EZZZNS0_18lgamma_kernel_cudaERNS_18TensorIteratorBaseEENKUlvE_clEvENKUlvE2_clEvEUlN3c108BFloat16EE_NS0_6memory8policies10vectorizedILi8ESt5arrayIPcLm2EELi8EEEEEvT0_T1_, .Lfunc_end156-_ZN2at6native25elementwise_kernel_helperILb0EZZZNS0_18lgamma_kernel_cudaERNS_18TensorIteratorBaseEENKUlvE_clEvENKUlvE2_clEvEUlN3c108BFloat16EE_NS0_6memory8policies10vectorizedILi8ESt5arrayIPcLm2EELi8EEEEEvT0_T1_
                                        ; -- End function
	.set .L_ZN2at6native25elementwise_kernel_helperILb0EZZZNS0_18lgamma_kernel_cudaERNS_18TensorIteratorBaseEENKUlvE_clEvENKUlvE2_clEvEUlN3c108BFloat16EE_NS0_6memory8policies10vectorizedILi8ESt5arrayIPcLm2EELi8EEEEEvT0_T1_.num_vgpr, 32
	.set .L_ZN2at6native25elementwise_kernel_helperILb0EZZZNS0_18lgamma_kernel_cudaERNS_18TensorIteratorBaseEENKUlvE_clEvENKUlvE2_clEvEUlN3c108BFloat16EE_NS0_6memory8policies10vectorizedILi8ESt5arrayIPcLm2EELi8EEEEEvT0_T1_.num_agpr, 0
	.set .L_ZN2at6native25elementwise_kernel_helperILb0EZZZNS0_18lgamma_kernel_cudaERNS_18TensorIteratorBaseEENKUlvE_clEvENKUlvE2_clEvEUlN3c108BFloat16EE_NS0_6memory8policies10vectorizedILi8ESt5arrayIPcLm2EELi8EEEEEvT0_T1_.numbered_sgpr, 32
	.set .L_ZN2at6native25elementwise_kernel_helperILb0EZZZNS0_18lgamma_kernel_cudaERNS_18TensorIteratorBaseEENKUlvE_clEvENKUlvE2_clEvEUlN3c108BFloat16EE_NS0_6memory8policies10vectorizedILi8ESt5arrayIPcLm2EELi8EEEEEvT0_T1_.num_named_barrier, 0
	.set .L_ZN2at6native25elementwise_kernel_helperILb0EZZZNS0_18lgamma_kernel_cudaERNS_18TensorIteratorBaseEENKUlvE_clEvENKUlvE2_clEvEUlN3c108BFloat16EE_NS0_6memory8policies10vectorizedILi8ESt5arrayIPcLm2EELi8EEEEEvT0_T1_.private_seg_size, 0
	.set .L_ZN2at6native25elementwise_kernel_helperILb0EZZZNS0_18lgamma_kernel_cudaERNS_18TensorIteratorBaseEENKUlvE_clEvENKUlvE2_clEvEUlN3c108BFloat16EE_NS0_6memory8policies10vectorizedILi8ESt5arrayIPcLm2EELi8EEEEEvT0_T1_.uses_vcc, 1
	.set .L_ZN2at6native25elementwise_kernel_helperILb0EZZZNS0_18lgamma_kernel_cudaERNS_18TensorIteratorBaseEENKUlvE_clEvENKUlvE2_clEvEUlN3c108BFloat16EE_NS0_6memory8policies10vectorizedILi8ESt5arrayIPcLm2EELi8EEEEEvT0_T1_.uses_flat_scratch, 0
	.set .L_ZN2at6native25elementwise_kernel_helperILb0EZZZNS0_18lgamma_kernel_cudaERNS_18TensorIteratorBaseEENKUlvE_clEvENKUlvE2_clEvEUlN3c108BFloat16EE_NS0_6memory8policies10vectorizedILi8ESt5arrayIPcLm2EELi8EEEEEvT0_T1_.has_dyn_sized_stack, 0
	.set .L_ZN2at6native25elementwise_kernel_helperILb0EZZZNS0_18lgamma_kernel_cudaERNS_18TensorIteratorBaseEENKUlvE_clEvENKUlvE2_clEvEUlN3c108BFloat16EE_NS0_6memory8policies10vectorizedILi8ESt5arrayIPcLm2EELi8EEEEEvT0_T1_.has_recursion, 0
	.set .L_ZN2at6native25elementwise_kernel_helperILb0EZZZNS0_18lgamma_kernel_cudaERNS_18TensorIteratorBaseEENKUlvE_clEvENKUlvE2_clEvEUlN3c108BFloat16EE_NS0_6memory8policies10vectorizedILi8ESt5arrayIPcLm2EELi8EEEEEvT0_T1_.has_indirect_call, 0
	.section	.AMDGPU.csdata,"",@progbits
; Function info:
; codeLenInByte = 19112
; TotalNumSgprs: 34
; NumVgprs: 32
; ScratchSize: 0
; MemoryBound: 0
	.section	.text._ZN2at6native29vectorized_elementwise_kernelILi16EZZZNS0_18lgamma_kernel_cudaERNS_18TensorIteratorBaseEENKUlvE_clEvENKUlvE2_clEvEUlN3c108BFloat16EE_St5arrayIPcLm2EEEEviT0_T1_,"axG",@progbits,_ZN2at6native29vectorized_elementwise_kernelILi16EZZZNS0_18lgamma_kernel_cudaERNS_18TensorIteratorBaseEENKUlvE_clEvENKUlvE2_clEvEUlN3c108BFloat16EE_St5arrayIPcLm2EEEEviT0_T1_,comdat
	.globl	_ZN2at6native29vectorized_elementwise_kernelILi16EZZZNS0_18lgamma_kernel_cudaERNS_18TensorIteratorBaseEENKUlvE_clEvENKUlvE2_clEvEUlN3c108BFloat16EE_St5arrayIPcLm2EEEEviT0_T1_ ; -- Begin function _ZN2at6native29vectorized_elementwise_kernelILi16EZZZNS0_18lgamma_kernel_cudaERNS_18TensorIteratorBaseEENKUlvE_clEvENKUlvE2_clEvEUlN3c108BFloat16EE_St5arrayIPcLm2EEEEviT0_T1_
	.p2align	8
	.type	_ZN2at6native29vectorized_elementwise_kernelILi16EZZZNS0_18lgamma_kernel_cudaERNS_18TensorIteratorBaseEENKUlvE_clEvENKUlvE2_clEvEUlN3c108BFloat16EE_St5arrayIPcLm2EEEEviT0_T1_,@function
_ZN2at6native29vectorized_elementwise_kernelILi16EZZZNS0_18lgamma_kernel_cudaERNS_18TensorIteratorBaseEENKUlvE_clEvENKUlvE2_clEvEUlN3c108BFloat16EE_St5arrayIPcLm2EEEEviT0_T1_: ; @_ZN2at6native29vectorized_elementwise_kernelILi16EZZZNS0_18lgamma_kernel_cudaERNS_18TensorIteratorBaseEENKUlvE_clEvENKUlvE2_clEvEUlN3c108BFloat16EE_St5arrayIPcLm2EEEEviT0_T1_
; %bb.0:
	s_mov_b32 s18, s6
	s_clause 0x1
	s_load_dword s6, s[4:5], 0x0
	s_load_dwordx4 s[20:23], s[4:5], 0x8
	s_add_u32 s0, s0, s7
	s_addc_u32 s1, s1, 0
	s_lshl_b32 s4, s18, 11
	v_mov_b32_e32 v31, v0
	s_mov_b32 s32, 0
	s_waitcnt lgkmcnt(0)
	s_sub_i32 s19, s6, s4
	s_mov_b32 s4, -1
	s_cmpk_gt_i32 s19, 0x7ff
	s_cbranch_scc1 .LBB157_3
; %bb.1:
	s_andn2_b32 vcc_lo, exec_lo, s4
	s_cbranch_vccz .LBB157_4
.LBB157_2:
	s_endpgm
.LBB157_3:
	v_mov_b32_e32 v0, s20
	v_mov_b32_e32 v1, s21
	;; [unrolled: 1-line block ×4, first 2 shown]
	s_getpc_b64 s[4:5]
	s_add_u32 s4, s4, _ZN2at6native25elementwise_kernel_helperILb0EZZZNS0_18lgamma_kernel_cudaERNS_18TensorIteratorBaseEENKUlvE_clEvENKUlvE2_clEvEUlN3c108BFloat16EE_NS0_6memory8policies10vectorizedILi8ESt5arrayIPcLm2EELi8EEEEEvT0_T1_@rel32@lo+4
	s_addc_u32 s5, s5, _ZN2at6native25elementwise_kernel_helperILb0EZZZNS0_18lgamma_kernel_cudaERNS_18TensorIteratorBaseEENKUlvE_clEvENKUlvE2_clEvEUlN3c108BFloat16EE_NS0_6memory8policies10vectorizedILi8ESt5arrayIPcLm2EELi8EEEEEvT0_T1_@rel32@hi+12
	s_mov_b32 s12, s18
	s_swappc_b64 s[30:31], s[4:5]
	s_cbranch_execnz .LBB157_2
.LBB157_4:
	v_mov_b32_e32 v0, s20
	v_mov_b32_e32 v1, s21
	;; [unrolled: 1-line block ×5, first 2 shown]
	s_getpc_b64 s[4:5]
	s_add_u32 s4, s4, _ZN2at6native25elementwise_kernel_helperILb0EZZZNS0_18lgamma_kernel_cudaERNS_18TensorIteratorBaseEENKUlvE_clEvENKUlvE2_clEvEUlN3c108BFloat16EE_NS0_6memory8policies11unroll_baseILi256ESt5arrayIPcLm2EE23TrivialOffsetCalculatorILi1EjESG_NS9_15LoadWithoutCastENS9_16StoreWithoutCastELi8ELi1EEEEEvT0_T1_@rel32@lo+4
	s_addc_u32 s5, s5, _ZN2at6native25elementwise_kernel_helperILb0EZZZNS0_18lgamma_kernel_cudaERNS_18TensorIteratorBaseEENKUlvE_clEvENKUlvE2_clEvEUlN3c108BFloat16EE_NS0_6memory8policies11unroll_baseILi256ESt5arrayIPcLm2EE23TrivialOffsetCalculatorILi1EjESG_NS9_15LoadWithoutCastENS9_16StoreWithoutCastELi8ELi1EEEEEvT0_T1_@rel32@hi+12
	s_mov_b32 s12, s18
	s_swappc_b64 s[30:31], s[4:5]
	s_endpgm
	.section	.rodata,"a",@progbits
	.p2align	6, 0x0
	.amdhsa_kernel _ZN2at6native29vectorized_elementwise_kernelILi16EZZZNS0_18lgamma_kernel_cudaERNS_18TensorIteratorBaseEENKUlvE_clEvENKUlvE2_clEvEUlN3c108BFloat16EE_St5arrayIPcLm2EEEEviT0_T1_
		.amdhsa_group_segment_fixed_size 0
		.amdhsa_private_segment_fixed_size 0
		.amdhsa_kernarg_size 24
		.amdhsa_user_sgpr_count 6
		.amdhsa_user_sgpr_private_segment_buffer 1
		.amdhsa_user_sgpr_dispatch_ptr 0
		.amdhsa_user_sgpr_queue_ptr 0
		.amdhsa_user_sgpr_kernarg_segment_ptr 1
		.amdhsa_user_sgpr_dispatch_id 0
		.amdhsa_user_sgpr_flat_scratch_init 0
		.amdhsa_user_sgpr_private_segment_size 0
		.amdhsa_wavefront_size32 1
		.amdhsa_uses_dynamic_stack 0
		.amdhsa_system_sgpr_private_segment_wavefront_offset 0
		.amdhsa_system_sgpr_workgroup_id_x 1
		.amdhsa_system_sgpr_workgroup_id_y 0
		.amdhsa_system_sgpr_workgroup_id_z 0
		.amdhsa_system_sgpr_workgroup_info 0
		.amdhsa_system_vgpr_workitem_id 0
		.amdhsa_next_free_vgpr 32
		.amdhsa_next_free_sgpr 33
		.amdhsa_reserve_vcc 1
		.amdhsa_reserve_flat_scratch 0
		.amdhsa_float_round_mode_32 0
		.amdhsa_float_round_mode_16_64 0
		.amdhsa_float_denorm_mode_32 3
		.amdhsa_float_denorm_mode_16_64 3
		.amdhsa_dx10_clamp 1
		.amdhsa_ieee_mode 1
		.amdhsa_fp16_overflow 0
		.amdhsa_workgroup_processor_mode 1
		.amdhsa_memory_ordered 1
		.amdhsa_forward_progress 1
		.amdhsa_shared_vgpr_count 0
		.amdhsa_exception_fp_ieee_invalid_op 0
		.amdhsa_exception_fp_denorm_src 0
		.amdhsa_exception_fp_ieee_div_zero 0
		.amdhsa_exception_fp_ieee_overflow 0
		.amdhsa_exception_fp_ieee_underflow 0
		.amdhsa_exception_fp_ieee_inexact 0
		.amdhsa_exception_int_div_zero 0
	.end_amdhsa_kernel
	.section	.text._ZN2at6native29vectorized_elementwise_kernelILi16EZZZNS0_18lgamma_kernel_cudaERNS_18TensorIteratorBaseEENKUlvE_clEvENKUlvE2_clEvEUlN3c108BFloat16EE_St5arrayIPcLm2EEEEviT0_T1_,"axG",@progbits,_ZN2at6native29vectorized_elementwise_kernelILi16EZZZNS0_18lgamma_kernel_cudaERNS_18TensorIteratorBaseEENKUlvE_clEvENKUlvE2_clEvEUlN3c108BFloat16EE_St5arrayIPcLm2EEEEviT0_T1_,comdat
.Lfunc_end157:
	.size	_ZN2at6native29vectorized_elementwise_kernelILi16EZZZNS0_18lgamma_kernel_cudaERNS_18TensorIteratorBaseEENKUlvE_clEvENKUlvE2_clEvEUlN3c108BFloat16EE_St5arrayIPcLm2EEEEviT0_T1_, .Lfunc_end157-_ZN2at6native29vectorized_elementwise_kernelILi16EZZZNS0_18lgamma_kernel_cudaERNS_18TensorIteratorBaseEENKUlvE_clEvENKUlvE2_clEvEUlN3c108BFloat16EE_St5arrayIPcLm2EEEEviT0_T1_
                                        ; -- End function
	.set _ZN2at6native29vectorized_elementwise_kernelILi16EZZZNS0_18lgamma_kernel_cudaERNS_18TensorIteratorBaseEENKUlvE_clEvENKUlvE2_clEvEUlN3c108BFloat16EE_St5arrayIPcLm2EEEEviT0_T1_.num_vgpr, max(32, .L_ZN2at6native25elementwise_kernel_helperILb0EZZZNS0_18lgamma_kernel_cudaERNS_18TensorIteratorBaseEENKUlvE_clEvENKUlvE2_clEvEUlN3c108BFloat16EE_NS0_6memory8policies10vectorizedILi8ESt5arrayIPcLm2EELi8EEEEEvT0_T1_.num_vgpr, .L_ZN2at6native25elementwise_kernel_helperILb0EZZZNS0_18lgamma_kernel_cudaERNS_18TensorIteratorBaseEENKUlvE_clEvENKUlvE2_clEvEUlN3c108BFloat16EE_NS0_6memory8policies11unroll_baseILi256ESt5arrayIPcLm2EE23TrivialOffsetCalculatorILi1EjESG_NS9_15LoadWithoutCastENS9_16StoreWithoutCastELi8ELi1EEEEEvT0_T1_.num_vgpr)
	.set _ZN2at6native29vectorized_elementwise_kernelILi16EZZZNS0_18lgamma_kernel_cudaERNS_18TensorIteratorBaseEENKUlvE_clEvENKUlvE2_clEvEUlN3c108BFloat16EE_St5arrayIPcLm2EEEEviT0_T1_.num_agpr, max(0, .L_ZN2at6native25elementwise_kernel_helperILb0EZZZNS0_18lgamma_kernel_cudaERNS_18TensorIteratorBaseEENKUlvE_clEvENKUlvE2_clEvEUlN3c108BFloat16EE_NS0_6memory8policies10vectorizedILi8ESt5arrayIPcLm2EELi8EEEEEvT0_T1_.num_agpr, .L_ZN2at6native25elementwise_kernel_helperILb0EZZZNS0_18lgamma_kernel_cudaERNS_18TensorIteratorBaseEENKUlvE_clEvENKUlvE2_clEvEUlN3c108BFloat16EE_NS0_6memory8policies11unroll_baseILi256ESt5arrayIPcLm2EE23TrivialOffsetCalculatorILi1EjESG_NS9_15LoadWithoutCastENS9_16StoreWithoutCastELi8ELi1EEEEEvT0_T1_.num_agpr)
	.set _ZN2at6native29vectorized_elementwise_kernelILi16EZZZNS0_18lgamma_kernel_cudaERNS_18TensorIteratorBaseEENKUlvE_clEvENKUlvE2_clEvEUlN3c108BFloat16EE_St5arrayIPcLm2EEEEviT0_T1_.numbered_sgpr, max(33, .L_ZN2at6native25elementwise_kernel_helperILb0EZZZNS0_18lgamma_kernel_cudaERNS_18TensorIteratorBaseEENKUlvE_clEvENKUlvE2_clEvEUlN3c108BFloat16EE_NS0_6memory8policies10vectorizedILi8ESt5arrayIPcLm2EELi8EEEEEvT0_T1_.numbered_sgpr, .L_ZN2at6native25elementwise_kernel_helperILb0EZZZNS0_18lgamma_kernel_cudaERNS_18TensorIteratorBaseEENKUlvE_clEvENKUlvE2_clEvEUlN3c108BFloat16EE_NS0_6memory8policies11unroll_baseILi256ESt5arrayIPcLm2EE23TrivialOffsetCalculatorILi1EjESG_NS9_15LoadWithoutCastENS9_16StoreWithoutCastELi8ELi1EEEEEvT0_T1_.numbered_sgpr)
	.set _ZN2at6native29vectorized_elementwise_kernelILi16EZZZNS0_18lgamma_kernel_cudaERNS_18TensorIteratorBaseEENKUlvE_clEvENKUlvE2_clEvEUlN3c108BFloat16EE_St5arrayIPcLm2EEEEviT0_T1_.num_named_barrier, max(0, .L_ZN2at6native25elementwise_kernel_helperILb0EZZZNS0_18lgamma_kernel_cudaERNS_18TensorIteratorBaseEENKUlvE_clEvENKUlvE2_clEvEUlN3c108BFloat16EE_NS0_6memory8policies10vectorizedILi8ESt5arrayIPcLm2EELi8EEEEEvT0_T1_.num_named_barrier, .L_ZN2at6native25elementwise_kernel_helperILb0EZZZNS0_18lgamma_kernel_cudaERNS_18TensorIteratorBaseEENKUlvE_clEvENKUlvE2_clEvEUlN3c108BFloat16EE_NS0_6memory8policies11unroll_baseILi256ESt5arrayIPcLm2EE23TrivialOffsetCalculatorILi1EjESG_NS9_15LoadWithoutCastENS9_16StoreWithoutCastELi8ELi1EEEEEvT0_T1_.num_named_barrier)
	.set _ZN2at6native29vectorized_elementwise_kernelILi16EZZZNS0_18lgamma_kernel_cudaERNS_18TensorIteratorBaseEENKUlvE_clEvENKUlvE2_clEvEUlN3c108BFloat16EE_St5arrayIPcLm2EEEEviT0_T1_.private_seg_size, 0+max(.L_ZN2at6native25elementwise_kernel_helperILb0EZZZNS0_18lgamma_kernel_cudaERNS_18TensorIteratorBaseEENKUlvE_clEvENKUlvE2_clEvEUlN3c108BFloat16EE_NS0_6memory8policies10vectorizedILi8ESt5arrayIPcLm2EELi8EEEEEvT0_T1_.private_seg_size, .L_ZN2at6native25elementwise_kernel_helperILb0EZZZNS0_18lgamma_kernel_cudaERNS_18TensorIteratorBaseEENKUlvE_clEvENKUlvE2_clEvEUlN3c108BFloat16EE_NS0_6memory8policies11unroll_baseILi256ESt5arrayIPcLm2EE23TrivialOffsetCalculatorILi1EjESG_NS9_15LoadWithoutCastENS9_16StoreWithoutCastELi8ELi1EEEEEvT0_T1_.private_seg_size)
	.set _ZN2at6native29vectorized_elementwise_kernelILi16EZZZNS0_18lgamma_kernel_cudaERNS_18TensorIteratorBaseEENKUlvE_clEvENKUlvE2_clEvEUlN3c108BFloat16EE_St5arrayIPcLm2EEEEviT0_T1_.uses_vcc, or(1, .L_ZN2at6native25elementwise_kernel_helperILb0EZZZNS0_18lgamma_kernel_cudaERNS_18TensorIteratorBaseEENKUlvE_clEvENKUlvE2_clEvEUlN3c108BFloat16EE_NS0_6memory8policies10vectorizedILi8ESt5arrayIPcLm2EELi8EEEEEvT0_T1_.uses_vcc, .L_ZN2at6native25elementwise_kernel_helperILb0EZZZNS0_18lgamma_kernel_cudaERNS_18TensorIteratorBaseEENKUlvE_clEvENKUlvE2_clEvEUlN3c108BFloat16EE_NS0_6memory8policies11unroll_baseILi256ESt5arrayIPcLm2EE23TrivialOffsetCalculatorILi1EjESG_NS9_15LoadWithoutCastENS9_16StoreWithoutCastELi8ELi1EEEEEvT0_T1_.uses_vcc)
	.set _ZN2at6native29vectorized_elementwise_kernelILi16EZZZNS0_18lgamma_kernel_cudaERNS_18TensorIteratorBaseEENKUlvE_clEvENKUlvE2_clEvEUlN3c108BFloat16EE_St5arrayIPcLm2EEEEviT0_T1_.uses_flat_scratch, or(0, .L_ZN2at6native25elementwise_kernel_helperILb0EZZZNS0_18lgamma_kernel_cudaERNS_18TensorIteratorBaseEENKUlvE_clEvENKUlvE2_clEvEUlN3c108BFloat16EE_NS0_6memory8policies10vectorizedILi8ESt5arrayIPcLm2EELi8EEEEEvT0_T1_.uses_flat_scratch, .L_ZN2at6native25elementwise_kernel_helperILb0EZZZNS0_18lgamma_kernel_cudaERNS_18TensorIteratorBaseEENKUlvE_clEvENKUlvE2_clEvEUlN3c108BFloat16EE_NS0_6memory8policies11unroll_baseILi256ESt5arrayIPcLm2EE23TrivialOffsetCalculatorILi1EjESG_NS9_15LoadWithoutCastENS9_16StoreWithoutCastELi8ELi1EEEEEvT0_T1_.uses_flat_scratch)
	.set _ZN2at6native29vectorized_elementwise_kernelILi16EZZZNS0_18lgamma_kernel_cudaERNS_18TensorIteratorBaseEENKUlvE_clEvENKUlvE2_clEvEUlN3c108BFloat16EE_St5arrayIPcLm2EEEEviT0_T1_.has_dyn_sized_stack, or(0, .L_ZN2at6native25elementwise_kernel_helperILb0EZZZNS0_18lgamma_kernel_cudaERNS_18TensorIteratorBaseEENKUlvE_clEvENKUlvE2_clEvEUlN3c108BFloat16EE_NS0_6memory8policies10vectorizedILi8ESt5arrayIPcLm2EELi8EEEEEvT0_T1_.has_dyn_sized_stack, .L_ZN2at6native25elementwise_kernel_helperILb0EZZZNS0_18lgamma_kernel_cudaERNS_18TensorIteratorBaseEENKUlvE_clEvENKUlvE2_clEvEUlN3c108BFloat16EE_NS0_6memory8policies11unroll_baseILi256ESt5arrayIPcLm2EE23TrivialOffsetCalculatorILi1EjESG_NS9_15LoadWithoutCastENS9_16StoreWithoutCastELi8ELi1EEEEEvT0_T1_.has_dyn_sized_stack)
	.set _ZN2at6native29vectorized_elementwise_kernelILi16EZZZNS0_18lgamma_kernel_cudaERNS_18TensorIteratorBaseEENKUlvE_clEvENKUlvE2_clEvEUlN3c108BFloat16EE_St5arrayIPcLm2EEEEviT0_T1_.has_recursion, or(0, .L_ZN2at6native25elementwise_kernel_helperILb0EZZZNS0_18lgamma_kernel_cudaERNS_18TensorIteratorBaseEENKUlvE_clEvENKUlvE2_clEvEUlN3c108BFloat16EE_NS0_6memory8policies10vectorizedILi8ESt5arrayIPcLm2EELi8EEEEEvT0_T1_.has_recursion, .L_ZN2at6native25elementwise_kernel_helperILb0EZZZNS0_18lgamma_kernel_cudaERNS_18TensorIteratorBaseEENKUlvE_clEvENKUlvE2_clEvEUlN3c108BFloat16EE_NS0_6memory8policies11unroll_baseILi256ESt5arrayIPcLm2EE23TrivialOffsetCalculatorILi1EjESG_NS9_15LoadWithoutCastENS9_16StoreWithoutCastELi8ELi1EEEEEvT0_T1_.has_recursion)
	.set _ZN2at6native29vectorized_elementwise_kernelILi16EZZZNS0_18lgamma_kernel_cudaERNS_18TensorIteratorBaseEENKUlvE_clEvENKUlvE2_clEvEUlN3c108BFloat16EE_St5arrayIPcLm2EEEEviT0_T1_.has_indirect_call, or(0, .L_ZN2at6native25elementwise_kernel_helperILb0EZZZNS0_18lgamma_kernel_cudaERNS_18TensorIteratorBaseEENKUlvE_clEvENKUlvE2_clEvEUlN3c108BFloat16EE_NS0_6memory8policies10vectorizedILi8ESt5arrayIPcLm2EELi8EEEEEvT0_T1_.has_indirect_call, .L_ZN2at6native25elementwise_kernel_helperILb0EZZZNS0_18lgamma_kernel_cudaERNS_18TensorIteratorBaseEENKUlvE_clEvENKUlvE2_clEvEUlN3c108BFloat16EE_NS0_6memory8policies11unroll_baseILi256ESt5arrayIPcLm2EE23TrivialOffsetCalculatorILi1EjESG_NS9_15LoadWithoutCastENS9_16StoreWithoutCastELi8ELi1EEEEEvT0_T1_.has_indirect_call)
	.section	.AMDGPU.csdata,"",@progbits
; Kernel info:
; codeLenInByte = 176
; TotalNumSgprs: 35
; NumVgprs: 32
; ScratchSize: 0
; MemoryBound: 0
; FloatMode: 240
; IeeeMode: 1
; LDSByteSize: 0 bytes/workgroup (compile time only)
; SGPRBlocks: 0
; VGPRBlocks: 3
; NumSGPRsForWavesPerEU: 35
; NumVGPRsForWavesPerEU: 32
; Occupancy: 16
; WaveLimiterHint : 0
; COMPUTE_PGM_RSRC2:SCRATCH_EN: 0
; COMPUTE_PGM_RSRC2:USER_SGPR: 6
; COMPUTE_PGM_RSRC2:TRAP_HANDLER: 0
; COMPUTE_PGM_RSRC2:TGID_X_EN: 1
; COMPUTE_PGM_RSRC2:TGID_Y_EN: 0
; COMPUTE_PGM_RSRC2:TGID_Z_EN: 0
; COMPUTE_PGM_RSRC2:TIDIG_COMP_CNT: 0
	.section	.text._ZN2at6native29vectorized_elementwise_kernelILi8EZZZNS0_18lgamma_kernel_cudaERNS_18TensorIteratorBaseEENKUlvE_clEvENKUlvE2_clEvEUlN3c108BFloat16EE_St5arrayIPcLm2EEEEviT0_T1_,"axG",@progbits,_ZN2at6native29vectorized_elementwise_kernelILi8EZZZNS0_18lgamma_kernel_cudaERNS_18TensorIteratorBaseEENKUlvE_clEvENKUlvE2_clEvEUlN3c108BFloat16EE_St5arrayIPcLm2EEEEviT0_T1_,comdat
	.globl	_ZN2at6native29vectorized_elementwise_kernelILi8EZZZNS0_18lgamma_kernel_cudaERNS_18TensorIteratorBaseEENKUlvE_clEvENKUlvE2_clEvEUlN3c108BFloat16EE_St5arrayIPcLm2EEEEviT0_T1_ ; -- Begin function _ZN2at6native29vectorized_elementwise_kernelILi8EZZZNS0_18lgamma_kernel_cudaERNS_18TensorIteratorBaseEENKUlvE_clEvENKUlvE2_clEvEUlN3c108BFloat16EE_St5arrayIPcLm2EEEEviT0_T1_
	.p2align	8
	.type	_ZN2at6native29vectorized_elementwise_kernelILi8EZZZNS0_18lgamma_kernel_cudaERNS_18TensorIteratorBaseEENKUlvE_clEvENKUlvE2_clEvEUlN3c108BFloat16EE_St5arrayIPcLm2EEEEviT0_T1_,@function
_ZN2at6native29vectorized_elementwise_kernelILi8EZZZNS0_18lgamma_kernel_cudaERNS_18TensorIteratorBaseEENKUlvE_clEvENKUlvE2_clEvEUlN3c108BFloat16EE_St5arrayIPcLm2EEEEviT0_T1_: ; @_ZN2at6native29vectorized_elementwise_kernelILi8EZZZNS0_18lgamma_kernel_cudaERNS_18TensorIteratorBaseEENKUlvE_clEvENKUlvE2_clEvEUlN3c108BFloat16EE_St5arrayIPcLm2EEEEviT0_T1_
; %bb.0:
	s_mov_b32 s18, s6
	s_clause 0x1
	s_load_dword s6, s[4:5], 0x0
	s_load_dwordx4 s[20:23], s[4:5], 0x8
	s_add_u32 s0, s0, s7
	s_addc_u32 s1, s1, 0
	s_lshl_b32 s4, s18, 11
	v_mov_b32_e32 v31, v0
	s_mov_b32 s32, 0
	s_waitcnt lgkmcnt(0)
	s_sub_i32 s19, s6, s4
	s_mov_b32 s4, -1
	s_cmpk_gt_i32 s19, 0x7ff
	s_cbranch_scc1 .LBB158_3
; %bb.1:
	s_andn2_b32 vcc_lo, exec_lo, s4
	s_cbranch_vccz .LBB158_4
.LBB158_2:
	s_endpgm
.LBB158_3:
	v_mov_b32_e32 v0, s20
	v_mov_b32_e32 v1, s21
	;; [unrolled: 1-line block ×4, first 2 shown]
	s_getpc_b64 s[4:5]
	s_add_u32 s4, s4, _ZN2at6native25elementwise_kernel_helperILb0EZZZNS0_18lgamma_kernel_cudaERNS_18TensorIteratorBaseEENKUlvE_clEvENKUlvE2_clEvEUlN3c108BFloat16EE_NS0_6memory8policies10vectorizedILi8ESt5arrayIPcLm2EELi8EEEEEvT0_T1_@rel32@lo+4
	s_addc_u32 s5, s5, _ZN2at6native25elementwise_kernel_helperILb0EZZZNS0_18lgamma_kernel_cudaERNS_18TensorIteratorBaseEENKUlvE_clEvENKUlvE2_clEvEUlN3c108BFloat16EE_NS0_6memory8policies10vectorizedILi8ESt5arrayIPcLm2EELi8EEEEEvT0_T1_@rel32@hi+12
	s_mov_b32 s12, s18
	s_swappc_b64 s[30:31], s[4:5]
	s_cbranch_execnz .LBB158_2
.LBB158_4:
	v_mov_b32_e32 v0, s20
	v_mov_b32_e32 v1, s21
	;; [unrolled: 1-line block ×5, first 2 shown]
	s_getpc_b64 s[4:5]
	s_add_u32 s4, s4, _ZN2at6native25elementwise_kernel_helperILb0EZZZNS0_18lgamma_kernel_cudaERNS_18TensorIteratorBaseEENKUlvE_clEvENKUlvE2_clEvEUlN3c108BFloat16EE_NS0_6memory8policies11unroll_baseILi256ESt5arrayIPcLm2EE23TrivialOffsetCalculatorILi1EjESG_NS9_15LoadWithoutCastENS9_16StoreWithoutCastELi8ELi1EEEEEvT0_T1_@rel32@lo+4
	s_addc_u32 s5, s5, _ZN2at6native25elementwise_kernel_helperILb0EZZZNS0_18lgamma_kernel_cudaERNS_18TensorIteratorBaseEENKUlvE_clEvENKUlvE2_clEvEUlN3c108BFloat16EE_NS0_6memory8policies11unroll_baseILi256ESt5arrayIPcLm2EE23TrivialOffsetCalculatorILi1EjESG_NS9_15LoadWithoutCastENS9_16StoreWithoutCastELi8ELi1EEEEEvT0_T1_@rel32@hi+12
	s_mov_b32 s12, s18
	s_swappc_b64 s[30:31], s[4:5]
	s_endpgm
	.section	.rodata,"a",@progbits
	.p2align	6, 0x0
	.amdhsa_kernel _ZN2at6native29vectorized_elementwise_kernelILi8EZZZNS0_18lgamma_kernel_cudaERNS_18TensorIteratorBaseEENKUlvE_clEvENKUlvE2_clEvEUlN3c108BFloat16EE_St5arrayIPcLm2EEEEviT0_T1_
		.amdhsa_group_segment_fixed_size 0
		.amdhsa_private_segment_fixed_size 0
		.amdhsa_kernarg_size 24
		.amdhsa_user_sgpr_count 6
		.amdhsa_user_sgpr_private_segment_buffer 1
		.amdhsa_user_sgpr_dispatch_ptr 0
		.amdhsa_user_sgpr_queue_ptr 0
		.amdhsa_user_sgpr_kernarg_segment_ptr 1
		.amdhsa_user_sgpr_dispatch_id 0
		.amdhsa_user_sgpr_flat_scratch_init 0
		.amdhsa_user_sgpr_private_segment_size 0
		.amdhsa_wavefront_size32 1
		.amdhsa_uses_dynamic_stack 0
		.amdhsa_system_sgpr_private_segment_wavefront_offset 0
		.amdhsa_system_sgpr_workgroup_id_x 1
		.amdhsa_system_sgpr_workgroup_id_y 0
		.amdhsa_system_sgpr_workgroup_id_z 0
		.amdhsa_system_sgpr_workgroup_info 0
		.amdhsa_system_vgpr_workitem_id 0
		.amdhsa_next_free_vgpr 32
		.amdhsa_next_free_sgpr 33
		.amdhsa_reserve_vcc 1
		.amdhsa_reserve_flat_scratch 0
		.amdhsa_float_round_mode_32 0
		.amdhsa_float_round_mode_16_64 0
		.amdhsa_float_denorm_mode_32 3
		.amdhsa_float_denorm_mode_16_64 3
		.amdhsa_dx10_clamp 1
		.amdhsa_ieee_mode 1
		.amdhsa_fp16_overflow 0
		.amdhsa_workgroup_processor_mode 1
		.amdhsa_memory_ordered 1
		.amdhsa_forward_progress 1
		.amdhsa_shared_vgpr_count 0
		.amdhsa_exception_fp_ieee_invalid_op 0
		.amdhsa_exception_fp_denorm_src 0
		.amdhsa_exception_fp_ieee_div_zero 0
		.amdhsa_exception_fp_ieee_overflow 0
		.amdhsa_exception_fp_ieee_underflow 0
		.amdhsa_exception_fp_ieee_inexact 0
		.amdhsa_exception_int_div_zero 0
	.end_amdhsa_kernel
	.section	.text._ZN2at6native29vectorized_elementwise_kernelILi8EZZZNS0_18lgamma_kernel_cudaERNS_18TensorIteratorBaseEENKUlvE_clEvENKUlvE2_clEvEUlN3c108BFloat16EE_St5arrayIPcLm2EEEEviT0_T1_,"axG",@progbits,_ZN2at6native29vectorized_elementwise_kernelILi8EZZZNS0_18lgamma_kernel_cudaERNS_18TensorIteratorBaseEENKUlvE_clEvENKUlvE2_clEvEUlN3c108BFloat16EE_St5arrayIPcLm2EEEEviT0_T1_,comdat
.Lfunc_end158:
	.size	_ZN2at6native29vectorized_elementwise_kernelILi8EZZZNS0_18lgamma_kernel_cudaERNS_18TensorIteratorBaseEENKUlvE_clEvENKUlvE2_clEvEUlN3c108BFloat16EE_St5arrayIPcLm2EEEEviT0_T1_, .Lfunc_end158-_ZN2at6native29vectorized_elementwise_kernelILi8EZZZNS0_18lgamma_kernel_cudaERNS_18TensorIteratorBaseEENKUlvE_clEvENKUlvE2_clEvEUlN3c108BFloat16EE_St5arrayIPcLm2EEEEviT0_T1_
                                        ; -- End function
	.set _ZN2at6native29vectorized_elementwise_kernelILi8EZZZNS0_18lgamma_kernel_cudaERNS_18TensorIteratorBaseEENKUlvE_clEvENKUlvE2_clEvEUlN3c108BFloat16EE_St5arrayIPcLm2EEEEviT0_T1_.num_vgpr, max(32, .L_ZN2at6native25elementwise_kernel_helperILb0EZZZNS0_18lgamma_kernel_cudaERNS_18TensorIteratorBaseEENKUlvE_clEvENKUlvE2_clEvEUlN3c108BFloat16EE_NS0_6memory8policies10vectorizedILi8ESt5arrayIPcLm2EELi8EEEEEvT0_T1_.num_vgpr, .L_ZN2at6native25elementwise_kernel_helperILb0EZZZNS0_18lgamma_kernel_cudaERNS_18TensorIteratorBaseEENKUlvE_clEvENKUlvE2_clEvEUlN3c108BFloat16EE_NS0_6memory8policies11unroll_baseILi256ESt5arrayIPcLm2EE23TrivialOffsetCalculatorILi1EjESG_NS9_15LoadWithoutCastENS9_16StoreWithoutCastELi8ELi1EEEEEvT0_T1_.num_vgpr)
	.set _ZN2at6native29vectorized_elementwise_kernelILi8EZZZNS0_18lgamma_kernel_cudaERNS_18TensorIteratorBaseEENKUlvE_clEvENKUlvE2_clEvEUlN3c108BFloat16EE_St5arrayIPcLm2EEEEviT0_T1_.num_agpr, max(0, .L_ZN2at6native25elementwise_kernel_helperILb0EZZZNS0_18lgamma_kernel_cudaERNS_18TensorIteratorBaseEENKUlvE_clEvENKUlvE2_clEvEUlN3c108BFloat16EE_NS0_6memory8policies10vectorizedILi8ESt5arrayIPcLm2EELi8EEEEEvT0_T1_.num_agpr, .L_ZN2at6native25elementwise_kernel_helperILb0EZZZNS0_18lgamma_kernel_cudaERNS_18TensorIteratorBaseEENKUlvE_clEvENKUlvE2_clEvEUlN3c108BFloat16EE_NS0_6memory8policies11unroll_baseILi256ESt5arrayIPcLm2EE23TrivialOffsetCalculatorILi1EjESG_NS9_15LoadWithoutCastENS9_16StoreWithoutCastELi8ELi1EEEEEvT0_T1_.num_agpr)
	.set _ZN2at6native29vectorized_elementwise_kernelILi8EZZZNS0_18lgamma_kernel_cudaERNS_18TensorIteratorBaseEENKUlvE_clEvENKUlvE2_clEvEUlN3c108BFloat16EE_St5arrayIPcLm2EEEEviT0_T1_.numbered_sgpr, max(33, .L_ZN2at6native25elementwise_kernel_helperILb0EZZZNS0_18lgamma_kernel_cudaERNS_18TensorIteratorBaseEENKUlvE_clEvENKUlvE2_clEvEUlN3c108BFloat16EE_NS0_6memory8policies10vectorizedILi8ESt5arrayIPcLm2EELi8EEEEEvT0_T1_.numbered_sgpr, .L_ZN2at6native25elementwise_kernel_helperILb0EZZZNS0_18lgamma_kernel_cudaERNS_18TensorIteratorBaseEENKUlvE_clEvENKUlvE2_clEvEUlN3c108BFloat16EE_NS0_6memory8policies11unroll_baseILi256ESt5arrayIPcLm2EE23TrivialOffsetCalculatorILi1EjESG_NS9_15LoadWithoutCastENS9_16StoreWithoutCastELi8ELi1EEEEEvT0_T1_.numbered_sgpr)
	.set _ZN2at6native29vectorized_elementwise_kernelILi8EZZZNS0_18lgamma_kernel_cudaERNS_18TensorIteratorBaseEENKUlvE_clEvENKUlvE2_clEvEUlN3c108BFloat16EE_St5arrayIPcLm2EEEEviT0_T1_.num_named_barrier, max(0, .L_ZN2at6native25elementwise_kernel_helperILb0EZZZNS0_18lgamma_kernel_cudaERNS_18TensorIteratorBaseEENKUlvE_clEvENKUlvE2_clEvEUlN3c108BFloat16EE_NS0_6memory8policies10vectorizedILi8ESt5arrayIPcLm2EELi8EEEEEvT0_T1_.num_named_barrier, .L_ZN2at6native25elementwise_kernel_helperILb0EZZZNS0_18lgamma_kernel_cudaERNS_18TensorIteratorBaseEENKUlvE_clEvENKUlvE2_clEvEUlN3c108BFloat16EE_NS0_6memory8policies11unroll_baseILi256ESt5arrayIPcLm2EE23TrivialOffsetCalculatorILi1EjESG_NS9_15LoadWithoutCastENS9_16StoreWithoutCastELi8ELi1EEEEEvT0_T1_.num_named_barrier)
	.set _ZN2at6native29vectorized_elementwise_kernelILi8EZZZNS0_18lgamma_kernel_cudaERNS_18TensorIteratorBaseEENKUlvE_clEvENKUlvE2_clEvEUlN3c108BFloat16EE_St5arrayIPcLm2EEEEviT0_T1_.private_seg_size, 0+max(.L_ZN2at6native25elementwise_kernel_helperILb0EZZZNS0_18lgamma_kernel_cudaERNS_18TensorIteratorBaseEENKUlvE_clEvENKUlvE2_clEvEUlN3c108BFloat16EE_NS0_6memory8policies10vectorizedILi8ESt5arrayIPcLm2EELi8EEEEEvT0_T1_.private_seg_size, .L_ZN2at6native25elementwise_kernel_helperILb0EZZZNS0_18lgamma_kernel_cudaERNS_18TensorIteratorBaseEENKUlvE_clEvENKUlvE2_clEvEUlN3c108BFloat16EE_NS0_6memory8policies11unroll_baseILi256ESt5arrayIPcLm2EE23TrivialOffsetCalculatorILi1EjESG_NS9_15LoadWithoutCastENS9_16StoreWithoutCastELi8ELi1EEEEEvT0_T1_.private_seg_size)
	.set _ZN2at6native29vectorized_elementwise_kernelILi8EZZZNS0_18lgamma_kernel_cudaERNS_18TensorIteratorBaseEENKUlvE_clEvENKUlvE2_clEvEUlN3c108BFloat16EE_St5arrayIPcLm2EEEEviT0_T1_.uses_vcc, or(1, .L_ZN2at6native25elementwise_kernel_helperILb0EZZZNS0_18lgamma_kernel_cudaERNS_18TensorIteratorBaseEENKUlvE_clEvENKUlvE2_clEvEUlN3c108BFloat16EE_NS0_6memory8policies10vectorizedILi8ESt5arrayIPcLm2EELi8EEEEEvT0_T1_.uses_vcc, .L_ZN2at6native25elementwise_kernel_helperILb0EZZZNS0_18lgamma_kernel_cudaERNS_18TensorIteratorBaseEENKUlvE_clEvENKUlvE2_clEvEUlN3c108BFloat16EE_NS0_6memory8policies11unroll_baseILi256ESt5arrayIPcLm2EE23TrivialOffsetCalculatorILi1EjESG_NS9_15LoadWithoutCastENS9_16StoreWithoutCastELi8ELi1EEEEEvT0_T1_.uses_vcc)
	.set _ZN2at6native29vectorized_elementwise_kernelILi8EZZZNS0_18lgamma_kernel_cudaERNS_18TensorIteratorBaseEENKUlvE_clEvENKUlvE2_clEvEUlN3c108BFloat16EE_St5arrayIPcLm2EEEEviT0_T1_.uses_flat_scratch, or(0, .L_ZN2at6native25elementwise_kernel_helperILb0EZZZNS0_18lgamma_kernel_cudaERNS_18TensorIteratorBaseEENKUlvE_clEvENKUlvE2_clEvEUlN3c108BFloat16EE_NS0_6memory8policies10vectorizedILi8ESt5arrayIPcLm2EELi8EEEEEvT0_T1_.uses_flat_scratch, .L_ZN2at6native25elementwise_kernel_helperILb0EZZZNS0_18lgamma_kernel_cudaERNS_18TensorIteratorBaseEENKUlvE_clEvENKUlvE2_clEvEUlN3c108BFloat16EE_NS0_6memory8policies11unroll_baseILi256ESt5arrayIPcLm2EE23TrivialOffsetCalculatorILi1EjESG_NS9_15LoadWithoutCastENS9_16StoreWithoutCastELi8ELi1EEEEEvT0_T1_.uses_flat_scratch)
	.set _ZN2at6native29vectorized_elementwise_kernelILi8EZZZNS0_18lgamma_kernel_cudaERNS_18TensorIteratorBaseEENKUlvE_clEvENKUlvE2_clEvEUlN3c108BFloat16EE_St5arrayIPcLm2EEEEviT0_T1_.has_dyn_sized_stack, or(0, .L_ZN2at6native25elementwise_kernel_helperILb0EZZZNS0_18lgamma_kernel_cudaERNS_18TensorIteratorBaseEENKUlvE_clEvENKUlvE2_clEvEUlN3c108BFloat16EE_NS0_6memory8policies10vectorizedILi8ESt5arrayIPcLm2EELi8EEEEEvT0_T1_.has_dyn_sized_stack, .L_ZN2at6native25elementwise_kernel_helperILb0EZZZNS0_18lgamma_kernel_cudaERNS_18TensorIteratorBaseEENKUlvE_clEvENKUlvE2_clEvEUlN3c108BFloat16EE_NS0_6memory8policies11unroll_baseILi256ESt5arrayIPcLm2EE23TrivialOffsetCalculatorILi1EjESG_NS9_15LoadWithoutCastENS9_16StoreWithoutCastELi8ELi1EEEEEvT0_T1_.has_dyn_sized_stack)
	.set _ZN2at6native29vectorized_elementwise_kernelILi8EZZZNS0_18lgamma_kernel_cudaERNS_18TensorIteratorBaseEENKUlvE_clEvENKUlvE2_clEvEUlN3c108BFloat16EE_St5arrayIPcLm2EEEEviT0_T1_.has_recursion, or(0, .L_ZN2at6native25elementwise_kernel_helperILb0EZZZNS0_18lgamma_kernel_cudaERNS_18TensorIteratorBaseEENKUlvE_clEvENKUlvE2_clEvEUlN3c108BFloat16EE_NS0_6memory8policies10vectorizedILi8ESt5arrayIPcLm2EELi8EEEEEvT0_T1_.has_recursion, .L_ZN2at6native25elementwise_kernel_helperILb0EZZZNS0_18lgamma_kernel_cudaERNS_18TensorIteratorBaseEENKUlvE_clEvENKUlvE2_clEvEUlN3c108BFloat16EE_NS0_6memory8policies11unroll_baseILi256ESt5arrayIPcLm2EE23TrivialOffsetCalculatorILi1EjESG_NS9_15LoadWithoutCastENS9_16StoreWithoutCastELi8ELi1EEEEEvT0_T1_.has_recursion)
	.set _ZN2at6native29vectorized_elementwise_kernelILi8EZZZNS0_18lgamma_kernel_cudaERNS_18TensorIteratorBaseEENKUlvE_clEvENKUlvE2_clEvEUlN3c108BFloat16EE_St5arrayIPcLm2EEEEviT0_T1_.has_indirect_call, or(0, .L_ZN2at6native25elementwise_kernel_helperILb0EZZZNS0_18lgamma_kernel_cudaERNS_18TensorIteratorBaseEENKUlvE_clEvENKUlvE2_clEvEUlN3c108BFloat16EE_NS0_6memory8policies10vectorizedILi8ESt5arrayIPcLm2EELi8EEEEEvT0_T1_.has_indirect_call, .L_ZN2at6native25elementwise_kernel_helperILb0EZZZNS0_18lgamma_kernel_cudaERNS_18TensorIteratorBaseEENKUlvE_clEvENKUlvE2_clEvEUlN3c108BFloat16EE_NS0_6memory8policies11unroll_baseILi256ESt5arrayIPcLm2EE23TrivialOffsetCalculatorILi1EjESG_NS9_15LoadWithoutCastENS9_16StoreWithoutCastELi8ELi1EEEEEvT0_T1_.has_indirect_call)
	.section	.AMDGPU.csdata,"",@progbits
; Kernel info:
; codeLenInByte = 176
; TotalNumSgprs: 35
; NumVgprs: 32
; ScratchSize: 0
; MemoryBound: 0
; FloatMode: 240
; IeeeMode: 1
; LDSByteSize: 0 bytes/workgroup (compile time only)
; SGPRBlocks: 0
; VGPRBlocks: 3
; NumSGPRsForWavesPerEU: 35
; NumVGPRsForWavesPerEU: 32
; Occupancy: 16
; WaveLimiterHint : 0
; COMPUTE_PGM_RSRC2:SCRATCH_EN: 0
; COMPUTE_PGM_RSRC2:USER_SGPR: 6
; COMPUTE_PGM_RSRC2:TRAP_HANDLER: 0
; COMPUTE_PGM_RSRC2:TGID_X_EN: 1
; COMPUTE_PGM_RSRC2:TGID_Y_EN: 0
; COMPUTE_PGM_RSRC2:TGID_Z_EN: 0
; COMPUTE_PGM_RSRC2:TIDIG_COMP_CNT: 0
	.section	.text._ZN2at6native29vectorized_elementwise_kernelILi4EZZZNS0_18lgamma_kernel_cudaERNS_18TensorIteratorBaseEENKUlvE_clEvENKUlvE2_clEvEUlN3c108BFloat16EE_St5arrayIPcLm2EEEEviT0_T1_,"axG",@progbits,_ZN2at6native29vectorized_elementwise_kernelILi4EZZZNS0_18lgamma_kernel_cudaERNS_18TensorIteratorBaseEENKUlvE_clEvENKUlvE2_clEvEUlN3c108BFloat16EE_St5arrayIPcLm2EEEEviT0_T1_,comdat
	.globl	_ZN2at6native29vectorized_elementwise_kernelILi4EZZZNS0_18lgamma_kernel_cudaERNS_18TensorIteratorBaseEENKUlvE_clEvENKUlvE2_clEvEUlN3c108BFloat16EE_St5arrayIPcLm2EEEEviT0_T1_ ; -- Begin function _ZN2at6native29vectorized_elementwise_kernelILi4EZZZNS0_18lgamma_kernel_cudaERNS_18TensorIteratorBaseEENKUlvE_clEvENKUlvE2_clEvEUlN3c108BFloat16EE_St5arrayIPcLm2EEEEviT0_T1_
	.p2align	8
	.type	_ZN2at6native29vectorized_elementwise_kernelILi4EZZZNS0_18lgamma_kernel_cudaERNS_18TensorIteratorBaseEENKUlvE_clEvENKUlvE2_clEvEUlN3c108BFloat16EE_St5arrayIPcLm2EEEEviT0_T1_,@function
_ZN2at6native29vectorized_elementwise_kernelILi4EZZZNS0_18lgamma_kernel_cudaERNS_18TensorIteratorBaseEENKUlvE_clEvENKUlvE2_clEvEUlN3c108BFloat16EE_St5arrayIPcLm2EEEEviT0_T1_: ; @_ZN2at6native29vectorized_elementwise_kernelILi4EZZZNS0_18lgamma_kernel_cudaERNS_18TensorIteratorBaseEENKUlvE_clEvENKUlvE2_clEvEUlN3c108BFloat16EE_St5arrayIPcLm2EEEEviT0_T1_
; %bb.0:
	s_add_u32 s0, s0, s7
	s_clause 0x1
	s_load_dword s7, s[4:5], 0x0
	s_load_dwordx4 s[16:19], s[4:5], 0x8
	s_addc_u32 s1, s1, 0
	s_lshl_b32 s4, s6, 11
	s_mov_b32 s5, -1
	s_mov_b32 s32, 0
	s_waitcnt lgkmcnt(0)
	s_sub_i32 s20, s7, s4
	s_cmpk_gt_i32 s20, 0x7ff
	s_cbranch_scc1 .LBB159_3
; %bb.1:
	s_and_b32 vcc_lo, exec_lo, s5
	s_cbranch_vccnz .LBB159_308
.LBB159_2:
	s_endpgm
.LBB159_3:
	s_ashr_i32 s5, s4, 31
	v_lshlrev_b32_e32 v5, 3, v0
	s_lshl_b64 s[14:15], s[4:5], 1
                                        ; implicit-def: $vgpr7
	s_add_u32 s4, s18, s14
	s_addc_u32 s5, s19, s15
	global_load_dwordx2 v[3:4], v5, s[4:5]
	v_add_co_u32 v1, s4, s4, v5
	v_add_co_ci_u32_e64 v2, null, s5, 0, s4
	s_mov_b32 s5, exec_lo
	v_add_co_u32 v1, vcc_lo, 0x800, v1
	v_add_co_ci_u32_e64 v2, null, 0, v2, vcc_lo
	global_load_dwordx2 v[1:2], v[1:2], off
	s_waitcnt vmcnt(1)
	v_lshlrev_b32_e32 v6, 16, v3
	v_and_b32_e32 v8, 0x7fffffff, v6
	v_cmpx_ngt_f32_e64 0x3c800000, |v6|
	s_xor_b32 s5, exec_lo, s5
	s_cbranch_execz .LBB159_33
; %bb.4:
	s_mov_b32 s7, exec_lo
                                        ; implicit-def: $vgpr7
	v_cmpx_nlt_f32_e64 |v6|, 2.0
	s_xor_b32 s7, exec_lo, s7
	s_cbranch_execz .LBB159_14
; %bb.5:
	v_cmp_ngt_f32_e64 s4, 0x41000000, |v6|
                                        ; implicit-def: $vgpr7
	s_and_saveexec_b32 s8, s4
	s_xor_b32 s4, exec_lo, s8
	s_cbranch_execz .LBB159_11
; %bb.6:
	v_cmp_ngt_f32_e64 s8, 0x5c800000, |v6|
                                        ; implicit-def: $vgpr7
	s_and_saveexec_b32 s9, s8
	s_xor_b32 s8, exec_lo, s9
	s_cbranch_execz .LBB159_8
; %bb.7:
	v_cmp_gt_f32_e64 s9, 0x800000, |v6|
	v_cndmask_b32_e64 v7, 0, 32, s9
	v_ldexp_f32 v7, |v6|, v7
	v_log_f32_e32 v7, v7
	v_mul_f32_e32 v9, 0x3f317217, v7
	v_cmp_gt_f32_e64 vcc_lo, 0x7f800000, |v7|
	v_fma_f32 v10, 0x3f317217, v7, -v9
	v_fmamk_f32 v10, v7, 0x3377d1cf, v10
	v_add_f32_e32 v9, v9, v10
	v_cndmask_b32_e32 v7, v7, v9, vcc_lo
	v_cndmask_b32_e64 v9, 0, 0x41b17218, s9
	v_sub_f32_e32 v7, v7, v9
	v_fma_f32 v7, |v6|, v7, -|v6|
.LBB159_8:
	s_andn2_saveexec_b32 s8, s8
	s_cbranch_execz .LBB159_10
; %bb.9:
	v_cmp_gt_f32_e64 s9, 0x800000, |v6|
	v_rcp_f32_e64 v9, |v6|
	s_mov_b32 s10, 0xbad5c4e8
	v_cndmask_b32_e64 v7, 0, 32, s9
	v_ldexp_f32 v7, |v6|, v7
	v_mul_f32_e32 v10, v9, v9
	v_log_f32_e32 v7, v7
	v_fmaak_f32 v12, s10, v10, 0x3a5b3dd2
	v_fmaak_f32 v12, v10, v12, 0xba1c065c
	v_mul_f32_e32 v11, 0x3f317217, v7
	v_fmaak_f32 v12, v10, v12, 0x3a500cfd
	v_cmp_gt_f32_e64 vcc_lo, 0x7f800000, |v7|
	v_fma_f32 v13, 0x3f317217, v7, -v11
	v_fmaak_f32 v12, v10, v12, 0xbb360b61
	v_fmamk_f32 v13, v7, 0x3377d1cf, v13
	v_fmaak_f32 v10, v10, v12, 0x3daaaaab
	v_add_f32_e32 v11, v11, v13
	v_cndmask_b32_e32 v7, v7, v11, vcc_lo
	v_cndmask_b32_e64 v11, 0, 0x41b17218, s9
	v_sub_f32_e32 v11, v7, v11
	v_fmaak_f32 v7, v9, v10, 0x3ed67f1d
	v_add_f32_e64 v9, |v6|, -0.5
	v_add_f32_e32 v10, -1.0, v11
	v_fmac_f32_e32 v7, v9, v10
.LBB159_10:
	s_or_b32 exec_lo, exec_lo, s8
.LBB159_11:
	s_andn2_saveexec_b32 s8, s4
	s_cbranch_execz .LBB159_13
; %bb.12:
	v_cvt_i32_f32_e32 v7, v8
	s_mov_b32 s4, 0x36f5d7bd
	s_mov_b32 s9, 0x3805ff67
	v_cvt_f32_i32_e32 v9, v7
	v_cmp_lt_i32_e32 vcc_lo, 2, v7
	v_sub_f32_e64 v9, |v6|, v9
	v_add_f32_e32 v10, 2.0, v9
	v_add_f32_e32 v11, 0x40400000, v9
	v_add_f32_e32 v12, 4.0, v9
	v_add_f32_e32 v13, 0x40a00000, v9
	v_cndmask_b32_e32 v10, 1.0, v10, vcc_lo
	v_cmp_lt_i32_e32 vcc_lo, 3, v7
	v_cndmask_b32_e32 v11, 1.0, v11, vcc_lo
	v_cmp_lt_i32_e32 vcc_lo, 4, v7
	v_mul_f32_e32 v10, v10, v11
	v_cndmask_b32_e32 v12, 1.0, v12, vcc_lo
	v_cmp_lt_i32_e32 vcc_lo, 5, v7
	v_add_f32_e32 v11, 0x40c00000, v9
	v_mul_f32_e32 v10, v12, v10
	v_cndmask_b32_e32 v13, 1.0, v13, vcc_lo
	v_cmp_lt_i32_e32 vcc_lo, 6, v7
	v_fmaak_f32 v12, s9, v9, 0x3af135b4
	v_mul_f32_e32 v10, v13, v10
	v_cndmask_b32_e32 v7, 1.0, v11, vcc_lo
	v_mul_f32_e32 v7, v7, v10
	v_fmaak_f32 v10, s4, v9, 0x3a4beed6
	v_cmp_gt_f32_e32 vcc_lo, 0x800000, v7
	v_fmaak_f32 v10, v9, v10, 0x3c98bf54
	v_cndmask_b32_e64 v11, 0, 32, vcc_lo
	v_fmaak_f32 v10, v9, v10, 0x3e300f6e
	v_ldexp_f32 v7, v7, v11
	v_fmaak_f32 v11, v9, v12, 0x3cda40e4
	v_fmaak_f32 v10, v9, v10, 0x3f38d0c5
	v_log_f32_e32 v7, v7
	v_fmaak_f32 v11, v9, v11, 0x3e15dce6
	v_fmaak_f32 v10, v9, v10, 0x3fb22d3b
	;; [unrolled: 1-line block ×3, first 2 shown]
	v_fma_f32 v10, v9, v10, 1.0
	v_mul_f32_e32 v12, 0x3f317217, v7
	v_fmaak_f32 v11, v9, v11, 0x3e5c245a
	v_rcp_f32_e32 v10, v10
	v_cmp_gt_f32_e64 s4, 0x7f800000, |v7|
	v_fma_f32 v13, 0x3f317217, v7, -v12
	v_fmaak_f32 v11, v9, v11, 0xbd9e233f
	v_fmamk_f32 v13, v7, 0x3377d1cf, v13
	v_mul_f32_e32 v11, v9, v11
	v_add_f32_e32 v12, v12, v13
	v_mul_f32_e32 v10, v11, v10
	v_cndmask_b32_e64 v11, 0, 0x41b17218, vcc_lo
	v_cndmask_b32_e64 v7, v7, v12, s4
	v_fmac_f32_e32 v10, 0.5, v9
	v_sub_f32_e32 v7, v7, v11
	v_add_f32_e32 v7, v7, v10
.LBB159_13:
	s_or_b32 exec_lo, exec_lo, s8
.LBB159_14:
	s_andn2_saveexec_b32 s7, s7
	s_cbranch_execz .LBB159_32
; %bb.15:
	s_mov_b32 s8, exec_lo
                                        ; implicit-def: $vgpr7
                                        ; implicit-def: $vgpr10
                                        ; implicit-def: $vgpr9
	v_cmpx_ge_f32_e64 0x3f666666, |v6|
	s_xor_b32 s8, exec_lo, s8
	s_cbranch_execz .LBB159_17
; %bb.16:
	v_cmp_gt_f32_e64 s4, 0x800000, |v6|
	v_sub_f32_e64 v11, 1.0, |v6|
	v_cmp_gt_f32_e64 vcc_lo, 0x3f3b4a23, |v6|
	v_cndmask_b32_e64 v7, 0, 32, s4
	v_cndmask_b32_e64 v12, 0, 0x41b17218, s4
	v_ldexp_f32 v7, |v6|, v7
	v_log_f32_e32 v7, v7
	v_mul_f32_e32 v9, 0x3f317217, v7
	v_cmp_gt_f32_e64 s4, 0x7f800000, |v7|
	v_fma_f32 v10, 0x3f317217, v7, -v9
	v_fmamk_f32 v10, v7, 0x3377d1cf, v10
	v_add_f32_e32 v9, v9, v10
	v_add_f32_e64 v10, 0xbeec5b0c, |v6|
	v_cndmask_b32_e64 v7, v7, v9, s4
	v_cndmask_b32_e32 v9, v11, v10, vcc_lo
	v_cndmask_b32_e64 v10, 0, 1, vcc_lo
	v_cmp_gt_f32_e64 s4, 0x3e6d3309, |v6|
	v_sub_f32_e32 v7, v7, v12
	v_cndmask_b32_e64 v9, v9, |v6|, s4
	v_cndmask_b32_e64 v10, v10, 2, s4
	v_xor_b32_e32 v7, 0x80000000, v7
.LBB159_17:
	s_andn2_saveexec_b32 s4, s8
	s_cbranch_execz .LBB159_19
; %bb.18:
	v_sub_f32_e64 v7, 2.0, |v6|
	v_add_f32_e64 v9, 0xbfbb16c3, |v6|
	v_cmp_gt_f32_e64 vcc_lo, 0x3fdda512, |v6|
	v_add_f32_e64 v10, |v6|, -1.0
	v_cndmask_b32_e32 v9, v7, v9, vcc_lo
	v_cndmask_b32_e64 v7, v7, 1.0, vcc_lo
	v_cmp_gt_f32_e64 vcc_lo, 0x3f9d70a4, |v6|
	v_cvt_i32_f32_e32 v7, v7
	v_cndmask_b32_e32 v9, v9, v10, vcc_lo
	v_cndmask_b32_e64 v10, v7, 2, vcc_lo
	v_mov_b32_e32 v7, 0
.LBB159_19:
	s_or_b32 exec_lo, exec_lo, s4
	s_mov_b32 s4, exec_lo
	v_cmpx_lt_i32_e32 0, v10
	s_xor_b32 s4, exec_lo, s4
	s_cbranch_execz .LBB159_27
; %bb.20:
	s_mov_b32 s8, exec_lo
	v_cmpx_lt_i32_e32 1, v10
	s_xor_b32 s8, exec_lo, s8
	s_cbranch_execz .LBB159_24
; %bb.21:
	s_mov_b32 s9, exec_lo
	v_cmpx_eq_u32_e32 2, v10
	s_cbranch_execz .LBB159_23
; %bb.22:
	s_mov_b32 s10, 0x3b52d5db
	v_fmaak_f32 v10, s10, v9, 0x3dd572af
	s_mov_b32 s10, 0x3c5b3c5e
	v_fmaak_f32 v11, s10, v9, 0x3e6a7578
	v_fmaak_f32 v10, v9, v10, 0x3f44efdf
	;; [unrolled: 1-line block ×7, first 2 shown]
	v_fma_f32 v10, v9, v10, 1.0
	v_fmaak_f32 v11, v9, v11, 0xbd9e233f
	v_rcp_f32_e32 v10, v10
	v_mul_f32_e32 v11, v9, v11
	v_mul_f32_e32 v10, v11, v10
	v_fmac_f32_e32 v10, -0.5, v9
	v_add_f32_e32 v7, v7, v10
.LBB159_23:
	s_or_b32 exec_lo, exec_lo, s9
                                        ; implicit-def: $vgpr9
.LBB159_24:
	s_andn2_saveexec_b32 s8, s8
	s_cbranch_execz .LBB159_26
; %bb.25:
	v_mul_f32_e32 v10, v9, v9
	s_mov_b32 s9, 0xb9a3f927
	s_mov_b32 s10, 0x39afe9f7
	v_mul_f32_e32 v11, v9, v10
	v_fmaak_f32 v12, s9, v11, 0x3a66f867
	v_fmaak_f32 v13, s10, v11, 0xba0d3085
	s_mov_b32 s9, 0x39a57b6b
	v_fmaak_f32 v14, s9, v11, 0xbab7f476
	v_fmaak_f32 v12, v11, v12, 0xbb7177fe
	;; [unrolled: 1-line block ×9, first 2 shown]
	v_fmac_f32_e32 v12, v9, v13
	v_fmaak_f32 v9, v11, v14, 0x3ef7b95e
	v_fma_f32 v11, v11, -v12, 0xa2863e55
	v_fma_f32 v9, v10, v9, -v11
	v_add_f32_e32 v9, 0xbdf8cdce, v9
	v_add_f32_e32 v7, v7, v9
.LBB159_26:
	s_or_b32 exec_lo, exec_lo, s8
                                        ; implicit-def: $vgpr10
                                        ; implicit-def: $vgpr9
.LBB159_27:
	s_andn2_saveexec_b32 s4, s4
	s_cbranch_execz .LBB159_31
; %bb.28:
	s_mov_b32 s8, exec_lo
	v_cmpx_eq_u32_e32 0, v10
	s_cbranch_execz .LBB159_30
; %bb.29:
	v_mul_f32_e32 v10, v9, v9
	s_mov_b32 s9, 0x383c2c75
	v_fmaak_f32 v11, s9, v10, 0x38e28445
	s_mov_b32 s9, 0x37d383a2
	v_fmaak_f32 v12, s9, v10, 0x39679767
	v_fmaak_f32 v11, v10, v11, 0x3a05b634
	;; [unrolled: 1-line block ×9, first 2 shown]
	v_mul_f32_e32 v10, v10, v11
	v_fmac_f32_e32 v10, v9, v12
	v_fmac_f32_e32 v10, -0.5, v9
	v_add_f32_e32 v7, v7, v10
.LBB159_30:
	s_or_b32 exec_lo, exec_lo, s8
.LBB159_31:
	s_or_b32 exec_lo, exec_lo, s4
.LBB159_32:
	s_or_b32 exec_lo, exec_lo, s7
.LBB159_33:
	s_andn2_saveexec_b32 s4, s5
	s_cbranch_execz .LBB159_35
; %bb.34:
	v_cmp_gt_f32_e64 s5, 0x800000, |v6|
	s_mov_b32 s7, 0x3e8a8991
	v_fma_f32 v11, |v6|, s7, 0xbecd26ab
	v_cndmask_b32_e64 v7, 0, 32, s5
	v_ldexp_f32 v7, |v6|, v7
	v_log_f32_e32 v7, v7
	v_mul_f32_e32 v9, 0x3f317217, v7
	v_cmp_gt_f32_e64 vcc_lo, 0x7f800000, |v7|
	v_fma_f32 v10, 0x3f317217, v7, -v9
	v_fmamk_f32 v10, v7, 0x3377d1cf, v10
	v_add_f32_e32 v9, v9, v10
	v_fma_f32 v10, |v6|, v11, 0x3f528d33
	v_cndmask_b32_e32 v7, v7, v9, vcc_lo
	v_cndmask_b32_e64 v9, 0, 0x41b17218, s5
	v_fma_f32 v10, |v6|, v10, 0xbf13c468
	v_sub_f32_e32 v7, v7, v9
	v_fma_f32 v7, |v6|, v10, -v7
.LBB159_35:
	s_or_b32 exec_lo, exec_lo, s4
	v_cmp_le_f32_e32 vcc_lo, 0, v6
	s_mov_b32 s5, exec_lo
	v_cmpx_nle_f32_e32 0, v6
	s_xor_b32 s7, exec_lo, s5
	s_cbranch_execz .LBB159_39
; %bb.36:
	v_cmp_gt_f32_e64 s4, 0x4b000000, |v6|
	v_cmp_lt_f32_e64 s5, 0x35000000, |v6|
	s_and_b32 s4, s4, s5
	s_and_saveexec_b32 s8, s4
	s_cbranch_execz .LBB159_38
; %bb.37:
	v_mul_f32_e64 v9, |v6|, 0.5
	s_mov_b32 s5, 0x3d4be544
	v_floor_f32_e32 v10, v9
	v_cmp_neq_f32_e64 s4, 0x7f800000, v9
	v_sub_f32_e32 v10, v9, v10
	v_min_f32_e32 v10, 0x3f7fffff, v10
	v_add_f32_e32 v10, v10, v10
	v_cndmask_b32_e64 v9, 0, v10, s4
	v_cmp_gt_f32_e64 s4, |v6|, 1.0
	v_cndmask_b32_e64 v9, |v6|, v9, s4
	s_mov_b32 s4, 0x3e75aa41
	v_add_f32_e32 v10, v9, v9
	v_rndne_f32_e32 v10, v10
	v_fmac_f32_e32 v9, -0.5, v10
	v_cvt_i32_f32_e32 v10, v10
	v_mul_f32_e32 v11, v9, v9
	v_fmaak_f32 v12, s4, v11, 0xbf1f24be
	v_fmaak_f32 v13, s5, v11, 0x3e642e9d
	v_mul_f32_e32 v14, v9, v11
	v_fmaak_f32 v12, v11, v12, 0x40234736
	v_fmaak_f32 v13, v11, v13, 0xbfaad1da
	;; [unrolled: 1-line block ×4, first 2 shown]
	v_mul_f32_e32 v12, v14, v12
	v_fmaak_f32 v13, v11, v13, 0xc09de9e6
	v_and_b32_e32 v14, 1, v10
	v_lshlrev_b32_e32 v10, 30, v10
	v_fmamk_f32 v9, v9, 0x40490fdb, v12
	v_fma_f32 v11, v11, v13, 1.0
	v_cmp_eq_u32_e64 s4, 0, v14
	v_and_or_b32 v8, 0x80000000, v10, v8
	v_cndmask_b32_e64 v9, v11, v9, s4
	v_xor3_b32 v8, v8, v9, v6
	v_mul_f32_e32 v8, v6, v8
	v_frexp_mant_f32_e64 v9, |v8|
	v_frexp_exp_i32_f32_e32 v8, v8
	v_rcp_f32_e32 v9, v9
	v_sub_nc_u32_e32 v8, 2, v8
	v_mul_f32_e32 v9, 0x3f490fdb, v9
	v_ldexp_f32 v8, v9, v8
	v_cmp_gt_f32_e64 s4, 0x800000, v8
	v_cndmask_b32_e64 v9, 0, 32, s4
	v_ldexp_f32 v8, v8, v9
	v_log_f32_e32 v8, v8
	v_mul_f32_e32 v9, 0x3f317217, v8
	v_cmp_gt_f32_e64 s5, 0x7f800000, |v8|
	v_fma_f32 v10, 0x3f317217, v8, -v9
	v_fmamk_f32 v10, v8, 0x3377d1cf, v10
	v_add_f32_e32 v9, v9, v10
	v_floor_f32_e32 v10, v6
	v_cndmask_b32_e64 v8, v8, v9, s5
	v_cndmask_b32_e64 v9, 0, 0x41b17218, s4
	v_sub_f32_e32 v10, v6, v10
	v_sub_f32_e32 v8, v8, v9
	v_min_f32_e32 v9, 0x3f7fffff, v10
	v_sub_f32_e32 v7, v8, v7
	v_cmp_neq_f32_e64 s4, 0, v9
	v_cndmask_b32_e64 v7, 0x7f800000, v7, s4
.LBB159_38:
	s_or_b32 exec_lo, exec_lo, s8
.LBB159_39:
	s_andn2_saveexec_b32 s7, s7
; %bb.40:
	v_cmp_eq_f32_e64 s4, 1.0, v6
	v_cmp_eq_f32_e64 s5, 2.0, v6
	s_or_b32 s4, s4, s5
	v_cndmask_b32_e64 v7, v7, 0, s4
; %bb.41:
	s_or_b32 exec_lo, exec_lo, s7
	v_and_b32_e32 v3, 0xffff0000, v3
                                        ; implicit-def: $vgpr8
	s_mov_b32 s5, exec_lo
	v_and_b32_e32 v9, 0x7fffffff, v3
	v_cmpx_ngt_f32_e64 0x3c800000, |v3|
	s_xor_b32 s7, exec_lo, s5
	s_cbranch_execz .LBB159_71
; %bb.42:
                                        ; implicit-def: $vgpr8
	s_mov_b32 s5, exec_lo
	v_cmpx_nlt_f32_e64 |v3|, 2.0
	s_xor_b32 s8, exec_lo, s5
	s_cbranch_execz .LBB159_52
; %bb.43:
	s_mov_b32 s5, exec_lo
                                        ; implicit-def: $vgpr8
	v_cmpx_ngt_f32_e64 0x41000000, |v3|
	s_xor_b32 s5, exec_lo, s5
	s_cbranch_execz .LBB159_49
; %bb.44:
	s_mov_b32 s9, exec_lo
                                        ; implicit-def: $vgpr8
	v_cmpx_ngt_f32_e64 0x5c800000, |v3|
	s_xor_b32 s9, exec_lo, s9
	s_cbranch_execz .LBB159_46
; %bb.45:
	v_cmp_gt_f32_e64 s10, 0x800000, |v3|
	v_cndmask_b32_e64 v8, 0, 32, s10
	v_ldexp_f32 v8, |v3|, v8
	v_log_f32_e32 v8, v8
	v_mul_f32_e32 v10, 0x3f317217, v8
	v_cmp_gt_f32_e64 s4, 0x7f800000, |v8|
	v_fma_f32 v11, 0x3f317217, v8, -v10
	v_fmamk_f32 v11, v8, 0x3377d1cf, v11
	v_add_f32_e32 v10, v10, v11
	v_cndmask_b32_e64 v8, v8, v10, s4
	v_cndmask_b32_e64 v10, 0, 0x41b17218, s10
	v_sub_f32_e32 v8, v8, v10
	v_fma_f32 v8, |v3|, v8, -|v3|
.LBB159_46:
	s_andn2_saveexec_b32 s9, s9
	s_cbranch_execz .LBB159_48
; %bb.47:
	v_cmp_gt_f32_e64 s10, 0x800000, |v3|
	v_rcp_f32_e64 v10, |v3|
	s_mov_b32 s4, 0xbad5c4e8
	v_cndmask_b32_e64 v8, 0, 32, s10
	v_ldexp_f32 v8, |v3|, v8
	v_mul_f32_e32 v11, v10, v10
	v_log_f32_e32 v8, v8
	v_fmaak_f32 v13, s4, v11, 0x3a5b3dd2
	v_fmaak_f32 v13, v11, v13, 0xba1c065c
	v_mul_f32_e32 v12, 0x3f317217, v8
	v_fmaak_f32 v13, v11, v13, 0x3a500cfd
	v_cmp_gt_f32_e64 s4, 0x7f800000, |v8|
	v_fma_f32 v14, 0x3f317217, v8, -v12
	v_fmaak_f32 v13, v11, v13, 0xbb360b61
	v_fmamk_f32 v14, v8, 0x3377d1cf, v14
	v_fmaak_f32 v11, v11, v13, 0x3daaaaab
	v_add_f32_e32 v12, v12, v14
	v_cndmask_b32_e64 v8, v8, v12, s4
	v_cndmask_b32_e64 v12, 0, 0x41b17218, s10
	v_sub_f32_e32 v12, v8, v12
	v_fmaak_f32 v8, v10, v11, 0x3ed67f1d
	v_add_f32_e64 v10, |v3|, -0.5
	v_add_f32_e32 v11, -1.0, v12
	v_fmac_f32_e32 v8, v10, v11
.LBB159_48:
	s_or_b32 exec_lo, exec_lo, s9
.LBB159_49:
	s_andn2_saveexec_b32 s9, s5
	s_cbranch_execz .LBB159_51
; %bb.50:
	v_cvt_i32_f32_e32 v8, v9
	s_mov_b32 s5, 0x3805ff67
	v_cvt_f32_i32_e32 v10, v8
	v_cmp_lt_i32_e64 s4, 2, v8
	v_sub_f32_e64 v10, |v3|, v10
	v_add_f32_e32 v11, 2.0, v10
	v_add_f32_e32 v12, 0x40400000, v10
	v_add_f32_e32 v13, 4.0, v10
	v_add_f32_e32 v14, 0x40a00000, v10
	v_cndmask_b32_e64 v11, 1.0, v11, s4
	v_cmp_lt_i32_e64 s4, 3, v8
	v_cndmask_b32_e64 v12, 1.0, v12, s4
	v_cmp_lt_i32_e64 s4, 4, v8
	v_mul_f32_e32 v11, v11, v12
	v_cndmask_b32_e64 v13, 1.0, v13, s4
	v_cmp_lt_i32_e64 s4, 5, v8
	v_add_f32_e32 v12, 0x40c00000, v10
	v_mul_f32_e32 v11, v13, v11
	v_cndmask_b32_e64 v14, 1.0, v14, s4
	v_cmp_lt_i32_e64 s4, 6, v8
	v_fmaak_f32 v13, s5, v10, 0x3af135b4
	v_mul_f32_e32 v11, v14, v11
	v_cndmask_b32_e64 v8, 1.0, v12, s4
	s_mov_b32 s4, 0x36f5d7bd
	v_mul_f32_e32 v8, v8, v11
	v_fmaak_f32 v11, s4, v10, 0x3a4beed6
	v_cmp_gt_f32_e64 s4, 0x800000, v8
	v_fmaak_f32 v11, v10, v11, 0x3c98bf54
	v_cndmask_b32_e64 v12, 0, 32, s4
	v_fmaak_f32 v11, v10, v11, 0x3e300f6e
	v_ldexp_f32 v8, v8, v12
	v_fmaak_f32 v12, v10, v13, 0x3cda40e4
	v_fmaak_f32 v11, v10, v11, 0x3f38d0c5
	v_log_f32_e32 v8, v8
	v_fmaak_f32 v12, v10, v12, 0x3e15dce6
	v_fmaak_f32 v11, v10, v11, 0x3fb22d3b
	;; [unrolled: 1-line block ×3, first 2 shown]
	v_fma_f32 v11, v10, v11, 1.0
	v_mul_f32_e32 v13, 0x3f317217, v8
	v_fmaak_f32 v12, v10, v12, 0x3e5c245a
	v_rcp_f32_e32 v11, v11
	v_cmp_gt_f32_e64 s5, 0x7f800000, |v8|
	v_fma_f32 v14, 0x3f317217, v8, -v13
	v_fmaak_f32 v12, v10, v12, 0xbd9e233f
	v_fmamk_f32 v14, v8, 0x3377d1cf, v14
	v_mul_f32_e32 v12, v10, v12
	v_add_f32_e32 v13, v13, v14
	v_mul_f32_e32 v11, v12, v11
	v_cndmask_b32_e64 v12, 0, 0x41b17218, s4
	v_cndmask_b32_e64 v8, v8, v13, s5
	v_fmac_f32_e32 v11, 0.5, v10
	v_sub_f32_e32 v8, v8, v12
	v_add_f32_e32 v8, v8, v11
.LBB159_51:
	s_or_b32 exec_lo, exec_lo, s9
.LBB159_52:
	s_andn2_saveexec_b32 s8, s8
	s_cbranch_execz .LBB159_70
; %bb.53:
                                        ; implicit-def: $vgpr8
                                        ; implicit-def: $vgpr11
                                        ; implicit-def: $vgpr10
	s_mov_b32 s5, exec_lo
	v_cmpx_ge_f32_e64 0x3f666666, |v3|
	s_xor_b32 s9, exec_lo, s5
	s_cbranch_execz .LBB159_55
; %bb.54:
	v_cmp_gt_f32_e64 s5, 0x800000, |v3|
	v_sub_f32_e64 v12, 1.0, |v3|
	v_cmp_gt_f32_e64 s4, 0x3f3b4a23, |v3|
	v_cndmask_b32_e64 v8, 0, 32, s5
	v_cndmask_b32_e64 v13, 0, 0x41b17218, s5
	v_ldexp_f32 v8, |v3|, v8
	v_log_f32_e32 v8, v8
	v_mul_f32_e32 v10, 0x3f317217, v8
	v_cmp_gt_f32_e64 s5, 0x7f800000, |v8|
	v_fma_f32 v11, 0x3f317217, v8, -v10
	v_fmamk_f32 v11, v8, 0x3377d1cf, v11
	v_add_f32_e32 v10, v10, v11
	v_add_f32_e64 v11, 0xbeec5b0c, |v3|
	v_cndmask_b32_e64 v8, v8, v10, s5
	v_cndmask_b32_e64 v10, v12, v11, s4
	;; [unrolled: 1-line block ×3, first 2 shown]
	v_cmp_gt_f32_e64 s4, 0x3e6d3309, |v3|
	v_sub_f32_e32 v8, v8, v13
	v_cndmask_b32_e64 v10, v10, |v3|, s4
	v_cndmask_b32_e64 v11, v11, 2, s4
	v_xor_b32_e32 v8, 0x80000000, v8
.LBB159_55:
	s_andn2_saveexec_b32 s5, s9
	s_cbranch_execz .LBB159_57
; %bb.56:
	v_sub_f32_e64 v8, 2.0, |v3|
	v_add_f32_e64 v10, 0xbfbb16c3, |v3|
	v_cmp_gt_f32_e64 s4, 0x3fdda512, |v3|
	v_add_f32_e64 v11, |v3|, -1.0
	v_cndmask_b32_e64 v10, v8, v10, s4
	v_cndmask_b32_e64 v8, v8, 1.0, s4
	v_cmp_gt_f32_e64 s4, 0x3f9d70a4, |v3|
	v_cvt_i32_f32_e32 v8, v8
	v_cndmask_b32_e64 v10, v10, v11, s4
	v_cndmask_b32_e64 v11, v8, 2, s4
	v_mov_b32_e32 v8, 0
.LBB159_57:
	s_or_b32 exec_lo, exec_lo, s5
	s_mov_b32 s5, exec_lo
	v_cmpx_lt_i32_e32 0, v11
	s_xor_b32 s5, exec_lo, s5
	s_cbranch_execz .LBB159_65
; %bb.58:
	s_mov_b32 s9, exec_lo
	v_cmpx_lt_i32_e32 1, v11
	s_xor_b32 s9, exec_lo, s9
	s_cbranch_execz .LBB159_62
; %bb.59:
	s_mov_b32 s10, exec_lo
	v_cmpx_eq_u32_e32 2, v11
	s_cbranch_execz .LBB159_61
; %bb.60:
	s_mov_b32 s4, 0x3b52d5db
	v_fmaak_f32 v11, s4, v10, 0x3dd572af
	s_mov_b32 s4, 0x3c5b3c5e
	v_fmaak_f32 v12, s4, v10, 0x3e6a7578
	v_fmaak_f32 v11, v10, v11, 0x3f44efdf
	;; [unrolled: 1-line block ×7, first 2 shown]
	v_fma_f32 v11, v10, v11, 1.0
	v_fmaak_f32 v12, v10, v12, 0xbd9e233f
	v_rcp_f32_e32 v11, v11
	v_mul_f32_e32 v12, v10, v12
	v_mul_f32_e32 v11, v12, v11
	v_fmac_f32_e32 v11, -0.5, v10
	v_add_f32_e32 v8, v8, v11
.LBB159_61:
	s_or_b32 exec_lo, exec_lo, s10
                                        ; implicit-def: $vgpr10
.LBB159_62:
	s_andn2_saveexec_b32 s4, s9
	s_cbranch_execz .LBB159_64
; %bb.63:
	v_mul_f32_e32 v11, v10, v10
	s_mov_b32 s9, 0xb9a3f927
	s_mov_b32 s10, 0x39afe9f7
	v_mul_f32_e32 v12, v10, v11
	v_fmaak_f32 v13, s9, v12, 0x3a66f867
	v_fmaak_f32 v14, s10, v12, 0xba0d3085
	s_mov_b32 s9, 0x39a57b6b
	v_fmaak_f32 v15, s9, v12, 0xbab7f476
	v_fmaak_f32 v13, v12, v13, 0xbb7177fe
	;; [unrolled: 1-line block ×9, first 2 shown]
	v_fmac_f32_e32 v13, v10, v14
	v_fmaak_f32 v10, v12, v15, 0x3ef7b95e
	v_fma_f32 v12, v12, -v13, 0xa2863e55
	v_fma_f32 v10, v11, v10, -v12
	v_add_f32_e32 v10, 0xbdf8cdce, v10
	v_add_f32_e32 v8, v8, v10
.LBB159_64:
	s_or_b32 exec_lo, exec_lo, s4
                                        ; implicit-def: $vgpr11
                                        ; implicit-def: $vgpr10
.LBB159_65:
	s_andn2_saveexec_b32 s5, s5
	s_cbranch_execz .LBB159_69
; %bb.66:
	s_mov_b32 s9, exec_lo
	v_cmpx_eq_u32_e32 0, v11
	s_cbranch_execz .LBB159_68
; %bb.67:
	v_mul_f32_e32 v11, v10, v10
	s_mov_b32 s4, 0x383c2c75
	v_fmaak_f32 v12, s4, v11, 0x38e28445
	s_mov_b32 s4, 0x37d383a2
	v_fmaak_f32 v13, s4, v11, 0x39679767
	v_fmaak_f32 v12, v11, v12, 0x3a05b634
	;; [unrolled: 1-line block ×9, first 2 shown]
	v_mul_f32_e32 v11, v11, v12
	v_fmac_f32_e32 v11, v10, v13
	v_fmac_f32_e32 v11, -0.5, v10
	v_add_f32_e32 v8, v8, v11
.LBB159_68:
	s_or_b32 exec_lo, exec_lo, s9
.LBB159_69:
	s_or_b32 exec_lo, exec_lo, s5
.LBB159_70:
	s_or_b32 exec_lo, exec_lo, s8
.LBB159_71:
	s_andn2_saveexec_b32 s5, s7
	s_cbranch_execz .LBB159_73
; %bb.72:
	v_cmp_gt_f32_e64 s7, 0x800000, |v3|
	s_mov_b32 s4, 0x3e8a8991
	v_fma_f32 v12, |v3|, s4, 0xbecd26ab
	v_cndmask_b32_e64 v8, 0, 32, s7
	v_ldexp_f32 v8, |v3|, v8
	v_log_f32_e32 v8, v8
	v_mul_f32_e32 v10, 0x3f317217, v8
	v_cmp_gt_f32_e64 s4, 0x7f800000, |v8|
	v_fma_f32 v11, 0x3f317217, v8, -v10
	v_fmamk_f32 v11, v8, 0x3377d1cf, v11
	v_add_f32_e32 v10, v10, v11
	v_fma_f32 v11, |v3|, v12, 0x3f528d33
	v_cndmask_b32_e64 v8, v8, v10, s4
	v_cndmask_b32_e64 v10, 0, 0x41b17218, s7
	v_fma_f32 v11, |v3|, v11, 0xbf13c468
	v_sub_f32_e32 v8, v8, v10
	v_fma_f32 v8, |v3|, v11, -v8
.LBB159_73:
	s_or_b32 exec_lo, exec_lo, s5
	v_cmp_le_f32_e64 s4, 0, v3
	s_mov_b32 s7, exec_lo
	v_cmpx_nle_f32_e32 0, v3
	s_xor_b32 s8, exec_lo, s7
	s_cbranch_execz .LBB159_77
; %bb.74:
	v_cmp_gt_f32_e64 s5, 0x4b000000, |v3|
	v_cmp_lt_f32_e64 s7, 0x35000000, |v3|
	s_and_b32 s5, s5, s7
	s_and_saveexec_b32 s9, s5
	s_cbranch_execz .LBB159_76
; %bb.75:
	v_mul_f32_e64 v10, |v3|, 0.5
	s_mov_b32 s7, 0x3d4be544
	v_floor_f32_e32 v11, v10
	v_cmp_neq_f32_e64 s5, 0x7f800000, v10
	v_sub_f32_e32 v11, v10, v11
	v_min_f32_e32 v11, 0x3f7fffff, v11
	v_add_f32_e32 v11, v11, v11
	v_cndmask_b32_e64 v10, 0, v11, s5
	v_cmp_gt_f32_e64 s5, |v3|, 1.0
	v_cndmask_b32_e64 v10, |v3|, v10, s5
	s_mov_b32 s5, 0x3e75aa41
	v_add_f32_e32 v11, v10, v10
	v_rndne_f32_e32 v11, v11
	v_fmac_f32_e32 v10, -0.5, v11
	v_cvt_i32_f32_e32 v11, v11
	v_mul_f32_e32 v12, v10, v10
	v_fmaak_f32 v13, s5, v12, 0xbf1f24be
	v_fmaak_f32 v14, s7, v12, 0x3e642e9d
	v_mul_f32_e32 v15, v10, v12
	v_fmaak_f32 v13, v12, v13, 0x40234736
	v_fmaak_f32 v14, v12, v14, 0xbfaad1da
	;; [unrolled: 1-line block ×4, first 2 shown]
	v_mul_f32_e32 v13, v15, v13
	v_fmaak_f32 v14, v12, v14, 0xc09de9e6
	v_and_b32_e32 v15, 1, v11
	v_lshlrev_b32_e32 v11, 30, v11
	v_fmamk_f32 v10, v10, 0x40490fdb, v13
	v_fma_f32 v12, v12, v14, 1.0
	v_cmp_eq_u32_e64 s5, 0, v15
	v_and_or_b32 v9, 0x80000000, v11, v9
	v_cndmask_b32_e64 v10, v12, v10, s5
	v_xor3_b32 v9, v9, v10, v3
	v_mul_f32_e32 v9, v3, v9
	v_frexp_mant_f32_e64 v10, |v9|
	v_frexp_exp_i32_f32_e32 v9, v9
	v_rcp_f32_e32 v10, v10
	v_sub_nc_u32_e32 v9, 2, v9
	v_mul_f32_e32 v10, 0x3f490fdb, v10
	v_ldexp_f32 v9, v10, v9
	v_cmp_gt_f32_e64 s5, 0x800000, v9
	v_cndmask_b32_e64 v10, 0, 32, s5
	v_ldexp_f32 v9, v9, v10
	v_log_f32_e32 v9, v9
	v_mul_f32_e32 v10, 0x3f317217, v9
	v_cmp_gt_f32_e64 s7, 0x7f800000, |v9|
	v_fma_f32 v11, 0x3f317217, v9, -v10
	v_fmamk_f32 v11, v9, 0x3377d1cf, v11
	v_add_f32_e32 v10, v10, v11
	v_floor_f32_e32 v11, v3
	v_cndmask_b32_e64 v9, v9, v10, s7
	v_cndmask_b32_e64 v10, 0, 0x41b17218, s5
	v_sub_f32_e32 v11, v3, v11
	v_sub_f32_e32 v9, v9, v10
	v_min_f32_e32 v10, 0x3f7fffff, v11
	v_sub_f32_e32 v8, v9, v8
	v_cmp_neq_f32_e64 s5, 0, v10
	v_cndmask_b32_e64 v8, 0x7f800000, v8, s5
.LBB159_76:
	s_or_b32 exec_lo, exec_lo, s9
.LBB159_77:
	s_andn2_saveexec_b32 s8, s8
; %bb.78:
	v_cmp_eq_f32_e64 s5, 1.0, v3
	v_cmp_eq_f32_e64 s7, 2.0, v3
	s_or_b32 s5, s5, s7
	v_cndmask_b32_e64 v8, v8, 0, s5
; %bb.79:
	s_or_b32 exec_lo, exec_lo, s8
	v_lshlrev_b32_e32 v9, 16, v4
                                        ; implicit-def: $vgpr10
	s_mov_b32 s7, exec_lo
	v_and_b32_e32 v11, 0x7fffffff, v9
	v_cmpx_ngt_f32_e64 0x3c800000, |v9|
	s_xor_b32 s8, exec_lo, s7
	s_cbranch_execz .LBB159_109
; %bb.80:
                                        ; implicit-def: $vgpr10
	s_mov_b32 s7, exec_lo
	v_cmpx_nlt_f32_e64 |v9|, 2.0
	s_xor_b32 s9, exec_lo, s7
	s_cbranch_execz .LBB159_90
; %bb.81:
	s_mov_b32 s7, exec_lo
                                        ; implicit-def: $vgpr10
	v_cmpx_ngt_f32_e64 0x41000000, |v9|
	s_xor_b32 s7, exec_lo, s7
	s_cbranch_execz .LBB159_87
; %bb.82:
	s_mov_b32 s10, exec_lo
                                        ; implicit-def: $vgpr10
	v_cmpx_ngt_f32_e64 0x5c800000, |v9|
	s_xor_b32 s10, exec_lo, s10
	s_cbranch_execz .LBB159_84
; %bb.83:
	v_cmp_gt_f32_e64 s11, 0x800000, |v9|
	v_cndmask_b32_e64 v10, 0, 32, s11
	v_ldexp_f32 v10, |v9|, v10
	v_log_f32_e32 v10, v10
	v_mul_f32_e32 v12, 0x3f317217, v10
	v_cmp_gt_f32_e64 s5, 0x7f800000, |v10|
	v_fma_f32 v13, 0x3f317217, v10, -v12
	v_fmamk_f32 v13, v10, 0x3377d1cf, v13
	v_add_f32_e32 v12, v12, v13
	v_cndmask_b32_e64 v10, v10, v12, s5
	v_cndmask_b32_e64 v12, 0, 0x41b17218, s11
	v_sub_f32_e32 v10, v10, v12
	v_fma_f32 v10, |v9|, v10, -|v9|
.LBB159_84:
	s_andn2_saveexec_b32 s10, s10
	s_cbranch_execz .LBB159_86
; %bb.85:
	v_cmp_gt_f32_e64 s11, 0x800000, |v9|
	v_rcp_f32_e64 v12, |v9|
	s_mov_b32 s5, 0xbad5c4e8
	v_cndmask_b32_e64 v10, 0, 32, s11
	v_ldexp_f32 v10, |v9|, v10
	v_mul_f32_e32 v13, v12, v12
	v_log_f32_e32 v10, v10
	v_fmaak_f32 v15, s5, v13, 0x3a5b3dd2
	v_fmaak_f32 v15, v13, v15, 0xba1c065c
	v_mul_f32_e32 v14, 0x3f317217, v10
	v_fmaak_f32 v15, v13, v15, 0x3a500cfd
	v_cmp_gt_f32_e64 s5, 0x7f800000, |v10|
	v_fma_f32 v16, 0x3f317217, v10, -v14
	v_fmaak_f32 v15, v13, v15, 0xbb360b61
	v_fmamk_f32 v16, v10, 0x3377d1cf, v16
	v_fmaak_f32 v13, v13, v15, 0x3daaaaab
	v_add_f32_e32 v14, v14, v16
	v_cndmask_b32_e64 v10, v10, v14, s5
	v_cndmask_b32_e64 v14, 0, 0x41b17218, s11
	v_sub_f32_e32 v14, v10, v14
	v_fmaak_f32 v10, v12, v13, 0x3ed67f1d
	v_add_f32_e64 v12, |v9|, -0.5
	v_add_f32_e32 v13, -1.0, v14
	v_fmac_f32_e32 v10, v12, v13
.LBB159_86:
	s_or_b32 exec_lo, exec_lo, s10
.LBB159_87:
	s_andn2_saveexec_b32 s10, s7
	s_cbranch_execz .LBB159_89
; %bb.88:
	v_cvt_i32_f32_e32 v10, v11
	s_mov_b32 s7, 0x3805ff67
	v_cvt_f32_i32_e32 v12, v10
	v_cmp_lt_i32_e64 s5, 2, v10
	v_sub_f32_e64 v12, |v9|, v12
	v_add_f32_e32 v13, 2.0, v12
	v_add_f32_e32 v14, 0x40400000, v12
	v_add_f32_e32 v15, 4.0, v12
	v_add_f32_e32 v16, 0x40a00000, v12
	v_cndmask_b32_e64 v13, 1.0, v13, s5
	v_cmp_lt_i32_e64 s5, 3, v10
	v_cndmask_b32_e64 v14, 1.0, v14, s5
	v_cmp_lt_i32_e64 s5, 4, v10
	v_mul_f32_e32 v13, v13, v14
	v_cndmask_b32_e64 v15, 1.0, v15, s5
	v_cmp_lt_i32_e64 s5, 5, v10
	v_add_f32_e32 v14, 0x40c00000, v12
	v_mul_f32_e32 v13, v15, v13
	v_cndmask_b32_e64 v16, 1.0, v16, s5
	v_cmp_lt_i32_e64 s5, 6, v10
	v_fmaak_f32 v15, s7, v12, 0x3af135b4
	v_mul_f32_e32 v13, v16, v13
	v_cndmask_b32_e64 v10, 1.0, v14, s5
	s_mov_b32 s5, 0x36f5d7bd
	v_mul_f32_e32 v10, v10, v13
	v_fmaak_f32 v13, s5, v12, 0x3a4beed6
	v_cmp_gt_f32_e64 s5, 0x800000, v10
	v_fmaak_f32 v13, v12, v13, 0x3c98bf54
	v_cndmask_b32_e64 v14, 0, 32, s5
	v_fmaak_f32 v13, v12, v13, 0x3e300f6e
	v_ldexp_f32 v10, v10, v14
	v_fmaak_f32 v14, v12, v15, 0x3cda40e4
	v_fmaak_f32 v13, v12, v13, 0x3f38d0c5
	v_log_f32_e32 v10, v10
	v_fmaak_f32 v14, v12, v14, 0x3e15dce6
	v_fmaak_f32 v13, v12, v13, 0x3fb22d3b
	;; [unrolled: 1-line block ×3, first 2 shown]
	v_fma_f32 v13, v12, v13, 1.0
	v_mul_f32_e32 v15, 0x3f317217, v10
	v_fmaak_f32 v14, v12, v14, 0x3e5c245a
	v_rcp_f32_e32 v13, v13
	v_cmp_gt_f32_e64 s7, 0x7f800000, |v10|
	v_fma_f32 v16, 0x3f317217, v10, -v15
	v_fmaak_f32 v14, v12, v14, 0xbd9e233f
	v_fmamk_f32 v16, v10, 0x3377d1cf, v16
	v_mul_f32_e32 v14, v12, v14
	v_add_f32_e32 v15, v15, v16
	v_mul_f32_e32 v13, v14, v13
	v_cndmask_b32_e64 v14, 0, 0x41b17218, s5
	v_cndmask_b32_e64 v10, v10, v15, s7
	v_fmac_f32_e32 v13, 0.5, v12
	v_sub_f32_e32 v10, v10, v14
	v_add_f32_e32 v10, v10, v13
.LBB159_89:
	s_or_b32 exec_lo, exec_lo, s10
.LBB159_90:
	s_andn2_saveexec_b32 s9, s9
	s_cbranch_execz .LBB159_108
; %bb.91:
                                        ; implicit-def: $vgpr10
                                        ; implicit-def: $vgpr13
                                        ; implicit-def: $vgpr12
	s_mov_b32 s7, exec_lo
	v_cmpx_ge_f32_e64 0x3f666666, |v9|
	s_xor_b32 s10, exec_lo, s7
	s_cbranch_execz .LBB159_93
; %bb.92:
	v_cmp_gt_f32_e64 s7, 0x800000, |v9|
	v_sub_f32_e64 v14, 1.0, |v9|
	v_cmp_gt_f32_e64 s5, 0x3f3b4a23, |v9|
	v_cndmask_b32_e64 v10, 0, 32, s7
	v_cndmask_b32_e64 v15, 0, 0x41b17218, s7
	v_ldexp_f32 v10, |v9|, v10
	v_log_f32_e32 v10, v10
	v_mul_f32_e32 v12, 0x3f317217, v10
	v_cmp_gt_f32_e64 s7, 0x7f800000, |v10|
	v_fma_f32 v13, 0x3f317217, v10, -v12
	v_fmamk_f32 v13, v10, 0x3377d1cf, v13
	v_add_f32_e32 v12, v12, v13
	v_add_f32_e64 v13, 0xbeec5b0c, |v9|
	v_cndmask_b32_e64 v10, v10, v12, s7
	v_cndmask_b32_e64 v12, v14, v13, s5
	;; [unrolled: 1-line block ×3, first 2 shown]
	v_cmp_gt_f32_e64 s5, 0x3e6d3309, |v9|
	v_sub_f32_e32 v10, v10, v15
	v_cndmask_b32_e64 v12, v12, |v9|, s5
	v_cndmask_b32_e64 v13, v13, 2, s5
	v_xor_b32_e32 v10, 0x80000000, v10
.LBB159_93:
	s_andn2_saveexec_b32 s7, s10
	s_cbranch_execz .LBB159_95
; %bb.94:
	v_sub_f32_e64 v10, 2.0, |v9|
	v_add_f32_e64 v12, 0xbfbb16c3, |v9|
	v_cmp_gt_f32_e64 s5, 0x3fdda512, |v9|
	v_add_f32_e64 v13, |v9|, -1.0
	v_cndmask_b32_e64 v12, v10, v12, s5
	v_cndmask_b32_e64 v10, v10, 1.0, s5
	v_cmp_gt_f32_e64 s5, 0x3f9d70a4, |v9|
	v_cvt_i32_f32_e32 v10, v10
	v_cndmask_b32_e64 v12, v12, v13, s5
	v_cndmask_b32_e64 v13, v10, 2, s5
	v_mov_b32_e32 v10, 0
.LBB159_95:
	s_or_b32 exec_lo, exec_lo, s7
	s_mov_b32 s7, exec_lo
	v_cmpx_lt_i32_e32 0, v13
	s_xor_b32 s7, exec_lo, s7
	s_cbranch_execz .LBB159_103
; %bb.96:
	s_mov_b32 s10, exec_lo
	v_cmpx_lt_i32_e32 1, v13
	s_xor_b32 s10, exec_lo, s10
	s_cbranch_execz .LBB159_100
; %bb.97:
	s_mov_b32 s11, exec_lo
	v_cmpx_eq_u32_e32 2, v13
	s_cbranch_execz .LBB159_99
; %bb.98:
	s_mov_b32 s5, 0x3b52d5db
	v_fmaak_f32 v13, s5, v12, 0x3dd572af
	s_mov_b32 s5, 0x3c5b3c5e
	v_fmaak_f32 v14, s5, v12, 0x3e6a7578
	v_fmaak_f32 v13, v12, v13, 0x3f44efdf
	;; [unrolled: 1-line block ×7, first 2 shown]
	v_fma_f32 v13, v12, v13, 1.0
	v_fmaak_f32 v14, v12, v14, 0xbd9e233f
	v_rcp_f32_e32 v13, v13
	v_mul_f32_e32 v14, v12, v14
	v_mul_f32_e32 v13, v14, v13
	v_fmac_f32_e32 v13, -0.5, v12
	v_add_f32_e32 v10, v10, v13
.LBB159_99:
	s_or_b32 exec_lo, exec_lo, s11
                                        ; implicit-def: $vgpr12
.LBB159_100:
	s_andn2_saveexec_b32 s5, s10
	s_cbranch_execz .LBB159_102
; %bb.101:
	v_mul_f32_e32 v13, v12, v12
	s_mov_b32 s10, 0xb9a3f927
	s_mov_b32 s11, 0x39afe9f7
	v_mul_f32_e32 v14, v12, v13
	v_fmaak_f32 v15, s10, v14, 0x3a66f867
	v_fmaak_f32 v16, s11, v14, 0xba0d3085
	s_mov_b32 s10, 0x39a57b6b
	v_fmaak_f32 v17, s10, v14, 0xbab7f476
	v_fmaak_f32 v15, v14, v15, 0xbb7177fe
	v_fmaak_f32 v16, v14, v16, 0x3b141699
	v_fmaak_f32 v17, v14, v17, 0x3bc7e707
	v_fmaak_f32 v15, v14, v15, 0x3c93373d
	v_fmaak_f32 v16, v14, v16, 0xbc28fcfe
	v_fmaak_f32 v17, v14, v17, 0xbd064d47
	v_fmaak_f32 v15, v14, v15, 0xbe17213c
	v_fmaak_f32 v16, v14, v16, 0x3d845a15
	v_fmac_f32_e32 v15, v12, v16
	v_fmaak_f32 v12, v14, v17, 0x3ef7b95e
	v_fma_f32 v14, v14, -v15, 0xa2863e55
	v_fma_f32 v12, v13, v12, -v14
	v_add_f32_e32 v12, 0xbdf8cdce, v12
	v_add_f32_e32 v10, v10, v12
.LBB159_102:
	s_or_b32 exec_lo, exec_lo, s5
                                        ; implicit-def: $vgpr13
                                        ; implicit-def: $vgpr12
.LBB159_103:
	s_andn2_saveexec_b32 s7, s7
	s_cbranch_execz .LBB159_107
; %bb.104:
	s_mov_b32 s10, exec_lo
	v_cmpx_eq_u32_e32 0, v13
	s_cbranch_execz .LBB159_106
; %bb.105:
	v_mul_f32_e32 v13, v12, v12
	s_mov_b32 s5, 0x383c2c75
	v_fmaak_f32 v14, s5, v13, 0x38e28445
	s_mov_b32 s5, 0x37d383a2
	v_fmaak_f32 v15, s5, v13, 0x39679767
	v_fmaak_f32 v14, v13, v14, 0x3a05b634
	;; [unrolled: 1-line block ×9, first 2 shown]
	v_mul_f32_e32 v13, v13, v14
	v_fmac_f32_e32 v13, v12, v15
	v_fmac_f32_e32 v13, -0.5, v12
	v_add_f32_e32 v10, v10, v13
.LBB159_106:
	s_or_b32 exec_lo, exec_lo, s10
.LBB159_107:
	s_or_b32 exec_lo, exec_lo, s7
.LBB159_108:
	s_or_b32 exec_lo, exec_lo, s9
.LBB159_109:
	s_andn2_saveexec_b32 s7, s8
	s_cbranch_execz .LBB159_111
; %bb.110:
	v_cmp_gt_f32_e64 s8, 0x800000, |v9|
	s_mov_b32 s5, 0x3e8a8991
	v_fma_f32 v14, |v9|, s5, 0xbecd26ab
	v_cndmask_b32_e64 v10, 0, 32, s8
	v_ldexp_f32 v10, |v9|, v10
	v_log_f32_e32 v10, v10
	v_mul_f32_e32 v12, 0x3f317217, v10
	v_cmp_gt_f32_e64 s5, 0x7f800000, |v10|
	v_fma_f32 v13, 0x3f317217, v10, -v12
	v_fmamk_f32 v13, v10, 0x3377d1cf, v13
	v_add_f32_e32 v12, v12, v13
	v_fma_f32 v13, |v9|, v14, 0x3f528d33
	v_cndmask_b32_e64 v10, v10, v12, s5
	v_cndmask_b32_e64 v12, 0, 0x41b17218, s8
	v_fma_f32 v13, |v9|, v13, 0xbf13c468
	v_sub_f32_e32 v10, v10, v12
	v_fma_f32 v10, |v9|, v13, -v10
.LBB159_111:
	s_or_b32 exec_lo, exec_lo, s7
	v_cmp_le_f32_e64 s5, 0, v9
	s_mov_b32 s8, exec_lo
	v_cmpx_nle_f32_e32 0, v9
	s_xor_b32 s9, exec_lo, s8
	s_cbranch_execz .LBB159_115
; %bb.112:
	v_cmp_gt_f32_e64 s7, 0x4b000000, |v9|
	v_cmp_lt_f32_e64 s8, 0x35000000, |v9|
	s_and_b32 s7, s7, s8
	s_and_saveexec_b32 s10, s7
	s_cbranch_execz .LBB159_114
; %bb.113:
	v_mul_f32_e64 v12, |v9|, 0.5
	s_mov_b32 s8, 0x3d4be544
	v_floor_f32_e32 v13, v12
	v_cmp_neq_f32_e64 s7, 0x7f800000, v12
	v_sub_f32_e32 v13, v12, v13
	v_min_f32_e32 v13, 0x3f7fffff, v13
	v_add_f32_e32 v13, v13, v13
	v_cndmask_b32_e64 v12, 0, v13, s7
	v_cmp_gt_f32_e64 s7, |v9|, 1.0
	v_cndmask_b32_e64 v12, |v9|, v12, s7
	s_mov_b32 s7, 0x3e75aa41
	v_add_f32_e32 v13, v12, v12
	v_rndne_f32_e32 v13, v13
	v_fmac_f32_e32 v12, -0.5, v13
	v_cvt_i32_f32_e32 v13, v13
	v_mul_f32_e32 v14, v12, v12
	v_fmaak_f32 v15, s7, v14, 0xbf1f24be
	v_fmaak_f32 v16, s8, v14, 0x3e642e9d
	v_mul_f32_e32 v17, v12, v14
	v_fmaak_f32 v15, v14, v15, 0x40234736
	v_fmaak_f32 v16, v14, v16, 0xbfaad1da
	;; [unrolled: 1-line block ×4, first 2 shown]
	v_mul_f32_e32 v15, v17, v15
	v_fmaak_f32 v16, v14, v16, 0xc09de9e6
	v_and_b32_e32 v17, 1, v13
	v_lshlrev_b32_e32 v13, 30, v13
	v_fmamk_f32 v12, v12, 0x40490fdb, v15
	v_fma_f32 v14, v14, v16, 1.0
	v_cmp_eq_u32_e64 s7, 0, v17
	v_and_or_b32 v11, 0x80000000, v13, v11
	v_cndmask_b32_e64 v12, v14, v12, s7
	v_xor3_b32 v11, v11, v12, v9
	v_mul_f32_e32 v11, v9, v11
	v_frexp_mant_f32_e64 v12, |v11|
	v_frexp_exp_i32_f32_e32 v11, v11
	v_rcp_f32_e32 v12, v12
	v_sub_nc_u32_e32 v11, 2, v11
	v_mul_f32_e32 v12, 0x3f490fdb, v12
	v_ldexp_f32 v11, v12, v11
	v_cmp_gt_f32_e64 s7, 0x800000, v11
	v_cndmask_b32_e64 v12, 0, 32, s7
	v_ldexp_f32 v11, v11, v12
	v_log_f32_e32 v11, v11
	v_mul_f32_e32 v12, 0x3f317217, v11
	v_cmp_gt_f32_e64 s8, 0x7f800000, |v11|
	v_fma_f32 v13, 0x3f317217, v11, -v12
	v_fmamk_f32 v13, v11, 0x3377d1cf, v13
	v_add_f32_e32 v12, v12, v13
	v_floor_f32_e32 v13, v9
	v_cndmask_b32_e64 v11, v11, v12, s8
	v_cndmask_b32_e64 v12, 0, 0x41b17218, s7
	v_sub_f32_e32 v13, v9, v13
	v_sub_f32_e32 v11, v11, v12
	v_min_f32_e32 v12, 0x3f7fffff, v13
	v_sub_f32_e32 v10, v11, v10
	v_cmp_neq_f32_e64 s7, 0, v12
	v_cndmask_b32_e64 v10, 0x7f800000, v10, s7
.LBB159_114:
	s_or_b32 exec_lo, exec_lo, s10
.LBB159_115:
	s_andn2_saveexec_b32 s9, s9
; %bb.116:
	v_cmp_eq_f32_e64 s7, 1.0, v9
	v_cmp_eq_f32_e64 s8, 2.0, v9
	s_or_b32 s7, s7, s8
	v_cndmask_b32_e64 v10, v10, 0, s7
; %bb.117:
	s_or_b32 exec_lo, exec_lo, s9
	v_and_b32_e32 v4, 0xffff0000, v4
                                        ; implicit-def: $vgpr11
	s_mov_b32 s8, exec_lo
	v_and_b32_e32 v12, 0x7fffffff, v4
	v_cmpx_ngt_f32_e64 0x3c800000, |v4|
	s_xor_b32 s9, exec_lo, s8
	s_cbranch_execz .LBB159_147
; %bb.118:
                                        ; implicit-def: $vgpr11
	s_mov_b32 s8, exec_lo
	v_cmpx_nlt_f32_e64 |v4|, 2.0
	s_xor_b32 s10, exec_lo, s8
	s_cbranch_execz .LBB159_128
; %bb.119:
	s_mov_b32 s8, exec_lo
                                        ; implicit-def: $vgpr11
	v_cmpx_ngt_f32_e64 0x41000000, |v4|
	s_xor_b32 s8, exec_lo, s8
	s_cbranch_execz .LBB159_125
; %bb.120:
	s_mov_b32 s11, exec_lo
                                        ; implicit-def: $vgpr11
	v_cmpx_ngt_f32_e64 0x5c800000, |v4|
	s_xor_b32 s11, exec_lo, s11
	s_cbranch_execz .LBB159_122
; %bb.121:
	v_cmp_gt_f32_e64 s12, 0x800000, |v4|
	v_cndmask_b32_e64 v11, 0, 32, s12
	v_ldexp_f32 v11, |v4|, v11
	v_log_f32_e32 v11, v11
	v_mul_f32_e32 v13, 0x3f317217, v11
	v_cmp_gt_f32_e64 s7, 0x7f800000, |v11|
	v_fma_f32 v14, 0x3f317217, v11, -v13
	v_fmamk_f32 v14, v11, 0x3377d1cf, v14
	v_add_f32_e32 v13, v13, v14
	v_cndmask_b32_e64 v11, v11, v13, s7
	v_cndmask_b32_e64 v13, 0, 0x41b17218, s12
	v_sub_f32_e32 v11, v11, v13
	v_fma_f32 v11, |v4|, v11, -|v4|
.LBB159_122:
	s_andn2_saveexec_b32 s11, s11
	s_cbranch_execz .LBB159_124
; %bb.123:
	v_cmp_gt_f32_e64 s12, 0x800000, |v4|
	v_rcp_f32_e64 v13, |v4|
	s_mov_b32 s7, 0xbad5c4e8
	v_cndmask_b32_e64 v11, 0, 32, s12
	v_ldexp_f32 v11, |v4|, v11
	v_mul_f32_e32 v14, v13, v13
	v_log_f32_e32 v11, v11
	v_fmaak_f32 v16, s7, v14, 0x3a5b3dd2
	v_fmaak_f32 v16, v14, v16, 0xba1c065c
	v_mul_f32_e32 v15, 0x3f317217, v11
	v_fmaak_f32 v16, v14, v16, 0x3a500cfd
	v_cmp_gt_f32_e64 s7, 0x7f800000, |v11|
	v_fma_f32 v17, 0x3f317217, v11, -v15
	v_fmaak_f32 v16, v14, v16, 0xbb360b61
	v_fmamk_f32 v17, v11, 0x3377d1cf, v17
	v_fmaak_f32 v14, v14, v16, 0x3daaaaab
	v_add_f32_e32 v15, v15, v17
	v_cndmask_b32_e64 v11, v11, v15, s7
	v_cndmask_b32_e64 v15, 0, 0x41b17218, s12
	v_sub_f32_e32 v15, v11, v15
	v_fmaak_f32 v11, v13, v14, 0x3ed67f1d
	v_add_f32_e64 v13, |v4|, -0.5
	v_add_f32_e32 v14, -1.0, v15
	v_fmac_f32_e32 v11, v13, v14
.LBB159_124:
	s_or_b32 exec_lo, exec_lo, s11
.LBB159_125:
	s_andn2_saveexec_b32 s11, s8
	s_cbranch_execz .LBB159_127
; %bb.126:
	v_cvt_i32_f32_e32 v11, v12
	s_mov_b32 s8, 0x3805ff67
	v_cvt_f32_i32_e32 v13, v11
	v_cmp_lt_i32_e64 s7, 2, v11
	v_sub_f32_e64 v13, |v4|, v13
	v_add_f32_e32 v14, 2.0, v13
	v_add_f32_e32 v15, 0x40400000, v13
	v_add_f32_e32 v16, 4.0, v13
	v_add_f32_e32 v17, 0x40a00000, v13
	v_cndmask_b32_e64 v14, 1.0, v14, s7
	v_cmp_lt_i32_e64 s7, 3, v11
	v_cndmask_b32_e64 v15, 1.0, v15, s7
	v_cmp_lt_i32_e64 s7, 4, v11
	v_mul_f32_e32 v14, v14, v15
	v_cndmask_b32_e64 v16, 1.0, v16, s7
	v_cmp_lt_i32_e64 s7, 5, v11
	v_add_f32_e32 v15, 0x40c00000, v13
	v_mul_f32_e32 v14, v16, v14
	v_cndmask_b32_e64 v17, 1.0, v17, s7
	v_cmp_lt_i32_e64 s7, 6, v11
	v_fmaak_f32 v16, s8, v13, 0x3af135b4
	v_mul_f32_e32 v14, v17, v14
	v_cndmask_b32_e64 v11, 1.0, v15, s7
	s_mov_b32 s7, 0x36f5d7bd
	v_mul_f32_e32 v11, v11, v14
	v_fmaak_f32 v14, s7, v13, 0x3a4beed6
	v_cmp_gt_f32_e64 s7, 0x800000, v11
	v_fmaak_f32 v14, v13, v14, 0x3c98bf54
	v_cndmask_b32_e64 v15, 0, 32, s7
	v_fmaak_f32 v14, v13, v14, 0x3e300f6e
	v_ldexp_f32 v11, v11, v15
	v_fmaak_f32 v15, v13, v16, 0x3cda40e4
	v_fmaak_f32 v14, v13, v14, 0x3f38d0c5
	v_log_f32_e32 v11, v11
	v_fmaak_f32 v15, v13, v15, 0x3e15dce6
	v_fmaak_f32 v14, v13, v14, 0x3fb22d3b
	;; [unrolled: 1-line block ×3, first 2 shown]
	v_fma_f32 v14, v13, v14, 1.0
	v_mul_f32_e32 v16, 0x3f317217, v11
	v_fmaak_f32 v15, v13, v15, 0x3e5c245a
	v_rcp_f32_e32 v14, v14
	v_cmp_gt_f32_e64 s8, 0x7f800000, |v11|
	v_fma_f32 v17, 0x3f317217, v11, -v16
	v_fmaak_f32 v15, v13, v15, 0xbd9e233f
	v_fmamk_f32 v17, v11, 0x3377d1cf, v17
	v_mul_f32_e32 v15, v13, v15
	v_add_f32_e32 v16, v16, v17
	v_mul_f32_e32 v14, v15, v14
	v_cndmask_b32_e64 v15, 0, 0x41b17218, s7
	v_cndmask_b32_e64 v11, v11, v16, s8
	v_fmac_f32_e32 v14, 0.5, v13
	v_sub_f32_e32 v11, v11, v15
	v_add_f32_e32 v11, v11, v14
.LBB159_127:
	s_or_b32 exec_lo, exec_lo, s11
.LBB159_128:
	s_andn2_saveexec_b32 s10, s10
	s_cbranch_execz .LBB159_146
; %bb.129:
                                        ; implicit-def: $vgpr11
                                        ; implicit-def: $vgpr14
                                        ; implicit-def: $vgpr13
	s_mov_b32 s8, exec_lo
	v_cmpx_ge_f32_e64 0x3f666666, |v4|
	s_xor_b32 s11, exec_lo, s8
	s_cbranch_execz .LBB159_131
; %bb.130:
	v_cmp_gt_f32_e64 s8, 0x800000, |v4|
	v_sub_f32_e64 v15, 1.0, |v4|
	v_cmp_gt_f32_e64 s7, 0x3f3b4a23, |v4|
	v_cndmask_b32_e64 v11, 0, 32, s8
	v_cndmask_b32_e64 v16, 0, 0x41b17218, s8
	v_ldexp_f32 v11, |v4|, v11
	v_log_f32_e32 v11, v11
	v_mul_f32_e32 v13, 0x3f317217, v11
	v_cmp_gt_f32_e64 s8, 0x7f800000, |v11|
	v_fma_f32 v14, 0x3f317217, v11, -v13
	v_fmamk_f32 v14, v11, 0x3377d1cf, v14
	v_add_f32_e32 v13, v13, v14
	v_add_f32_e64 v14, 0xbeec5b0c, |v4|
	v_cndmask_b32_e64 v11, v11, v13, s8
	v_cndmask_b32_e64 v13, v15, v14, s7
	;; [unrolled: 1-line block ×3, first 2 shown]
	v_cmp_gt_f32_e64 s7, 0x3e6d3309, |v4|
	v_sub_f32_e32 v11, v11, v16
	v_cndmask_b32_e64 v13, v13, |v4|, s7
	v_cndmask_b32_e64 v14, v14, 2, s7
	v_xor_b32_e32 v11, 0x80000000, v11
.LBB159_131:
	s_andn2_saveexec_b32 s8, s11
	s_cbranch_execz .LBB159_133
; %bb.132:
	v_sub_f32_e64 v11, 2.0, |v4|
	v_add_f32_e64 v13, 0xbfbb16c3, |v4|
	v_cmp_gt_f32_e64 s7, 0x3fdda512, |v4|
	v_add_f32_e64 v14, |v4|, -1.0
	v_cndmask_b32_e64 v13, v11, v13, s7
	v_cndmask_b32_e64 v11, v11, 1.0, s7
	v_cmp_gt_f32_e64 s7, 0x3f9d70a4, |v4|
	v_cvt_i32_f32_e32 v11, v11
	v_cndmask_b32_e64 v13, v13, v14, s7
	v_cndmask_b32_e64 v14, v11, 2, s7
	v_mov_b32_e32 v11, 0
.LBB159_133:
	s_or_b32 exec_lo, exec_lo, s8
	s_mov_b32 s8, exec_lo
	v_cmpx_lt_i32_e32 0, v14
	s_xor_b32 s8, exec_lo, s8
	s_cbranch_execz .LBB159_141
; %bb.134:
	s_mov_b32 s11, exec_lo
	v_cmpx_lt_i32_e32 1, v14
	s_xor_b32 s11, exec_lo, s11
	s_cbranch_execz .LBB159_138
; %bb.135:
	s_mov_b32 s12, exec_lo
	v_cmpx_eq_u32_e32 2, v14
	s_cbranch_execz .LBB159_137
; %bb.136:
	s_mov_b32 s7, 0x3b52d5db
	v_fmaak_f32 v14, s7, v13, 0x3dd572af
	s_mov_b32 s7, 0x3c5b3c5e
	v_fmaak_f32 v15, s7, v13, 0x3e6a7578
	v_fmaak_f32 v14, v13, v14, 0x3f44efdf
	;; [unrolled: 1-line block ×7, first 2 shown]
	v_fma_f32 v14, v13, v14, 1.0
	v_fmaak_f32 v15, v13, v15, 0xbd9e233f
	v_rcp_f32_e32 v14, v14
	v_mul_f32_e32 v15, v13, v15
	v_mul_f32_e32 v14, v15, v14
	v_fmac_f32_e32 v14, -0.5, v13
	v_add_f32_e32 v11, v11, v14
.LBB159_137:
	s_or_b32 exec_lo, exec_lo, s12
                                        ; implicit-def: $vgpr13
.LBB159_138:
	s_andn2_saveexec_b32 s7, s11
	s_cbranch_execz .LBB159_140
; %bb.139:
	v_mul_f32_e32 v14, v13, v13
	s_mov_b32 s11, 0xb9a3f927
	s_mov_b32 s12, 0x39afe9f7
	v_mul_f32_e32 v15, v13, v14
	v_fmaak_f32 v16, s11, v15, 0x3a66f867
	v_fmaak_f32 v17, s12, v15, 0xba0d3085
	s_mov_b32 s11, 0x39a57b6b
	v_fmaak_f32 v18, s11, v15, 0xbab7f476
	v_fmaak_f32 v16, v15, v16, 0xbb7177fe
	;; [unrolled: 1-line block ×9, first 2 shown]
	v_fmac_f32_e32 v16, v13, v17
	v_fmaak_f32 v13, v15, v18, 0x3ef7b95e
	v_fma_f32 v15, v15, -v16, 0xa2863e55
	v_fma_f32 v13, v14, v13, -v15
	v_add_f32_e32 v13, 0xbdf8cdce, v13
	v_add_f32_e32 v11, v11, v13
.LBB159_140:
	s_or_b32 exec_lo, exec_lo, s7
                                        ; implicit-def: $vgpr14
                                        ; implicit-def: $vgpr13
.LBB159_141:
	s_andn2_saveexec_b32 s8, s8
	s_cbranch_execz .LBB159_145
; %bb.142:
	s_mov_b32 s11, exec_lo
	v_cmpx_eq_u32_e32 0, v14
	s_cbranch_execz .LBB159_144
; %bb.143:
	v_mul_f32_e32 v14, v13, v13
	s_mov_b32 s7, 0x383c2c75
	v_fmaak_f32 v15, s7, v14, 0x38e28445
	s_mov_b32 s7, 0x37d383a2
	v_fmaak_f32 v16, s7, v14, 0x39679767
	v_fmaak_f32 v15, v14, v15, 0x3a05b634
	v_fmaak_f32 v16, v14, v16, 0x3a9c54a1
	v_fmaak_f32 v15, v14, v15, 0x3b3d6ec6
	v_fmaak_f32 v16, v14, v16, 0x3bf2027e
	v_fmaak_f32 v15, v14, v15, 0x3ca89915
	v_fmaak_f32 v16, v14, v16, 0x3d89f001
	v_fmaak_f32 v15, v14, v15, 0x3ea51a66
	v_fmaak_f32 v16, v14, v16, 0x3d9e233f
	v_mul_f32_e32 v14, v14, v15
	v_fmac_f32_e32 v14, v13, v16
	v_fmac_f32_e32 v14, -0.5, v13
	v_add_f32_e32 v11, v11, v14
.LBB159_144:
	s_or_b32 exec_lo, exec_lo, s11
.LBB159_145:
	s_or_b32 exec_lo, exec_lo, s8
.LBB159_146:
	s_or_b32 exec_lo, exec_lo, s10
.LBB159_147:
	s_andn2_saveexec_b32 s8, s9
	s_cbranch_execz .LBB159_149
; %bb.148:
	v_cmp_gt_f32_e64 s9, 0x800000, |v4|
	s_mov_b32 s7, 0x3e8a8991
	v_fma_f32 v15, |v4|, s7, 0xbecd26ab
	v_cndmask_b32_e64 v11, 0, 32, s9
	v_ldexp_f32 v11, |v4|, v11
	v_log_f32_e32 v11, v11
	v_mul_f32_e32 v13, 0x3f317217, v11
	v_cmp_gt_f32_e64 s7, 0x7f800000, |v11|
	v_fma_f32 v14, 0x3f317217, v11, -v13
	v_fmamk_f32 v14, v11, 0x3377d1cf, v14
	v_add_f32_e32 v13, v13, v14
	v_fma_f32 v14, |v4|, v15, 0x3f528d33
	v_cndmask_b32_e64 v11, v11, v13, s7
	v_cndmask_b32_e64 v13, 0, 0x41b17218, s9
	v_fma_f32 v14, |v4|, v14, 0xbf13c468
	v_sub_f32_e32 v11, v11, v13
	v_fma_f32 v11, |v4|, v14, -v11
.LBB159_149:
	s_or_b32 exec_lo, exec_lo, s8
	v_cmp_le_f32_e64 s7, 0, v4
	s_mov_b32 s9, exec_lo
	v_cmpx_nle_f32_e32 0, v4
	s_xor_b32 s10, exec_lo, s9
	s_cbranch_execz .LBB159_153
; %bb.150:
	v_cmp_gt_f32_e64 s8, 0x4b000000, |v4|
	v_cmp_lt_f32_e64 s9, 0x35000000, |v4|
	s_and_b32 s8, s8, s9
	s_and_saveexec_b32 s11, s8
	s_cbranch_execz .LBB159_152
; %bb.151:
	v_mul_f32_e64 v13, |v4|, 0.5
	s_mov_b32 s9, 0x3d4be544
	v_floor_f32_e32 v14, v13
	v_cmp_neq_f32_e64 s8, 0x7f800000, v13
	v_sub_f32_e32 v14, v13, v14
	v_min_f32_e32 v14, 0x3f7fffff, v14
	v_add_f32_e32 v14, v14, v14
	v_cndmask_b32_e64 v13, 0, v14, s8
	v_cmp_gt_f32_e64 s8, |v4|, 1.0
	v_cndmask_b32_e64 v13, |v4|, v13, s8
	s_mov_b32 s8, 0x3e75aa41
	v_add_f32_e32 v14, v13, v13
	v_rndne_f32_e32 v14, v14
	v_fmac_f32_e32 v13, -0.5, v14
	v_cvt_i32_f32_e32 v14, v14
	v_mul_f32_e32 v15, v13, v13
	v_fmaak_f32 v16, s8, v15, 0xbf1f24be
	v_fmaak_f32 v17, s9, v15, 0x3e642e9d
	v_mul_f32_e32 v18, v13, v15
	v_fmaak_f32 v16, v15, v16, 0x40234736
	v_fmaak_f32 v17, v15, v17, 0xbfaad1da
	v_fmaak_f32 v16, v15, v16, 0xc0a55e0e
	v_fmaak_f32 v17, v15, v17, 0x4081e0d3
	v_mul_f32_e32 v16, v18, v16
	v_fmaak_f32 v17, v15, v17, 0xc09de9e6
	v_and_b32_e32 v18, 1, v14
	v_lshlrev_b32_e32 v14, 30, v14
	v_fmamk_f32 v13, v13, 0x40490fdb, v16
	v_fma_f32 v15, v15, v17, 1.0
	v_cmp_eq_u32_e64 s8, 0, v18
	v_and_or_b32 v12, 0x80000000, v14, v12
	v_cndmask_b32_e64 v13, v15, v13, s8
	v_xor3_b32 v12, v12, v13, v4
	v_mul_f32_e32 v12, v4, v12
	v_frexp_mant_f32_e64 v13, |v12|
	v_frexp_exp_i32_f32_e32 v12, v12
	v_rcp_f32_e32 v13, v13
	v_sub_nc_u32_e32 v12, 2, v12
	v_mul_f32_e32 v13, 0x3f490fdb, v13
	v_ldexp_f32 v12, v13, v12
	v_cmp_gt_f32_e64 s8, 0x800000, v12
	v_cndmask_b32_e64 v13, 0, 32, s8
	v_ldexp_f32 v12, v12, v13
	v_log_f32_e32 v12, v12
	v_mul_f32_e32 v13, 0x3f317217, v12
	v_cmp_gt_f32_e64 s9, 0x7f800000, |v12|
	v_fma_f32 v14, 0x3f317217, v12, -v13
	v_fmamk_f32 v14, v12, 0x3377d1cf, v14
	v_add_f32_e32 v13, v13, v14
	v_floor_f32_e32 v14, v4
	v_cndmask_b32_e64 v12, v12, v13, s9
	v_cndmask_b32_e64 v13, 0, 0x41b17218, s8
	v_sub_f32_e32 v14, v4, v14
	v_sub_f32_e32 v12, v12, v13
	v_min_f32_e32 v13, 0x3f7fffff, v14
	v_sub_f32_e32 v11, v12, v11
	v_cmp_neq_f32_e64 s8, 0, v13
	v_cndmask_b32_e64 v11, 0x7f800000, v11, s8
.LBB159_152:
	s_or_b32 exec_lo, exec_lo, s11
.LBB159_153:
	s_andn2_saveexec_b32 s10, s10
; %bb.154:
	v_cmp_eq_f32_e64 s8, 1.0, v4
	v_cmp_eq_f32_e64 s9, 2.0, v4
	s_or_b32 s8, s8, s9
	v_cndmask_b32_e64 v11, v11, 0, s8
; %bb.155:
	s_or_b32 exec_lo, exec_lo, s10
	s_waitcnt vmcnt(0)
	v_lshlrev_b32_e32 v12, 16, v1
                                        ; implicit-def: $vgpr13
	s_mov_b32 s9, exec_lo
	v_and_b32_e32 v14, 0x7fffffff, v12
	v_cmpx_ngt_f32_e64 0x3c800000, |v12|
	s_xor_b32 s10, exec_lo, s9
	s_cbranch_execz .LBB159_185
; %bb.156:
                                        ; implicit-def: $vgpr13
	s_mov_b32 s9, exec_lo
	v_cmpx_nlt_f32_e64 |v12|, 2.0
	s_xor_b32 s11, exec_lo, s9
	s_cbranch_execz .LBB159_166
; %bb.157:
	s_mov_b32 s9, exec_lo
                                        ; implicit-def: $vgpr13
	v_cmpx_ngt_f32_e64 0x41000000, |v12|
	s_xor_b32 s9, exec_lo, s9
	s_cbranch_execz .LBB159_163
; %bb.158:
	s_mov_b32 s12, exec_lo
                                        ; implicit-def: $vgpr13
	v_cmpx_ngt_f32_e64 0x5c800000, |v12|
	s_xor_b32 s12, exec_lo, s12
	s_cbranch_execz .LBB159_160
; %bb.159:
	v_cmp_gt_f32_e64 s13, 0x800000, |v12|
	v_cndmask_b32_e64 v13, 0, 32, s13
	v_ldexp_f32 v13, |v12|, v13
	v_log_f32_e32 v13, v13
	v_mul_f32_e32 v15, 0x3f317217, v13
	v_cmp_gt_f32_e64 s8, 0x7f800000, |v13|
	v_fma_f32 v16, 0x3f317217, v13, -v15
	v_fmamk_f32 v16, v13, 0x3377d1cf, v16
	v_add_f32_e32 v15, v15, v16
	v_cndmask_b32_e64 v13, v13, v15, s8
	v_cndmask_b32_e64 v15, 0, 0x41b17218, s13
	v_sub_f32_e32 v13, v13, v15
	v_fma_f32 v13, |v12|, v13, -|v12|
.LBB159_160:
	s_andn2_saveexec_b32 s12, s12
	s_cbranch_execz .LBB159_162
; %bb.161:
	v_cmp_gt_f32_e64 s13, 0x800000, |v12|
	v_rcp_f32_e64 v15, |v12|
	s_mov_b32 s8, 0xbad5c4e8
	v_cndmask_b32_e64 v13, 0, 32, s13
	v_ldexp_f32 v13, |v12|, v13
	v_mul_f32_e32 v16, v15, v15
	v_log_f32_e32 v13, v13
	v_fmaak_f32 v18, s8, v16, 0x3a5b3dd2
	v_fmaak_f32 v18, v16, v18, 0xba1c065c
	v_mul_f32_e32 v17, 0x3f317217, v13
	v_fmaak_f32 v18, v16, v18, 0x3a500cfd
	v_cmp_gt_f32_e64 s8, 0x7f800000, |v13|
	v_fma_f32 v19, 0x3f317217, v13, -v17
	v_fmaak_f32 v18, v16, v18, 0xbb360b61
	v_fmamk_f32 v19, v13, 0x3377d1cf, v19
	v_fmaak_f32 v16, v16, v18, 0x3daaaaab
	v_add_f32_e32 v17, v17, v19
	v_cndmask_b32_e64 v13, v13, v17, s8
	v_cndmask_b32_e64 v17, 0, 0x41b17218, s13
	v_sub_f32_e32 v17, v13, v17
	v_fmaak_f32 v13, v15, v16, 0x3ed67f1d
	v_add_f32_e64 v15, |v12|, -0.5
	v_add_f32_e32 v16, -1.0, v17
	v_fmac_f32_e32 v13, v15, v16
.LBB159_162:
	s_or_b32 exec_lo, exec_lo, s12
.LBB159_163:
	s_andn2_saveexec_b32 s12, s9
	s_cbranch_execz .LBB159_165
; %bb.164:
	v_cvt_i32_f32_e32 v13, v14
	s_mov_b32 s9, 0x3805ff67
	v_cvt_f32_i32_e32 v15, v13
	v_cmp_lt_i32_e64 s8, 2, v13
	v_sub_f32_e64 v15, |v12|, v15
	v_add_f32_e32 v16, 2.0, v15
	v_add_f32_e32 v17, 0x40400000, v15
	v_add_f32_e32 v18, 4.0, v15
	v_add_f32_e32 v19, 0x40a00000, v15
	v_cndmask_b32_e64 v16, 1.0, v16, s8
	v_cmp_lt_i32_e64 s8, 3, v13
	v_cndmask_b32_e64 v17, 1.0, v17, s8
	v_cmp_lt_i32_e64 s8, 4, v13
	v_mul_f32_e32 v16, v16, v17
	v_cndmask_b32_e64 v18, 1.0, v18, s8
	v_cmp_lt_i32_e64 s8, 5, v13
	v_add_f32_e32 v17, 0x40c00000, v15
	v_mul_f32_e32 v16, v18, v16
	v_cndmask_b32_e64 v19, 1.0, v19, s8
	v_cmp_lt_i32_e64 s8, 6, v13
	v_fmaak_f32 v18, s9, v15, 0x3af135b4
	v_mul_f32_e32 v16, v19, v16
	v_cndmask_b32_e64 v13, 1.0, v17, s8
	s_mov_b32 s8, 0x36f5d7bd
	v_mul_f32_e32 v13, v13, v16
	v_fmaak_f32 v16, s8, v15, 0x3a4beed6
	v_cmp_gt_f32_e64 s8, 0x800000, v13
	v_fmaak_f32 v16, v15, v16, 0x3c98bf54
	v_cndmask_b32_e64 v17, 0, 32, s8
	v_fmaak_f32 v16, v15, v16, 0x3e300f6e
	v_ldexp_f32 v13, v13, v17
	v_fmaak_f32 v17, v15, v18, 0x3cda40e4
	v_fmaak_f32 v16, v15, v16, 0x3f38d0c5
	v_log_f32_e32 v13, v13
	v_fmaak_f32 v17, v15, v17, 0x3e15dce6
	v_fmaak_f32 v16, v15, v16, 0x3fb22d3b
	;; [unrolled: 1-line block ×3, first 2 shown]
	v_fma_f32 v16, v15, v16, 1.0
	v_mul_f32_e32 v18, 0x3f317217, v13
	v_fmaak_f32 v17, v15, v17, 0x3e5c245a
	v_rcp_f32_e32 v16, v16
	v_cmp_gt_f32_e64 s9, 0x7f800000, |v13|
	v_fma_f32 v19, 0x3f317217, v13, -v18
	v_fmaak_f32 v17, v15, v17, 0xbd9e233f
	v_fmamk_f32 v19, v13, 0x3377d1cf, v19
	v_mul_f32_e32 v17, v15, v17
	v_add_f32_e32 v18, v18, v19
	v_mul_f32_e32 v16, v17, v16
	v_cndmask_b32_e64 v17, 0, 0x41b17218, s8
	v_cndmask_b32_e64 v13, v13, v18, s9
	v_fmac_f32_e32 v16, 0.5, v15
	v_sub_f32_e32 v13, v13, v17
	v_add_f32_e32 v13, v13, v16
.LBB159_165:
	s_or_b32 exec_lo, exec_lo, s12
.LBB159_166:
	s_andn2_saveexec_b32 s11, s11
	s_cbranch_execz .LBB159_184
; %bb.167:
                                        ; implicit-def: $vgpr13
                                        ; implicit-def: $vgpr16
                                        ; implicit-def: $vgpr15
	s_mov_b32 s9, exec_lo
	v_cmpx_ge_f32_e64 0x3f666666, |v12|
	s_xor_b32 s12, exec_lo, s9
	s_cbranch_execz .LBB159_169
; %bb.168:
	v_cmp_gt_f32_e64 s9, 0x800000, |v12|
	v_sub_f32_e64 v17, 1.0, |v12|
	v_cmp_gt_f32_e64 s8, 0x3f3b4a23, |v12|
	v_cndmask_b32_e64 v13, 0, 32, s9
	v_cndmask_b32_e64 v18, 0, 0x41b17218, s9
	v_ldexp_f32 v13, |v12|, v13
	v_log_f32_e32 v13, v13
	v_mul_f32_e32 v15, 0x3f317217, v13
	v_cmp_gt_f32_e64 s9, 0x7f800000, |v13|
	v_fma_f32 v16, 0x3f317217, v13, -v15
	v_fmamk_f32 v16, v13, 0x3377d1cf, v16
	v_add_f32_e32 v15, v15, v16
	v_add_f32_e64 v16, 0xbeec5b0c, |v12|
	v_cndmask_b32_e64 v13, v13, v15, s9
	v_cndmask_b32_e64 v15, v17, v16, s8
	;; [unrolled: 1-line block ×3, first 2 shown]
	v_cmp_gt_f32_e64 s8, 0x3e6d3309, |v12|
	v_sub_f32_e32 v13, v13, v18
	v_cndmask_b32_e64 v15, v15, |v12|, s8
	v_cndmask_b32_e64 v16, v16, 2, s8
	v_xor_b32_e32 v13, 0x80000000, v13
.LBB159_169:
	s_andn2_saveexec_b32 s9, s12
	s_cbranch_execz .LBB159_171
; %bb.170:
	v_sub_f32_e64 v13, 2.0, |v12|
	v_add_f32_e64 v15, 0xbfbb16c3, |v12|
	v_cmp_gt_f32_e64 s8, 0x3fdda512, |v12|
	v_add_f32_e64 v16, |v12|, -1.0
	v_cndmask_b32_e64 v15, v13, v15, s8
	v_cndmask_b32_e64 v13, v13, 1.0, s8
	v_cmp_gt_f32_e64 s8, 0x3f9d70a4, |v12|
	v_cvt_i32_f32_e32 v13, v13
	v_cndmask_b32_e64 v15, v15, v16, s8
	v_cndmask_b32_e64 v16, v13, 2, s8
	v_mov_b32_e32 v13, 0
.LBB159_171:
	s_or_b32 exec_lo, exec_lo, s9
	s_mov_b32 s9, exec_lo
	v_cmpx_lt_i32_e32 0, v16
	s_xor_b32 s9, exec_lo, s9
	s_cbranch_execz .LBB159_179
; %bb.172:
	s_mov_b32 s12, exec_lo
	v_cmpx_lt_i32_e32 1, v16
	s_xor_b32 s12, exec_lo, s12
	s_cbranch_execz .LBB159_176
; %bb.173:
	s_mov_b32 s13, exec_lo
	v_cmpx_eq_u32_e32 2, v16
	s_cbranch_execz .LBB159_175
; %bb.174:
	s_mov_b32 s8, 0x3b52d5db
	v_fmaak_f32 v16, s8, v15, 0x3dd572af
	s_mov_b32 s8, 0x3c5b3c5e
	v_fmaak_f32 v17, s8, v15, 0x3e6a7578
	v_fmaak_f32 v16, v15, v16, 0x3f44efdf
	;; [unrolled: 1-line block ×7, first 2 shown]
	v_fma_f32 v16, v15, v16, 1.0
	v_fmaak_f32 v17, v15, v17, 0xbd9e233f
	v_rcp_f32_e32 v16, v16
	v_mul_f32_e32 v17, v15, v17
	v_mul_f32_e32 v16, v17, v16
	v_fmac_f32_e32 v16, -0.5, v15
	v_add_f32_e32 v13, v13, v16
.LBB159_175:
	s_or_b32 exec_lo, exec_lo, s13
                                        ; implicit-def: $vgpr15
.LBB159_176:
	s_andn2_saveexec_b32 s8, s12
	s_cbranch_execz .LBB159_178
; %bb.177:
	v_mul_f32_e32 v16, v15, v15
	s_mov_b32 s12, 0xb9a3f927
	s_mov_b32 s13, 0x39afe9f7
	v_mul_f32_e32 v17, v15, v16
	v_fmaak_f32 v18, s12, v17, 0x3a66f867
	v_fmaak_f32 v19, s13, v17, 0xba0d3085
	s_mov_b32 s12, 0x39a57b6b
	v_fmaak_f32 v20, s12, v17, 0xbab7f476
	v_fmaak_f32 v18, v17, v18, 0xbb7177fe
	;; [unrolled: 1-line block ×9, first 2 shown]
	v_fmac_f32_e32 v18, v15, v19
	v_fmaak_f32 v15, v17, v20, 0x3ef7b95e
	v_fma_f32 v17, v17, -v18, 0xa2863e55
	v_fma_f32 v15, v16, v15, -v17
	v_add_f32_e32 v15, 0xbdf8cdce, v15
	v_add_f32_e32 v13, v13, v15
.LBB159_178:
	s_or_b32 exec_lo, exec_lo, s8
                                        ; implicit-def: $vgpr16
                                        ; implicit-def: $vgpr15
.LBB159_179:
	s_andn2_saveexec_b32 s9, s9
	s_cbranch_execz .LBB159_183
; %bb.180:
	s_mov_b32 s12, exec_lo
	v_cmpx_eq_u32_e32 0, v16
	s_cbranch_execz .LBB159_182
; %bb.181:
	v_mul_f32_e32 v16, v15, v15
	s_mov_b32 s8, 0x383c2c75
	v_fmaak_f32 v17, s8, v16, 0x38e28445
	s_mov_b32 s8, 0x37d383a2
	v_fmaak_f32 v18, s8, v16, 0x39679767
	v_fmaak_f32 v17, v16, v17, 0x3a05b634
	;; [unrolled: 1-line block ×9, first 2 shown]
	v_mul_f32_e32 v16, v16, v17
	v_fmac_f32_e32 v16, v15, v18
	v_fmac_f32_e32 v16, -0.5, v15
	v_add_f32_e32 v13, v13, v16
.LBB159_182:
	s_or_b32 exec_lo, exec_lo, s12
.LBB159_183:
	s_or_b32 exec_lo, exec_lo, s9
.LBB159_184:
	s_or_b32 exec_lo, exec_lo, s11
.LBB159_185:
	s_andn2_saveexec_b32 s9, s10
	s_cbranch_execz .LBB159_187
; %bb.186:
	v_cmp_gt_f32_e64 s10, 0x800000, |v12|
	s_mov_b32 s8, 0x3e8a8991
	v_fma_f32 v17, |v12|, s8, 0xbecd26ab
	v_cndmask_b32_e64 v13, 0, 32, s10
	v_ldexp_f32 v13, |v12|, v13
	v_log_f32_e32 v13, v13
	v_mul_f32_e32 v15, 0x3f317217, v13
	v_cmp_gt_f32_e64 s8, 0x7f800000, |v13|
	v_fma_f32 v16, 0x3f317217, v13, -v15
	v_fmamk_f32 v16, v13, 0x3377d1cf, v16
	v_add_f32_e32 v15, v15, v16
	v_fma_f32 v16, |v12|, v17, 0x3f528d33
	v_cndmask_b32_e64 v13, v13, v15, s8
	v_cndmask_b32_e64 v15, 0, 0x41b17218, s10
	v_fma_f32 v16, |v12|, v16, 0xbf13c468
	v_sub_f32_e32 v13, v13, v15
	v_fma_f32 v13, |v12|, v16, -v13
.LBB159_187:
	s_or_b32 exec_lo, exec_lo, s9
	v_cmp_le_f32_e64 s8, 0, v12
	s_mov_b32 s10, exec_lo
	v_cmpx_nle_f32_e32 0, v12
	s_xor_b32 s11, exec_lo, s10
	s_cbranch_execz .LBB159_191
; %bb.188:
	v_cmp_gt_f32_e64 s9, 0x4b000000, |v12|
	v_cmp_lt_f32_e64 s10, 0x35000000, |v12|
	s_and_b32 s9, s9, s10
	s_and_saveexec_b32 s12, s9
	s_cbranch_execz .LBB159_190
; %bb.189:
	v_mul_f32_e64 v15, |v12|, 0.5
	s_mov_b32 s10, 0x3d4be544
	v_floor_f32_e32 v16, v15
	v_cmp_neq_f32_e64 s9, 0x7f800000, v15
	v_sub_f32_e32 v16, v15, v16
	v_min_f32_e32 v16, 0x3f7fffff, v16
	v_add_f32_e32 v16, v16, v16
	v_cndmask_b32_e64 v15, 0, v16, s9
	v_cmp_gt_f32_e64 s9, |v12|, 1.0
	v_cndmask_b32_e64 v15, |v12|, v15, s9
	s_mov_b32 s9, 0x3e75aa41
	v_add_f32_e32 v16, v15, v15
	v_rndne_f32_e32 v16, v16
	v_fmac_f32_e32 v15, -0.5, v16
	v_cvt_i32_f32_e32 v16, v16
	v_mul_f32_e32 v17, v15, v15
	v_fmaak_f32 v18, s9, v17, 0xbf1f24be
	v_fmaak_f32 v19, s10, v17, 0x3e642e9d
	v_mul_f32_e32 v20, v15, v17
	v_fmaak_f32 v18, v17, v18, 0x40234736
	v_fmaak_f32 v19, v17, v19, 0xbfaad1da
	;; [unrolled: 1-line block ×4, first 2 shown]
	v_mul_f32_e32 v18, v20, v18
	v_fmaak_f32 v19, v17, v19, 0xc09de9e6
	v_and_b32_e32 v20, 1, v16
	v_lshlrev_b32_e32 v16, 30, v16
	v_fmamk_f32 v15, v15, 0x40490fdb, v18
	v_fma_f32 v17, v17, v19, 1.0
	v_cmp_eq_u32_e64 s9, 0, v20
	v_and_or_b32 v14, 0x80000000, v16, v14
	v_cndmask_b32_e64 v15, v17, v15, s9
	v_xor3_b32 v14, v14, v15, v12
	v_mul_f32_e32 v14, v12, v14
	v_frexp_mant_f32_e64 v15, |v14|
	v_frexp_exp_i32_f32_e32 v14, v14
	v_rcp_f32_e32 v15, v15
	v_sub_nc_u32_e32 v14, 2, v14
	v_mul_f32_e32 v15, 0x3f490fdb, v15
	v_ldexp_f32 v14, v15, v14
	v_cmp_gt_f32_e64 s9, 0x800000, v14
	v_cndmask_b32_e64 v15, 0, 32, s9
	v_ldexp_f32 v14, v14, v15
	v_log_f32_e32 v14, v14
	v_mul_f32_e32 v15, 0x3f317217, v14
	v_cmp_gt_f32_e64 s10, 0x7f800000, |v14|
	v_fma_f32 v16, 0x3f317217, v14, -v15
	v_fmamk_f32 v16, v14, 0x3377d1cf, v16
	v_add_f32_e32 v15, v15, v16
	v_floor_f32_e32 v16, v12
	v_cndmask_b32_e64 v14, v14, v15, s10
	v_cndmask_b32_e64 v15, 0, 0x41b17218, s9
	v_sub_f32_e32 v16, v12, v16
	v_sub_f32_e32 v14, v14, v15
	v_min_f32_e32 v15, 0x3f7fffff, v16
	v_sub_f32_e32 v13, v14, v13
	v_cmp_neq_f32_e64 s9, 0, v15
	v_cndmask_b32_e64 v13, 0x7f800000, v13, s9
.LBB159_190:
	s_or_b32 exec_lo, exec_lo, s12
.LBB159_191:
	s_andn2_saveexec_b32 s11, s11
; %bb.192:
	v_cmp_eq_f32_e64 s9, 1.0, v12
	v_cmp_eq_f32_e64 s10, 2.0, v12
	s_or_b32 s9, s9, s10
	v_cndmask_b32_e64 v13, v13, 0, s9
; %bb.193:
	s_or_b32 exec_lo, exec_lo, s11
	v_and_b32_e32 v1, 0xffff0000, v1
                                        ; implicit-def: $vgpr14
	s_mov_b32 s10, exec_lo
	v_and_b32_e32 v15, 0x7fffffff, v1
	v_cmpx_ngt_f32_e64 0x3c800000, |v1|
	s_xor_b32 s11, exec_lo, s10
	s_cbranch_execz .LBB159_223
; %bb.194:
                                        ; implicit-def: $vgpr14
	s_mov_b32 s10, exec_lo
	v_cmpx_nlt_f32_e64 |v1|, 2.0
	s_xor_b32 s12, exec_lo, s10
	s_cbranch_execz .LBB159_204
; %bb.195:
	s_mov_b32 s10, exec_lo
                                        ; implicit-def: $vgpr14
	v_cmpx_ngt_f32_e64 0x41000000, |v1|
	s_xor_b32 s10, exec_lo, s10
	s_cbranch_execz .LBB159_201
; %bb.196:
	s_mov_b32 s13, exec_lo
                                        ; implicit-def: $vgpr14
	v_cmpx_ngt_f32_e64 0x5c800000, |v1|
	s_xor_b32 s13, exec_lo, s13
	s_cbranch_execz .LBB159_198
; %bb.197:
	v_cmp_gt_f32_e64 s21, 0x800000, |v1|
	v_cndmask_b32_e64 v14, 0, 32, s21
	v_ldexp_f32 v14, |v1|, v14
	v_log_f32_e32 v14, v14
	v_mul_f32_e32 v16, 0x3f317217, v14
	v_cmp_gt_f32_e64 s9, 0x7f800000, |v14|
	v_fma_f32 v17, 0x3f317217, v14, -v16
	v_fmamk_f32 v17, v14, 0x3377d1cf, v17
	v_add_f32_e32 v16, v16, v17
	v_cndmask_b32_e64 v14, v14, v16, s9
	v_cndmask_b32_e64 v16, 0, 0x41b17218, s21
	v_sub_f32_e32 v14, v14, v16
	v_fma_f32 v14, |v1|, v14, -|v1|
.LBB159_198:
	s_andn2_saveexec_b32 s13, s13
	s_cbranch_execz .LBB159_200
; %bb.199:
	v_cmp_gt_f32_e64 s21, 0x800000, |v1|
	v_rcp_f32_e64 v16, |v1|
	s_mov_b32 s9, 0xbad5c4e8
	v_cndmask_b32_e64 v14, 0, 32, s21
	v_ldexp_f32 v14, |v1|, v14
	v_mul_f32_e32 v17, v16, v16
	v_log_f32_e32 v14, v14
	v_fmaak_f32 v19, s9, v17, 0x3a5b3dd2
	v_fmaak_f32 v19, v17, v19, 0xba1c065c
	v_mul_f32_e32 v18, 0x3f317217, v14
	v_fmaak_f32 v19, v17, v19, 0x3a500cfd
	v_cmp_gt_f32_e64 s9, 0x7f800000, |v14|
	v_fma_f32 v20, 0x3f317217, v14, -v18
	v_fmaak_f32 v19, v17, v19, 0xbb360b61
	v_fmamk_f32 v20, v14, 0x3377d1cf, v20
	v_fmaak_f32 v17, v17, v19, 0x3daaaaab
	v_add_f32_e32 v18, v18, v20
	v_cndmask_b32_e64 v14, v14, v18, s9
	v_cndmask_b32_e64 v18, 0, 0x41b17218, s21
	v_sub_f32_e32 v18, v14, v18
	v_fmaak_f32 v14, v16, v17, 0x3ed67f1d
	v_add_f32_e64 v16, |v1|, -0.5
	v_add_f32_e32 v17, -1.0, v18
	v_fmac_f32_e32 v14, v16, v17
.LBB159_200:
	s_or_b32 exec_lo, exec_lo, s13
.LBB159_201:
	s_andn2_saveexec_b32 s13, s10
	s_cbranch_execz .LBB159_203
; %bb.202:
	v_cvt_i32_f32_e32 v14, v15
	s_mov_b32 s10, 0x3805ff67
	v_cvt_f32_i32_e32 v16, v14
	v_cmp_lt_i32_e64 s9, 2, v14
	v_sub_f32_e64 v16, |v1|, v16
	v_add_f32_e32 v17, 2.0, v16
	v_add_f32_e32 v18, 0x40400000, v16
	v_add_f32_e32 v19, 4.0, v16
	v_add_f32_e32 v20, 0x40a00000, v16
	v_cndmask_b32_e64 v17, 1.0, v17, s9
	v_cmp_lt_i32_e64 s9, 3, v14
	v_cndmask_b32_e64 v18, 1.0, v18, s9
	v_cmp_lt_i32_e64 s9, 4, v14
	v_mul_f32_e32 v17, v17, v18
	v_cndmask_b32_e64 v19, 1.0, v19, s9
	v_cmp_lt_i32_e64 s9, 5, v14
	v_add_f32_e32 v18, 0x40c00000, v16
	v_mul_f32_e32 v17, v19, v17
	v_cndmask_b32_e64 v20, 1.0, v20, s9
	v_cmp_lt_i32_e64 s9, 6, v14
	v_fmaak_f32 v19, s10, v16, 0x3af135b4
	v_mul_f32_e32 v17, v20, v17
	v_cndmask_b32_e64 v14, 1.0, v18, s9
	s_mov_b32 s9, 0x36f5d7bd
	v_mul_f32_e32 v14, v14, v17
	v_fmaak_f32 v17, s9, v16, 0x3a4beed6
	v_cmp_gt_f32_e64 s9, 0x800000, v14
	v_fmaak_f32 v17, v16, v17, 0x3c98bf54
	v_cndmask_b32_e64 v18, 0, 32, s9
	v_fmaak_f32 v17, v16, v17, 0x3e300f6e
	v_ldexp_f32 v14, v14, v18
	v_fmaak_f32 v18, v16, v19, 0x3cda40e4
	v_fmaak_f32 v17, v16, v17, 0x3f38d0c5
	v_log_f32_e32 v14, v14
	v_fmaak_f32 v18, v16, v18, 0x3e15dce6
	v_fmaak_f32 v17, v16, v17, 0x3fb22d3b
	;; [unrolled: 1-line block ×3, first 2 shown]
	v_fma_f32 v17, v16, v17, 1.0
	v_mul_f32_e32 v19, 0x3f317217, v14
	v_fmaak_f32 v18, v16, v18, 0x3e5c245a
	v_rcp_f32_e32 v17, v17
	v_cmp_gt_f32_e64 s10, 0x7f800000, |v14|
	v_fma_f32 v20, 0x3f317217, v14, -v19
	v_fmaak_f32 v18, v16, v18, 0xbd9e233f
	v_fmamk_f32 v20, v14, 0x3377d1cf, v20
	v_mul_f32_e32 v18, v16, v18
	v_add_f32_e32 v19, v19, v20
	v_mul_f32_e32 v17, v18, v17
	v_cndmask_b32_e64 v18, 0, 0x41b17218, s9
	v_cndmask_b32_e64 v14, v14, v19, s10
	v_fmac_f32_e32 v17, 0.5, v16
	v_sub_f32_e32 v14, v14, v18
	v_add_f32_e32 v14, v14, v17
.LBB159_203:
	s_or_b32 exec_lo, exec_lo, s13
.LBB159_204:
	s_andn2_saveexec_b32 s12, s12
	s_cbranch_execz .LBB159_222
; %bb.205:
                                        ; implicit-def: $vgpr14
                                        ; implicit-def: $vgpr17
                                        ; implicit-def: $vgpr16
	s_mov_b32 s10, exec_lo
	v_cmpx_ge_f32_e64 0x3f666666, |v1|
	s_xor_b32 s13, exec_lo, s10
	s_cbranch_execz .LBB159_207
; %bb.206:
	v_cmp_gt_f32_e64 s10, 0x800000, |v1|
	v_sub_f32_e64 v18, 1.0, |v1|
	v_cmp_gt_f32_e64 s9, 0x3f3b4a23, |v1|
	v_cndmask_b32_e64 v14, 0, 32, s10
	v_cndmask_b32_e64 v19, 0, 0x41b17218, s10
	v_ldexp_f32 v14, |v1|, v14
	v_log_f32_e32 v14, v14
	v_mul_f32_e32 v16, 0x3f317217, v14
	v_cmp_gt_f32_e64 s10, 0x7f800000, |v14|
	v_fma_f32 v17, 0x3f317217, v14, -v16
	v_fmamk_f32 v17, v14, 0x3377d1cf, v17
	v_add_f32_e32 v16, v16, v17
	v_add_f32_e64 v17, 0xbeec5b0c, |v1|
	v_cndmask_b32_e64 v14, v14, v16, s10
	v_cndmask_b32_e64 v16, v18, v17, s9
	;; [unrolled: 1-line block ×3, first 2 shown]
	v_cmp_gt_f32_e64 s9, 0x3e6d3309, |v1|
	v_sub_f32_e32 v14, v14, v19
	v_cndmask_b32_e64 v16, v16, |v1|, s9
	v_cndmask_b32_e64 v17, v17, 2, s9
	v_xor_b32_e32 v14, 0x80000000, v14
.LBB159_207:
	s_andn2_saveexec_b32 s10, s13
	s_cbranch_execz .LBB159_209
; %bb.208:
	v_sub_f32_e64 v14, 2.0, |v1|
	v_add_f32_e64 v16, 0xbfbb16c3, |v1|
	v_cmp_gt_f32_e64 s9, 0x3fdda512, |v1|
	v_add_f32_e64 v17, |v1|, -1.0
	v_cndmask_b32_e64 v16, v14, v16, s9
	v_cndmask_b32_e64 v14, v14, 1.0, s9
	v_cmp_gt_f32_e64 s9, 0x3f9d70a4, |v1|
	v_cvt_i32_f32_e32 v14, v14
	v_cndmask_b32_e64 v16, v16, v17, s9
	v_cndmask_b32_e64 v17, v14, 2, s9
	v_mov_b32_e32 v14, 0
.LBB159_209:
	s_or_b32 exec_lo, exec_lo, s10
	s_mov_b32 s10, exec_lo
	v_cmpx_lt_i32_e32 0, v17
	s_xor_b32 s10, exec_lo, s10
	s_cbranch_execz .LBB159_217
; %bb.210:
	s_mov_b32 s13, exec_lo
	v_cmpx_lt_i32_e32 1, v17
	s_xor_b32 s13, exec_lo, s13
	s_cbranch_execz .LBB159_214
; %bb.211:
	s_mov_b32 s21, exec_lo
	v_cmpx_eq_u32_e32 2, v17
	s_cbranch_execz .LBB159_213
; %bb.212:
	s_mov_b32 s9, 0x3b52d5db
	v_fmaak_f32 v17, s9, v16, 0x3dd572af
	s_mov_b32 s9, 0x3c5b3c5e
	v_fmaak_f32 v18, s9, v16, 0x3e6a7578
	v_fmaak_f32 v17, v16, v17, 0x3f44efdf
	;; [unrolled: 1-line block ×7, first 2 shown]
	v_fma_f32 v17, v16, v17, 1.0
	v_fmaak_f32 v18, v16, v18, 0xbd9e233f
	v_rcp_f32_e32 v17, v17
	v_mul_f32_e32 v18, v16, v18
	v_mul_f32_e32 v17, v18, v17
	v_fmac_f32_e32 v17, -0.5, v16
	v_add_f32_e32 v14, v14, v17
.LBB159_213:
	s_or_b32 exec_lo, exec_lo, s21
                                        ; implicit-def: $vgpr16
.LBB159_214:
	s_andn2_saveexec_b32 s9, s13
	s_cbranch_execz .LBB159_216
; %bb.215:
	v_mul_f32_e32 v17, v16, v16
	s_mov_b32 s13, 0xb9a3f927
	s_mov_b32 s21, 0x39afe9f7
	v_mul_f32_e32 v18, v16, v17
	v_fmaak_f32 v19, s13, v18, 0x3a66f867
	v_fmaak_f32 v20, s21, v18, 0xba0d3085
	s_mov_b32 s13, 0x39a57b6b
	v_fmaak_f32 v21, s13, v18, 0xbab7f476
	v_fmaak_f32 v19, v18, v19, 0xbb7177fe
	;; [unrolled: 1-line block ×9, first 2 shown]
	v_fmac_f32_e32 v19, v16, v20
	v_fmaak_f32 v16, v18, v21, 0x3ef7b95e
	v_fma_f32 v18, v18, -v19, 0xa2863e55
	v_fma_f32 v16, v17, v16, -v18
	v_add_f32_e32 v16, 0xbdf8cdce, v16
	v_add_f32_e32 v14, v14, v16
.LBB159_216:
	s_or_b32 exec_lo, exec_lo, s9
                                        ; implicit-def: $vgpr17
                                        ; implicit-def: $vgpr16
.LBB159_217:
	s_andn2_saveexec_b32 s10, s10
	s_cbranch_execz .LBB159_221
; %bb.218:
	s_mov_b32 s13, exec_lo
	v_cmpx_eq_u32_e32 0, v17
	s_cbranch_execz .LBB159_220
; %bb.219:
	v_mul_f32_e32 v17, v16, v16
	s_mov_b32 s9, 0x383c2c75
	v_fmaak_f32 v18, s9, v17, 0x38e28445
	s_mov_b32 s9, 0x37d383a2
	v_fmaak_f32 v19, s9, v17, 0x39679767
	v_fmaak_f32 v18, v17, v18, 0x3a05b634
	;; [unrolled: 1-line block ×9, first 2 shown]
	v_mul_f32_e32 v17, v17, v18
	v_fmac_f32_e32 v17, v16, v19
	v_fmac_f32_e32 v17, -0.5, v16
	v_add_f32_e32 v14, v14, v17
.LBB159_220:
	s_or_b32 exec_lo, exec_lo, s13
.LBB159_221:
	s_or_b32 exec_lo, exec_lo, s10
.LBB159_222:
	s_or_b32 exec_lo, exec_lo, s12
.LBB159_223:
	s_andn2_saveexec_b32 s10, s11
	s_cbranch_execz .LBB159_225
; %bb.224:
	v_cmp_gt_f32_e64 s11, 0x800000, |v1|
	s_mov_b32 s9, 0x3e8a8991
	v_fma_f32 v18, |v1|, s9, 0xbecd26ab
	v_cndmask_b32_e64 v14, 0, 32, s11
	v_ldexp_f32 v14, |v1|, v14
	v_log_f32_e32 v14, v14
	v_mul_f32_e32 v16, 0x3f317217, v14
	v_cmp_gt_f32_e64 s9, 0x7f800000, |v14|
	v_fma_f32 v17, 0x3f317217, v14, -v16
	v_fmamk_f32 v17, v14, 0x3377d1cf, v17
	v_add_f32_e32 v16, v16, v17
	v_fma_f32 v17, |v1|, v18, 0x3f528d33
	v_cndmask_b32_e64 v14, v14, v16, s9
	v_cndmask_b32_e64 v16, 0, 0x41b17218, s11
	v_fma_f32 v17, |v1|, v17, 0xbf13c468
	v_sub_f32_e32 v14, v14, v16
	v_fma_f32 v14, |v1|, v17, -v14
.LBB159_225:
	s_or_b32 exec_lo, exec_lo, s10
	v_cmp_le_f32_e64 s9, 0, v1
	s_mov_b32 s11, exec_lo
	v_cmpx_nle_f32_e32 0, v1
	s_xor_b32 s12, exec_lo, s11
	s_cbranch_execz .LBB159_229
; %bb.226:
	v_cmp_gt_f32_e64 s10, 0x4b000000, |v1|
	v_cmp_lt_f32_e64 s11, 0x35000000, |v1|
	s_and_b32 s10, s10, s11
	s_and_saveexec_b32 s13, s10
	s_cbranch_execz .LBB159_228
; %bb.227:
	v_mul_f32_e64 v16, |v1|, 0.5
	s_mov_b32 s11, 0x3d4be544
	v_floor_f32_e32 v17, v16
	v_cmp_neq_f32_e64 s10, 0x7f800000, v16
	v_sub_f32_e32 v17, v16, v17
	v_min_f32_e32 v17, 0x3f7fffff, v17
	v_add_f32_e32 v17, v17, v17
	v_cndmask_b32_e64 v16, 0, v17, s10
	v_cmp_gt_f32_e64 s10, |v1|, 1.0
	v_cndmask_b32_e64 v16, |v1|, v16, s10
	s_mov_b32 s10, 0x3e75aa41
	v_add_f32_e32 v17, v16, v16
	v_rndne_f32_e32 v17, v17
	v_fmac_f32_e32 v16, -0.5, v17
	v_cvt_i32_f32_e32 v17, v17
	v_mul_f32_e32 v18, v16, v16
	v_fmaak_f32 v19, s10, v18, 0xbf1f24be
	v_fmaak_f32 v20, s11, v18, 0x3e642e9d
	v_mul_f32_e32 v21, v16, v18
	v_fmaak_f32 v19, v18, v19, 0x40234736
	v_fmaak_f32 v20, v18, v20, 0xbfaad1da
	v_fmaak_f32 v19, v18, v19, 0xc0a55e0e
	v_fmaak_f32 v20, v18, v20, 0x4081e0d3
	v_mul_f32_e32 v19, v21, v19
	v_fmaak_f32 v20, v18, v20, 0xc09de9e6
	v_and_b32_e32 v21, 1, v17
	v_lshlrev_b32_e32 v17, 30, v17
	v_fmamk_f32 v16, v16, 0x40490fdb, v19
	v_fma_f32 v18, v18, v20, 1.0
	v_cmp_eq_u32_e64 s10, 0, v21
	v_and_or_b32 v15, 0x80000000, v17, v15
	v_cndmask_b32_e64 v16, v18, v16, s10
	v_xor3_b32 v15, v15, v16, v1
	v_mul_f32_e32 v15, v1, v15
	v_frexp_mant_f32_e64 v16, |v15|
	v_frexp_exp_i32_f32_e32 v15, v15
	v_rcp_f32_e32 v16, v16
	v_sub_nc_u32_e32 v15, 2, v15
	v_mul_f32_e32 v16, 0x3f490fdb, v16
	v_ldexp_f32 v15, v16, v15
	v_cmp_gt_f32_e64 s10, 0x800000, v15
	v_cndmask_b32_e64 v16, 0, 32, s10
	v_ldexp_f32 v15, v15, v16
	v_log_f32_e32 v15, v15
	v_mul_f32_e32 v16, 0x3f317217, v15
	v_cmp_gt_f32_e64 s11, 0x7f800000, |v15|
	v_fma_f32 v17, 0x3f317217, v15, -v16
	v_fmamk_f32 v17, v15, 0x3377d1cf, v17
	v_add_f32_e32 v16, v16, v17
	v_floor_f32_e32 v17, v1
	v_cndmask_b32_e64 v15, v15, v16, s11
	v_cndmask_b32_e64 v16, 0, 0x41b17218, s10
	v_sub_f32_e32 v17, v1, v17
	v_sub_f32_e32 v15, v15, v16
	v_min_f32_e32 v16, 0x3f7fffff, v17
	v_sub_f32_e32 v14, v15, v14
	v_cmp_neq_f32_e64 s10, 0, v16
	v_cndmask_b32_e64 v14, 0x7f800000, v14, s10
.LBB159_228:
	s_or_b32 exec_lo, exec_lo, s13
.LBB159_229:
	s_andn2_saveexec_b32 s12, s12
; %bb.230:
	v_cmp_eq_f32_e64 s10, 1.0, v1
	v_cmp_eq_f32_e64 s11, 2.0, v1
	s_or_b32 s10, s10, s11
	v_cndmask_b32_e64 v14, v14, 0, s10
; %bb.231:
	s_or_b32 exec_lo, exec_lo, s12
	v_lshlrev_b32_e32 v15, 16, v2
                                        ; implicit-def: $vgpr16
	s_mov_b32 s11, exec_lo
	v_and_b32_e32 v17, 0x7fffffff, v15
	v_cmpx_ngt_f32_e64 0x3c800000, |v15|
	s_xor_b32 s12, exec_lo, s11
	s_cbranch_execz .LBB159_261
; %bb.232:
                                        ; implicit-def: $vgpr16
	s_mov_b32 s11, exec_lo
	v_cmpx_nlt_f32_e64 |v15|, 2.0
	s_xor_b32 s13, exec_lo, s11
	s_cbranch_execz .LBB159_242
; %bb.233:
	s_mov_b32 s11, exec_lo
                                        ; implicit-def: $vgpr16
	v_cmpx_ngt_f32_e64 0x41000000, |v15|
	s_xor_b32 s11, exec_lo, s11
	s_cbranch_execz .LBB159_239
; %bb.234:
	s_mov_b32 s21, exec_lo
                                        ; implicit-def: $vgpr16
	v_cmpx_ngt_f32_e64 0x5c800000, |v15|
	s_xor_b32 s21, exec_lo, s21
	s_cbranch_execz .LBB159_236
; %bb.235:
	v_cmp_gt_f32_e64 s22, 0x800000, |v15|
	v_cndmask_b32_e64 v16, 0, 32, s22
	v_ldexp_f32 v16, |v15|, v16
	v_log_f32_e32 v16, v16
	v_mul_f32_e32 v18, 0x3f317217, v16
	v_cmp_gt_f32_e64 s10, 0x7f800000, |v16|
	v_fma_f32 v19, 0x3f317217, v16, -v18
	v_fmamk_f32 v19, v16, 0x3377d1cf, v19
	v_add_f32_e32 v18, v18, v19
	v_cndmask_b32_e64 v16, v16, v18, s10
	v_cndmask_b32_e64 v18, 0, 0x41b17218, s22
	v_sub_f32_e32 v16, v16, v18
	v_fma_f32 v16, |v15|, v16, -|v15|
.LBB159_236:
	s_andn2_saveexec_b32 s21, s21
	s_cbranch_execz .LBB159_238
; %bb.237:
	v_cmp_gt_f32_e64 s22, 0x800000, |v15|
	v_rcp_f32_e64 v18, |v15|
	s_mov_b32 s10, 0xbad5c4e8
	v_cndmask_b32_e64 v16, 0, 32, s22
	v_ldexp_f32 v16, |v15|, v16
	v_mul_f32_e32 v19, v18, v18
	v_log_f32_e32 v16, v16
	v_fmaak_f32 v21, s10, v19, 0x3a5b3dd2
	v_fmaak_f32 v21, v19, v21, 0xba1c065c
	v_mul_f32_e32 v20, 0x3f317217, v16
	v_fmaak_f32 v21, v19, v21, 0x3a500cfd
	v_cmp_gt_f32_e64 s10, 0x7f800000, |v16|
	v_fma_f32 v22, 0x3f317217, v16, -v20
	v_fmaak_f32 v21, v19, v21, 0xbb360b61
	v_fmamk_f32 v22, v16, 0x3377d1cf, v22
	v_fmaak_f32 v19, v19, v21, 0x3daaaaab
	v_add_f32_e32 v20, v20, v22
	v_cndmask_b32_e64 v16, v16, v20, s10
	v_cndmask_b32_e64 v20, 0, 0x41b17218, s22
	v_sub_f32_e32 v20, v16, v20
	v_fmaak_f32 v16, v18, v19, 0x3ed67f1d
	v_add_f32_e64 v18, |v15|, -0.5
	v_add_f32_e32 v19, -1.0, v20
	v_fmac_f32_e32 v16, v18, v19
.LBB159_238:
	s_or_b32 exec_lo, exec_lo, s21
.LBB159_239:
	s_andn2_saveexec_b32 s21, s11
	s_cbranch_execz .LBB159_241
; %bb.240:
	v_cvt_i32_f32_e32 v16, v17
	s_mov_b32 s11, 0x3805ff67
	v_cvt_f32_i32_e32 v18, v16
	v_cmp_lt_i32_e64 s10, 2, v16
	v_sub_f32_e64 v18, |v15|, v18
	v_add_f32_e32 v19, 2.0, v18
	v_add_f32_e32 v20, 0x40400000, v18
	v_add_f32_e32 v21, 4.0, v18
	v_add_f32_e32 v22, 0x40a00000, v18
	v_cndmask_b32_e64 v19, 1.0, v19, s10
	v_cmp_lt_i32_e64 s10, 3, v16
	v_cndmask_b32_e64 v20, 1.0, v20, s10
	v_cmp_lt_i32_e64 s10, 4, v16
	v_mul_f32_e32 v19, v19, v20
	v_cndmask_b32_e64 v21, 1.0, v21, s10
	v_cmp_lt_i32_e64 s10, 5, v16
	v_add_f32_e32 v20, 0x40c00000, v18
	v_mul_f32_e32 v19, v21, v19
	v_cndmask_b32_e64 v22, 1.0, v22, s10
	v_cmp_lt_i32_e64 s10, 6, v16
	v_fmaak_f32 v21, s11, v18, 0x3af135b4
	v_mul_f32_e32 v19, v22, v19
	v_cndmask_b32_e64 v16, 1.0, v20, s10
	s_mov_b32 s10, 0x36f5d7bd
	v_mul_f32_e32 v16, v16, v19
	v_fmaak_f32 v19, s10, v18, 0x3a4beed6
	v_cmp_gt_f32_e64 s10, 0x800000, v16
	v_fmaak_f32 v19, v18, v19, 0x3c98bf54
	v_cndmask_b32_e64 v20, 0, 32, s10
	v_fmaak_f32 v19, v18, v19, 0x3e300f6e
	v_ldexp_f32 v16, v16, v20
	v_fmaak_f32 v20, v18, v21, 0x3cda40e4
	v_fmaak_f32 v19, v18, v19, 0x3f38d0c5
	v_log_f32_e32 v16, v16
	v_fmaak_f32 v20, v18, v20, 0x3e15dce6
	v_fmaak_f32 v19, v18, v19, 0x3fb22d3b
	;; [unrolled: 1-line block ×3, first 2 shown]
	v_fma_f32 v19, v18, v19, 1.0
	v_mul_f32_e32 v21, 0x3f317217, v16
	v_fmaak_f32 v20, v18, v20, 0x3e5c245a
	v_rcp_f32_e32 v19, v19
	v_cmp_gt_f32_e64 s11, 0x7f800000, |v16|
	v_fma_f32 v22, 0x3f317217, v16, -v21
	v_fmaak_f32 v20, v18, v20, 0xbd9e233f
	v_fmamk_f32 v22, v16, 0x3377d1cf, v22
	v_mul_f32_e32 v20, v18, v20
	v_add_f32_e32 v21, v21, v22
	v_mul_f32_e32 v19, v20, v19
	v_cndmask_b32_e64 v20, 0, 0x41b17218, s10
	v_cndmask_b32_e64 v16, v16, v21, s11
	v_fmac_f32_e32 v19, 0.5, v18
	v_sub_f32_e32 v16, v16, v20
	v_add_f32_e32 v16, v16, v19
.LBB159_241:
	s_or_b32 exec_lo, exec_lo, s21
.LBB159_242:
	s_andn2_saveexec_b32 s13, s13
	s_cbranch_execz .LBB159_260
; %bb.243:
                                        ; implicit-def: $vgpr16
                                        ; implicit-def: $vgpr19
                                        ; implicit-def: $vgpr18
	s_mov_b32 s11, exec_lo
	v_cmpx_ge_f32_e64 0x3f666666, |v15|
	s_xor_b32 s21, exec_lo, s11
	s_cbranch_execz .LBB159_245
; %bb.244:
	v_cmp_gt_f32_e64 s11, 0x800000, |v15|
	v_sub_f32_e64 v20, 1.0, |v15|
	v_cmp_gt_f32_e64 s10, 0x3f3b4a23, |v15|
	v_cndmask_b32_e64 v16, 0, 32, s11
	v_cndmask_b32_e64 v21, 0, 0x41b17218, s11
	v_ldexp_f32 v16, |v15|, v16
	v_log_f32_e32 v16, v16
	v_mul_f32_e32 v18, 0x3f317217, v16
	v_cmp_gt_f32_e64 s11, 0x7f800000, |v16|
	v_fma_f32 v19, 0x3f317217, v16, -v18
	v_fmamk_f32 v19, v16, 0x3377d1cf, v19
	v_add_f32_e32 v18, v18, v19
	v_add_f32_e64 v19, 0xbeec5b0c, |v15|
	v_cndmask_b32_e64 v16, v16, v18, s11
	v_cndmask_b32_e64 v18, v20, v19, s10
	;; [unrolled: 1-line block ×3, first 2 shown]
	v_cmp_gt_f32_e64 s10, 0x3e6d3309, |v15|
	v_sub_f32_e32 v16, v16, v21
	v_cndmask_b32_e64 v18, v18, |v15|, s10
	v_cndmask_b32_e64 v19, v19, 2, s10
	v_xor_b32_e32 v16, 0x80000000, v16
.LBB159_245:
	s_andn2_saveexec_b32 s11, s21
	s_cbranch_execz .LBB159_247
; %bb.246:
	v_sub_f32_e64 v16, 2.0, |v15|
	v_add_f32_e64 v18, 0xbfbb16c3, |v15|
	v_cmp_gt_f32_e64 s10, 0x3fdda512, |v15|
	v_add_f32_e64 v19, |v15|, -1.0
	v_cndmask_b32_e64 v18, v16, v18, s10
	v_cndmask_b32_e64 v16, v16, 1.0, s10
	v_cmp_gt_f32_e64 s10, 0x3f9d70a4, |v15|
	v_cvt_i32_f32_e32 v16, v16
	v_cndmask_b32_e64 v18, v18, v19, s10
	v_cndmask_b32_e64 v19, v16, 2, s10
	v_mov_b32_e32 v16, 0
.LBB159_247:
	s_or_b32 exec_lo, exec_lo, s11
	s_mov_b32 s11, exec_lo
	v_cmpx_lt_i32_e32 0, v19
	s_xor_b32 s11, exec_lo, s11
	s_cbranch_execz .LBB159_255
; %bb.248:
	s_mov_b32 s21, exec_lo
	v_cmpx_lt_i32_e32 1, v19
	s_xor_b32 s21, exec_lo, s21
	s_cbranch_execz .LBB159_252
; %bb.249:
	s_mov_b32 s22, exec_lo
	v_cmpx_eq_u32_e32 2, v19
	s_cbranch_execz .LBB159_251
; %bb.250:
	s_mov_b32 s10, 0x3b52d5db
	v_fmaak_f32 v19, s10, v18, 0x3dd572af
	s_mov_b32 s10, 0x3c5b3c5e
	v_fmaak_f32 v20, s10, v18, 0x3e6a7578
	v_fmaak_f32 v19, v18, v19, 0x3f44efdf
	;; [unrolled: 1-line block ×7, first 2 shown]
	v_fma_f32 v19, v18, v19, 1.0
	v_fmaak_f32 v20, v18, v20, 0xbd9e233f
	v_rcp_f32_e32 v19, v19
	v_mul_f32_e32 v20, v18, v20
	v_mul_f32_e32 v19, v20, v19
	v_fmac_f32_e32 v19, -0.5, v18
	v_add_f32_e32 v16, v16, v19
.LBB159_251:
	s_or_b32 exec_lo, exec_lo, s22
                                        ; implicit-def: $vgpr18
.LBB159_252:
	s_andn2_saveexec_b32 s10, s21
	s_cbranch_execz .LBB159_254
; %bb.253:
	v_mul_f32_e32 v19, v18, v18
	s_mov_b32 s21, 0xb9a3f927
	s_mov_b32 s22, 0x39afe9f7
	v_mul_f32_e32 v20, v18, v19
	v_fmaak_f32 v21, s21, v20, 0x3a66f867
	v_fmaak_f32 v22, s22, v20, 0xba0d3085
	s_mov_b32 s21, 0x39a57b6b
	v_fmaak_f32 v23, s21, v20, 0xbab7f476
	v_fmaak_f32 v21, v20, v21, 0xbb7177fe
	;; [unrolled: 1-line block ×9, first 2 shown]
	v_fmac_f32_e32 v21, v18, v22
	v_fmaak_f32 v18, v20, v23, 0x3ef7b95e
	v_fma_f32 v20, v20, -v21, 0xa2863e55
	v_fma_f32 v18, v19, v18, -v20
	v_add_f32_e32 v18, 0xbdf8cdce, v18
	v_add_f32_e32 v16, v16, v18
.LBB159_254:
	s_or_b32 exec_lo, exec_lo, s10
                                        ; implicit-def: $vgpr19
                                        ; implicit-def: $vgpr18
.LBB159_255:
	s_andn2_saveexec_b32 s11, s11
	s_cbranch_execz .LBB159_259
; %bb.256:
	s_mov_b32 s21, exec_lo
	v_cmpx_eq_u32_e32 0, v19
	s_cbranch_execz .LBB159_258
; %bb.257:
	v_mul_f32_e32 v19, v18, v18
	s_mov_b32 s10, 0x383c2c75
	v_fmaak_f32 v20, s10, v19, 0x38e28445
	s_mov_b32 s10, 0x37d383a2
	v_fmaak_f32 v21, s10, v19, 0x39679767
	v_fmaak_f32 v20, v19, v20, 0x3a05b634
	;; [unrolled: 1-line block ×9, first 2 shown]
	v_mul_f32_e32 v19, v19, v20
	v_fmac_f32_e32 v19, v18, v21
	v_fmac_f32_e32 v19, -0.5, v18
	v_add_f32_e32 v16, v16, v19
.LBB159_258:
	s_or_b32 exec_lo, exec_lo, s21
.LBB159_259:
	s_or_b32 exec_lo, exec_lo, s11
.LBB159_260:
	s_or_b32 exec_lo, exec_lo, s13
.LBB159_261:
	s_andn2_saveexec_b32 s11, s12
	s_cbranch_execz .LBB159_263
; %bb.262:
	v_cmp_gt_f32_e64 s12, 0x800000, |v15|
	s_mov_b32 s10, 0x3e8a8991
	v_fma_f32 v20, |v15|, s10, 0xbecd26ab
	v_cndmask_b32_e64 v16, 0, 32, s12
	v_ldexp_f32 v16, |v15|, v16
	v_log_f32_e32 v16, v16
	v_mul_f32_e32 v18, 0x3f317217, v16
	v_cmp_gt_f32_e64 s10, 0x7f800000, |v16|
	v_fma_f32 v19, 0x3f317217, v16, -v18
	v_fmamk_f32 v19, v16, 0x3377d1cf, v19
	v_add_f32_e32 v18, v18, v19
	v_fma_f32 v19, |v15|, v20, 0x3f528d33
	v_cndmask_b32_e64 v16, v16, v18, s10
	v_cndmask_b32_e64 v18, 0, 0x41b17218, s12
	v_fma_f32 v19, |v15|, v19, 0xbf13c468
	v_sub_f32_e32 v16, v16, v18
	v_fma_f32 v16, |v15|, v19, -v16
.LBB159_263:
	s_or_b32 exec_lo, exec_lo, s11
	v_cmp_le_f32_e64 s10, 0, v15
	s_mov_b32 s12, exec_lo
	v_cmpx_nle_f32_e32 0, v15
	s_xor_b32 s13, exec_lo, s12
	s_cbranch_execz .LBB159_267
; %bb.264:
	v_cmp_gt_f32_e64 s11, 0x4b000000, |v15|
	v_cmp_lt_f32_e64 s12, 0x35000000, |v15|
	s_and_b32 s11, s11, s12
	s_and_saveexec_b32 s21, s11
	s_cbranch_execz .LBB159_266
; %bb.265:
	v_mul_f32_e64 v18, |v15|, 0.5
	s_mov_b32 s12, 0x3d4be544
	v_floor_f32_e32 v19, v18
	v_cmp_neq_f32_e64 s11, 0x7f800000, v18
	v_sub_f32_e32 v19, v18, v19
	v_min_f32_e32 v19, 0x3f7fffff, v19
	v_add_f32_e32 v19, v19, v19
	v_cndmask_b32_e64 v18, 0, v19, s11
	v_cmp_gt_f32_e64 s11, |v15|, 1.0
	v_cndmask_b32_e64 v18, |v15|, v18, s11
	s_mov_b32 s11, 0x3e75aa41
	v_add_f32_e32 v19, v18, v18
	v_rndne_f32_e32 v19, v19
	v_fmac_f32_e32 v18, -0.5, v19
	v_cvt_i32_f32_e32 v19, v19
	v_mul_f32_e32 v20, v18, v18
	v_fmaak_f32 v21, s11, v20, 0xbf1f24be
	v_fmaak_f32 v22, s12, v20, 0x3e642e9d
	v_mul_f32_e32 v23, v18, v20
	v_fmaak_f32 v21, v20, v21, 0x40234736
	v_fmaak_f32 v22, v20, v22, 0xbfaad1da
	;; [unrolled: 1-line block ×4, first 2 shown]
	v_mul_f32_e32 v21, v23, v21
	v_fmaak_f32 v22, v20, v22, 0xc09de9e6
	v_and_b32_e32 v23, 1, v19
	v_lshlrev_b32_e32 v19, 30, v19
	v_fmamk_f32 v18, v18, 0x40490fdb, v21
	v_fma_f32 v20, v20, v22, 1.0
	v_cmp_eq_u32_e64 s11, 0, v23
	v_and_or_b32 v17, 0x80000000, v19, v17
	v_cndmask_b32_e64 v18, v20, v18, s11
	v_xor3_b32 v17, v17, v18, v15
	v_mul_f32_e32 v17, v15, v17
	v_frexp_mant_f32_e64 v18, |v17|
	v_frexp_exp_i32_f32_e32 v17, v17
	v_rcp_f32_e32 v18, v18
	v_sub_nc_u32_e32 v17, 2, v17
	v_mul_f32_e32 v18, 0x3f490fdb, v18
	v_ldexp_f32 v17, v18, v17
	v_cmp_gt_f32_e64 s11, 0x800000, v17
	v_cndmask_b32_e64 v18, 0, 32, s11
	v_ldexp_f32 v17, v17, v18
	v_log_f32_e32 v17, v17
	v_mul_f32_e32 v18, 0x3f317217, v17
	v_cmp_gt_f32_e64 s12, 0x7f800000, |v17|
	v_fma_f32 v19, 0x3f317217, v17, -v18
	v_fmamk_f32 v19, v17, 0x3377d1cf, v19
	v_add_f32_e32 v18, v18, v19
	v_floor_f32_e32 v19, v15
	v_cndmask_b32_e64 v17, v17, v18, s12
	v_cndmask_b32_e64 v18, 0, 0x41b17218, s11
	v_sub_f32_e32 v19, v15, v19
	v_sub_f32_e32 v17, v17, v18
	v_min_f32_e32 v18, 0x3f7fffff, v19
	v_sub_f32_e32 v16, v17, v16
	v_cmp_neq_f32_e64 s11, 0, v18
	v_cndmask_b32_e64 v16, 0x7f800000, v16, s11
.LBB159_266:
	s_or_b32 exec_lo, exec_lo, s21
.LBB159_267:
	s_andn2_saveexec_b32 s13, s13
; %bb.268:
	v_cmp_eq_f32_e64 s11, 1.0, v15
	v_cmp_eq_f32_e64 s12, 2.0, v15
	s_or_b32 s11, s11, s12
	v_cndmask_b32_e64 v16, v16, 0, s11
; %bb.269:
	s_or_b32 exec_lo, exec_lo, s13
	v_and_b32_e32 v2, 0xffff0000, v2
                                        ; implicit-def: $vgpr17
	s_mov_b32 s12, exec_lo
	v_and_b32_e32 v18, 0x7fffffff, v2
	v_cmpx_ngt_f32_e64 0x3c800000, |v2|
	s_xor_b32 s13, exec_lo, s12
	s_cbranch_execz .LBB159_299
; %bb.270:
                                        ; implicit-def: $vgpr17
	s_mov_b32 s12, exec_lo
	v_cmpx_nlt_f32_e64 |v2|, 2.0
	s_xor_b32 s21, exec_lo, s12
	s_cbranch_execz .LBB159_280
; %bb.271:
	s_mov_b32 s12, exec_lo
                                        ; implicit-def: $vgpr17
	v_cmpx_ngt_f32_e64 0x41000000, |v2|
	s_xor_b32 s12, exec_lo, s12
	s_cbranch_execz .LBB159_277
; %bb.272:
	s_mov_b32 s22, exec_lo
                                        ; implicit-def: $vgpr17
	v_cmpx_ngt_f32_e64 0x5c800000, |v2|
	s_xor_b32 s22, exec_lo, s22
	s_cbranch_execz .LBB159_274
; %bb.273:
	v_cmp_gt_f32_e64 s23, 0x800000, |v2|
	v_cndmask_b32_e64 v17, 0, 32, s23
	v_ldexp_f32 v17, |v2|, v17
	v_log_f32_e32 v17, v17
	v_mul_f32_e32 v19, 0x3f317217, v17
	v_cmp_gt_f32_e64 s11, 0x7f800000, |v17|
	v_fma_f32 v20, 0x3f317217, v17, -v19
	v_fmamk_f32 v20, v17, 0x3377d1cf, v20
	v_add_f32_e32 v19, v19, v20
	v_cndmask_b32_e64 v17, v17, v19, s11
	v_cndmask_b32_e64 v19, 0, 0x41b17218, s23
	v_sub_f32_e32 v17, v17, v19
	v_fma_f32 v17, |v2|, v17, -|v2|
.LBB159_274:
	s_andn2_saveexec_b32 s22, s22
	s_cbranch_execz .LBB159_276
; %bb.275:
	v_cmp_gt_f32_e64 s23, 0x800000, |v2|
	v_rcp_f32_e64 v19, |v2|
	s_mov_b32 s11, 0xbad5c4e8
	v_cndmask_b32_e64 v17, 0, 32, s23
	v_ldexp_f32 v17, |v2|, v17
	v_mul_f32_e32 v20, v19, v19
	v_log_f32_e32 v17, v17
	v_fmaak_f32 v22, s11, v20, 0x3a5b3dd2
	v_fmaak_f32 v22, v20, v22, 0xba1c065c
	v_mul_f32_e32 v21, 0x3f317217, v17
	v_fmaak_f32 v22, v20, v22, 0x3a500cfd
	v_cmp_gt_f32_e64 s11, 0x7f800000, |v17|
	v_fma_f32 v23, 0x3f317217, v17, -v21
	v_fmaak_f32 v22, v20, v22, 0xbb360b61
	v_fmamk_f32 v23, v17, 0x3377d1cf, v23
	v_fmaak_f32 v20, v20, v22, 0x3daaaaab
	v_add_f32_e32 v21, v21, v23
	v_cndmask_b32_e64 v17, v17, v21, s11
	v_cndmask_b32_e64 v21, 0, 0x41b17218, s23
	v_sub_f32_e32 v21, v17, v21
	v_fmaak_f32 v17, v19, v20, 0x3ed67f1d
	v_add_f32_e64 v19, |v2|, -0.5
	v_add_f32_e32 v20, -1.0, v21
	v_fmac_f32_e32 v17, v19, v20
.LBB159_276:
	s_or_b32 exec_lo, exec_lo, s22
.LBB159_277:
	s_andn2_saveexec_b32 s22, s12
	s_cbranch_execz .LBB159_279
; %bb.278:
	v_cvt_i32_f32_e32 v17, v18
	s_mov_b32 s12, 0x3805ff67
	v_cvt_f32_i32_e32 v19, v17
	v_cmp_lt_i32_e64 s11, 2, v17
	v_sub_f32_e64 v19, |v2|, v19
	v_add_f32_e32 v20, 2.0, v19
	v_add_f32_e32 v21, 0x40400000, v19
	v_add_f32_e32 v22, 4.0, v19
	v_add_f32_e32 v23, 0x40a00000, v19
	v_cndmask_b32_e64 v20, 1.0, v20, s11
	v_cmp_lt_i32_e64 s11, 3, v17
	v_cndmask_b32_e64 v21, 1.0, v21, s11
	v_cmp_lt_i32_e64 s11, 4, v17
	v_mul_f32_e32 v20, v20, v21
	v_cndmask_b32_e64 v22, 1.0, v22, s11
	v_cmp_lt_i32_e64 s11, 5, v17
	v_add_f32_e32 v21, 0x40c00000, v19
	v_mul_f32_e32 v20, v22, v20
	v_cndmask_b32_e64 v23, 1.0, v23, s11
	v_cmp_lt_i32_e64 s11, 6, v17
	v_fmaak_f32 v22, s12, v19, 0x3af135b4
	v_mul_f32_e32 v20, v23, v20
	v_cndmask_b32_e64 v17, 1.0, v21, s11
	s_mov_b32 s11, 0x36f5d7bd
	v_mul_f32_e32 v17, v17, v20
	v_fmaak_f32 v20, s11, v19, 0x3a4beed6
	v_cmp_gt_f32_e64 s11, 0x800000, v17
	v_fmaak_f32 v20, v19, v20, 0x3c98bf54
	v_cndmask_b32_e64 v21, 0, 32, s11
	v_fmaak_f32 v20, v19, v20, 0x3e300f6e
	v_ldexp_f32 v17, v17, v21
	v_fmaak_f32 v21, v19, v22, 0x3cda40e4
	v_fmaak_f32 v20, v19, v20, 0x3f38d0c5
	v_log_f32_e32 v17, v17
	v_fmaak_f32 v21, v19, v21, 0x3e15dce6
	v_fmaak_f32 v20, v19, v20, 0x3fb22d3b
	;; [unrolled: 1-line block ×3, first 2 shown]
	v_fma_f32 v20, v19, v20, 1.0
	v_mul_f32_e32 v22, 0x3f317217, v17
	v_fmaak_f32 v21, v19, v21, 0x3e5c245a
	v_rcp_f32_e32 v20, v20
	v_cmp_gt_f32_e64 s12, 0x7f800000, |v17|
	v_fma_f32 v23, 0x3f317217, v17, -v22
	v_fmaak_f32 v21, v19, v21, 0xbd9e233f
	v_fmamk_f32 v23, v17, 0x3377d1cf, v23
	v_mul_f32_e32 v21, v19, v21
	v_add_f32_e32 v22, v22, v23
	v_mul_f32_e32 v20, v21, v20
	v_cndmask_b32_e64 v21, 0, 0x41b17218, s11
	v_cndmask_b32_e64 v17, v17, v22, s12
	v_fmac_f32_e32 v20, 0.5, v19
	v_sub_f32_e32 v17, v17, v21
	v_add_f32_e32 v17, v17, v20
.LBB159_279:
	s_or_b32 exec_lo, exec_lo, s22
.LBB159_280:
	s_andn2_saveexec_b32 s21, s21
	s_cbranch_execz .LBB159_298
; %bb.281:
                                        ; implicit-def: $vgpr17
                                        ; implicit-def: $vgpr20
                                        ; implicit-def: $vgpr19
	s_mov_b32 s12, exec_lo
	v_cmpx_ge_f32_e64 0x3f666666, |v2|
	s_xor_b32 s22, exec_lo, s12
	s_cbranch_execz .LBB159_283
; %bb.282:
	v_cmp_gt_f32_e64 s12, 0x800000, |v2|
	v_sub_f32_e64 v21, 1.0, |v2|
	v_cmp_gt_f32_e64 s11, 0x3f3b4a23, |v2|
	v_cndmask_b32_e64 v17, 0, 32, s12
	v_cndmask_b32_e64 v22, 0, 0x41b17218, s12
	v_ldexp_f32 v17, |v2|, v17
	v_log_f32_e32 v17, v17
	v_mul_f32_e32 v19, 0x3f317217, v17
	v_cmp_gt_f32_e64 s12, 0x7f800000, |v17|
	v_fma_f32 v20, 0x3f317217, v17, -v19
	v_fmamk_f32 v20, v17, 0x3377d1cf, v20
	v_add_f32_e32 v19, v19, v20
	v_add_f32_e64 v20, 0xbeec5b0c, |v2|
	v_cndmask_b32_e64 v17, v17, v19, s12
	v_cndmask_b32_e64 v19, v21, v20, s11
	v_cndmask_b32_e64 v20, 0, 1, s11
	v_cmp_gt_f32_e64 s11, 0x3e6d3309, |v2|
	v_sub_f32_e32 v17, v17, v22
	v_cndmask_b32_e64 v19, v19, |v2|, s11
	v_cndmask_b32_e64 v20, v20, 2, s11
	v_xor_b32_e32 v17, 0x80000000, v17
.LBB159_283:
	s_andn2_saveexec_b32 s12, s22
	s_cbranch_execz .LBB159_285
; %bb.284:
	v_sub_f32_e64 v17, 2.0, |v2|
	v_add_f32_e64 v19, 0xbfbb16c3, |v2|
	v_cmp_gt_f32_e64 s11, 0x3fdda512, |v2|
	v_add_f32_e64 v20, |v2|, -1.0
	v_cndmask_b32_e64 v19, v17, v19, s11
	v_cndmask_b32_e64 v17, v17, 1.0, s11
	v_cmp_gt_f32_e64 s11, 0x3f9d70a4, |v2|
	v_cvt_i32_f32_e32 v17, v17
	v_cndmask_b32_e64 v19, v19, v20, s11
	v_cndmask_b32_e64 v20, v17, 2, s11
	v_mov_b32_e32 v17, 0
.LBB159_285:
	s_or_b32 exec_lo, exec_lo, s12
	s_mov_b32 s12, exec_lo
	v_cmpx_lt_i32_e32 0, v20
	s_xor_b32 s12, exec_lo, s12
	s_cbranch_execz .LBB159_293
; %bb.286:
	s_mov_b32 s22, exec_lo
	v_cmpx_lt_i32_e32 1, v20
	s_xor_b32 s22, exec_lo, s22
	s_cbranch_execz .LBB159_290
; %bb.287:
	s_mov_b32 s23, exec_lo
	v_cmpx_eq_u32_e32 2, v20
	s_cbranch_execz .LBB159_289
; %bb.288:
	s_mov_b32 s11, 0x3b52d5db
	v_fmaak_f32 v20, s11, v19, 0x3dd572af
	s_mov_b32 s11, 0x3c5b3c5e
	v_fmaak_f32 v21, s11, v19, 0x3e6a7578
	v_fmaak_f32 v20, v19, v20, 0x3f44efdf
	;; [unrolled: 1-line block ×7, first 2 shown]
	v_fma_f32 v20, v19, v20, 1.0
	v_fmaak_f32 v21, v19, v21, 0xbd9e233f
	v_rcp_f32_e32 v20, v20
	v_mul_f32_e32 v21, v19, v21
	v_mul_f32_e32 v20, v21, v20
	v_fmac_f32_e32 v20, -0.5, v19
	v_add_f32_e32 v17, v17, v20
.LBB159_289:
	s_or_b32 exec_lo, exec_lo, s23
                                        ; implicit-def: $vgpr19
.LBB159_290:
	s_andn2_saveexec_b32 s11, s22
	s_cbranch_execz .LBB159_292
; %bb.291:
	v_mul_f32_e32 v20, v19, v19
	s_mov_b32 s22, 0xb9a3f927
	s_mov_b32 s23, 0x39afe9f7
	v_mul_f32_e32 v21, v19, v20
	v_fmaak_f32 v22, s22, v21, 0x3a66f867
	v_fmaak_f32 v23, s23, v21, 0xba0d3085
	s_mov_b32 s22, 0x39a57b6b
	v_fmaak_f32 v24, s22, v21, 0xbab7f476
	v_fmaak_f32 v22, v21, v22, 0xbb7177fe
	;; [unrolled: 1-line block ×9, first 2 shown]
	v_fmac_f32_e32 v22, v19, v23
	v_fmaak_f32 v19, v21, v24, 0x3ef7b95e
	v_fma_f32 v21, v21, -v22, 0xa2863e55
	v_fma_f32 v19, v20, v19, -v21
	v_add_f32_e32 v19, 0xbdf8cdce, v19
	v_add_f32_e32 v17, v17, v19
.LBB159_292:
	s_or_b32 exec_lo, exec_lo, s11
                                        ; implicit-def: $vgpr20
                                        ; implicit-def: $vgpr19
.LBB159_293:
	s_andn2_saveexec_b32 s12, s12
	s_cbranch_execz .LBB159_297
; %bb.294:
	s_mov_b32 s22, exec_lo
	v_cmpx_eq_u32_e32 0, v20
	s_cbranch_execz .LBB159_296
; %bb.295:
	v_mul_f32_e32 v20, v19, v19
	s_mov_b32 s11, 0x383c2c75
	v_fmaak_f32 v21, s11, v20, 0x38e28445
	s_mov_b32 s11, 0x37d383a2
	v_fmaak_f32 v22, s11, v20, 0x39679767
	v_fmaak_f32 v21, v20, v21, 0x3a05b634
	;; [unrolled: 1-line block ×9, first 2 shown]
	v_mul_f32_e32 v20, v20, v21
	v_fmac_f32_e32 v20, v19, v22
	v_fmac_f32_e32 v20, -0.5, v19
	v_add_f32_e32 v17, v17, v20
.LBB159_296:
	s_or_b32 exec_lo, exec_lo, s22
.LBB159_297:
	s_or_b32 exec_lo, exec_lo, s12
.LBB159_298:
	s_or_b32 exec_lo, exec_lo, s21
.LBB159_299:
	s_andn2_saveexec_b32 s12, s13
	s_cbranch_execz .LBB159_301
; %bb.300:
	v_cmp_gt_f32_e64 s13, 0x800000, |v2|
	s_mov_b32 s11, 0x3e8a8991
	v_fma_f32 v21, |v2|, s11, 0xbecd26ab
	v_cndmask_b32_e64 v17, 0, 32, s13
	v_ldexp_f32 v17, |v2|, v17
	v_log_f32_e32 v17, v17
	v_mul_f32_e32 v19, 0x3f317217, v17
	v_cmp_gt_f32_e64 s11, 0x7f800000, |v17|
	v_fma_f32 v20, 0x3f317217, v17, -v19
	v_fmamk_f32 v20, v17, 0x3377d1cf, v20
	v_add_f32_e32 v19, v19, v20
	v_fma_f32 v20, |v2|, v21, 0x3f528d33
	v_cndmask_b32_e64 v17, v17, v19, s11
	v_cndmask_b32_e64 v19, 0, 0x41b17218, s13
	v_fma_f32 v20, |v2|, v20, 0xbf13c468
	v_sub_f32_e32 v17, v17, v19
	v_fma_f32 v17, |v2|, v20, -v17
.LBB159_301:
	s_or_b32 exec_lo, exec_lo, s12
	v_cmp_le_f32_e64 s11, 0, v2
	s_mov_b32 s13, exec_lo
	v_cmpx_nle_f32_e32 0, v2
	s_xor_b32 s21, exec_lo, s13
	s_cbranch_execz .LBB159_305
; %bb.302:
	v_cmp_gt_f32_e64 s12, 0x4b000000, |v2|
	v_cmp_lt_f32_e64 s13, 0x35000000, |v2|
	s_and_b32 s12, s12, s13
	s_and_saveexec_b32 s22, s12
	s_cbranch_execz .LBB159_304
; %bb.303:
	v_mul_f32_e64 v19, |v2|, 0.5
	s_mov_b32 s13, 0x3d4be544
	v_floor_f32_e32 v20, v19
	v_cmp_neq_f32_e64 s12, 0x7f800000, v19
	v_sub_f32_e32 v20, v19, v20
	v_min_f32_e32 v20, 0x3f7fffff, v20
	v_add_f32_e32 v20, v20, v20
	v_cndmask_b32_e64 v19, 0, v20, s12
	v_cmp_gt_f32_e64 s12, |v2|, 1.0
	v_cndmask_b32_e64 v19, |v2|, v19, s12
	s_mov_b32 s12, 0x3e75aa41
	v_add_f32_e32 v20, v19, v19
	v_rndne_f32_e32 v20, v20
	v_fmac_f32_e32 v19, -0.5, v20
	v_cvt_i32_f32_e32 v20, v20
	v_mul_f32_e32 v21, v19, v19
	v_fmaak_f32 v22, s12, v21, 0xbf1f24be
	v_fmaak_f32 v23, s13, v21, 0x3e642e9d
	v_mul_f32_e32 v24, v19, v21
	v_fmaak_f32 v22, v21, v22, 0x40234736
	v_fmaak_f32 v23, v21, v23, 0xbfaad1da
	;; [unrolled: 1-line block ×4, first 2 shown]
	v_mul_f32_e32 v22, v24, v22
	v_fmaak_f32 v23, v21, v23, 0xc09de9e6
	v_and_b32_e32 v24, 1, v20
	v_lshlrev_b32_e32 v20, 30, v20
	v_fmamk_f32 v19, v19, 0x40490fdb, v22
	v_fma_f32 v21, v21, v23, 1.0
	v_cmp_eq_u32_e64 s12, 0, v24
	v_and_or_b32 v18, 0x80000000, v20, v18
	v_cndmask_b32_e64 v19, v21, v19, s12
	v_xor3_b32 v18, v18, v19, v2
	v_mul_f32_e32 v18, v2, v18
	v_frexp_mant_f32_e64 v19, |v18|
	v_frexp_exp_i32_f32_e32 v18, v18
	v_rcp_f32_e32 v19, v19
	v_sub_nc_u32_e32 v18, 2, v18
	v_mul_f32_e32 v19, 0x3f490fdb, v19
	v_ldexp_f32 v18, v19, v18
	v_cmp_gt_f32_e64 s12, 0x800000, v18
	v_cndmask_b32_e64 v19, 0, 32, s12
	v_ldexp_f32 v18, v18, v19
	v_log_f32_e32 v18, v18
	v_mul_f32_e32 v19, 0x3f317217, v18
	v_cmp_gt_f32_e64 s13, 0x7f800000, |v18|
	v_fma_f32 v20, 0x3f317217, v18, -v19
	v_fmamk_f32 v20, v18, 0x3377d1cf, v20
	v_add_f32_e32 v19, v19, v20
	v_floor_f32_e32 v20, v2
	v_cndmask_b32_e64 v18, v18, v19, s13
	v_cndmask_b32_e64 v19, 0, 0x41b17218, s12
	v_sub_f32_e32 v20, v2, v20
	v_sub_f32_e32 v18, v18, v19
	v_min_f32_e32 v19, 0x3f7fffff, v20
	v_sub_f32_e32 v17, v18, v17
	v_cmp_neq_f32_e64 s12, 0, v19
	v_cndmask_b32_e64 v17, 0x7f800000, v17, s12
.LBB159_304:
	s_or_b32 exec_lo, exec_lo, s22
.LBB159_305:
	s_andn2_saveexec_b32 s21, s21
; %bb.306:
	v_cmp_eq_f32_e64 s12, 1.0, v2
	v_cmp_eq_f32_e64 s13, 2.0, v2
	s_or_b32 s12, s12, s13
	v_cndmask_b32_e64 v17, v17, 0, s12
; %bb.307:
	s_or_b32 exec_lo, exec_lo, s21
	v_cmp_gt_f32_e64 s12, 0x4b000000, |v12|
	v_cmp_gt_f32_e64 s13, 0x4b000000, |v1|
	v_cmp_gt_f32_e64 s21, 0x4b000000, |v6|
	v_cmp_gt_f32_e64 s22, 0x4b000000, |v3|
	s_or_b32 s8, s8, s12
	v_cmp_gt_f32_e64 s12, 0x4b000000, |v15|
	v_cndmask_b32_e64 v13, 0x7f800000, v13, s8
	v_cmp_class_f32_e64 s8, v12, 0x264
	s_or_b32 vcc_lo, vcc_lo, s21
	v_cndmask_b32_e32 v7, 0x7f800000, v7, vcc_lo
	s_or_b32 vcc_lo, s4, s22
	v_cndmask_b32_e64 v13, v13, 0x7f800000, s8
	s_or_b32 s8, s9, s13
	v_cmp_class_f32_e64 s4, v1, 0x264
	v_cndmask_b32_e64 v14, 0x7f800000, v14, s8
	s_or_b32 s8, s10, s12
	v_cndmask_b32_e32 v8, 0x7f800000, v8, vcc_lo
	v_cndmask_b32_e64 v16, 0x7f800000, v16, s8
	v_cmp_u_f32_e64 s8, v12, v12
	v_cndmask_b32_e64 v14, v14, 0x7f800000, s4
	v_cmp_class_f32_e64 s4, v15, 0x264
	v_cmp_u_f32_e32 vcc_lo, v1, v1
	v_cmp_gt_f32_e64 s9, 0x4b000000, |v2|
	v_cndmask_b32_e64 v12, v13, v12, s8
	v_cmp_gt_f32_e64 s8, 0x4b000000, |v4|
	v_cndmask_b32_e64 v16, v16, 0x7f800000, s4
	v_cndmask_b32_e32 v1, v14, v1, vcc_lo
	v_cmp_u_f32_e32 vcc_lo, v15, v15
	v_bfe_u32 v13, v12, 16, 1
	v_cmp_class_f32_e64 s4, v6, 0x264
	v_cndmask_b32_e32 v14, v16, v15, vcc_lo
	v_add3_u32 v13, v12, v13, 0x7fff
	v_cmp_o_f32_e32 vcc_lo, v12, v12
	v_cndmask_b32_e64 v7, v7, 0x7f800000, s4
	v_bfe_u32 v15, v1, 16, 1
	v_cmp_class_f32_e64 s4, v3, 0x264
	v_lshrrev_b32_e32 v13, 16, v13
	v_cndmask_b32_e64 v8, v8, 0x7f800000, s4
	v_cndmask_b32_e32 v12, 0x7fc0, v13, vcc_lo
	v_cmp_u_f32_e32 vcc_lo, v6, v6
	v_cmp_gt_f32_e64 s4, 0x4b000000, |v9|
	v_bfe_u32 v13, v14, 16, 1
	v_cndmask_b32_e32 v6, v7, v6, vcc_lo
	v_add3_u32 v7, v1, v15, 0x7fff
	v_cmp_u_f32_e32 vcc_lo, v3, v3
	v_bfe_u32 v15, v6, 16, 1
	v_and_b32_e32 v7, 0xffff0000, v7
	v_cndmask_b32_e32 v3, v8, v3, vcc_lo
	v_cmp_o_f32_e32 vcc_lo, v1, v1
	v_add3_u32 v8, v14, v13, 0x7fff
	v_add3_u32 v13, v6, v15, 0x7fff
	v_cndmask_b32_e32 v1, 0x7fc00000, v7, vcc_lo
	s_or_b32 vcc_lo, s5, s4
	v_cmp_class_f32_e64 s4, v9, 0x264
	v_cndmask_b32_e32 v10, 0x7f800000, v10, vcc_lo
	s_or_b32 vcc_lo, s7, s8
	v_bfe_u32 v7, v3, 16, 1
	v_cndmask_b32_e32 v11, 0x7f800000, v11, vcc_lo
	s_or_b32 vcc_lo, s11, s9
	v_cndmask_b32_e64 v10, v10, 0x7f800000, s4
	v_cndmask_b32_e32 v15, 0x7f800000, v17, vcc_lo
	v_cmp_class_f32_e64 s4, v4, 0x264
	v_cmp_u_f32_e32 vcc_lo, v9, v9
	v_lshrrev_b32_e32 v13, 16, v13
	v_add3_u32 v7, v3, v7, 0x7fff
	v_lshrrev_b32_e32 v8, 16, v8
	v_cndmask_b32_e64 v11, v11, 0x7f800000, s4
	v_cmp_class_f32_e64 s4, v2, 0x264
	v_cndmask_b32_e32 v9, v10, v9, vcc_lo
	v_cmp_u_f32_e32 vcc_lo, v4, v4
	v_and_b32_e32 v7, 0xffff0000, v7
	s_add_u32 s8, s16, s14
	v_cndmask_b32_e64 v15, v15, 0x7f800000, s4
	v_bfe_u32 v10, v9, 16, 1
	v_cndmask_b32_e32 v4, v11, v4, vcc_lo
	v_cmp_u_f32_e32 vcc_lo, v2, v2
	s_addc_u32 s9, s17, s15
	v_bfe_u32 v11, v4, 16, 1
	v_cndmask_b32_e32 v2, v15, v2, vcc_lo
	v_cmp_o_f32_e32 vcc_lo, v6, v6
	v_cndmask_b32_e32 v6, 0x7fc0, v13, vcc_lo
	v_cmp_o_f32_e32 vcc_lo, v3, v3
	v_bfe_u32 v13, v2, 16, 1
	v_cndmask_b32_e32 v3, 0x7fc00000, v7, vcc_lo
	v_add3_u32 v7, v9, v10, 0x7fff
	v_cmp_o_f32_e32 vcc_lo, v14, v14
	v_add3_u32 v10, v4, v11, 0x7fff
	v_add3_u32 v11, v2, v13, 0x7fff
	v_or_b32_e32 v3, v3, v6
	v_lshrrev_b32_e32 v7, 16, v7
	v_cndmask_b32_e32 v8, 0x7fc0, v8, vcc_lo
	v_cmp_o_f32_e32 vcc_lo, v9, v9
	v_and_b32_e32 v6, 0xffff0000, v10
	v_and_b32_e32 v10, 0xffff0000, v11
	v_or_b32_e32 v9, v1, v12
	v_or3_b32 v1, v3, 0, 0
	v_cndmask_b32_e32 v7, 0x7fc0, v7, vcc_lo
	v_cmp_o_f32_e32 vcc_lo, v4, v4
	v_or3_b32 v3, v9, 0, 0
	v_cndmask_b32_e32 v4, 0x7fc00000, v6, vcc_lo
	v_cmp_o_f32_e32 vcc_lo, v2, v2
	v_or3_b32 v2, 0, v7, v4
	v_cndmask_b32_e32 v6, 0x7fc00000, v10, vcc_lo
	v_or3_b32 v4, 0, v8, v6
	v_add_co_u32 v6, s4, s8, v5
	v_add_co_ci_u32_e64 v7, null, s9, 0, s4
	v_add_co_u32 v6, vcc_lo, 0x800, v6
	v_add_co_ci_u32_e64 v7, null, 0, v7, vcc_lo
	global_store_dwordx2 v5, v[1:2], s[8:9]
	global_store_dwordx2 v[6:7], v[3:4], off
	s_branch .LBB159_2
.LBB159_308:
	v_mov_b32_e32 v31, v0
	v_mov_b32_e32 v0, s16
	v_mov_b32_e32 v1, s17
	v_mov_b32_e32 v2, s18
	v_mov_b32_e32 v3, s19
	v_mov_b32_e32 v4, s20
	s_getpc_b64 s[4:5]
	s_add_u32 s4, s4, _ZN2at6native25elementwise_kernel_helperILb0EZZZNS0_18lgamma_kernel_cudaERNS_18TensorIteratorBaseEENKUlvE_clEvENKUlvE2_clEvEUlN3c108BFloat16EE_NS0_6memory8policies11unroll_baseILi256ESt5arrayIPcLm2EE23TrivialOffsetCalculatorILi1EjESG_NS9_15LoadWithoutCastENS9_16StoreWithoutCastELi8ELi1EEEEEvT0_T1_@rel32@lo+4
	s_addc_u32 s5, s5, _ZN2at6native25elementwise_kernel_helperILb0EZZZNS0_18lgamma_kernel_cudaERNS_18TensorIteratorBaseEENKUlvE_clEvENKUlvE2_clEvEUlN3c108BFloat16EE_NS0_6memory8policies11unroll_baseILi256ESt5arrayIPcLm2EE23TrivialOffsetCalculatorILi1EjESG_NS9_15LoadWithoutCastENS9_16StoreWithoutCastELi8ELi1EEEEEvT0_T1_@rel32@hi+12
	s_mov_b32 s12, s6
	s_swappc_b64 s[30:31], s[4:5]
	s_endpgm
	.section	.rodata,"a",@progbits
	.p2align	6, 0x0
	.amdhsa_kernel _ZN2at6native29vectorized_elementwise_kernelILi4EZZZNS0_18lgamma_kernel_cudaERNS_18TensorIteratorBaseEENKUlvE_clEvENKUlvE2_clEvEUlN3c108BFloat16EE_St5arrayIPcLm2EEEEviT0_T1_
		.amdhsa_group_segment_fixed_size 0
		.amdhsa_private_segment_fixed_size 0
		.amdhsa_kernarg_size 24
		.amdhsa_user_sgpr_count 6
		.amdhsa_user_sgpr_private_segment_buffer 1
		.amdhsa_user_sgpr_dispatch_ptr 0
		.amdhsa_user_sgpr_queue_ptr 0
		.amdhsa_user_sgpr_kernarg_segment_ptr 1
		.amdhsa_user_sgpr_dispatch_id 0
		.amdhsa_user_sgpr_flat_scratch_init 0
		.amdhsa_user_sgpr_private_segment_size 0
		.amdhsa_wavefront_size32 1
		.amdhsa_uses_dynamic_stack 0
		.amdhsa_system_sgpr_private_segment_wavefront_offset 0
		.amdhsa_system_sgpr_workgroup_id_x 1
		.amdhsa_system_sgpr_workgroup_id_y 0
		.amdhsa_system_sgpr_workgroup_id_z 0
		.amdhsa_system_sgpr_workgroup_info 0
		.amdhsa_system_vgpr_workitem_id 0
		.amdhsa_next_free_vgpr 32
		.amdhsa_next_free_sgpr 33
		.amdhsa_reserve_vcc 1
		.amdhsa_reserve_flat_scratch 0
		.amdhsa_float_round_mode_32 0
		.amdhsa_float_round_mode_16_64 0
		.amdhsa_float_denorm_mode_32 3
		.amdhsa_float_denorm_mode_16_64 3
		.amdhsa_dx10_clamp 1
		.amdhsa_ieee_mode 1
		.amdhsa_fp16_overflow 0
		.amdhsa_workgroup_processor_mode 1
		.amdhsa_memory_ordered 1
		.amdhsa_forward_progress 1
		.amdhsa_shared_vgpr_count 0
		.amdhsa_exception_fp_ieee_invalid_op 0
		.amdhsa_exception_fp_denorm_src 0
		.amdhsa_exception_fp_ieee_div_zero 0
		.amdhsa_exception_fp_ieee_overflow 0
		.amdhsa_exception_fp_ieee_underflow 0
		.amdhsa_exception_fp_ieee_inexact 0
		.amdhsa_exception_int_div_zero 0
	.end_amdhsa_kernel
	.section	.text._ZN2at6native29vectorized_elementwise_kernelILi4EZZZNS0_18lgamma_kernel_cudaERNS_18TensorIteratorBaseEENKUlvE_clEvENKUlvE2_clEvEUlN3c108BFloat16EE_St5arrayIPcLm2EEEEviT0_T1_,"axG",@progbits,_ZN2at6native29vectorized_elementwise_kernelILi4EZZZNS0_18lgamma_kernel_cudaERNS_18TensorIteratorBaseEENKUlvE_clEvENKUlvE2_clEvEUlN3c108BFloat16EE_St5arrayIPcLm2EEEEviT0_T1_,comdat
.Lfunc_end159:
	.size	_ZN2at6native29vectorized_elementwise_kernelILi4EZZZNS0_18lgamma_kernel_cudaERNS_18TensorIteratorBaseEENKUlvE_clEvENKUlvE2_clEvEUlN3c108BFloat16EE_St5arrayIPcLm2EEEEviT0_T1_, .Lfunc_end159-_ZN2at6native29vectorized_elementwise_kernelILi4EZZZNS0_18lgamma_kernel_cudaERNS_18TensorIteratorBaseEENKUlvE_clEvENKUlvE2_clEvEUlN3c108BFloat16EE_St5arrayIPcLm2EEEEviT0_T1_
                                        ; -- End function
	.set _ZN2at6native29vectorized_elementwise_kernelILi4EZZZNS0_18lgamma_kernel_cudaERNS_18TensorIteratorBaseEENKUlvE_clEvENKUlvE2_clEvEUlN3c108BFloat16EE_St5arrayIPcLm2EEEEviT0_T1_.num_vgpr, max(32, .L_ZN2at6native25elementwise_kernel_helperILb0EZZZNS0_18lgamma_kernel_cudaERNS_18TensorIteratorBaseEENKUlvE_clEvENKUlvE2_clEvEUlN3c108BFloat16EE_NS0_6memory8policies11unroll_baseILi256ESt5arrayIPcLm2EE23TrivialOffsetCalculatorILi1EjESG_NS9_15LoadWithoutCastENS9_16StoreWithoutCastELi8ELi1EEEEEvT0_T1_.num_vgpr)
	.set _ZN2at6native29vectorized_elementwise_kernelILi4EZZZNS0_18lgamma_kernel_cudaERNS_18TensorIteratorBaseEENKUlvE_clEvENKUlvE2_clEvEUlN3c108BFloat16EE_St5arrayIPcLm2EEEEviT0_T1_.num_agpr, max(0, .L_ZN2at6native25elementwise_kernel_helperILb0EZZZNS0_18lgamma_kernel_cudaERNS_18TensorIteratorBaseEENKUlvE_clEvENKUlvE2_clEvEUlN3c108BFloat16EE_NS0_6memory8policies11unroll_baseILi256ESt5arrayIPcLm2EE23TrivialOffsetCalculatorILi1EjESG_NS9_15LoadWithoutCastENS9_16StoreWithoutCastELi8ELi1EEEEEvT0_T1_.num_agpr)
	.set _ZN2at6native29vectorized_elementwise_kernelILi4EZZZNS0_18lgamma_kernel_cudaERNS_18TensorIteratorBaseEENKUlvE_clEvENKUlvE2_clEvEUlN3c108BFloat16EE_St5arrayIPcLm2EEEEviT0_T1_.numbered_sgpr, max(33, .L_ZN2at6native25elementwise_kernel_helperILb0EZZZNS0_18lgamma_kernel_cudaERNS_18TensorIteratorBaseEENKUlvE_clEvENKUlvE2_clEvEUlN3c108BFloat16EE_NS0_6memory8policies11unroll_baseILi256ESt5arrayIPcLm2EE23TrivialOffsetCalculatorILi1EjESG_NS9_15LoadWithoutCastENS9_16StoreWithoutCastELi8ELi1EEEEEvT0_T1_.numbered_sgpr)
	.set _ZN2at6native29vectorized_elementwise_kernelILi4EZZZNS0_18lgamma_kernel_cudaERNS_18TensorIteratorBaseEENKUlvE_clEvENKUlvE2_clEvEUlN3c108BFloat16EE_St5arrayIPcLm2EEEEviT0_T1_.num_named_barrier, max(0, .L_ZN2at6native25elementwise_kernel_helperILb0EZZZNS0_18lgamma_kernel_cudaERNS_18TensorIteratorBaseEENKUlvE_clEvENKUlvE2_clEvEUlN3c108BFloat16EE_NS0_6memory8policies11unroll_baseILi256ESt5arrayIPcLm2EE23TrivialOffsetCalculatorILi1EjESG_NS9_15LoadWithoutCastENS9_16StoreWithoutCastELi8ELi1EEEEEvT0_T1_.num_named_barrier)
	.set _ZN2at6native29vectorized_elementwise_kernelILi4EZZZNS0_18lgamma_kernel_cudaERNS_18TensorIteratorBaseEENKUlvE_clEvENKUlvE2_clEvEUlN3c108BFloat16EE_St5arrayIPcLm2EEEEviT0_T1_.private_seg_size, 0+max(.L_ZN2at6native25elementwise_kernel_helperILb0EZZZNS0_18lgamma_kernel_cudaERNS_18TensorIteratorBaseEENKUlvE_clEvENKUlvE2_clEvEUlN3c108BFloat16EE_NS0_6memory8policies11unroll_baseILi256ESt5arrayIPcLm2EE23TrivialOffsetCalculatorILi1EjESG_NS9_15LoadWithoutCastENS9_16StoreWithoutCastELi8ELi1EEEEEvT0_T1_.private_seg_size)
	.set _ZN2at6native29vectorized_elementwise_kernelILi4EZZZNS0_18lgamma_kernel_cudaERNS_18TensorIteratorBaseEENKUlvE_clEvENKUlvE2_clEvEUlN3c108BFloat16EE_St5arrayIPcLm2EEEEviT0_T1_.uses_vcc, or(1, .L_ZN2at6native25elementwise_kernel_helperILb0EZZZNS0_18lgamma_kernel_cudaERNS_18TensorIteratorBaseEENKUlvE_clEvENKUlvE2_clEvEUlN3c108BFloat16EE_NS0_6memory8policies11unroll_baseILi256ESt5arrayIPcLm2EE23TrivialOffsetCalculatorILi1EjESG_NS9_15LoadWithoutCastENS9_16StoreWithoutCastELi8ELi1EEEEEvT0_T1_.uses_vcc)
	.set _ZN2at6native29vectorized_elementwise_kernelILi4EZZZNS0_18lgamma_kernel_cudaERNS_18TensorIteratorBaseEENKUlvE_clEvENKUlvE2_clEvEUlN3c108BFloat16EE_St5arrayIPcLm2EEEEviT0_T1_.uses_flat_scratch, or(0, .L_ZN2at6native25elementwise_kernel_helperILb0EZZZNS0_18lgamma_kernel_cudaERNS_18TensorIteratorBaseEENKUlvE_clEvENKUlvE2_clEvEUlN3c108BFloat16EE_NS0_6memory8policies11unroll_baseILi256ESt5arrayIPcLm2EE23TrivialOffsetCalculatorILi1EjESG_NS9_15LoadWithoutCastENS9_16StoreWithoutCastELi8ELi1EEEEEvT0_T1_.uses_flat_scratch)
	.set _ZN2at6native29vectorized_elementwise_kernelILi4EZZZNS0_18lgamma_kernel_cudaERNS_18TensorIteratorBaseEENKUlvE_clEvENKUlvE2_clEvEUlN3c108BFloat16EE_St5arrayIPcLm2EEEEviT0_T1_.has_dyn_sized_stack, or(0, .L_ZN2at6native25elementwise_kernel_helperILb0EZZZNS0_18lgamma_kernel_cudaERNS_18TensorIteratorBaseEENKUlvE_clEvENKUlvE2_clEvEUlN3c108BFloat16EE_NS0_6memory8policies11unroll_baseILi256ESt5arrayIPcLm2EE23TrivialOffsetCalculatorILi1EjESG_NS9_15LoadWithoutCastENS9_16StoreWithoutCastELi8ELi1EEEEEvT0_T1_.has_dyn_sized_stack)
	.set _ZN2at6native29vectorized_elementwise_kernelILi4EZZZNS0_18lgamma_kernel_cudaERNS_18TensorIteratorBaseEENKUlvE_clEvENKUlvE2_clEvEUlN3c108BFloat16EE_St5arrayIPcLm2EEEEviT0_T1_.has_recursion, or(0, .L_ZN2at6native25elementwise_kernel_helperILb0EZZZNS0_18lgamma_kernel_cudaERNS_18TensorIteratorBaseEENKUlvE_clEvENKUlvE2_clEvEUlN3c108BFloat16EE_NS0_6memory8policies11unroll_baseILi256ESt5arrayIPcLm2EE23TrivialOffsetCalculatorILi1EjESG_NS9_15LoadWithoutCastENS9_16StoreWithoutCastELi8ELi1EEEEEvT0_T1_.has_recursion)
	.set _ZN2at6native29vectorized_elementwise_kernelILi4EZZZNS0_18lgamma_kernel_cudaERNS_18TensorIteratorBaseEENKUlvE_clEvENKUlvE2_clEvEUlN3c108BFloat16EE_St5arrayIPcLm2EEEEviT0_T1_.has_indirect_call, or(0, .L_ZN2at6native25elementwise_kernel_helperILb0EZZZNS0_18lgamma_kernel_cudaERNS_18TensorIteratorBaseEENKUlvE_clEvENKUlvE2_clEvEUlN3c108BFloat16EE_NS0_6memory8policies11unroll_baseILi256ESt5arrayIPcLm2EE23TrivialOffsetCalculatorILi1EjESG_NS9_15LoadWithoutCastENS9_16StoreWithoutCastELi8ELi1EEEEEvT0_T1_.has_indirect_call)
	.section	.AMDGPU.csdata,"",@progbits
; Kernel info:
; codeLenInByte = 19200
; TotalNumSgprs: 35
; NumVgprs: 32
; ScratchSize: 0
; MemoryBound: 0
; FloatMode: 240
; IeeeMode: 1
; LDSByteSize: 0 bytes/workgroup (compile time only)
; SGPRBlocks: 0
; VGPRBlocks: 3
; NumSGPRsForWavesPerEU: 35
; NumVGPRsForWavesPerEU: 32
; Occupancy: 16
; WaveLimiterHint : 1
; COMPUTE_PGM_RSRC2:SCRATCH_EN: 0
; COMPUTE_PGM_RSRC2:USER_SGPR: 6
; COMPUTE_PGM_RSRC2:TRAP_HANDLER: 0
; COMPUTE_PGM_RSRC2:TGID_X_EN: 1
; COMPUTE_PGM_RSRC2:TGID_Y_EN: 0
; COMPUTE_PGM_RSRC2:TGID_Z_EN: 0
; COMPUTE_PGM_RSRC2:TIDIG_COMP_CNT: 0
	.section	.text._ZN2at6native29vectorized_elementwise_kernelILi2EZZZNS0_18lgamma_kernel_cudaERNS_18TensorIteratorBaseEENKUlvE_clEvENKUlvE2_clEvEUlN3c108BFloat16EE_St5arrayIPcLm2EEEEviT0_T1_,"axG",@progbits,_ZN2at6native29vectorized_elementwise_kernelILi2EZZZNS0_18lgamma_kernel_cudaERNS_18TensorIteratorBaseEENKUlvE_clEvENKUlvE2_clEvEUlN3c108BFloat16EE_St5arrayIPcLm2EEEEviT0_T1_,comdat
	.globl	_ZN2at6native29vectorized_elementwise_kernelILi2EZZZNS0_18lgamma_kernel_cudaERNS_18TensorIteratorBaseEENKUlvE_clEvENKUlvE2_clEvEUlN3c108BFloat16EE_St5arrayIPcLm2EEEEviT0_T1_ ; -- Begin function _ZN2at6native29vectorized_elementwise_kernelILi2EZZZNS0_18lgamma_kernel_cudaERNS_18TensorIteratorBaseEENKUlvE_clEvENKUlvE2_clEvEUlN3c108BFloat16EE_St5arrayIPcLm2EEEEviT0_T1_
	.p2align	8
	.type	_ZN2at6native29vectorized_elementwise_kernelILi2EZZZNS0_18lgamma_kernel_cudaERNS_18TensorIteratorBaseEENKUlvE_clEvENKUlvE2_clEvEUlN3c108BFloat16EE_St5arrayIPcLm2EEEEviT0_T1_,@function
_ZN2at6native29vectorized_elementwise_kernelILi2EZZZNS0_18lgamma_kernel_cudaERNS_18TensorIteratorBaseEENKUlvE_clEvENKUlvE2_clEvEUlN3c108BFloat16EE_St5arrayIPcLm2EEEEviT0_T1_: ; @_ZN2at6native29vectorized_elementwise_kernelILi2EZZZNS0_18lgamma_kernel_cudaERNS_18TensorIteratorBaseEENKUlvE_clEvENKUlvE2_clEvEUlN3c108BFloat16EE_St5arrayIPcLm2EEEEviT0_T1_
; %bb.0:
	s_add_u32 s0, s0, s7
	s_clause 0x1
	s_load_dword s7, s[4:5], 0x0
	s_load_dwordx4 s[16:19], s[4:5], 0x8
	s_addc_u32 s1, s1, 0
	s_lshl_b32 s4, s6, 11
	s_mov_b32 s5, -1
	s_mov_b32 s32, 0
	s_waitcnt lgkmcnt(0)
	s_sub_i32 s20, s7, s4
	s_cmpk_gt_i32 s20, 0x7ff
	s_cbranch_scc1 .LBB160_3
; %bb.1:
	s_and_b32 vcc_lo, exec_lo, s5
	s_cbranch_vccnz .LBB160_308
.LBB160_2:
	s_endpgm
.LBB160_3:
	s_ashr_i32 s5, s4, 31
	v_lshlrev_b32_e32 v1, 2, v0
	s_lshl_b64 s[14:15], s[4:5], 1
	s_add_u32 s4, s18, s14
	s_addc_u32 s5, s19, s15
	v_add_co_u32 v2, s7, s4, v1
	v_add_co_ci_u32_e64 v3, null, s5, 0, s7
	global_load_dword v4, v1, s[4:5]
	v_add_co_u32 v2, vcc_lo, 0x800, v2
	v_add_co_ci_u32_e64 v3, null, 0, v3, vcc_lo
	s_clause 0x2
	global_load_dword v9, v1, s[4:5] offset:1024
	global_load_dword v10, v[2:3], off
	global_load_dword v5, v[2:3], off offset:1024
	s_mov_b32 s5, exec_lo
                                        ; implicit-def: $vgpr3
	s_waitcnt vmcnt(3)
	v_lshlrev_b32_e32 v2, 16, v4
	v_and_b32_e32 v6, 0x7fffffff, v2
	v_cmpx_ngt_f32_e64 0x3c800000, |v2|
	s_xor_b32 s5, exec_lo, s5
	s_cbranch_execz .LBB160_33
; %bb.4:
	s_mov_b32 s7, exec_lo
                                        ; implicit-def: $vgpr3
	v_cmpx_nlt_f32_e64 |v2|, 2.0
	s_xor_b32 s7, exec_lo, s7
	s_cbranch_execz .LBB160_14
; %bb.5:
	v_cmp_ngt_f32_e64 s4, 0x41000000, |v2|
                                        ; implicit-def: $vgpr3
	s_and_saveexec_b32 s8, s4
	s_xor_b32 s4, exec_lo, s8
	s_cbranch_execz .LBB160_11
; %bb.6:
	v_cmp_ngt_f32_e64 s8, 0x5c800000, |v2|
                                        ; implicit-def: $vgpr3
	s_and_saveexec_b32 s9, s8
	s_xor_b32 s8, exec_lo, s9
	s_cbranch_execz .LBB160_8
; %bb.7:
	v_cmp_gt_f32_e64 s9, 0x800000, |v2|
	v_cndmask_b32_e64 v3, 0, 32, s9
	v_ldexp_f32 v3, |v2|, v3
	v_log_f32_e32 v3, v3
	v_mul_f32_e32 v7, 0x3f317217, v3
	v_cmp_gt_f32_e64 vcc_lo, 0x7f800000, |v3|
	v_fma_f32 v8, 0x3f317217, v3, -v7
	v_fmamk_f32 v8, v3, 0x3377d1cf, v8
	v_add_f32_e32 v7, v7, v8
	v_cndmask_b32_e32 v3, v3, v7, vcc_lo
	v_cndmask_b32_e64 v7, 0, 0x41b17218, s9
	v_sub_f32_e32 v3, v3, v7
	v_fma_f32 v3, |v2|, v3, -|v2|
.LBB160_8:
	s_andn2_saveexec_b32 s8, s8
	s_cbranch_execz .LBB160_10
; %bb.9:
	v_cmp_gt_f32_e64 s9, 0x800000, |v2|
	v_rcp_f32_e64 v7, |v2|
	s_mov_b32 s10, 0xbad5c4e8
	v_cndmask_b32_e64 v3, 0, 32, s9
	v_ldexp_f32 v3, |v2|, v3
	v_mul_f32_e32 v8, v7, v7
	v_log_f32_e32 v3, v3
	v_fmaak_f32 v12, s10, v8, 0x3a5b3dd2
	v_fmaak_f32 v12, v8, v12, 0xba1c065c
	v_mul_f32_e32 v11, 0x3f317217, v3
	v_fmaak_f32 v12, v8, v12, 0x3a500cfd
	v_cmp_gt_f32_e64 vcc_lo, 0x7f800000, |v3|
	v_fma_f32 v13, 0x3f317217, v3, -v11
	v_fmaak_f32 v12, v8, v12, 0xbb360b61
	v_fmamk_f32 v13, v3, 0x3377d1cf, v13
	v_fmaak_f32 v8, v8, v12, 0x3daaaaab
	v_add_f32_e32 v11, v11, v13
	v_cndmask_b32_e32 v3, v3, v11, vcc_lo
	v_cndmask_b32_e64 v11, 0, 0x41b17218, s9
	v_sub_f32_e32 v11, v3, v11
	v_fmaak_f32 v3, v7, v8, 0x3ed67f1d
	v_add_f32_e64 v7, |v2|, -0.5
	v_add_f32_e32 v8, -1.0, v11
	v_fmac_f32_e32 v3, v7, v8
.LBB160_10:
	s_or_b32 exec_lo, exec_lo, s8
.LBB160_11:
	s_andn2_saveexec_b32 s8, s4
	s_cbranch_execz .LBB160_13
; %bb.12:
	v_cvt_i32_f32_e32 v3, v6
	s_mov_b32 s4, 0x36f5d7bd
	s_mov_b32 s9, 0x3805ff67
	v_cvt_f32_i32_e32 v7, v3
	v_cmp_lt_i32_e32 vcc_lo, 2, v3
	v_sub_f32_e64 v7, |v2|, v7
	v_add_f32_e32 v8, 2.0, v7
	v_add_f32_e32 v11, 0x40400000, v7
	v_add_f32_e32 v12, 4.0, v7
	v_add_f32_e32 v13, 0x40a00000, v7
	v_cndmask_b32_e32 v8, 1.0, v8, vcc_lo
	v_cmp_lt_i32_e32 vcc_lo, 3, v3
	v_cndmask_b32_e32 v11, 1.0, v11, vcc_lo
	v_cmp_lt_i32_e32 vcc_lo, 4, v3
	v_mul_f32_e32 v8, v8, v11
	v_cndmask_b32_e32 v12, 1.0, v12, vcc_lo
	v_cmp_lt_i32_e32 vcc_lo, 5, v3
	v_add_f32_e32 v11, 0x40c00000, v7
	v_mul_f32_e32 v8, v12, v8
	v_cndmask_b32_e32 v13, 1.0, v13, vcc_lo
	v_cmp_lt_i32_e32 vcc_lo, 6, v3
	v_fmaak_f32 v12, s9, v7, 0x3af135b4
	v_mul_f32_e32 v8, v13, v8
	v_cndmask_b32_e32 v3, 1.0, v11, vcc_lo
	v_mul_f32_e32 v3, v3, v8
	v_fmaak_f32 v8, s4, v7, 0x3a4beed6
	v_cmp_gt_f32_e32 vcc_lo, 0x800000, v3
	v_fmaak_f32 v8, v7, v8, 0x3c98bf54
	v_cndmask_b32_e64 v11, 0, 32, vcc_lo
	v_fmaak_f32 v8, v7, v8, 0x3e300f6e
	v_ldexp_f32 v3, v3, v11
	v_fmaak_f32 v11, v7, v12, 0x3cda40e4
	v_fmaak_f32 v8, v7, v8, 0x3f38d0c5
	v_log_f32_e32 v3, v3
	v_fmaak_f32 v11, v7, v11, 0x3e15dce6
	v_fmaak_f32 v8, v7, v8, 0x3fb22d3b
	;; [unrolled: 1-line block ×3, first 2 shown]
	v_fma_f32 v8, v7, v8, 1.0
	v_mul_f32_e32 v12, 0x3f317217, v3
	v_fmaak_f32 v11, v7, v11, 0x3e5c245a
	v_rcp_f32_e32 v8, v8
	v_cmp_gt_f32_e64 s4, 0x7f800000, |v3|
	v_fma_f32 v13, 0x3f317217, v3, -v12
	v_fmaak_f32 v11, v7, v11, 0xbd9e233f
	v_fmamk_f32 v13, v3, 0x3377d1cf, v13
	v_mul_f32_e32 v11, v7, v11
	v_add_f32_e32 v12, v12, v13
	v_mul_f32_e32 v8, v11, v8
	v_cndmask_b32_e64 v11, 0, 0x41b17218, vcc_lo
	v_cndmask_b32_e64 v3, v3, v12, s4
	v_fmac_f32_e32 v8, 0.5, v7
	v_sub_f32_e32 v3, v3, v11
	v_add_f32_e32 v3, v3, v8
.LBB160_13:
	s_or_b32 exec_lo, exec_lo, s8
.LBB160_14:
	s_andn2_saveexec_b32 s7, s7
	s_cbranch_execz .LBB160_32
; %bb.15:
	s_mov_b32 s8, exec_lo
                                        ; implicit-def: $vgpr3
                                        ; implicit-def: $vgpr8
                                        ; implicit-def: $vgpr7
	v_cmpx_ge_f32_e64 0x3f666666, |v2|
	s_xor_b32 s8, exec_lo, s8
	s_cbranch_execz .LBB160_17
; %bb.16:
	v_cmp_gt_f32_e64 s4, 0x800000, |v2|
	v_sub_f32_e64 v11, 1.0, |v2|
	v_cmp_gt_f32_e64 vcc_lo, 0x3f3b4a23, |v2|
	v_cndmask_b32_e64 v3, 0, 32, s4
	v_cndmask_b32_e64 v12, 0, 0x41b17218, s4
	v_ldexp_f32 v3, |v2|, v3
	v_log_f32_e32 v3, v3
	v_mul_f32_e32 v7, 0x3f317217, v3
	v_cmp_gt_f32_e64 s4, 0x7f800000, |v3|
	v_fma_f32 v8, 0x3f317217, v3, -v7
	v_fmamk_f32 v8, v3, 0x3377d1cf, v8
	v_add_f32_e32 v7, v7, v8
	v_add_f32_e64 v8, 0xbeec5b0c, |v2|
	v_cndmask_b32_e64 v3, v3, v7, s4
	v_cndmask_b32_e32 v7, v11, v8, vcc_lo
	v_cndmask_b32_e64 v8, 0, 1, vcc_lo
	v_cmp_gt_f32_e64 s4, 0x3e6d3309, |v2|
	v_sub_f32_e32 v3, v3, v12
	v_cndmask_b32_e64 v7, v7, |v2|, s4
	v_cndmask_b32_e64 v8, v8, 2, s4
	v_xor_b32_e32 v3, 0x80000000, v3
.LBB160_17:
	s_andn2_saveexec_b32 s4, s8
	s_cbranch_execz .LBB160_19
; %bb.18:
	v_sub_f32_e64 v3, 2.0, |v2|
	v_add_f32_e64 v7, 0xbfbb16c3, |v2|
	v_cmp_gt_f32_e64 vcc_lo, 0x3fdda512, |v2|
	v_add_f32_e64 v8, |v2|, -1.0
	v_cndmask_b32_e32 v7, v3, v7, vcc_lo
	v_cndmask_b32_e64 v3, v3, 1.0, vcc_lo
	v_cmp_gt_f32_e64 vcc_lo, 0x3f9d70a4, |v2|
	v_cvt_i32_f32_e32 v3, v3
	v_cndmask_b32_e32 v7, v7, v8, vcc_lo
	v_cndmask_b32_e64 v8, v3, 2, vcc_lo
	v_mov_b32_e32 v3, 0
.LBB160_19:
	s_or_b32 exec_lo, exec_lo, s4
	s_mov_b32 s4, exec_lo
	v_cmpx_lt_i32_e32 0, v8
	s_xor_b32 s4, exec_lo, s4
	s_cbranch_execz .LBB160_27
; %bb.20:
	s_mov_b32 s8, exec_lo
	v_cmpx_lt_i32_e32 1, v8
	s_xor_b32 s8, exec_lo, s8
	s_cbranch_execz .LBB160_24
; %bb.21:
	s_mov_b32 s9, exec_lo
	v_cmpx_eq_u32_e32 2, v8
	s_cbranch_execz .LBB160_23
; %bb.22:
	s_mov_b32 s10, 0x3b52d5db
	v_fmaak_f32 v8, s10, v7, 0x3dd572af
	s_mov_b32 s10, 0x3c5b3c5e
	v_fmaak_f32 v11, s10, v7, 0x3e6a7578
	v_fmaak_f32 v8, v7, v8, 0x3f44efdf
	;; [unrolled: 1-line block ×7, first 2 shown]
	v_fma_f32 v8, v7, v8, 1.0
	v_fmaak_f32 v11, v7, v11, 0xbd9e233f
	v_rcp_f32_e32 v8, v8
	v_mul_f32_e32 v11, v7, v11
	v_mul_f32_e32 v8, v11, v8
	v_fmac_f32_e32 v8, -0.5, v7
	v_add_f32_e32 v3, v3, v8
.LBB160_23:
	s_or_b32 exec_lo, exec_lo, s9
                                        ; implicit-def: $vgpr7
.LBB160_24:
	s_andn2_saveexec_b32 s8, s8
	s_cbranch_execz .LBB160_26
; %bb.25:
	v_mul_f32_e32 v8, v7, v7
	s_mov_b32 s9, 0xb9a3f927
	s_mov_b32 s10, 0x39afe9f7
	v_mul_f32_e32 v11, v7, v8
	v_fmaak_f32 v12, s9, v11, 0x3a66f867
	v_fmaak_f32 v13, s10, v11, 0xba0d3085
	s_mov_b32 s9, 0x39a57b6b
	v_fmaak_f32 v14, s9, v11, 0xbab7f476
	v_fmaak_f32 v12, v11, v12, 0xbb7177fe
	;; [unrolled: 1-line block ×9, first 2 shown]
	v_fmac_f32_e32 v12, v7, v13
	v_fmaak_f32 v7, v11, v14, 0x3ef7b95e
	v_fma_f32 v11, v11, -v12, 0xa2863e55
	v_fma_f32 v7, v8, v7, -v11
	v_add_f32_e32 v7, 0xbdf8cdce, v7
	v_add_f32_e32 v3, v3, v7
.LBB160_26:
	s_or_b32 exec_lo, exec_lo, s8
                                        ; implicit-def: $vgpr8
                                        ; implicit-def: $vgpr7
.LBB160_27:
	s_andn2_saveexec_b32 s4, s4
	s_cbranch_execz .LBB160_31
; %bb.28:
	s_mov_b32 s8, exec_lo
	v_cmpx_eq_u32_e32 0, v8
	s_cbranch_execz .LBB160_30
; %bb.29:
	v_mul_f32_e32 v8, v7, v7
	s_mov_b32 s9, 0x383c2c75
	v_fmaak_f32 v11, s9, v8, 0x38e28445
	s_mov_b32 s9, 0x37d383a2
	v_fmaak_f32 v12, s9, v8, 0x39679767
	v_fmaak_f32 v11, v8, v11, 0x3a05b634
	;; [unrolled: 1-line block ×9, first 2 shown]
	v_mul_f32_e32 v8, v8, v11
	v_fmac_f32_e32 v8, v7, v12
	v_fmac_f32_e32 v8, -0.5, v7
	v_add_f32_e32 v3, v3, v8
.LBB160_30:
	s_or_b32 exec_lo, exec_lo, s8
.LBB160_31:
	s_or_b32 exec_lo, exec_lo, s4
.LBB160_32:
	s_or_b32 exec_lo, exec_lo, s7
.LBB160_33:
	s_andn2_saveexec_b32 s4, s5
	s_cbranch_execz .LBB160_35
; %bb.34:
	v_cmp_gt_f32_e64 s5, 0x800000, |v2|
	s_mov_b32 s7, 0x3e8a8991
	v_fma_f32 v11, |v2|, s7, 0xbecd26ab
	v_cndmask_b32_e64 v3, 0, 32, s5
	v_ldexp_f32 v3, |v2|, v3
	v_log_f32_e32 v3, v3
	v_mul_f32_e32 v7, 0x3f317217, v3
	v_cmp_gt_f32_e64 vcc_lo, 0x7f800000, |v3|
	v_fma_f32 v8, 0x3f317217, v3, -v7
	v_fmamk_f32 v8, v3, 0x3377d1cf, v8
	v_add_f32_e32 v7, v7, v8
	v_fma_f32 v8, |v2|, v11, 0x3f528d33
	v_cndmask_b32_e32 v3, v3, v7, vcc_lo
	v_cndmask_b32_e64 v7, 0, 0x41b17218, s5
	v_fma_f32 v8, |v2|, v8, 0xbf13c468
	v_sub_f32_e32 v3, v3, v7
	v_fma_f32 v3, |v2|, v8, -v3
.LBB160_35:
	s_or_b32 exec_lo, exec_lo, s4
	v_cmp_le_f32_e32 vcc_lo, 0, v2
	s_mov_b32 s5, exec_lo
	v_cmpx_nle_f32_e32 0, v2
	s_xor_b32 s7, exec_lo, s5
	s_cbranch_execz .LBB160_39
; %bb.36:
	v_cmp_gt_f32_e64 s4, 0x4b000000, |v2|
	v_cmp_lt_f32_e64 s5, 0x35000000, |v2|
	s_and_b32 s4, s4, s5
	s_and_saveexec_b32 s8, s4
	s_cbranch_execz .LBB160_38
; %bb.37:
	v_mul_f32_e64 v7, |v2|, 0.5
	s_mov_b32 s5, 0x3d4be544
	v_floor_f32_e32 v8, v7
	v_cmp_neq_f32_e64 s4, 0x7f800000, v7
	v_sub_f32_e32 v8, v7, v8
	v_min_f32_e32 v8, 0x3f7fffff, v8
	v_add_f32_e32 v8, v8, v8
	v_cndmask_b32_e64 v7, 0, v8, s4
	v_cmp_gt_f32_e64 s4, |v2|, 1.0
	v_cndmask_b32_e64 v7, |v2|, v7, s4
	s_mov_b32 s4, 0x3e75aa41
	v_add_f32_e32 v8, v7, v7
	v_rndne_f32_e32 v8, v8
	v_fmac_f32_e32 v7, -0.5, v8
	v_cvt_i32_f32_e32 v8, v8
	v_mul_f32_e32 v11, v7, v7
	v_fmaak_f32 v12, s4, v11, 0xbf1f24be
	v_fmaak_f32 v13, s5, v11, 0x3e642e9d
	v_mul_f32_e32 v14, v7, v11
	v_fmaak_f32 v12, v11, v12, 0x40234736
	v_fmaak_f32 v13, v11, v13, 0xbfaad1da
	;; [unrolled: 1-line block ×4, first 2 shown]
	v_mul_f32_e32 v12, v14, v12
	v_fmaak_f32 v13, v11, v13, 0xc09de9e6
	v_and_b32_e32 v14, 1, v8
	v_lshlrev_b32_e32 v8, 30, v8
	v_fmamk_f32 v7, v7, 0x40490fdb, v12
	v_fma_f32 v11, v11, v13, 1.0
	v_cmp_eq_u32_e64 s4, 0, v14
	v_and_or_b32 v6, 0x80000000, v8, v6
	v_cndmask_b32_e64 v7, v11, v7, s4
	v_xor3_b32 v6, v6, v7, v2
	v_mul_f32_e32 v6, v2, v6
	v_frexp_mant_f32_e64 v7, |v6|
	v_frexp_exp_i32_f32_e32 v6, v6
	v_rcp_f32_e32 v7, v7
	v_sub_nc_u32_e32 v6, 2, v6
	v_mul_f32_e32 v7, 0x3f490fdb, v7
	v_ldexp_f32 v6, v7, v6
	v_cmp_gt_f32_e64 s4, 0x800000, v6
	v_cndmask_b32_e64 v7, 0, 32, s4
	v_ldexp_f32 v6, v6, v7
	v_log_f32_e32 v6, v6
	v_mul_f32_e32 v7, 0x3f317217, v6
	v_cmp_gt_f32_e64 s5, 0x7f800000, |v6|
	v_fma_f32 v8, 0x3f317217, v6, -v7
	v_fmamk_f32 v8, v6, 0x3377d1cf, v8
	v_add_f32_e32 v7, v7, v8
	v_floor_f32_e32 v8, v2
	v_cndmask_b32_e64 v6, v6, v7, s5
	v_cndmask_b32_e64 v7, 0, 0x41b17218, s4
	v_sub_f32_e32 v8, v2, v8
	v_sub_f32_e32 v6, v6, v7
	v_min_f32_e32 v7, 0x3f7fffff, v8
	v_sub_f32_e32 v3, v6, v3
	v_cmp_neq_f32_e64 s4, 0, v7
	v_cndmask_b32_e64 v3, 0x7f800000, v3, s4
.LBB160_38:
	s_or_b32 exec_lo, exec_lo, s8
.LBB160_39:
	s_andn2_saveexec_b32 s7, s7
; %bb.40:
	v_cmp_eq_f32_e64 s4, 1.0, v2
	v_cmp_eq_f32_e64 s5, 2.0, v2
	s_or_b32 s4, s4, s5
	v_cndmask_b32_e64 v3, v3, 0, s4
; %bb.41:
	s_or_b32 exec_lo, exec_lo, s7
	v_and_b32_e32 v4, 0xffff0000, v4
                                        ; implicit-def: $vgpr6
	s_mov_b32 s5, exec_lo
	v_and_b32_e32 v7, 0x7fffffff, v4
	v_cmpx_ngt_f32_e64 0x3c800000, |v4|
	s_xor_b32 s7, exec_lo, s5
	s_cbranch_execz .LBB160_71
; %bb.42:
                                        ; implicit-def: $vgpr6
	s_mov_b32 s5, exec_lo
	v_cmpx_nlt_f32_e64 |v4|, 2.0
	s_xor_b32 s8, exec_lo, s5
	s_cbranch_execz .LBB160_52
; %bb.43:
	s_mov_b32 s5, exec_lo
                                        ; implicit-def: $vgpr6
	v_cmpx_ngt_f32_e64 0x41000000, |v4|
	s_xor_b32 s5, exec_lo, s5
	s_cbranch_execz .LBB160_49
; %bb.44:
	s_mov_b32 s9, exec_lo
                                        ; implicit-def: $vgpr6
	v_cmpx_ngt_f32_e64 0x5c800000, |v4|
	s_xor_b32 s9, exec_lo, s9
	s_cbranch_execz .LBB160_46
; %bb.45:
	v_cmp_gt_f32_e64 s10, 0x800000, |v4|
	v_cndmask_b32_e64 v6, 0, 32, s10
	v_ldexp_f32 v6, |v4|, v6
	v_log_f32_e32 v6, v6
	v_mul_f32_e32 v8, 0x3f317217, v6
	v_cmp_gt_f32_e64 s4, 0x7f800000, |v6|
	v_fma_f32 v11, 0x3f317217, v6, -v8
	v_fmamk_f32 v11, v6, 0x3377d1cf, v11
	v_add_f32_e32 v8, v8, v11
	v_cndmask_b32_e64 v6, v6, v8, s4
	v_cndmask_b32_e64 v8, 0, 0x41b17218, s10
	v_sub_f32_e32 v6, v6, v8
	v_fma_f32 v6, |v4|, v6, -|v4|
.LBB160_46:
	s_andn2_saveexec_b32 s9, s9
	s_cbranch_execz .LBB160_48
; %bb.47:
	v_cmp_gt_f32_e64 s10, 0x800000, |v4|
	v_rcp_f32_e64 v8, |v4|
	s_mov_b32 s4, 0xbad5c4e8
	v_cndmask_b32_e64 v6, 0, 32, s10
	v_ldexp_f32 v6, |v4|, v6
	v_mul_f32_e32 v11, v8, v8
	v_log_f32_e32 v6, v6
	v_fmaak_f32 v13, s4, v11, 0x3a5b3dd2
	v_fmaak_f32 v13, v11, v13, 0xba1c065c
	v_mul_f32_e32 v12, 0x3f317217, v6
	v_fmaak_f32 v13, v11, v13, 0x3a500cfd
	v_cmp_gt_f32_e64 s4, 0x7f800000, |v6|
	v_fma_f32 v14, 0x3f317217, v6, -v12
	v_fmaak_f32 v13, v11, v13, 0xbb360b61
	v_fmamk_f32 v14, v6, 0x3377d1cf, v14
	v_fmaak_f32 v11, v11, v13, 0x3daaaaab
	v_add_f32_e32 v12, v12, v14
	v_cndmask_b32_e64 v6, v6, v12, s4
	v_cndmask_b32_e64 v12, 0, 0x41b17218, s10
	v_sub_f32_e32 v12, v6, v12
	v_fmaak_f32 v6, v8, v11, 0x3ed67f1d
	v_add_f32_e64 v8, |v4|, -0.5
	v_add_f32_e32 v11, -1.0, v12
	v_fmac_f32_e32 v6, v8, v11
.LBB160_48:
	s_or_b32 exec_lo, exec_lo, s9
.LBB160_49:
	s_andn2_saveexec_b32 s9, s5
	s_cbranch_execz .LBB160_51
; %bb.50:
	v_cvt_i32_f32_e32 v6, v7
	s_mov_b32 s5, 0x3805ff67
	v_cvt_f32_i32_e32 v8, v6
	v_cmp_lt_i32_e64 s4, 2, v6
	v_sub_f32_e64 v8, |v4|, v8
	v_add_f32_e32 v11, 2.0, v8
	v_add_f32_e32 v12, 0x40400000, v8
	v_add_f32_e32 v13, 4.0, v8
	v_add_f32_e32 v14, 0x40a00000, v8
	v_cndmask_b32_e64 v11, 1.0, v11, s4
	v_cmp_lt_i32_e64 s4, 3, v6
	v_cndmask_b32_e64 v12, 1.0, v12, s4
	v_cmp_lt_i32_e64 s4, 4, v6
	v_mul_f32_e32 v11, v11, v12
	v_cndmask_b32_e64 v13, 1.0, v13, s4
	v_cmp_lt_i32_e64 s4, 5, v6
	v_add_f32_e32 v12, 0x40c00000, v8
	v_mul_f32_e32 v11, v13, v11
	v_cndmask_b32_e64 v14, 1.0, v14, s4
	v_cmp_lt_i32_e64 s4, 6, v6
	v_fmaak_f32 v13, s5, v8, 0x3af135b4
	v_mul_f32_e32 v11, v14, v11
	v_cndmask_b32_e64 v6, 1.0, v12, s4
	s_mov_b32 s4, 0x36f5d7bd
	v_mul_f32_e32 v6, v6, v11
	v_fmaak_f32 v11, s4, v8, 0x3a4beed6
	v_cmp_gt_f32_e64 s4, 0x800000, v6
	v_fmaak_f32 v11, v8, v11, 0x3c98bf54
	v_cndmask_b32_e64 v12, 0, 32, s4
	v_fmaak_f32 v11, v8, v11, 0x3e300f6e
	v_ldexp_f32 v6, v6, v12
	v_fmaak_f32 v12, v8, v13, 0x3cda40e4
	v_fmaak_f32 v11, v8, v11, 0x3f38d0c5
	v_log_f32_e32 v6, v6
	v_fmaak_f32 v12, v8, v12, 0x3e15dce6
	v_fmaak_f32 v11, v8, v11, 0x3fb22d3b
	;; [unrolled: 1-line block ×3, first 2 shown]
	v_fma_f32 v11, v8, v11, 1.0
	v_mul_f32_e32 v13, 0x3f317217, v6
	v_fmaak_f32 v12, v8, v12, 0x3e5c245a
	v_rcp_f32_e32 v11, v11
	v_cmp_gt_f32_e64 s5, 0x7f800000, |v6|
	v_fma_f32 v14, 0x3f317217, v6, -v13
	v_fmaak_f32 v12, v8, v12, 0xbd9e233f
	v_fmamk_f32 v14, v6, 0x3377d1cf, v14
	v_mul_f32_e32 v12, v8, v12
	v_add_f32_e32 v13, v13, v14
	v_mul_f32_e32 v11, v12, v11
	v_cndmask_b32_e64 v12, 0, 0x41b17218, s4
	v_cndmask_b32_e64 v6, v6, v13, s5
	v_fmac_f32_e32 v11, 0.5, v8
	v_sub_f32_e32 v6, v6, v12
	v_add_f32_e32 v6, v6, v11
.LBB160_51:
	s_or_b32 exec_lo, exec_lo, s9
.LBB160_52:
	s_andn2_saveexec_b32 s8, s8
	s_cbranch_execz .LBB160_70
; %bb.53:
                                        ; implicit-def: $vgpr6
                                        ; implicit-def: $vgpr11
                                        ; implicit-def: $vgpr8
	s_mov_b32 s5, exec_lo
	v_cmpx_ge_f32_e64 0x3f666666, |v4|
	s_xor_b32 s9, exec_lo, s5
	s_cbranch_execz .LBB160_55
; %bb.54:
	v_cmp_gt_f32_e64 s5, 0x800000, |v4|
	v_sub_f32_e64 v12, 1.0, |v4|
	v_cmp_gt_f32_e64 s4, 0x3f3b4a23, |v4|
	v_cndmask_b32_e64 v6, 0, 32, s5
	v_cndmask_b32_e64 v13, 0, 0x41b17218, s5
	v_ldexp_f32 v6, |v4|, v6
	v_log_f32_e32 v6, v6
	v_mul_f32_e32 v8, 0x3f317217, v6
	v_cmp_gt_f32_e64 s5, 0x7f800000, |v6|
	v_fma_f32 v11, 0x3f317217, v6, -v8
	v_fmamk_f32 v11, v6, 0x3377d1cf, v11
	v_add_f32_e32 v8, v8, v11
	v_add_f32_e64 v11, 0xbeec5b0c, |v4|
	v_cndmask_b32_e64 v6, v6, v8, s5
	v_cndmask_b32_e64 v8, v12, v11, s4
	;; [unrolled: 1-line block ×3, first 2 shown]
	v_cmp_gt_f32_e64 s4, 0x3e6d3309, |v4|
	v_sub_f32_e32 v6, v6, v13
	v_cndmask_b32_e64 v8, v8, |v4|, s4
	v_cndmask_b32_e64 v11, v11, 2, s4
	v_xor_b32_e32 v6, 0x80000000, v6
.LBB160_55:
	s_andn2_saveexec_b32 s5, s9
	s_cbranch_execz .LBB160_57
; %bb.56:
	v_sub_f32_e64 v6, 2.0, |v4|
	v_add_f32_e64 v8, 0xbfbb16c3, |v4|
	v_cmp_gt_f32_e64 s4, 0x3fdda512, |v4|
	v_add_f32_e64 v11, |v4|, -1.0
	v_cndmask_b32_e64 v8, v6, v8, s4
	v_cndmask_b32_e64 v6, v6, 1.0, s4
	v_cmp_gt_f32_e64 s4, 0x3f9d70a4, |v4|
	v_cvt_i32_f32_e32 v6, v6
	v_cndmask_b32_e64 v8, v8, v11, s4
	v_cndmask_b32_e64 v11, v6, 2, s4
	v_mov_b32_e32 v6, 0
.LBB160_57:
	s_or_b32 exec_lo, exec_lo, s5
	s_mov_b32 s5, exec_lo
	v_cmpx_lt_i32_e32 0, v11
	s_xor_b32 s5, exec_lo, s5
	s_cbranch_execz .LBB160_65
; %bb.58:
	s_mov_b32 s9, exec_lo
	v_cmpx_lt_i32_e32 1, v11
	s_xor_b32 s9, exec_lo, s9
	s_cbranch_execz .LBB160_62
; %bb.59:
	s_mov_b32 s10, exec_lo
	v_cmpx_eq_u32_e32 2, v11
	s_cbranch_execz .LBB160_61
; %bb.60:
	s_mov_b32 s4, 0x3b52d5db
	v_fmaak_f32 v11, s4, v8, 0x3dd572af
	s_mov_b32 s4, 0x3c5b3c5e
	v_fmaak_f32 v12, s4, v8, 0x3e6a7578
	v_fmaak_f32 v11, v8, v11, 0x3f44efdf
	;; [unrolled: 1-line block ×7, first 2 shown]
	v_fma_f32 v11, v8, v11, 1.0
	v_fmaak_f32 v12, v8, v12, 0xbd9e233f
	v_rcp_f32_e32 v11, v11
	v_mul_f32_e32 v12, v8, v12
	v_mul_f32_e32 v11, v12, v11
	v_fmac_f32_e32 v11, -0.5, v8
	v_add_f32_e32 v6, v6, v11
.LBB160_61:
	s_or_b32 exec_lo, exec_lo, s10
                                        ; implicit-def: $vgpr8
.LBB160_62:
	s_andn2_saveexec_b32 s4, s9
	s_cbranch_execz .LBB160_64
; %bb.63:
	v_mul_f32_e32 v11, v8, v8
	s_mov_b32 s9, 0xb9a3f927
	s_mov_b32 s10, 0x39afe9f7
	v_mul_f32_e32 v12, v8, v11
	v_fmaak_f32 v13, s9, v12, 0x3a66f867
	v_fmaak_f32 v14, s10, v12, 0xba0d3085
	s_mov_b32 s9, 0x39a57b6b
	v_fmaak_f32 v15, s9, v12, 0xbab7f476
	v_fmaak_f32 v13, v12, v13, 0xbb7177fe
	;; [unrolled: 1-line block ×9, first 2 shown]
	v_fmac_f32_e32 v13, v8, v14
	v_fmaak_f32 v8, v12, v15, 0x3ef7b95e
	v_fma_f32 v12, v12, -v13, 0xa2863e55
	v_fma_f32 v8, v11, v8, -v12
	v_add_f32_e32 v8, 0xbdf8cdce, v8
	v_add_f32_e32 v6, v6, v8
.LBB160_64:
	s_or_b32 exec_lo, exec_lo, s4
                                        ; implicit-def: $vgpr11
                                        ; implicit-def: $vgpr8
.LBB160_65:
	s_andn2_saveexec_b32 s5, s5
	s_cbranch_execz .LBB160_69
; %bb.66:
	s_mov_b32 s9, exec_lo
	v_cmpx_eq_u32_e32 0, v11
	s_cbranch_execz .LBB160_68
; %bb.67:
	v_mul_f32_e32 v11, v8, v8
	s_mov_b32 s4, 0x383c2c75
	v_fmaak_f32 v12, s4, v11, 0x38e28445
	s_mov_b32 s4, 0x37d383a2
	v_fmaak_f32 v13, s4, v11, 0x39679767
	v_fmaak_f32 v12, v11, v12, 0x3a05b634
	;; [unrolled: 1-line block ×9, first 2 shown]
	v_mul_f32_e32 v11, v11, v12
	v_fmac_f32_e32 v11, v8, v13
	v_fmac_f32_e32 v11, -0.5, v8
	v_add_f32_e32 v6, v6, v11
.LBB160_68:
	s_or_b32 exec_lo, exec_lo, s9
.LBB160_69:
	s_or_b32 exec_lo, exec_lo, s5
.LBB160_70:
	s_or_b32 exec_lo, exec_lo, s8
.LBB160_71:
	s_andn2_saveexec_b32 s5, s7
	s_cbranch_execz .LBB160_73
; %bb.72:
	v_cmp_gt_f32_e64 s7, 0x800000, |v4|
	s_mov_b32 s4, 0x3e8a8991
	v_fma_f32 v12, |v4|, s4, 0xbecd26ab
	v_cndmask_b32_e64 v6, 0, 32, s7
	v_ldexp_f32 v6, |v4|, v6
	v_log_f32_e32 v6, v6
	v_mul_f32_e32 v8, 0x3f317217, v6
	v_cmp_gt_f32_e64 s4, 0x7f800000, |v6|
	v_fma_f32 v11, 0x3f317217, v6, -v8
	v_fmamk_f32 v11, v6, 0x3377d1cf, v11
	v_add_f32_e32 v8, v8, v11
	v_fma_f32 v11, |v4|, v12, 0x3f528d33
	v_cndmask_b32_e64 v6, v6, v8, s4
	v_cndmask_b32_e64 v8, 0, 0x41b17218, s7
	v_fma_f32 v11, |v4|, v11, 0xbf13c468
	v_sub_f32_e32 v6, v6, v8
	v_fma_f32 v6, |v4|, v11, -v6
.LBB160_73:
	s_or_b32 exec_lo, exec_lo, s5
	v_cmp_le_f32_e64 s4, 0, v4
	s_mov_b32 s7, exec_lo
	v_cmpx_nle_f32_e32 0, v4
	s_xor_b32 s8, exec_lo, s7
	s_cbranch_execz .LBB160_77
; %bb.74:
	v_cmp_gt_f32_e64 s5, 0x4b000000, |v4|
	v_cmp_lt_f32_e64 s7, 0x35000000, |v4|
	s_and_b32 s5, s5, s7
	s_and_saveexec_b32 s9, s5
	s_cbranch_execz .LBB160_76
; %bb.75:
	v_mul_f32_e64 v8, |v4|, 0.5
	s_mov_b32 s7, 0x3d4be544
	v_floor_f32_e32 v11, v8
	v_cmp_neq_f32_e64 s5, 0x7f800000, v8
	v_sub_f32_e32 v11, v8, v11
	v_min_f32_e32 v11, 0x3f7fffff, v11
	v_add_f32_e32 v11, v11, v11
	v_cndmask_b32_e64 v8, 0, v11, s5
	v_cmp_gt_f32_e64 s5, |v4|, 1.0
	v_cndmask_b32_e64 v8, |v4|, v8, s5
	s_mov_b32 s5, 0x3e75aa41
	v_add_f32_e32 v11, v8, v8
	v_rndne_f32_e32 v11, v11
	v_fmac_f32_e32 v8, -0.5, v11
	v_cvt_i32_f32_e32 v11, v11
	v_mul_f32_e32 v12, v8, v8
	v_fmaak_f32 v13, s5, v12, 0xbf1f24be
	v_fmaak_f32 v14, s7, v12, 0x3e642e9d
	v_mul_f32_e32 v15, v8, v12
	v_fmaak_f32 v13, v12, v13, 0x40234736
	v_fmaak_f32 v14, v12, v14, 0xbfaad1da
	;; [unrolled: 1-line block ×4, first 2 shown]
	v_mul_f32_e32 v13, v15, v13
	v_fmaak_f32 v14, v12, v14, 0xc09de9e6
	v_and_b32_e32 v15, 1, v11
	v_lshlrev_b32_e32 v11, 30, v11
	v_fmamk_f32 v8, v8, 0x40490fdb, v13
	v_fma_f32 v12, v12, v14, 1.0
	v_cmp_eq_u32_e64 s5, 0, v15
	v_and_or_b32 v7, 0x80000000, v11, v7
	v_cndmask_b32_e64 v8, v12, v8, s5
	v_xor3_b32 v7, v7, v8, v4
	v_mul_f32_e32 v7, v4, v7
	v_frexp_mant_f32_e64 v8, |v7|
	v_frexp_exp_i32_f32_e32 v7, v7
	v_rcp_f32_e32 v8, v8
	v_sub_nc_u32_e32 v7, 2, v7
	v_mul_f32_e32 v8, 0x3f490fdb, v8
	v_ldexp_f32 v7, v8, v7
	v_cmp_gt_f32_e64 s5, 0x800000, v7
	v_cndmask_b32_e64 v8, 0, 32, s5
	v_ldexp_f32 v7, v7, v8
	v_log_f32_e32 v7, v7
	v_mul_f32_e32 v8, 0x3f317217, v7
	v_cmp_gt_f32_e64 s7, 0x7f800000, |v7|
	v_fma_f32 v11, 0x3f317217, v7, -v8
	v_fmamk_f32 v11, v7, 0x3377d1cf, v11
	v_add_f32_e32 v8, v8, v11
	v_floor_f32_e32 v11, v4
	v_cndmask_b32_e64 v7, v7, v8, s7
	v_cndmask_b32_e64 v8, 0, 0x41b17218, s5
	v_sub_f32_e32 v11, v4, v11
	v_sub_f32_e32 v7, v7, v8
	v_min_f32_e32 v8, 0x3f7fffff, v11
	v_sub_f32_e32 v6, v7, v6
	v_cmp_neq_f32_e64 s5, 0, v8
	v_cndmask_b32_e64 v6, 0x7f800000, v6, s5
.LBB160_76:
	s_or_b32 exec_lo, exec_lo, s9
.LBB160_77:
	s_andn2_saveexec_b32 s8, s8
; %bb.78:
	v_cmp_eq_f32_e64 s5, 1.0, v4
	v_cmp_eq_f32_e64 s7, 2.0, v4
	s_or_b32 s5, s5, s7
	v_cndmask_b32_e64 v6, v6, 0, s5
; %bb.79:
	s_or_b32 exec_lo, exec_lo, s8
	s_waitcnt vmcnt(2)
	v_lshlrev_b32_e32 v7, 16, v9
                                        ; implicit-def: $vgpr8
	s_mov_b32 s7, exec_lo
	v_and_b32_e32 v11, 0x7fffffff, v7
	v_cmpx_ngt_f32_e64 0x3c800000, |v7|
	s_xor_b32 s8, exec_lo, s7
	s_cbranch_execz .LBB160_109
; %bb.80:
                                        ; implicit-def: $vgpr8
	s_mov_b32 s7, exec_lo
	v_cmpx_nlt_f32_e64 |v7|, 2.0
	s_xor_b32 s9, exec_lo, s7
	s_cbranch_execz .LBB160_90
; %bb.81:
	s_mov_b32 s7, exec_lo
                                        ; implicit-def: $vgpr8
	v_cmpx_ngt_f32_e64 0x41000000, |v7|
	s_xor_b32 s7, exec_lo, s7
	s_cbranch_execz .LBB160_87
; %bb.82:
	s_mov_b32 s10, exec_lo
                                        ; implicit-def: $vgpr8
	v_cmpx_ngt_f32_e64 0x5c800000, |v7|
	s_xor_b32 s10, exec_lo, s10
	s_cbranch_execz .LBB160_84
; %bb.83:
	v_cmp_gt_f32_e64 s11, 0x800000, |v7|
	v_cndmask_b32_e64 v8, 0, 32, s11
	v_ldexp_f32 v8, |v7|, v8
	v_log_f32_e32 v8, v8
	v_mul_f32_e32 v12, 0x3f317217, v8
	v_cmp_gt_f32_e64 s5, 0x7f800000, |v8|
	v_fma_f32 v13, 0x3f317217, v8, -v12
	v_fmamk_f32 v13, v8, 0x3377d1cf, v13
	v_add_f32_e32 v12, v12, v13
	v_cndmask_b32_e64 v8, v8, v12, s5
	v_cndmask_b32_e64 v12, 0, 0x41b17218, s11
	v_sub_f32_e32 v8, v8, v12
	v_fma_f32 v8, |v7|, v8, -|v7|
.LBB160_84:
	s_andn2_saveexec_b32 s10, s10
	s_cbranch_execz .LBB160_86
; %bb.85:
	v_cmp_gt_f32_e64 s11, 0x800000, |v7|
	v_rcp_f32_e64 v12, |v7|
	s_mov_b32 s5, 0xbad5c4e8
	v_cndmask_b32_e64 v8, 0, 32, s11
	v_ldexp_f32 v8, |v7|, v8
	v_mul_f32_e32 v13, v12, v12
	v_log_f32_e32 v8, v8
	v_fmaak_f32 v15, s5, v13, 0x3a5b3dd2
	v_fmaak_f32 v15, v13, v15, 0xba1c065c
	v_mul_f32_e32 v14, 0x3f317217, v8
	v_fmaak_f32 v15, v13, v15, 0x3a500cfd
	v_cmp_gt_f32_e64 s5, 0x7f800000, |v8|
	v_fma_f32 v16, 0x3f317217, v8, -v14
	v_fmaak_f32 v15, v13, v15, 0xbb360b61
	v_fmamk_f32 v16, v8, 0x3377d1cf, v16
	v_fmaak_f32 v13, v13, v15, 0x3daaaaab
	v_add_f32_e32 v14, v14, v16
	v_cndmask_b32_e64 v8, v8, v14, s5
	v_cndmask_b32_e64 v14, 0, 0x41b17218, s11
	v_sub_f32_e32 v14, v8, v14
	v_fmaak_f32 v8, v12, v13, 0x3ed67f1d
	v_add_f32_e64 v12, |v7|, -0.5
	v_add_f32_e32 v13, -1.0, v14
	v_fmac_f32_e32 v8, v12, v13
.LBB160_86:
	s_or_b32 exec_lo, exec_lo, s10
.LBB160_87:
	s_andn2_saveexec_b32 s10, s7
	s_cbranch_execz .LBB160_89
; %bb.88:
	v_cvt_i32_f32_e32 v8, v11
	s_mov_b32 s7, 0x3805ff67
	v_cvt_f32_i32_e32 v12, v8
	v_cmp_lt_i32_e64 s5, 2, v8
	v_sub_f32_e64 v12, |v7|, v12
	v_add_f32_e32 v13, 2.0, v12
	v_add_f32_e32 v14, 0x40400000, v12
	v_add_f32_e32 v15, 4.0, v12
	v_add_f32_e32 v16, 0x40a00000, v12
	v_cndmask_b32_e64 v13, 1.0, v13, s5
	v_cmp_lt_i32_e64 s5, 3, v8
	v_cndmask_b32_e64 v14, 1.0, v14, s5
	v_cmp_lt_i32_e64 s5, 4, v8
	v_mul_f32_e32 v13, v13, v14
	v_cndmask_b32_e64 v15, 1.0, v15, s5
	v_cmp_lt_i32_e64 s5, 5, v8
	v_add_f32_e32 v14, 0x40c00000, v12
	v_mul_f32_e32 v13, v15, v13
	v_cndmask_b32_e64 v16, 1.0, v16, s5
	v_cmp_lt_i32_e64 s5, 6, v8
	v_fmaak_f32 v15, s7, v12, 0x3af135b4
	v_mul_f32_e32 v13, v16, v13
	v_cndmask_b32_e64 v8, 1.0, v14, s5
	s_mov_b32 s5, 0x36f5d7bd
	v_mul_f32_e32 v8, v8, v13
	v_fmaak_f32 v13, s5, v12, 0x3a4beed6
	v_cmp_gt_f32_e64 s5, 0x800000, v8
	v_fmaak_f32 v13, v12, v13, 0x3c98bf54
	v_cndmask_b32_e64 v14, 0, 32, s5
	v_fmaak_f32 v13, v12, v13, 0x3e300f6e
	v_ldexp_f32 v8, v8, v14
	v_fmaak_f32 v14, v12, v15, 0x3cda40e4
	v_fmaak_f32 v13, v12, v13, 0x3f38d0c5
	v_log_f32_e32 v8, v8
	v_fmaak_f32 v14, v12, v14, 0x3e15dce6
	v_fmaak_f32 v13, v12, v13, 0x3fb22d3b
	;; [unrolled: 1-line block ×3, first 2 shown]
	v_fma_f32 v13, v12, v13, 1.0
	v_mul_f32_e32 v15, 0x3f317217, v8
	v_fmaak_f32 v14, v12, v14, 0x3e5c245a
	v_rcp_f32_e32 v13, v13
	v_cmp_gt_f32_e64 s7, 0x7f800000, |v8|
	v_fma_f32 v16, 0x3f317217, v8, -v15
	v_fmaak_f32 v14, v12, v14, 0xbd9e233f
	v_fmamk_f32 v16, v8, 0x3377d1cf, v16
	v_mul_f32_e32 v14, v12, v14
	v_add_f32_e32 v15, v15, v16
	v_mul_f32_e32 v13, v14, v13
	v_cndmask_b32_e64 v14, 0, 0x41b17218, s5
	v_cndmask_b32_e64 v8, v8, v15, s7
	v_fmac_f32_e32 v13, 0.5, v12
	v_sub_f32_e32 v8, v8, v14
	v_add_f32_e32 v8, v8, v13
.LBB160_89:
	s_or_b32 exec_lo, exec_lo, s10
.LBB160_90:
	s_andn2_saveexec_b32 s9, s9
	s_cbranch_execz .LBB160_108
; %bb.91:
                                        ; implicit-def: $vgpr8
                                        ; implicit-def: $vgpr13
                                        ; implicit-def: $vgpr12
	s_mov_b32 s7, exec_lo
	v_cmpx_ge_f32_e64 0x3f666666, |v7|
	s_xor_b32 s10, exec_lo, s7
	s_cbranch_execz .LBB160_93
; %bb.92:
	v_cmp_gt_f32_e64 s7, 0x800000, |v7|
	v_sub_f32_e64 v14, 1.0, |v7|
	v_cmp_gt_f32_e64 s5, 0x3f3b4a23, |v7|
	v_cndmask_b32_e64 v8, 0, 32, s7
	v_cndmask_b32_e64 v15, 0, 0x41b17218, s7
	v_ldexp_f32 v8, |v7|, v8
	v_log_f32_e32 v8, v8
	v_mul_f32_e32 v12, 0x3f317217, v8
	v_cmp_gt_f32_e64 s7, 0x7f800000, |v8|
	v_fma_f32 v13, 0x3f317217, v8, -v12
	v_fmamk_f32 v13, v8, 0x3377d1cf, v13
	v_add_f32_e32 v12, v12, v13
	v_add_f32_e64 v13, 0xbeec5b0c, |v7|
	v_cndmask_b32_e64 v8, v8, v12, s7
	v_cndmask_b32_e64 v12, v14, v13, s5
	;; [unrolled: 1-line block ×3, first 2 shown]
	v_cmp_gt_f32_e64 s5, 0x3e6d3309, |v7|
	v_sub_f32_e32 v8, v8, v15
	v_cndmask_b32_e64 v12, v12, |v7|, s5
	v_cndmask_b32_e64 v13, v13, 2, s5
	v_xor_b32_e32 v8, 0x80000000, v8
.LBB160_93:
	s_andn2_saveexec_b32 s7, s10
	s_cbranch_execz .LBB160_95
; %bb.94:
	v_sub_f32_e64 v8, 2.0, |v7|
	v_add_f32_e64 v12, 0xbfbb16c3, |v7|
	v_cmp_gt_f32_e64 s5, 0x3fdda512, |v7|
	v_add_f32_e64 v13, |v7|, -1.0
	v_cndmask_b32_e64 v12, v8, v12, s5
	v_cndmask_b32_e64 v8, v8, 1.0, s5
	v_cmp_gt_f32_e64 s5, 0x3f9d70a4, |v7|
	v_cvt_i32_f32_e32 v8, v8
	v_cndmask_b32_e64 v12, v12, v13, s5
	v_cndmask_b32_e64 v13, v8, 2, s5
	v_mov_b32_e32 v8, 0
.LBB160_95:
	s_or_b32 exec_lo, exec_lo, s7
	s_mov_b32 s7, exec_lo
	v_cmpx_lt_i32_e32 0, v13
	s_xor_b32 s7, exec_lo, s7
	s_cbranch_execz .LBB160_103
; %bb.96:
	s_mov_b32 s10, exec_lo
	v_cmpx_lt_i32_e32 1, v13
	s_xor_b32 s10, exec_lo, s10
	s_cbranch_execz .LBB160_100
; %bb.97:
	s_mov_b32 s11, exec_lo
	v_cmpx_eq_u32_e32 2, v13
	s_cbranch_execz .LBB160_99
; %bb.98:
	s_mov_b32 s5, 0x3b52d5db
	v_fmaak_f32 v13, s5, v12, 0x3dd572af
	s_mov_b32 s5, 0x3c5b3c5e
	v_fmaak_f32 v14, s5, v12, 0x3e6a7578
	v_fmaak_f32 v13, v12, v13, 0x3f44efdf
	;; [unrolled: 1-line block ×7, first 2 shown]
	v_fma_f32 v13, v12, v13, 1.0
	v_fmaak_f32 v14, v12, v14, 0xbd9e233f
	v_rcp_f32_e32 v13, v13
	v_mul_f32_e32 v14, v12, v14
	v_mul_f32_e32 v13, v14, v13
	v_fmac_f32_e32 v13, -0.5, v12
	v_add_f32_e32 v8, v8, v13
.LBB160_99:
	s_or_b32 exec_lo, exec_lo, s11
                                        ; implicit-def: $vgpr12
.LBB160_100:
	s_andn2_saveexec_b32 s5, s10
	s_cbranch_execz .LBB160_102
; %bb.101:
	v_mul_f32_e32 v13, v12, v12
	s_mov_b32 s10, 0xb9a3f927
	s_mov_b32 s11, 0x39afe9f7
	v_mul_f32_e32 v14, v12, v13
	v_fmaak_f32 v15, s10, v14, 0x3a66f867
	v_fmaak_f32 v16, s11, v14, 0xba0d3085
	s_mov_b32 s10, 0x39a57b6b
	v_fmaak_f32 v17, s10, v14, 0xbab7f476
	v_fmaak_f32 v15, v14, v15, 0xbb7177fe
	;; [unrolled: 1-line block ×9, first 2 shown]
	v_fmac_f32_e32 v15, v12, v16
	v_fmaak_f32 v12, v14, v17, 0x3ef7b95e
	v_fma_f32 v14, v14, -v15, 0xa2863e55
	v_fma_f32 v12, v13, v12, -v14
	v_add_f32_e32 v12, 0xbdf8cdce, v12
	v_add_f32_e32 v8, v8, v12
.LBB160_102:
	s_or_b32 exec_lo, exec_lo, s5
                                        ; implicit-def: $vgpr13
                                        ; implicit-def: $vgpr12
.LBB160_103:
	s_andn2_saveexec_b32 s7, s7
	s_cbranch_execz .LBB160_107
; %bb.104:
	s_mov_b32 s10, exec_lo
	v_cmpx_eq_u32_e32 0, v13
	s_cbranch_execz .LBB160_106
; %bb.105:
	v_mul_f32_e32 v13, v12, v12
	s_mov_b32 s5, 0x383c2c75
	v_fmaak_f32 v14, s5, v13, 0x38e28445
	s_mov_b32 s5, 0x37d383a2
	v_fmaak_f32 v15, s5, v13, 0x39679767
	v_fmaak_f32 v14, v13, v14, 0x3a05b634
	;; [unrolled: 1-line block ×9, first 2 shown]
	v_mul_f32_e32 v13, v13, v14
	v_fmac_f32_e32 v13, v12, v15
	v_fmac_f32_e32 v13, -0.5, v12
	v_add_f32_e32 v8, v8, v13
.LBB160_106:
	s_or_b32 exec_lo, exec_lo, s10
.LBB160_107:
	s_or_b32 exec_lo, exec_lo, s7
.LBB160_108:
	s_or_b32 exec_lo, exec_lo, s9
.LBB160_109:
	s_andn2_saveexec_b32 s7, s8
	s_cbranch_execz .LBB160_111
; %bb.110:
	v_cmp_gt_f32_e64 s8, 0x800000, |v7|
	s_mov_b32 s5, 0x3e8a8991
	v_fma_f32 v14, |v7|, s5, 0xbecd26ab
	v_cndmask_b32_e64 v8, 0, 32, s8
	v_ldexp_f32 v8, |v7|, v8
	v_log_f32_e32 v8, v8
	v_mul_f32_e32 v12, 0x3f317217, v8
	v_cmp_gt_f32_e64 s5, 0x7f800000, |v8|
	v_fma_f32 v13, 0x3f317217, v8, -v12
	v_fmamk_f32 v13, v8, 0x3377d1cf, v13
	v_add_f32_e32 v12, v12, v13
	v_fma_f32 v13, |v7|, v14, 0x3f528d33
	v_cndmask_b32_e64 v8, v8, v12, s5
	v_cndmask_b32_e64 v12, 0, 0x41b17218, s8
	v_fma_f32 v13, |v7|, v13, 0xbf13c468
	v_sub_f32_e32 v8, v8, v12
	v_fma_f32 v8, |v7|, v13, -v8
.LBB160_111:
	s_or_b32 exec_lo, exec_lo, s7
	v_cmp_le_f32_e64 s5, 0, v7
	s_mov_b32 s8, exec_lo
	v_cmpx_nle_f32_e32 0, v7
	s_xor_b32 s9, exec_lo, s8
	s_cbranch_execz .LBB160_115
; %bb.112:
	v_cmp_gt_f32_e64 s7, 0x4b000000, |v7|
	v_cmp_lt_f32_e64 s8, 0x35000000, |v7|
	s_and_b32 s7, s7, s8
	s_and_saveexec_b32 s10, s7
	s_cbranch_execz .LBB160_114
; %bb.113:
	v_mul_f32_e64 v12, |v7|, 0.5
	s_mov_b32 s8, 0x3d4be544
	v_floor_f32_e32 v13, v12
	v_cmp_neq_f32_e64 s7, 0x7f800000, v12
	v_sub_f32_e32 v13, v12, v13
	v_min_f32_e32 v13, 0x3f7fffff, v13
	v_add_f32_e32 v13, v13, v13
	v_cndmask_b32_e64 v12, 0, v13, s7
	v_cmp_gt_f32_e64 s7, |v7|, 1.0
	v_cndmask_b32_e64 v12, |v7|, v12, s7
	s_mov_b32 s7, 0x3e75aa41
	v_add_f32_e32 v13, v12, v12
	v_rndne_f32_e32 v13, v13
	v_fmac_f32_e32 v12, -0.5, v13
	v_cvt_i32_f32_e32 v13, v13
	v_mul_f32_e32 v14, v12, v12
	v_fmaak_f32 v15, s7, v14, 0xbf1f24be
	v_fmaak_f32 v16, s8, v14, 0x3e642e9d
	v_mul_f32_e32 v17, v12, v14
	v_fmaak_f32 v15, v14, v15, 0x40234736
	v_fmaak_f32 v16, v14, v16, 0xbfaad1da
	;; [unrolled: 1-line block ×4, first 2 shown]
	v_mul_f32_e32 v15, v17, v15
	v_fmaak_f32 v16, v14, v16, 0xc09de9e6
	v_and_b32_e32 v17, 1, v13
	v_lshlrev_b32_e32 v13, 30, v13
	v_fmamk_f32 v12, v12, 0x40490fdb, v15
	v_fma_f32 v14, v14, v16, 1.0
	v_cmp_eq_u32_e64 s7, 0, v17
	v_and_or_b32 v11, 0x80000000, v13, v11
	v_cndmask_b32_e64 v12, v14, v12, s7
	v_xor3_b32 v11, v11, v12, v7
	v_mul_f32_e32 v11, v7, v11
	v_frexp_mant_f32_e64 v12, |v11|
	v_frexp_exp_i32_f32_e32 v11, v11
	v_rcp_f32_e32 v12, v12
	v_sub_nc_u32_e32 v11, 2, v11
	v_mul_f32_e32 v12, 0x3f490fdb, v12
	v_ldexp_f32 v11, v12, v11
	v_cmp_gt_f32_e64 s7, 0x800000, v11
	v_cndmask_b32_e64 v12, 0, 32, s7
	v_ldexp_f32 v11, v11, v12
	v_log_f32_e32 v11, v11
	v_mul_f32_e32 v12, 0x3f317217, v11
	v_cmp_gt_f32_e64 s8, 0x7f800000, |v11|
	v_fma_f32 v13, 0x3f317217, v11, -v12
	v_fmamk_f32 v13, v11, 0x3377d1cf, v13
	v_add_f32_e32 v12, v12, v13
	v_floor_f32_e32 v13, v7
	v_cndmask_b32_e64 v11, v11, v12, s8
	v_cndmask_b32_e64 v12, 0, 0x41b17218, s7
	v_sub_f32_e32 v13, v7, v13
	v_sub_f32_e32 v11, v11, v12
	v_min_f32_e32 v12, 0x3f7fffff, v13
	v_sub_f32_e32 v8, v11, v8
	v_cmp_neq_f32_e64 s7, 0, v12
	v_cndmask_b32_e64 v8, 0x7f800000, v8, s7
.LBB160_114:
	s_or_b32 exec_lo, exec_lo, s10
.LBB160_115:
	s_andn2_saveexec_b32 s9, s9
; %bb.116:
	v_cmp_eq_f32_e64 s7, 1.0, v7
	v_cmp_eq_f32_e64 s8, 2.0, v7
	s_or_b32 s7, s7, s8
	v_cndmask_b32_e64 v8, v8, 0, s7
; %bb.117:
	s_or_b32 exec_lo, exec_lo, s9
	v_and_b32_e32 v9, 0xffff0000, v9
                                        ; implicit-def: $vgpr11
	s_mov_b32 s8, exec_lo
	v_and_b32_e32 v12, 0x7fffffff, v9
	v_cmpx_ngt_f32_e64 0x3c800000, |v9|
	s_xor_b32 s9, exec_lo, s8
	s_cbranch_execz .LBB160_147
; %bb.118:
                                        ; implicit-def: $vgpr11
	s_mov_b32 s8, exec_lo
	v_cmpx_nlt_f32_e64 |v9|, 2.0
	s_xor_b32 s10, exec_lo, s8
	s_cbranch_execz .LBB160_128
; %bb.119:
	s_mov_b32 s8, exec_lo
                                        ; implicit-def: $vgpr11
	v_cmpx_ngt_f32_e64 0x41000000, |v9|
	s_xor_b32 s8, exec_lo, s8
	s_cbranch_execz .LBB160_125
; %bb.120:
	s_mov_b32 s11, exec_lo
                                        ; implicit-def: $vgpr11
	v_cmpx_ngt_f32_e64 0x5c800000, |v9|
	s_xor_b32 s11, exec_lo, s11
	s_cbranch_execz .LBB160_122
; %bb.121:
	v_cmp_gt_f32_e64 s12, 0x800000, |v9|
	v_cndmask_b32_e64 v11, 0, 32, s12
	v_ldexp_f32 v11, |v9|, v11
	v_log_f32_e32 v11, v11
	v_mul_f32_e32 v13, 0x3f317217, v11
	v_cmp_gt_f32_e64 s7, 0x7f800000, |v11|
	v_fma_f32 v14, 0x3f317217, v11, -v13
	v_fmamk_f32 v14, v11, 0x3377d1cf, v14
	v_add_f32_e32 v13, v13, v14
	v_cndmask_b32_e64 v11, v11, v13, s7
	v_cndmask_b32_e64 v13, 0, 0x41b17218, s12
	v_sub_f32_e32 v11, v11, v13
	v_fma_f32 v11, |v9|, v11, -|v9|
.LBB160_122:
	s_andn2_saveexec_b32 s11, s11
	s_cbranch_execz .LBB160_124
; %bb.123:
	v_cmp_gt_f32_e64 s12, 0x800000, |v9|
	v_rcp_f32_e64 v13, |v9|
	s_mov_b32 s7, 0xbad5c4e8
	v_cndmask_b32_e64 v11, 0, 32, s12
	v_ldexp_f32 v11, |v9|, v11
	v_mul_f32_e32 v14, v13, v13
	v_log_f32_e32 v11, v11
	v_fmaak_f32 v16, s7, v14, 0x3a5b3dd2
	v_fmaak_f32 v16, v14, v16, 0xba1c065c
	v_mul_f32_e32 v15, 0x3f317217, v11
	v_fmaak_f32 v16, v14, v16, 0x3a500cfd
	v_cmp_gt_f32_e64 s7, 0x7f800000, |v11|
	v_fma_f32 v17, 0x3f317217, v11, -v15
	v_fmaak_f32 v16, v14, v16, 0xbb360b61
	v_fmamk_f32 v17, v11, 0x3377d1cf, v17
	v_fmaak_f32 v14, v14, v16, 0x3daaaaab
	v_add_f32_e32 v15, v15, v17
	v_cndmask_b32_e64 v11, v11, v15, s7
	v_cndmask_b32_e64 v15, 0, 0x41b17218, s12
	v_sub_f32_e32 v15, v11, v15
	v_fmaak_f32 v11, v13, v14, 0x3ed67f1d
	v_add_f32_e64 v13, |v9|, -0.5
	v_add_f32_e32 v14, -1.0, v15
	v_fmac_f32_e32 v11, v13, v14
.LBB160_124:
	s_or_b32 exec_lo, exec_lo, s11
.LBB160_125:
	s_andn2_saveexec_b32 s11, s8
	s_cbranch_execz .LBB160_127
; %bb.126:
	v_cvt_i32_f32_e32 v11, v12
	s_mov_b32 s8, 0x3805ff67
	v_cvt_f32_i32_e32 v13, v11
	v_cmp_lt_i32_e64 s7, 2, v11
	v_sub_f32_e64 v13, |v9|, v13
	v_add_f32_e32 v14, 2.0, v13
	v_add_f32_e32 v15, 0x40400000, v13
	v_add_f32_e32 v16, 4.0, v13
	v_add_f32_e32 v17, 0x40a00000, v13
	v_cndmask_b32_e64 v14, 1.0, v14, s7
	v_cmp_lt_i32_e64 s7, 3, v11
	v_cndmask_b32_e64 v15, 1.0, v15, s7
	v_cmp_lt_i32_e64 s7, 4, v11
	v_mul_f32_e32 v14, v14, v15
	v_cndmask_b32_e64 v16, 1.0, v16, s7
	v_cmp_lt_i32_e64 s7, 5, v11
	v_add_f32_e32 v15, 0x40c00000, v13
	v_mul_f32_e32 v14, v16, v14
	v_cndmask_b32_e64 v17, 1.0, v17, s7
	v_cmp_lt_i32_e64 s7, 6, v11
	v_fmaak_f32 v16, s8, v13, 0x3af135b4
	v_mul_f32_e32 v14, v17, v14
	v_cndmask_b32_e64 v11, 1.0, v15, s7
	s_mov_b32 s7, 0x36f5d7bd
	v_mul_f32_e32 v11, v11, v14
	v_fmaak_f32 v14, s7, v13, 0x3a4beed6
	v_cmp_gt_f32_e64 s7, 0x800000, v11
	v_fmaak_f32 v14, v13, v14, 0x3c98bf54
	v_cndmask_b32_e64 v15, 0, 32, s7
	v_fmaak_f32 v14, v13, v14, 0x3e300f6e
	v_ldexp_f32 v11, v11, v15
	v_fmaak_f32 v15, v13, v16, 0x3cda40e4
	v_fmaak_f32 v14, v13, v14, 0x3f38d0c5
	v_log_f32_e32 v11, v11
	v_fmaak_f32 v15, v13, v15, 0x3e15dce6
	v_fmaak_f32 v14, v13, v14, 0x3fb22d3b
	;; [unrolled: 1-line block ×3, first 2 shown]
	v_fma_f32 v14, v13, v14, 1.0
	v_mul_f32_e32 v16, 0x3f317217, v11
	v_fmaak_f32 v15, v13, v15, 0x3e5c245a
	v_rcp_f32_e32 v14, v14
	v_cmp_gt_f32_e64 s8, 0x7f800000, |v11|
	v_fma_f32 v17, 0x3f317217, v11, -v16
	v_fmaak_f32 v15, v13, v15, 0xbd9e233f
	v_fmamk_f32 v17, v11, 0x3377d1cf, v17
	v_mul_f32_e32 v15, v13, v15
	v_add_f32_e32 v16, v16, v17
	v_mul_f32_e32 v14, v15, v14
	v_cndmask_b32_e64 v15, 0, 0x41b17218, s7
	v_cndmask_b32_e64 v11, v11, v16, s8
	v_fmac_f32_e32 v14, 0.5, v13
	v_sub_f32_e32 v11, v11, v15
	v_add_f32_e32 v11, v11, v14
.LBB160_127:
	s_or_b32 exec_lo, exec_lo, s11
.LBB160_128:
	s_andn2_saveexec_b32 s10, s10
	s_cbranch_execz .LBB160_146
; %bb.129:
                                        ; implicit-def: $vgpr11
                                        ; implicit-def: $vgpr14
                                        ; implicit-def: $vgpr13
	s_mov_b32 s8, exec_lo
	v_cmpx_ge_f32_e64 0x3f666666, |v9|
	s_xor_b32 s11, exec_lo, s8
	s_cbranch_execz .LBB160_131
; %bb.130:
	v_cmp_gt_f32_e64 s8, 0x800000, |v9|
	v_sub_f32_e64 v15, 1.0, |v9|
	v_cmp_gt_f32_e64 s7, 0x3f3b4a23, |v9|
	v_cndmask_b32_e64 v11, 0, 32, s8
	v_cndmask_b32_e64 v16, 0, 0x41b17218, s8
	v_ldexp_f32 v11, |v9|, v11
	v_log_f32_e32 v11, v11
	v_mul_f32_e32 v13, 0x3f317217, v11
	v_cmp_gt_f32_e64 s8, 0x7f800000, |v11|
	v_fma_f32 v14, 0x3f317217, v11, -v13
	v_fmamk_f32 v14, v11, 0x3377d1cf, v14
	v_add_f32_e32 v13, v13, v14
	v_add_f32_e64 v14, 0xbeec5b0c, |v9|
	v_cndmask_b32_e64 v11, v11, v13, s8
	v_cndmask_b32_e64 v13, v15, v14, s7
	;; [unrolled: 1-line block ×3, first 2 shown]
	v_cmp_gt_f32_e64 s7, 0x3e6d3309, |v9|
	v_sub_f32_e32 v11, v11, v16
	v_cndmask_b32_e64 v13, v13, |v9|, s7
	v_cndmask_b32_e64 v14, v14, 2, s7
	v_xor_b32_e32 v11, 0x80000000, v11
.LBB160_131:
	s_andn2_saveexec_b32 s8, s11
	s_cbranch_execz .LBB160_133
; %bb.132:
	v_sub_f32_e64 v11, 2.0, |v9|
	v_add_f32_e64 v13, 0xbfbb16c3, |v9|
	v_cmp_gt_f32_e64 s7, 0x3fdda512, |v9|
	v_add_f32_e64 v14, |v9|, -1.0
	v_cndmask_b32_e64 v13, v11, v13, s7
	v_cndmask_b32_e64 v11, v11, 1.0, s7
	v_cmp_gt_f32_e64 s7, 0x3f9d70a4, |v9|
	v_cvt_i32_f32_e32 v11, v11
	v_cndmask_b32_e64 v13, v13, v14, s7
	v_cndmask_b32_e64 v14, v11, 2, s7
	v_mov_b32_e32 v11, 0
.LBB160_133:
	s_or_b32 exec_lo, exec_lo, s8
	s_mov_b32 s8, exec_lo
	v_cmpx_lt_i32_e32 0, v14
	s_xor_b32 s8, exec_lo, s8
	s_cbranch_execz .LBB160_141
; %bb.134:
	s_mov_b32 s11, exec_lo
	v_cmpx_lt_i32_e32 1, v14
	s_xor_b32 s11, exec_lo, s11
	s_cbranch_execz .LBB160_138
; %bb.135:
	s_mov_b32 s12, exec_lo
	v_cmpx_eq_u32_e32 2, v14
	s_cbranch_execz .LBB160_137
; %bb.136:
	s_mov_b32 s7, 0x3b52d5db
	v_fmaak_f32 v14, s7, v13, 0x3dd572af
	s_mov_b32 s7, 0x3c5b3c5e
	v_fmaak_f32 v15, s7, v13, 0x3e6a7578
	v_fmaak_f32 v14, v13, v14, 0x3f44efdf
	;; [unrolled: 1-line block ×7, first 2 shown]
	v_fma_f32 v14, v13, v14, 1.0
	v_fmaak_f32 v15, v13, v15, 0xbd9e233f
	v_rcp_f32_e32 v14, v14
	v_mul_f32_e32 v15, v13, v15
	v_mul_f32_e32 v14, v15, v14
	v_fmac_f32_e32 v14, -0.5, v13
	v_add_f32_e32 v11, v11, v14
.LBB160_137:
	s_or_b32 exec_lo, exec_lo, s12
                                        ; implicit-def: $vgpr13
.LBB160_138:
	s_andn2_saveexec_b32 s7, s11
	s_cbranch_execz .LBB160_140
; %bb.139:
	v_mul_f32_e32 v14, v13, v13
	s_mov_b32 s11, 0xb9a3f927
	s_mov_b32 s12, 0x39afe9f7
	v_mul_f32_e32 v15, v13, v14
	v_fmaak_f32 v16, s11, v15, 0x3a66f867
	v_fmaak_f32 v17, s12, v15, 0xba0d3085
	s_mov_b32 s11, 0x39a57b6b
	v_fmaak_f32 v18, s11, v15, 0xbab7f476
	v_fmaak_f32 v16, v15, v16, 0xbb7177fe
	;; [unrolled: 1-line block ×9, first 2 shown]
	v_fmac_f32_e32 v16, v13, v17
	v_fmaak_f32 v13, v15, v18, 0x3ef7b95e
	v_fma_f32 v15, v15, -v16, 0xa2863e55
	v_fma_f32 v13, v14, v13, -v15
	v_add_f32_e32 v13, 0xbdf8cdce, v13
	v_add_f32_e32 v11, v11, v13
.LBB160_140:
	s_or_b32 exec_lo, exec_lo, s7
                                        ; implicit-def: $vgpr14
                                        ; implicit-def: $vgpr13
.LBB160_141:
	s_andn2_saveexec_b32 s8, s8
	s_cbranch_execz .LBB160_145
; %bb.142:
	s_mov_b32 s11, exec_lo
	v_cmpx_eq_u32_e32 0, v14
	s_cbranch_execz .LBB160_144
; %bb.143:
	v_mul_f32_e32 v14, v13, v13
	s_mov_b32 s7, 0x383c2c75
	v_fmaak_f32 v15, s7, v14, 0x38e28445
	s_mov_b32 s7, 0x37d383a2
	v_fmaak_f32 v16, s7, v14, 0x39679767
	v_fmaak_f32 v15, v14, v15, 0x3a05b634
	;; [unrolled: 1-line block ×9, first 2 shown]
	v_mul_f32_e32 v14, v14, v15
	v_fmac_f32_e32 v14, v13, v16
	v_fmac_f32_e32 v14, -0.5, v13
	v_add_f32_e32 v11, v11, v14
.LBB160_144:
	s_or_b32 exec_lo, exec_lo, s11
.LBB160_145:
	s_or_b32 exec_lo, exec_lo, s8
.LBB160_146:
	s_or_b32 exec_lo, exec_lo, s10
.LBB160_147:
	s_andn2_saveexec_b32 s8, s9
	s_cbranch_execz .LBB160_149
; %bb.148:
	v_cmp_gt_f32_e64 s9, 0x800000, |v9|
	s_mov_b32 s7, 0x3e8a8991
	v_fma_f32 v15, |v9|, s7, 0xbecd26ab
	v_cndmask_b32_e64 v11, 0, 32, s9
	v_ldexp_f32 v11, |v9|, v11
	v_log_f32_e32 v11, v11
	v_mul_f32_e32 v13, 0x3f317217, v11
	v_cmp_gt_f32_e64 s7, 0x7f800000, |v11|
	v_fma_f32 v14, 0x3f317217, v11, -v13
	v_fmamk_f32 v14, v11, 0x3377d1cf, v14
	v_add_f32_e32 v13, v13, v14
	v_fma_f32 v14, |v9|, v15, 0x3f528d33
	v_cndmask_b32_e64 v11, v11, v13, s7
	v_cndmask_b32_e64 v13, 0, 0x41b17218, s9
	v_fma_f32 v14, |v9|, v14, 0xbf13c468
	v_sub_f32_e32 v11, v11, v13
	v_fma_f32 v11, |v9|, v14, -v11
.LBB160_149:
	s_or_b32 exec_lo, exec_lo, s8
	v_cmp_le_f32_e64 s7, 0, v9
	s_mov_b32 s9, exec_lo
	v_cmpx_nle_f32_e32 0, v9
	s_xor_b32 s10, exec_lo, s9
	s_cbranch_execz .LBB160_153
; %bb.150:
	v_cmp_gt_f32_e64 s8, 0x4b000000, |v9|
	v_cmp_lt_f32_e64 s9, 0x35000000, |v9|
	s_and_b32 s8, s8, s9
	s_and_saveexec_b32 s11, s8
	s_cbranch_execz .LBB160_152
; %bb.151:
	v_mul_f32_e64 v13, |v9|, 0.5
	s_mov_b32 s9, 0x3d4be544
	v_floor_f32_e32 v14, v13
	v_cmp_neq_f32_e64 s8, 0x7f800000, v13
	v_sub_f32_e32 v14, v13, v14
	v_min_f32_e32 v14, 0x3f7fffff, v14
	v_add_f32_e32 v14, v14, v14
	v_cndmask_b32_e64 v13, 0, v14, s8
	v_cmp_gt_f32_e64 s8, |v9|, 1.0
	v_cndmask_b32_e64 v13, |v9|, v13, s8
	s_mov_b32 s8, 0x3e75aa41
	v_add_f32_e32 v14, v13, v13
	v_rndne_f32_e32 v14, v14
	v_fmac_f32_e32 v13, -0.5, v14
	v_cvt_i32_f32_e32 v14, v14
	v_mul_f32_e32 v15, v13, v13
	v_fmaak_f32 v16, s8, v15, 0xbf1f24be
	v_fmaak_f32 v17, s9, v15, 0x3e642e9d
	v_mul_f32_e32 v18, v13, v15
	v_fmaak_f32 v16, v15, v16, 0x40234736
	v_fmaak_f32 v17, v15, v17, 0xbfaad1da
	;; [unrolled: 1-line block ×4, first 2 shown]
	v_mul_f32_e32 v16, v18, v16
	v_fmaak_f32 v17, v15, v17, 0xc09de9e6
	v_and_b32_e32 v18, 1, v14
	v_lshlrev_b32_e32 v14, 30, v14
	v_fmamk_f32 v13, v13, 0x40490fdb, v16
	v_fma_f32 v15, v15, v17, 1.0
	v_cmp_eq_u32_e64 s8, 0, v18
	v_and_or_b32 v12, 0x80000000, v14, v12
	v_cndmask_b32_e64 v13, v15, v13, s8
	v_xor3_b32 v12, v12, v13, v9
	v_mul_f32_e32 v12, v9, v12
	v_frexp_mant_f32_e64 v13, |v12|
	v_frexp_exp_i32_f32_e32 v12, v12
	v_rcp_f32_e32 v13, v13
	v_sub_nc_u32_e32 v12, 2, v12
	v_mul_f32_e32 v13, 0x3f490fdb, v13
	v_ldexp_f32 v12, v13, v12
	v_cmp_gt_f32_e64 s8, 0x800000, v12
	v_cndmask_b32_e64 v13, 0, 32, s8
	v_ldexp_f32 v12, v12, v13
	v_log_f32_e32 v12, v12
	v_mul_f32_e32 v13, 0x3f317217, v12
	v_cmp_gt_f32_e64 s9, 0x7f800000, |v12|
	v_fma_f32 v14, 0x3f317217, v12, -v13
	v_fmamk_f32 v14, v12, 0x3377d1cf, v14
	v_add_f32_e32 v13, v13, v14
	v_floor_f32_e32 v14, v9
	v_cndmask_b32_e64 v12, v12, v13, s9
	v_cndmask_b32_e64 v13, 0, 0x41b17218, s8
	v_sub_f32_e32 v14, v9, v14
	v_sub_f32_e32 v12, v12, v13
	v_min_f32_e32 v13, 0x3f7fffff, v14
	v_sub_f32_e32 v11, v12, v11
	v_cmp_neq_f32_e64 s8, 0, v13
	v_cndmask_b32_e64 v11, 0x7f800000, v11, s8
.LBB160_152:
	s_or_b32 exec_lo, exec_lo, s11
.LBB160_153:
	s_andn2_saveexec_b32 s10, s10
; %bb.154:
	v_cmp_eq_f32_e64 s8, 1.0, v9
	v_cmp_eq_f32_e64 s9, 2.0, v9
	s_or_b32 s8, s8, s9
	v_cndmask_b32_e64 v11, v11, 0, s8
; %bb.155:
	s_or_b32 exec_lo, exec_lo, s10
	s_waitcnt vmcnt(1)
	v_lshlrev_b32_e32 v12, 16, v10
                                        ; implicit-def: $vgpr13
	s_mov_b32 s9, exec_lo
	v_and_b32_e32 v14, 0x7fffffff, v12
	v_cmpx_ngt_f32_e64 0x3c800000, |v12|
	s_xor_b32 s10, exec_lo, s9
	s_cbranch_execz .LBB160_185
; %bb.156:
                                        ; implicit-def: $vgpr13
	s_mov_b32 s9, exec_lo
	v_cmpx_nlt_f32_e64 |v12|, 2.0
	s_xor_b32 s11, exec_lo, s9
	s_cbranch_execz .LBB160_166
; %bb.157:
	s_mov_b32 s9, exec_lo
                                        ; implicit-def: $vgpr13
	v_cmpx_ngt_f32_e64 0x41000000, |v12|
	s_xor_b32 s9, exec_lo, s9
	s_cbranch_execz .LBB160_163
; %bb.158:
	s_mov_b32 s12, exec_lo
                                        ; implicit-def: $vgpr13
	v_cmpx_ngt_f32_e64 0x5c800000, |v12|
	s_xor_b32 s12, exec_lo, s12
	s_cbranch_execz .LBB160_160
; %bb.159:
	v_cmp_gt_f32_e64 s13, 0x800000, |v12|
	v_cndmask_b32_e64 v13, 0, 32, s13
	v_ldexp_f32 v13, |v12|, v13
	v_log_f32_e32 v13, v13
	v_mul_f32_e32 v15, 0x3f317217, v13
	v_cmp_gt_f32_e64 s8, 0x7f800000, |v13|
	v_fma_f32 v16, 0x3f317217, v13, -v15
	v_fmamk_f32 v16, v13, 0x3377d1cf, v16
	v_add_f32_e32 v15, v15, v16
	v_cndmask_b32_e64 v13, v13, v15, s8
	v_cndmask_b32_e64 v15, 0, 0x41b17218, s13
	v_sub_f32_e32 v13, v13, v15
	v_fma_f32 v13, |v12|, v13, -|v12|
.LBB160_160:
	s_andn2_saveexec_b32 s12, s12
	s_cbranch_execz .LBB160_162
; %bb.161:
	v_cmp_gt_f32_e64 s13, 0x800000, |v12|
	v_rcp_f32_e64 v15, |v12|
	s_mov_b32 s8, 0xbad5c4e8
	v_cndmask_b32_e64 v13, 0, 32, s13
	v_ldexp_f32 v13, |v12|, v13
	v_mul_f32_e32 v16, v15, v15
	v_log_f32_e32 v13, v13
	v_fmaak_f32 v18, s8, v16, 0x3a5b3dd2
	v_fmaak_f32 v18, v16, v18, 0xba1c065c
	v_mul_f32_e32 v17, 0x3f317217, v13
	v_fmaak_f32 v18, v16, v18, 0x3a500cfd
	v_cmp_gt_f32_e64 s8, 0x7f800000, |v13|
	v_fma_f32 v19, 0x3f317217, v13, -v17
	v_fmaak_f32 v18, v16, v18, 0xbb360b61
	v_fmamk_f32 v19, v13, 0x3377d1cf, v19
	v_fmaak_f32 v16, v16, v18, 0x3daaaaab
	v_add_f32_e32 v17, v17, v19
	v_cndmask_b32_e64 v13, v13, v17, s8
	v_cndmask_b32_e64 v17, 0, 0x41b17218, s13
	v_sub_f32_e32 v17, v13, v17
	v_fmaak_f32 v13, v15, v16, 0x3ed67f1d
	v_add_f32_e64 v15, |v12|, -0.5
	v_add_f32_e32 v16, -1.0, v17
	v_fmac_f32_e32 v13, v15, v16
.LBB160_162:
	s_or_b32 exec_lo, exec_lo, s12
.LBB160_163:
	s_andn2_saveexec_b32 s12, s9
	s_cbranch_execz .LBB160_165
; %bb.164:
	v_cvt_i32_f32_e32 v13, v14
	s_mov_b32 s9, 0x3805ff67
	v_cvt_f32_i32_e32 v15, v13
	v_cmp_lt_i32_e64 s8, 2, v13
	v_sub_f32_e64 v15, |v12|, v15
	v_add_f32_e32 v16, 2.0, v15
	v_add_f32_e32 v17, 0x40400000, v15
	v_add_f32_e32 v18, 4.0, v15
	v_add_f32_e32 v19, 0x40a00000, v15
	v_cndmask_b32_e64 v16, 1.0, v16, s8
	v_cmp_lt_i32_e64 s8, 3, v13
	v_cndmask_b32_e64 v17, 1.0, v17, s8
	v_cmp_lt_i32_e64 s8, 4, v13
	v_mul_f32_e32 v16, v16, v17
	v_cndmask_b32_e64 v18, 1.0, v18, s8
	v_cmp_lt_i32_e64 s8, 5, v13
	v_add_f32_e32 v17, 0x40c00000, v15
	v_mul_f32_e32 v16, v18, v16
	v_cndmask_b32_e64 v19, 1.0, v19, s8
	v_cmp_lt_i32_e64 s8, 6, v13
	v_fmaak_f32 v18, s9, v15, 0x3af135b4
	v_mul_f32_e32 v16, v19, v16
	v_cndmask_b32_e64 v13, 1.0, v17, s8
	s_mov_b32 s8, 0x36f5d7bd
	v_mul_f32_e32 v13, v13, v16
	v_fmaak_f32 v16, s8, v15, 0x3a4beed6
	v_cmp_gt_f32_e64 s8, 0x800000, v13
	v_fmaak_f32 v16, v15, v16, 0x3c98bf54
	v_cndmask_b32_e64 v17, 0, 32, s8
	v_fmaak_f32 v16, v15, v16, 0x3e300f6e
	v_ldexp_f32 v13, v13, v17
	v_fmaak_f32 v17, v15, v18, 0x3cda40e4
	v_fmaak_f32 v16, v15, v16, 0x3f38d0c5
	v_log_f32_e32 v13, v13
	v_fmaak_f32 v17, v15, v17, 0x3e15dce6
	v_fmaak_f32 v16, v15, v16, 0x3fb22d3b
	;; [unrolled: 1-line block ×3, first 2 shown]
	v_fma_f32 v16, v15, v16, 1.0
	v_mul_f32_e32 v18, 0x3f317217, v13
	v_fmaak_f32 v17, v15, v17, 0x3e5c245a
	v_rcp_f32_e32 v16, v16
	v_cmp_gt_f32_e64 s9, 0x7f800000, |v13|
	v_fma_f32 v19, 0x3f317217, v13, -v18
	v_fmaak_f32 v17, v15, v17, 0xbd9e233f
	v_fmamk_f32 v19, v13, 0x3377d1cf, v19
	v_mul_f32_e32 v17, v15, v17
	v_add_f32_e32 v18, v18, v19
	v_mul_f32_e32 v16, v17, v16
	v_cndmask_b32_e64 v17, 0, 0x41b17218, s8
	v_cndmask_b32_e64 v13, v13, v18, s9
	v_fmac_f32_e32 v16, 0.5, v15
	v_sub_f32_e32 v13, v13, v17
	v_add_f32_e32 v13, v13, v16
.LBB160_165:
	s_or_b32 exec_lo, exec_lo, s12
.LBB160_166:
	s_andn2_saveexec_b32 s11, s11
	s_cbranch_execz .LBB160_184
; %bb.167:
                                        ; implicit-def: $vgpr13
                                        ; implicit-def: $vgpr16
                                        ; implicit-def: $vgpr15
	s_mov_b32 s9, exec_lo
	v_cmpx_ge_f32_e64 0x3f666666, |v12|
	s_xor_b32 s12, exec_lo, s9
	s_cbranch_execz .LBB160_169
; %bb.168:
	v_cmp_gt_f32_e64 s9, 0x800000, |v12|
	v_sub_f32_e64 v17, 1.0, |v12|
	v_cmp_gt_f32_e64 s8, 0x3f3b4a23, |v12|
	v_cndmask_b32_e64 v13, 0, 32, s9
	v_cndmask_b32_e64 v18, 0, 0x41b17218, s9
	v_ldexp_f32 v13, |v12|, v13
	v_log_f32_e32 v13, v13
	v_mul_f32_e32 v15, 0x3f317217, v13
	v_cmp_gt_f32_e64 s9, 0x7f800000, |v13|
	v_fma_f32 v16, 0x3f317217, v13, -v15
	v_fmamk_f32 v16, v13, 0x3377d1cf, v16
	v_add_f32_e32 v15, v15, v16
	v_add_f32_e64 v16, 0xbeec5b0c, |v12|
	v_cndmask_b32_e64 v13, v13, v15, s9
	v_cndmask_b32_e64 v15, v17, v16, s8
	;; [unrolled: 1-line block ×3, first 2 shown]
	v_cmp_gt_f32_e64 s8, 0x3e6d3309, |v12|
	v_sub_f32_e32 v13, v13, v18
	v_cndmask_b32_e64 v15, v15, |v12|, s8
	v_cndmask_b32_e64 v16, v16, 2, s8
	v_xor_b32_e32 v13, 0x80000000, v13
.LBB160_169:
	s_andn2_saveexec_b32 s9, s12
	s_cbranch_execz .LBB160_171
; %bb.170:
	v_sub_f32_e64 v13, 2.0, |v12|
	v_add_f32_e64 v15, 0xbfbb16c3, |v12|
	v_cmp_gt_f32_e64 s8, 0x3fdda512, |v12|
	v_add_f32_e64 v16, |v12|, -1.0
	v_cndmask_b32_e64 v15, v13, v15, s8
	v_cndmask_b32_e64 v13, v13, 1.0, s8
	v_cmp_gt_f32_e64 s8, 0x3f9d70a4, |v12|
	v_cvt_i32_f32_e32 v13, v13
	v_cndmask_b32_e64 v15, v15, v16, s8
	v_cndmask_b32_e64 v16, v13, 2, s8
	v_mov_b32_e32 v13, 0
.LBB160_171:
	s_or_b32 exec_lo, exec_lo, s9
	s_mov_b32 s9, exec_lo
	v_cmpx_lt_i32_e32 0, v16
	s_xor_b32 s9, exec_lo, s9
	s_cbranch_execz .LBB160_179
; %bb.172:
	s_mov_b32 s12, exec_lo
	v_cmpx_lt_i32_e32 1, v16
	s_xor_b32 s12, exec_lo, s12
	s_cbranch_execz .LBB160_176
; %bb.173:
	s_mov_b32 s13, exec_lo
	v_cmpx_eq_u32_e32 2, v16
	s_cbranch_execz .LBB160_175
; %bb.174:
	s_mov_b32 s8, 0x3b52d5db
	v_fmaak_f32 v16, s8, v15, 0x3dd572af
	s_mov_b32 s8, 0x3c5b3c5e
	v_fmaak_f32 v17, s8, v15, 0x3e6a7578
	v_fmaak_f32 v16, v15, v16, 0x3f44efdf
	;; [unrolled: 1-line block ×7, first 2 shown]
	v_fma_f32 v16, v15, v16, 1.0
	v_fmaak_f32 v17, v15, v17, 0xbd9e233f
	v_rcp_f32_e32 v16, v16
	v_mul_f32_e32 v17, v15, v17
	v_mul_f32_e32 v16, v17, v16
	v_fmac_f32_e32 v16, -0.5, v15
	v_add_f32_e32 v13, v13, v16
.LBB160_175:
	s_or_b32 exec_lo, exec_lo, s13
                                        ; implicit-def: $vgpr15
.LBB160_176:
	s_andn2_saveexec_b32 s8, s12
	s_cbranch_execz .LBB160_178
; %bb.177:
	v_mul_f32_e32 v16, v15, v15
	s_mov_b32 s12, 0xb9a3f927
	s_mov_b32 s13, 0x39afe9f7
	v_mul_f32_e32 v17, v15, v16
	v_fmaak_f32 v18, s12, v17, 0x3a66f867
	v_fmaak_f32 v19, s13, v17, 0xba0d3085
	s_mov_b32 s12, 0x39a57b6b
	v_fmaak_f32 v20, s12, v17, 0xbab7f476
	v_fmaak_f32 v18, v17, v18, 0xbb7177fe
	v_fmaak_f32 v19, v17, v19, 0x3b141699
	v_fmaak_f32 v20, v17, v20, 0x3bc7e707
	v_fmaak_f32 v18, v17, v18, 0x3c93373d
	v_fmaak_f32 v19, v17, v19, 0xbc28fcfe
	v_fmaak_f32 v20, v17, v20, 0xbd064d47
	v_fmaak_f32 v18, v17, v18, 0xbe17213c
	v_fmaak_f32 v19, v17, v19, 0x3d845a15
	v_fmac_f32_e32 v18, v15, v19
	v_fmaak_f32 v15, v17, v20, 0x3ef7b95e
	v_fma_f32 v17, v17, -v18, 0xa2863e55
	v_fma_f32 v15, v16, v15, -v17
	v_add_f32_e32 v15, 0xbdf8cdce, v15
	v_add_f32_e32 v13, v13, v15
.LBB160_178:
	s_or_b32 exec_lo, exec_lo, s8
                                        ; implicit-def: $vgpr16
                                        ; implicit-def: $vgpr15
.LBB160_179:
	s_andn2_saveexec_b32 s9, s9
	s_cbranch_execz .LBB160_183
; %bb.180:
	s_mov_b32 s12, exec_lo
	v_cmpx_eq_u32_e32 0, v16
	s_cbranch_execz .LBB160_182
; %bb.181:
	v_mul_f32_e32 v16, v15, v15
	s_mov_b32 s8, 0x383c2c75
	v_fmaak_f32 v17, s8, v16, 0x38e28445
	s_mov_b32 s8, 0x37d383a2
	v_fmaak_f32 v18, s8, v16, 0x39679767
	v_fmaak_f32 v17, v16, v17, 0x3a05b634
	;; [unrolled: 1-line block ×9, first 2 shown]
	v_mul_f32_e32 v16, v16, v17
	v_fmac_f32_e32 v16, v15, v18
	v_fmac_f32_e32 v16, -0.5, v15
	v_add_f32_e32 v13, v13, v16
.LBB160_182:
	s_or_b32 exec_lo, exec_lo, s12
.LBB160_183:
	s_or_b32 exec_lo, exec_lo, s9
.LBB160_184:
	s_or_b32 exec_lo, exec_lo, s11
.LBB160_185:
	s_andn2_saveexec_b32 s9, s10
	s_cbranch_execz .LBB160_187
; %bb.186:
	v_cmp_gt_f32_e64 s10, 0x800000, |v12|
	s_mov_b32 s8, 0x3e8a8991
	v_fma_f32 v17, |v12|, s8, 0xbecd26ab
	v_cndmask_b32_e64 v13, 0, 32, s10
	v_ldexp_f32 v13, |v12|, v13
	v_log_f32_e32 v13, v13
	v_mul_f32_e32 v15, 0x3f317217, v13
	v_cmp_gt_f32_e64 s8, 0x7f800000, |v13|
	v_fma_f32 v16, 0x3f317217, v13, -v15
	v_fmamk_f32 v16, v13, 0x3377d1cf, v16
	v_add_f32_e32 v15, v15, v16
	v_fma_f32 v16, |v12|, v17, 0x3f528d33
	v_cndmask_b32_e64 v13, v13, v15, s8
	v_cndmask_b32_e64 v15, 0, 0x41b17218, s10
	v_fma_f32 v16, |v12|, v16, 0xbf13c468
	v_sub_f32_e32 v13, v13, v15
	v_fma_f32 v13, |v12|, v16, -v13
.LBB160_187:
	s_or_b32 exec_lo, exec_lo, s9
	v_cmp_le_f32_e64 s8, 0, v12
	s_mov_b32 s10, exec_lo
	v_cmpx_nle_f32_e32 0, v12
	s_xor_b32 s11, exec_lo, s10
	s_cbranch_execz .LBB160_191
; %bb.188:
	v_cmp_gt_f32_e64 s9, 0x4b000000, |v12|
	v_cmp_lt_f32_e64 s10, 0x35000000, |v12|
	s_and_b32 s9, s9, s10
	s_and_saveexec_b32 s12, s9
	s_cbranch_execz .LBB160_190
; %bb.189:
	v_mul_f32_e64 v15, |v12|, 0.5
	s_mov_b32 s10, 0x3d4be544
	v_floor_f32_e32 v16, v15
	v_cmp_neq_f32_e64 s9, 0x7f800000, v15
	v_sub_f32_e32 v16, v15, v16
	v_min_f32_e32 v16, 0x3f7fffff, v16
	v_add_f32_e32 v16, v16, v16
	v_cndmask_b32_e64 v15, 0, v16, s9
	v_cmp_gt_f32_e64 s9, |v12|, 1.0
	v_cndmask_b32_e64 v15, |v12|, v15, s9
	s_mov_b32 s9, 0x3e75aa41
	v_add_f32_e32 v16, v15, v15
	v_rndne_f32_e32 v16, v16
	v_fmac_f32_e32 v15, -0.5, v16
	v_cvt_i32_f32_e32 v16, v16
	v_mul_f32_e32 v17, v15, v15
	v_fmaak_f32 v18, s9, v17, 0xbf1f24be
	v_fmaak_f32 v19, s10, v17, 0x3e642e9d
	v_mul_f32_e32 v20, v15, v17
	v_fmaak_f32 v18, v17, v18, 0x40234736
	v_fmaak_f32 v19, v17, v19, 0xbfaad1da
	;; [unrolled: 1-line block ×4, first 2 shown]
	v_mul_f32_e32 v18, v20, v18
	v_fmaak_f32 v19, v17, v19, 0xc09de9e6
	v_and_b32_e32 v20, 1, v16
	v_lshlrev_b32_e32 v16, 30, v16
	v_fmamk_f32 v15, v15, 0x40490fdb, v18
	v_fma_f32 v17, v17, v19, 1.0
	v_cmp_eq_u32_e64 s9, 0, v20
	v_and_or_b32 v14, 0x80000000, v16, v14
	v_cndmask_b32_e64 v15, v17, v15, s9
	v_xor3_b32 v14, v14, v15, v12
	v_mul_f32_e32 v14, v12, v14
	v_frexp_mant_f32_e64 v15, |v14|
	v_frexp_exp_i32_f32_e32 v14, v14
	v_rcp_f32_e32 v15, v15
	v_sub_nc_u32_e32 v14, 2, v14
	v_mul_f32_e32 v15, 0x3f490fdb, v15
	v_ldexp_f32 v14, v15, v14
	v_cmp_gt_f32_e64 s9, 0x800000, v14
	v_cndmask_b32_e64 v15, 0, 32, s9
	v_ldexp_f32 v14, v14, v15
	v_log_f32_e32 v14, v14
	v_mul_f32_e32 v15, 0x3f317217, v14
	v_cmp_gt_f32_e64 s10, 0x7f800000, |v14|
	v_fma_f32 v16, 0x3f317217, v14, -v15
	v_fmamk_f32 v16, v14, 0x3377d1cf, v16
	v_add_f32_e32 v15, v15, v16
	v_floor_f32_e32 v16, v12
	v_cndmask_b32_e64 v14, v14, v15, s10
	v_cndmask_b32_e64 v15, 0, 0x41b17218, s9
	v_sub_f32_e32 v16, v12, v16
	v_sub_f32_e32 v14, v14, v15
	v_min_f32_e32 v15, 0x3f7fffff, v16
	v_sub_f32_e32 v13, v14, v13
	v_cmp_neq_f32_e64 s9, 0, v15
	v_cndmask_b32_e64 v13, 0x7f800000, v13, s9
.LBB160_190:
	s_or_b32 exec_lo, exec_lo, s12
.LBB160_191:
	s_andn2_saveexec_b32 s11, s11
; %bb.192:
	v_cmp_eq_f32_e64 s9, 1.0, v12
	v_cmp_eq_f32_e64 s10, 2.0, v12
	s_or_b32 s9, s9, s10
	v_cndmask_b32_e64 v13, v13, 0, s9
; %bb.193:
	s_or_b32 exec_lo, exec_lo, s11
	v_and_b32_e32 v10, 0xffff0000, v10
                                        ; implicit-def: $vgpr14
	s_mov_b32 s10, exec_lo
	v_and_b32_e32 v15, 0x7fffffff, v10
	v_cmpx_ngt_f32_e64 0x3c800000, |v10|
	s_xor_b32 s11, exec_lo, s10
	s_cbranch_execz .LBB160_223
; %bb.194:
                                        ; implicit-def: $vgpr14
	s_mov_b32 s10, exec_lo
	v_cmpx_nlt_f32_e64 |v10|, 2.0
	s_xor_b32 s12, exec_lo, s10
	s_cbranch_execz .LBB160_204
; %bb.195:
	s_mov_b32 s10, exec_lo
                                        ; implicit-def: $vgpr14
	v_cmpx_ngt_f32_e64 0x41000000, |v10|
	s_xor_b32 s10, exec_lo, s10
	s_cbranch_execz .LBB160_201
; %bb.196:
	s_mov_b32 s13, exec_lo
                                        ; implicit-def: $vgpr14
	v_cmpx_ngt_f32_e64 0x5c800000, |v10|
	s_xor_b32 s13, exec_lo, s13
	s_cbranch_execz .LBB160_198
; %bb.197:
	v_cmp_gt_f32_e64 s21, 0x800000, |v10|
	v_cndmask_b32_e64 v14, 0, 32, s21
	v_ldexp_f32 v14, |v10|, v14
	v_log_f32_e32 v14, v14
	v_mul_f32_e32 v16, 0x3f317217, v14
	v_cmp_gt_f32_e64 s9, 0x7f800000, |v14|
	v_fma_f32 v17, 0x3f317217, v14, -v16
	v_fmamk_f32 v17, v14, 0x3377d1cf, v17
	v_add_f32_e32 v16, v16, v17
	v_cndmask_b32_e64 v14, v14, v16, s9
	v_cndmask_b32_e64 v16, 0, 0x41b17218, s21
	v_sub_f32_e32 v14, v14, v16
	v_fma_f32 v14, |v10|, v14, -|v10|
.LBB160_198:
	s_andn2_saveexec_b32 s13, s13
	s_cbranch_execz .LBB160_200
; %bb.199:
	v_cmp_gt_f32_e64 s21, 0x800000, |v10|
	v_rcp_f32_e64 v16, |v10|
	s_mov_b32 s9, 0xbad5c4e8
	v_cndmask_b32_e64 v14, 0, 32, s21
	v_ldexp_f32 v14, |v10|, v14
	v_mul_f32_e32 v17, v16, v16
	v_log_f32_e32 v14, v14
	v_fmaak_f32 v19, s9, v17, 0x3a5b3dd2
	v_fmaak_f32 v19, v17, v19, 0xba1c065c
	v_mul_f32_e32 v18, 0x3f317217, v14
	v_fmaak_f32 v19, v17, v19, 0x3a500cfd
	v_cmp_gt_f32_e64 s9, 0x7f800000, |v14|
	v_fma_f32 v20, 0x3f317217, v14, -v18
	v_fmaak_f32 v19, v17, v19, 0xbb360b61
	v_fmamk_f32 v20, v14, 0x3377d1cf, v20
	v_fmaak_f32 v17, v17, v19, 0x3daaaaab
	v_add_f32_e32 v18, v18, v20
	v_cndmask_b32_e64 v14, v14, v18, s9
	v_cndmask_b32_e64 v18, 0, 0x41b17218, s21
	v_sub_f32_e32 v18, v14, v18
	v_fmaak_f32 v14, v16, v17, 0x3ed67f1d
	v_add_f32_e64 v16, |v10|, -0.5
	v_add_f32_e32 v17, -1.0, v18
	v_fmac_f32_e32 v14, v16, v17
.LBB160_200:
	s_or_b32 exec_lo, exec_lo, s13
.LBB160_201:
	s_andn2_saveexec_b32 s13, s10
	s_cbranch_execz .LBB160_203
; %bb.202:
	v_cvt_i32_f32_e32 v14, v15
	s_mov_b32 s10, 0x3805ff67
	v_cvt_f32_i32_e32 v16, v14
	v_cmp_lt_i32_e64 s9, 2, v14
	v_sub_f32_e64 v16, |v10|, v16
	v_add_f32_e32 v17, 2.0, v16
	v_add_f32_e32 v18, 0x40400000, v16
	v_add_f32_e32 v19, 4.0, v16
	v_add_f32_e32 v20, 0x40a00000, v16
	v_cndmask_b32_e64 v17, 1.0, v17, s9
	v_cmp_lt_i32_e64 s9, 3, v14
	v_cndmask_b32_e64 v18, 1.0, v18, s9
	v_cmp_lt_i32_e64 s9, 4, v14
	v_mul_f32_e32 v17, v17, v18
	v_cndmask_b32_e64 v19, 1.0, v19, s9
	v_cmp_lt_i32_e64 s9, 5, v14
	v_add_f32_e32 v18, 0x40c00000, v16
	v_mul_f32_e32 v17, v19, v17
	v_cndmask_b32_e64 v20, 1.0, v20, s9
	v_cmp_lt_i32_e64 s9, 6, v14
	v_fmaak_f32 v19, s10, v16, 0x3af135b4
	v_mul_f32_e32 v17, v20, v17
	v_cndmask_b32_e64 v14, 1.0, v18, s9
	s_mov_b32 s9, 0x36f5d7bd
	v_mul_f32_e32 v14, v14, v17
	v_fmaak_f32 v17, s9, v16, 0x3a4beed6
	v_cmp_gt_f32_e64 s9, 0x800000, v14
	v_fmaak_f32 v17, v16, v17, 0x3c98bf54
	v_cndmask_b32_e64 v18, 0, 32, s9
	v_fmaak_f32 v17, v16, v17, 0x3e300f6e
	v_ldexp_f32 v14, v14, v18
	v_fmaak_f32 v18, v16, v19, 0x3cda40e4
	v_fmaak_f32 v17, v16, v17, 0x3f38d0c5
	v_log_f32_e32 v14, v14
	v_fmaak_f32 v18, v16, v18, 0x3e15dce6
	v_fmaak_f32 v17, v16, v17, 0x3fb22d3b
	;; [unrolled: 1-line block ×3, first 2 shown]
	v_fma_f32 v17, v16, v17, 1.0
	v_mul_f32_e32 v19, 0x3f317217, v14
	v_fmaak_f32 v18, v16, v18, 0x3e5c245a
	v_rcp_f32_e32 v17, v17
	v_cmp_gt_f32_e64 s10, 0x7f800000, |v14|
	v_fma_f32 v20, 0x3f317217, v14, -v19
	v_fmaak_f32 v18, v16, v18, 0xbd9e233f
	v_fmamk_f32 v20, v14, 0x3377d1cf, v20
	v_mul_f32_e32 v18, v16, v18
	v_add_f32_e32 v19, v19, v20
	v_mul_f32_e32 v17, v18, v17
	v_cndmask_b32_e64 v18, 0, 0x41b17218, s9
	v_cndmask_b32_e64 v14, v14, v19, s10
	v_fmac_f32_e32 v17, 0.5, v16
	v_sub_f32_e32 v14, v14, v18
	v_add_f32_e32 v14, v14, v17
.LBB160_203:
	s_or_b32 exec_lo, exec_lo, s13
.LBB160_204:
	s_andn2_saveexec_b32 s12, s12
	s_cbranch_execz .LBB160_222
; %bb.205:
                                        ; implicit-def: $vgpr14
                                        ; implicit-def: $vgpr17
                                        ; implicit-def: $vgpr16
	s_mov_b32 s10, exec_lo
	v_cmpx_ge_f32_e64 0x3f666666, |v10|
	s_xor_b32 s13, exec_lo, s10
	s_cbranch_execz .LBB160_207
; %bb.206:
	v_cmp_gt_f32_e64 s10, 0x800000, |v10|
	v_sub_f32_e64 v18, 1.0, |v10|
	v_cmp_gt_f32_e64 s9, 0x3f3b4a23, |v10|
	v_cndmask_b32_e64 v14, 0, 32, s10
	v_cndmask_b32_e64 v19, 0, 0x41b17218, s10
	v_ldexp_f32 v14, |v10|, v14
	v_log_f32_e32 v14, v14
	v_mul_f32_e32 v16, 0x3f317217, v14
	v_cmp_gt_f32_e64 s10, 0x7f800000, |v14|
	v_fma_f32 v17, 0x3f317217, v14, -v16
	v_fmamk_f32 v17, v14, 0x3377d1cf, v17
	v_add_f32_e32 v16, v16, v17
	v_add_f32_e64 v17, 0xbeec5b0c, |v10|
	v_cndmask_b32_e64 v14, v14, v16, s10
	v_cndmask_b32_e64 v16, v18, v17, s9
	;; [unrolled: 1-line block ×3, first 2 shown]
	v_cmp_gt_f32_e64 s9, 0x3e6d3309, |v10|
	v_sub_f32_e32 v14, v14, v19
	v_cndmask_b32_e64 v16, v16, |v10|, s9
	v_cndmask_b32_e64 v17, v17, 2, s9
	v_xor_b32_e32 v14, 0x80000000, v14
.LBB160_207:
	s_andn2_saveexec_b32 s10, s13
	s_cbranch_execz .LBB160_209
; %bb.208:
	v_sub_f32_e64 v14, 2.0, |v10|
	v_add_f32_e64 v16, 0xbfbb16c3, |v10|
	v_cmp_gt_f32_e64 s9, 0x3fdda512, |v10|
	v_add_f32_e64 v17, |v10|, -1.0
	v_cndmask_b32_e64 v16, v14, v16, s9
	v_cndmask_b32_e64 v14, v14, 1.0, s9
	v_cmp_gt_f32_e64 s9, 0x3f9d70a4, |v10|
	v_cvt_i32_f32_e32 v14, v14
	v_cndmask_b32_e64 v16, v16, v17, s9
	v_cndmask_b32_e64 v17, v14, 2, s9
	v_mov_b32_e32 v14, 0
.LBB160_209:
	s_or_b32 exec_lo, exec_lo, s10
	s_mov_b32 s10, exec_lo
	v_cmpx_lt_i32_e32 0, v17
	s_xor_b32 s10, exec_lo, s10
	s_cbranch_execz .LBB160_217
; %bb.210:
	s_mov_b32 s13, exec_lo
	v_cmpx_lt_i32_e32 1, v17
	s_xor_b32 s13, exec_lo, s13
	s_cbranch_execz .LBB160_214
; %bb.211:
	s_mov_b32 s21, exec_lo
	v_cmpx_eq_u32_e32 2, v17
	s_cbranch_execz .LBB160_213
; %bb.212:
	s_mov_b32 s9, 0x3b52d5db
	v_fmaak_f32 v17, s9, v16, 0x3dd572af
	s_mov_b32 s9, 0x3c5b3c5e
	v_fmaak_f32 v18, s9, v16, 0x3e6a7578
	v_fmaak_f32 v17, v16, v17, 0x3f44efdf
	;; [unrolled: 1-line block ×7, first 2 shown]
	v_fma_f32 v17, v16, v17, 1.0
	v_fmaak_f32 v18, v16, v18, 0xbd9e233f
	v_rcp_f32_e32 v17, v17
	v_mul_f32_e32 v18, v16, v18
	v_mul_f32_e32 v17, v18, v17
	v_fmac_f32_e32 v17, -0.5, v16
	v_add_f32_e32 v14, v14, v17
.LBB160_213:
	s_or_b32 exec_lo, exec_lo, s21
                                        ; implicit-def: $vgpr16
.LBB160_214:
	s_andn2_saveexec_b32 s9, s13
	s_cbranch_execz .LBB160_216
; %bb.215:
	v_mul_f32_e32 v17, v16, v16
	s_mov_b32 s13, 0xb9a3f927
	s_mov_b32 s21, 0x39afe9f7
	v_mul_f32_e32 v18, v16, v17
	v_fmaak_f32 v19, s13, v18, 0x3a66f867
	v_fmaak_f32 v20, s21, v18, 0xba0d3085
	s_mov_b32 s13, 0x39a57b6b
	v_fmaak_f32 v21, s13, v18, 0xbab7f476
	v_fmaak_f32 v19, v18, v19, 0xbb7177fe
	;; [unrolled: 1-line block ×9, first 2 shown]
	v_fmac_f32_e32 v19, v16, v20
	v_fmaak_f32 v16, v18, v21, 0x3ef7b95e
	v_fma_f32 v18, v18, -v19, 0xa2863e55
	v_fma_f32 v16, v17, v16, -v18
	v_add_f32_e32 v16, 0xbdf8cdce, v16
	v_add_f32_e32 v14, v14, v16
.LBB160_216:
	s_or_b32 exec_lo, exec_lo, s9
                                        ; implicit-def: $vgpr17
                                        ; implicit-def: $vgpr16
.LBB160_217:
	s_andn2_saveexec_b32 s10, s10
	s_cbranch_execz .LBB160_221
; %bb.218:
	s_mov_b32 s13, exec_lo
	v_cmpx_eq_u32_e32 0, v17
	s_cbranch_execz .LBB160_220
; %bb.219:
	v_mul_f32_e32 v17, v16, v16
	s_mov_b32 s9, 0x383c2c75
	v_fmaak_f32 v18, s9, v17, 0x38e28445
	s_mov_b32 s9, 0x37d383a2
	v_fmaak_f32 v19, s9, v17, 0x39679767
	v_fmaak_f32 v18, v17, v18, 0x3a05b634
	;; [unrolled: 1-line block ×9, first 2 shown]
	v_mul_f32_e32 v17, v17, v18
	v_fmac_f32_e32 v17, v16, v19
	v_fmac_f32_e32 v17, -0.5, v16
	v_add_f32_e32 v14, v14, v17
.LBB160_220:
	s_or_b32 exec_lo, exec_lo, s13
.LBB160_221:
	s_or_b32 exec_lo, exec_lo, s10
.LBB160_222:
	s_or_b32 exec_lo, exec_lo, s12
.LBB160_223:
	s_andn2_saveexec_b32 s10, s11
	s_cbranch_execz .LBB160_225
; %bb.224:
	v_cmp_gt_f32_e64 s11, 0x800000, |v10|
	s_mov_b32 s9, 0x3e8a8991
	v_fma_f32 v18, |v10|, s9, 0xbecd26ab
	v_cndmask_b32_e64 v14, 0, 32, s11
	v_ldexp_f32 v14, |v10|, v14
	v_log_f32_e32 v14, v14
	v_mul_f32_e32 v16, 0x3f317217, v14
	v_cmp_gt_f32_e64 s9, 0x7f800000, |v14|
	v_fma_f32 v17, 0x3f317217, v14, -v16
	v_fmamk_f32 v17, v14, 0x3377d1cf, v17
	v_add_f32_e32 v16, v16, v17
	v_fma_f32 v17, |v10|, v18, 0x3f528d33
	v_cndmask_b32_e64 v14, v14, v16, s9
	v_cndmask_b32_e64 v16, 0, 0x41b17218, s11
	v_fma_f32 v17, |v10|, v17, 0xbf13c468
	v_sub_f32_e32 v14, v14, v16
	v_fma_f32 v14, |v10|, v17, -v14
.LBB160_225:
	s_or_b32 exec_lo, exec_lo, s10
	v_cmp_le_f32_e64 s9, 0, v10
	s_mov_b32 s11, exec_lo
	v_cmpx_nle_f32_e32 0, v10
	s_xor_b32 s12, exec_lo, s11
	s_cbranch_execz .LBB160_229
; %bb.226:
	v_cmp_gt_f32_e64 s10, 0x4b000000, |v10|
	v_cmp_lt_f32_e64 s11, 0x35000000, |v10|
	s_and_b32 s10, s10, s11
	s_and_saveexec_b32 s13, s10
	s_cbranch_execz .LBB160_228
; %bb.227:
	v_mul_f32_e64 v16, |v10|, 0.5
	s_mov_b32 s11, 0x3d4be544
	v_floor_f32_e32 v17, v16
	v_cmp_neq_f32_e64 s10, 0x7f800000, v16
	v_sub_f32_e32 v17, v16, v17
	v_min_f32_e32 v17, 0x3f7fffff, v17
	v_add_f32_e32 v17, v17, v17
	v_cndmask_b32_e64 v16, 0, v17, s10
	v_cmp_gt_f32_e64 s10, |v10|, 1.0
	v_cndmask_b32_e64 v16, |v10|, v16, s10
	s_mov_b32 s10, 0x3e75aa41
	v_add_f32_e32 v17, v16, v16
	v_rndne_f32_e32 v17, v17
	v_fmac_f32_e32 v16, -0.5, v17
	v_cvt_i32_f32_e32 v17, v17
	v_mul_f32_e32 v18, v16, v16
	v_fmaak_f32 v19, s10, v18, 0xbf1f24be
	v_fmaak_f32 v20, s11, v18, 0x3e642e9d
	v_mul_f32_e32 v21, v16, v18
	v_fmaak_f32 v19, v18, v19, 0x40234736
	v_fmaak_f32 v20, v18, v20, 0xbfaad1da
	;; [unrolled: 1-line block ×4, first 2 shown]
	v_mul_f32_e32 v19, v21, v19
	v_fmaak_f32 v20, v18, v20, 0xc09de9e6
	v_and_b32_e32 v21, 1, v17
	v_lshlrev_b32_e32 v17, 30, v17
	v_fmamk_f32 v16, v16, 0x40490fdb, v19
	v_fma_f32 v18, v18, v20, 1.0
	v_cmp_eq_u32_e64 s10, 0, v21
	v_and_or_b32 v15, 0x80000000, v17, v15
	v_cndmask_b32_e64 v16, v18, v16, s10
	v_xor3_b32 v15, v15, v16, v10
	v_mul_f32_e32 v15, v10, v15
	v_frexp_mant_f32_e64 v16, |v15|
	v_frexp_exp_i32_f32_e32 v15, v15
	v_rcp_f32_e32 v16, v16
	v_sub_nc_u32_e32 v15, 2, v15
	v_mul_f32_e32 v16, 0x3f490fdb, v16
	v_ldexp_f32 v15, v16, v15
	v_cmp_gt_f32_e64 s10, 0x800000, v15
	v_cndmask_b32_e64 v16, 0, 32, s10
	v_ldexp_f32 v15, v15, v16
	v_log_f32_e32 v15, v15
	v_mul_f32_e32 v16, 0x3f317217, v15
	v_cmp_gt_f32_e64 s11, 0x7f800000, |v15|
	v_fma_f32 v17, 0x3f317217, v15, -v16
	v_fmamk_f32 v17, v15, 0x3377d1cf, v17
	v_add_f32_e32 v16, v16, v17
	v_floor_f32_e32 v17, v10
	v_cndmask_b32_e64 v15, v15, v16, s11
	v_cndmask_b32_e64 v16, 0, 0x41b17218, s10
	v_sub_f32_e32 v17, v10, v17
	v_sub_f32_e32 v15, v15, v16
	v_min_f32_e32 v16, 0x3f7fffff, v17
	v_sub_f32_e32 v14, v15, v14
	v_cmp_neq_f32_e64 s10, 0, v16
	v_cndmask_b32_e64 v14, 0x7f800000, v14, s10
.LBB160_228:
	s_or_b32 exec_lo, exec_lo, s13
.LBB160_229:
	s_andn2_saveexec_b32 s12, s12
; %bb.230:
	v_cmp_eq_f32_e64 s10, 1.0, v10
	v_cmp_eq_f32_e64 s11, 2.0, v10
	s_or_b32 s10, s10, s11
	v_cndmask_b32_e64 v14, v14, 0, s10
; %bb.231:
	s_or_b32 exec_lo, exec_lo, s12
	s_waitcnt vmcnt(0)
	v_lshlrev_b32_e32 v15, 16, v5
                                        ; implicit-def: $vgpr16
	s_mov_b32 s11, exec_lo
	v_and_b32_e32 v17, 0x7fffffff, v15
	v_cmpx_ngt_f32_e64 0x3c800000, |v15|
	s_xor_b32 s12, exec_lo, s11
	s_cbranch_execz .LBB160_261
; %bb.232:
                                        ; implicit-def: $vgpr16
	s_mov_b32 s11, exec_lo
	v_cmpx_nlt_f32_e64 |v15|, 2.0
	s_xor_b32 s13, exec_lo, s11
	s_cbranch_execz .LBB160_242
; %bb.233:
	s_mov_b32 s11, exec_lo
                                        ; implicit-def: $vgpr16
	v_cmpx_ngt_f32_e64 0x41000000, |v15|
	s_xor_b32 s11, exec_lo, s11
	s_cbranch_execz .LBB160_239
; %bb.234:
	s_mov_b32 s21, exec_lo
                                        ; implicit-def: $vgpr16
	v_cmpx_ngt_f32_e64 0x5c800000, |v15|
	s_xor_b32 s21, exec_lo, s21
	s_cbranch_execz .LBB160_236
; %bb.235:
	v_cmp_gt_f32_e64 s22, 0x800000, |v15|
	v_cndmask_b32_e64 v16, 0, 32, s22
	v_ldexp_f32 v16, |v15|, v16
	v_log_f32_e32 v16, v16
	v_mul_f32_e32 v18, 0x3f317217, v16
	v_cmp_gt_f32_e64 s10, 0x7f800000, |v16|
	v_fma_f32 v19, 0x3f317217, v16, -v18
	v_fmamk_f32 v19, v16, 0x3377d1cf, v19
	v_add_f32_e32 v18, v18, v19
	v_cndmask_b32_e64 v16, v16, v18, s10
	v_cndmask_b32_e64 v18, 0, 0x41b17218, s22
	v_sub_f32_e32 v16, v16, v18
	v_fma_f32 v16, |v15|, v16, -|v15|
.LBB160_236:
	s_andn2_saveexec_b32 s21, s21
	s_cbranch_execz .LBB160_238
; %bb.237:
	v_cmp_gt_f32_e64 s22, 0x800000, |v15|
	v_rcp_f32_e64 v18, |v15|
	s_mov_b32 s10, 0xbad5c4e8
	v_cndmask_b32_e64 v16, 0, 32, s22
	v_ldexp_f32 v16, |v15|, v16
	v_mul_f32_e32 v19, v18, v18
	v_log_f32_e32 v16, v16
	v_fmaak_f32 v21, s10, v19, 0x3a5b3dd2
	v_fmaak_f32 v21, v19, v21, 0xba1c065c
	v_mul_f32_e32 v20, 0x3f317217, v16
	v_fmaak_f32 v21, v19, v21, 0x3a500cfd
	v_cmp_gt_f32_e64 s10, 0x7f800000, |v16|
	v_fma_f32 v22, 0x3f317217, v16, -v20
	v_fmaak_f32 v21, v19, v21, 0xbb360b61
	v_fmamk_f32 v22, v16, 0x3377d1cf, v22
	v_fmaak_f32 v19, v19, v21, 0x3daaaaab
	v_add_f32_e32 v20, v20, v22
	v_cndmask_b32_e64 v16, v16, v20, s10
	v_cndmask_b32_e64 v20, 0, 0x41b17218, s22
	v_sub_f32_e32 v20, v16, v20
	v_fmaak_f32 v16, v18, v19, 0x3ed67f1d
	v_add_f32_e64 v18, |v15|, -0.5
	v_add_f32_e32 v19, -1.0, v20
	v_fmac_f32_e32 v16, v18, v19
.LBB160_238:
	s_or_b32 exec_lo, exec_lo, s21
.LBB160_239:
	s_andn2_saveexec_b32 s21, s11
	s_cbranch_execz .LBB160_241
; %bb.240:
	v_cvt_i32_f32_e32 v16, v17
	s_mov_b32 s11, 0x3805ff67
	v_cvt_f32_i32_e32 v18, v16
	v_cmp_lt_i32_e64 s10, 2, v16
	v_sub_f32_e64 v18, |v15|, v18
	v_add_f32_e32 v19, 2.0, v18
	v_add_f32_e32 v20, 0x40400000, v18
	v_add_f32_e32 v21, 4.0, v18
	v_add_f32_e32 v22, 0x40a00000, v18
	v_cndmask_b32_e64 v19, 1.0, v19, s10
	v_cmp_lt_i32_e64 s10, 3, v16
	v_cndmask_b32_e64 v20, 1.0, v20, s10
	v_cmp_lt_i32_e64 s10, 4, v16
	v_mul_f32_e32 v19, v19, v20
	v_cndmask_b32_e64 v21, 1.0, v21, s10
	v_cmp_lt_i32_e64 s10, 5, v16
	v_add_f32_e32 v20, 0x40c00000, v18
	v_mul_f32_e32 v19, v21, v19
	v_cndmask_b32_e64 v22, 1.0, v22, s10
	v_cmp_lt_i32_e64 s10, 6, v16
	v_fmaak_f32 v21, s11, v18, 0x3af135b4
	v_mul_f32_e32 v19, v22, v19
	v_cndmask_b32_e64 v16, 1.0, v20, s10
	s_mov_b32 s10, 0x36f5d7bd
	v_mul_f32_e32 v16, v16, v19
	v_fmaak_f32 v19, s10, v18, 0x3a4beed6
	v_cmp_gt_f32_e64 s10, 0x800000, v16
	v_fmaak_f32 v19, v18, v19, 0x3c98bf54
	v_cndmask_b32_e64 v20, 0, 32, s10
	v_fmaak_f32 v19, v18, v19, 0x3e300f6e
	v_ldexp_f32 v16, v16, v20
	v_fmaak_f32 v20, v18, v21, 0x3cda40e4
	v_fmaak_f32 v19, v18, v19, 0x3f38d0c5
	v_log_f32_e32 v16, v16
	v_fmaak_f32 v20, v18, v20, 0x3e15dce6
	v_fmaak_f32 v19, v18, v19, 0x3fb22d3b
	v_fmaak_f32 v20, v18, v20, 0x3ea6cc7a
	v_fma_f32 v19, v18, v19, 1.0
	v_mul_f32_e32 v21, 0x3f317217, v16
	v_fmaak_f32 v20, v18, v20, 0x3e5c245a
	v_rcp_f32_e32 v19, v19
	v_cmp_gt_f32_e64 s11, 0x7f800000, |v16|
	v_fma_f32 v22, 0x3f317217, v16, -v21
	v_fmaak_f32 v20, v18, v20, 0xbd9e233f
	v_fmamk_f32 v22, v16, 0x3377d1cf, v22
	v_mul_f32_e32 v20, v18, v20
	v_add_f32_e32 v21, v21, v22
	v_mul_f32_e32 v19, v20, v19
	v_cndmask_b32_e64 v20, 0, 0x41b17218, s10
	v_cndmask_b32_e64 v16, v16, v21, s11
	v_fmac_f32_e32 v19, 0.5, v18
	v_sub_f32_e32 v16, v16, v20
	v_add_f32_e32 v16, v16, v19
.LBB160_241:
	s_or_b32 exec_lo, exec_lo, s21
.LBB160_242:
	s_andn2_saveexec_b32 s13, s13
	s_cbranch_execz .LBB160_260
; %bb.243:
                                        ; implicit-def: $vgpr16
                                        ; implicit-def: $vgpr19
                                        ; implicit-def: $vgpr18
	s_mov_b32 s11, exec_lo
	v_cmpx_ge_f32_e64 0x3f666666, |v15|
	s_xor_b32 s21, exec_lo, s11
	s_cbranch_execz .LBB160_245
; %bb.244:
	v_cmp_gt_f32_e64 s11, 0x800000, |v15|
	v_sub_f32_e64 v20, 1.0, |v15|
	v_cmp_gt_f32_e64 s10, 0x3f3b4a23, |v15|
	v_cndmask_b32_e64 v16, 0, 32, s11
	v_cndmask_b32_e64 v21, 0, 0x41b17218, s11
	v_ldexp_f32 v16, |v15|, v16
	v_log_f32_e32 v16, v16
	v_mul_f32_e32 v18, 0x3f317217, v16
	v_cmp_gt_f32_e64 s11, 0x7f800000, |v16|
	v_fma_f32 v19, 0x3f317217, v16, -v18
	v_fmamk_f32 v19, v16, 0x3377d1cf, v19
	v_add_f32_e32 v18, v18, v19
	v_add_f32_e64 v19, 0xbeec5b0c, |v15|
	v_cndmask_b32_e64 v16, v16, v18, s11
	v_cndmask_b32_e64 v18, v20, v19, s10
	v_cndmask_b32_e64 v19, 0, 1, s10
	v_cmp_gt_f32_e64 s10, 0x3e6d3309, |v15|
	v_sub_f32_e32 v16, v16, v21
	v_cndmask_b32_e64 v18, v18, |v15|, s10
	v_cndmask_b32_e64 v19, v19, 2, s10
	v_xor_b32_e32 v16, 0x80000000, v16
.LBB160_245:
	s_andn2_saveexec_b32 s11, s21
	s_cbranch_execz .LBB160_247
; %bb.246:
	v_sub_f32_e64 v16, 2.0, |v15|
	v_add_f32_e64 v18, 0xbfbb16c3, |v15|
	v_cmp_gt_f32_e64 s10, 0x3fdda512, |v15|
	v_add_f32_e64 v19, |v15|, -1.0
	v_cndmask_b32_e64 v18, v16, v18, s10
	v_cndmask_b32_e64 v16, v16, 1.0, s10
	v_cmp_gt_f32_e64 s10, 0x3f9d70a4, |v15|
	v_cvt_i32_f32_e32 v16, v16
	v_cndmask_b32_e64 v18, v18, v19, s10
	v_cndmask_b32_e64 v19, v16, 2, s10
	v_mov_b32_e32 v16, 0
.LBB160_247:
	s_or_b32 exec_lo, exec_lo, s11
	s_mov_b32 s11, exec_lo
	v_cmpx_lt_i32_e32 0, v19
	s_xor_b32 s11, exec_lo, s11
	s_cbranch_execz .LBB160_255
; %bb.248:
	s_mov_b32 s21, exec_lo
	v_cmpx_lt_i32_e32 1, v19
	s_xor_b32 s21, exec_lo, s21
	s_cbranch_execz .LBB160_252
; %bb.249:
	s_mov_b32 s22, exec_lo
	v_cmpx_eq_u32_e32 2, v19
	s_cbranch_execz .LBB160_251
; %bb.250:
	s_mov_b32 s10, 0x3b52d5db
	v_fmaak_f32 v19, s10, v18, 0x3dd572af
	s_mov_b32 s10, 0x3c5b3c5e
	v_fmaak_f32 v20, s10, v18, 0x3e6a7578
	v_fmaak_f32 v19, v18, v19, 0x3f44efdf
	;; [unrolled: 1-line block ×7, first 2 shown]
	v_fma_f32 v19, v18, v19, 1.0
	v_fmaak_f32 v20, v18, v20, 0xbd9e233f
	v_rcp_f32_e32 v19, v19
	v_mul_f32_e32 v20, v18, v20
	v_mul_f32_e32 v19, v20, v19
	v_fmac_f32_e32 v19, -0.5, v18
	v_add_f32_e32 v16, v16, v19
.LBB160_251:
	s_or_b32 exec_lo, exec_lo, s22
                                        ; implicit-def: $vgpr18
.LBB160_252:
	s_andn2_saveexec_b32 s10, s21
	s_cbranch_execz .LBB160_254
; %bb.253:
	v_mul_f32_e32 v19, v18, v18
	s_mov_b32 s21, 0xb9a3f927
	s_mov_b32 s22, 0x39afe9f7
	v_mul_f32_e32 v20, v18, v19
	v_fmaak_f32 v21, s21, v20, 0x3a66f867
	v_fmaak_f32 v22, s22, v20, 0xba0d3085
	s_mov_b32 s21, 0x39a57b6b
	v_fmaak_f32 v23, s21, v20, 0xbab7f476
	v_fmaak_f32 v21, v20, v21, 0xbb7177fe
	;; [unrolled: 1-line block ×9, first 2 shown]
	v_fmac_f32_e32 v21, v18, v22
	v_fmaak_f32 v18, v20, v23, 0x3ef7b95e
	v_fma_f32 v20, v20, -v21, 0xa2863e55
	v_fma_f32 v18, v19, v18, -v20
	v_add_f32_e32 v18, 0xbdf8cdce, v18
	v_add_f32_e32 v16, v16, v18
.LBB160_254:
	s_or_b32 exec_lo, exec_lo, s10
                                        ; implicit-def: $vgpr19
                                        ; implicit-def: $vgpr18
.LBB160_255:
	s_andn2_saveexec_b32 s11, s11
	s_cbranch_execz .LBB160_259
; %bb.256:
	s_mov_b32 s21, exec_lo
	v_cmpx_eq_u32_e32 0, v19
	s_cbranch_execz .LBB160_258
; %bb.257:
	v_mul_f32_e32 v19, v18, v18
	s_mov_b32 s10, 0x383c2c75
	v_fmaak_f32 v20, s10, v19, 0x38e28445
	s_mov_b32 s10, 0x37d383a2
	v_fmaak_f32 v21, s10, v19, 0x39679767
	v_fmaak_f32 v20, v19, v20, 0x3a05b634
	;; [unrolled: 1-line block ×9, first 2 shown]
	v_mul_f32_e32 v19, v19, v20
	v_fmac_f32_e32 v19, v18, v21
	v_fmac_f32_e32 v19, -0.5, v18
	v_add_f32_e32 v16, v16, v19
.LBB160_258:
	s_or_b32 exec_lo, exec_lo, s21
.LBB160_259:
	s_or_b32 exec_lo, exec_lo, s11
.LBB160_260:
	s_or_b32 exec_lo, exec_lo, s13
.LBB160_261:
	s_andn2_saveexec_b32 s11, s12
	s_cbranch_execz .LBB160_263
; %bb.262:
	v_cmp_gt_f32_e64 s12, 0x800000, |v15|
	s_mov_b32 s10, 0x3e8a8991
	v_fma_f32 v20, |v15|, s10, 0xbecd26ab
	v_cndmask_b32_e64 v16, 0, 32, s12
	v_ldexp_f32 v16, |v15|, v16
	v_log_f32_e32 v16, v16
	v_mul_f32_e32 v18, 0x3f317217, v16
	v_cmp_gt_f32_e64 s10, 0x7f800000, |v16|
	v_fma_f32 v19, 0x3f317217, v16, -v18
	v_fmamk_f32 v19, v16, 0x3377d1cf, v19
	v_add_f32_e32 v18, v18, v19
	v_fma_f32 v19, |v15|, v20, 0x3f528d33
	v_cndmask_b32_e64 v16, v16, v18, s10
	v_cndmask_b32_e64 v18, 0, 0x41b17218, s12
	v_fma_f32 v19, |v15|, v19, 0xbf13c468
	v_sub_f32_e32 v16, v16, v18
	v_fma_f32 v16, |v15|, v19, -v16
.LBB160_263:
	s_or_b32 exec_lo, exec_lo, s11
	v_cmp_le_f32_e64 s10, 0, v15
	s_mov_b32 s12, exec_lo
	v_cmpx_nle_f32_e32 0, v15
	s_xor_b32 s13, exec_lo, s12
	s_cbranch_execz .LBB160_267
; %bb.264:
	v_cmp_gt_f32_e64 s11, 0x4b000000, |v15|
	v_cmp_lt_f32_e64 s12, 0x35000000, |v15|
	s_and_b32 s11, s11, s12
	s_and_saveexec_b32 s21, s11
	s_cbranch_execz .LBB160_266
; %bb.265:
	v_mul_f32_e64 v18, |v15|, 0.5
	s_mov_b32 s12, 0x3d4be544
	v_floor_f32_e32 v19, v18
	v_cmp_neq_f32_e64 s11, 0x7f800000, v18
	v_sub_f32_e32 v19, v18, v19
	v_min_f32_e32 v19, 0x3f7fffff, v19
	v_add_f32_e32 v19, v19, v19
	v_cndmask_b32_e64 v18, 0, v19, s11
	v_cmp_gt_f32_e64 s11, |v15|, 1.0
	v_cndmask_b32_e64 v18, |v15|, v18, s11
	s_mov_b32 s11, 0x3e75aa41
	v_add_f32_e32 v19, v18, v18
	v_rndne_f32_e32 v19, v19
	v_fmac_f32_e32 v18, -0.5, v19
	v_cvt_i32_f32_e32 v19, v19
	v_mul_f32_e32 v20, v18, v18
	v_fmaak_f32 v21, s11, v20, 0xbf1f24be
	v_fmaak_f32 v22, s12, v20, 0x3e642e9d
	v_mul_f32_e32 v23, v18, v20
	v_fmaak_f32 v21, v20, v21, 0x40234736
	v_fmaak_f32 v22, v20, v22, 0xbfaad1da
	v_fmaak_f32 v21, v20, v21, 0xc0a55e0e
	v_fmaak_f32 v22, v20, v22, 0x4081e0d3
	v_mul_f32_e32 v21, v23, v21
	v_fmaak_f32 v22, v20, v22, 0xc09de9e6
	v_and_b32_e32 v23, 1, v19
	v_lshlrev_b32_e32 v19, 30, v19
	v_fmamk_f32 v18, v18, 0x40490fdb, v21
	v_fma_f32 v20, v20, v22, 1.0
	v_cmp_eq_u32_e64 s11, 0, v23
	v_and_or_b32 v17, 0x80000000, v19, v17
	v_cndmask_b32_e64 v18, v20, v18, s11
	v_xor3_b32 v17, v17, v18, v15
	v_mul_f32_e32 v17, v15, v17
	v_frexp_mant_f32_e64 v18, |v17|
	v_frexp_exp_i32_f32_e32 v17, v17
	v_rcp_f32_e32 v18, v18
	v_sub_nc_u32_e32 v17, 2, v17
	v_mul_f32_e32 v18, 0x3f490fdb, v18
	v_ldexp_f32 v17, v18, v17
	v_cmp_gt_f32_e64 s11, 0x800000, v17
	v_cndmask_b32_e64 v18, 0, 32, s11
	v_ldexp_f32 v17, v17, v18
	v_log_f32_e32 v17, v17
	v_mul_f32_e32 v18, 0x3f317217, v17
	v_cmp_gt_f32_e64 s12, 0x7f800000, |v17|
	v_fma_f32 v19, 0x3f317217, v17, -v18
	v_fmamk_f32 v19, v17, 0x3377d1cf, v19
	v_add_f32_e32 v18, v18, v19
	v_floor_f32_e32 v19, v15
	v_cndmask_b32_e64 v17, v17, v18, s12
	v_cndmask_b32_e64 v18, 0, 0x41b17218, s11
	v_sub_f32_e32 v19, v15, v19
	v_sub_f32_e32 v17, v17, v18
	v_min_f32_e32 v18, 0x3f7fffff, v19
	v_sub_f32_e32 v16, v17, v16
	v_cmp_neq_f32_e64 s11, 0, v18
	v_cndmask_b32_e64 v16, 0x7f800000, v16, s11
.LBB160_266:
	s_or_b32 exec_lo, exec_lo, s21
.LBB160_267:
	s_andn2_saveexec_b32 s13, s13
; %bb.268:
	v_cmp_eq_f32_e64 s11, 1.0, v15
	v_cmp_eq_f32_e64 s12, 2.0, v15
	s_or_b32 s11, s11, s12
	v_cndmask_b32_e64 v16, v16, 0, s11
; %bb.269:
	s_or_b32 exec_lo, exec_lo, s13
	v_and_b32_e32 v5, 0xffff0000, v5
                                        ; implicit-def: $vgpr17
	s_mov_b32 s12, exec_lo
	v_and_b32_e32 v18, 0x7fffffff, v5
	v_cmpx_ngt_f32_e64 0x3c800000, |v5|
	s_xor_b32 s13, exec_lo, s12
	s_cbranch_execz .LBB160_299
; %bb.270:
                                        ; implicit-def: $vgpr17
	s_mov_b32 s12, exec_lo
	v_cmpx_nlt_f32_e64 |v5|, 2.0
	s_xor_b32 s21, exec_lo, s12
	s_cbranch_execz .LBB160_280
; %bb.271:
	s_mov_b32 s12, exec_lo
                                        ; implicit-def: $vgpr17
	v_cmpx_ngt_f32_e64 0x41000000, |v5|
	s_xor_b32 s12, exec_lo, s12
	s_cbranch_execz .LBB160_277
; %bb.272:
	s_mov_b32 s22, exec_lo
                                        ; implicit-def: $vgpr17
	v_cmpx_ngt_f32_e64 0x5c800000, |v5|
	s_xor_b32 s22, exec_lo, s22
	s_cbranch_execz .LBB160_274
; %bb.273:
	v_cmp_gt_f32_e64 s23, 0x800000, |v5|
	v_cndmask_b32_e64 v17, 0, 32, s23
	v_ldexp_f32 v17, |v5|, v17
	v_log_f32_e32 v17, v17
	v_mul_f32_e32 v19, 0x3f317217, v17
	v_cmp_gt_f32_e64 s11, 0x7f800000, |v17|
	v_fma_f32 v20, 0x3f317217, v17, -v19
	v_fmamk_f32 v20, v17, 0x3377d1cf, v20
	v_add_f32_e32 v19, v19, v20
	v_cndmask_b32_e64 v17, v17, v19, s11
	v_cndmask_b32_e64 v19, 0, 0x41b17218, s23
	v_sub_f32_e32 v17, v17, v19
	v_fma_f32 v17, |v5|, v17, -|v5|
.LBB160_274:
	s_andn2_saveexec_b32 s22, s22
	s_cbranch_execz .LBB160_276
; %bb.275:
	v_cmp_gt_f32_e64 s23, 0x800000, |v5|
	v_rcp_f32_e64 v19, |v5|
	s_mov_b32 s11, 0xbad5c4e8
	v_cndmask_b32_e64 v17, 0, 32, s23
	v_ldexp_f32 v17, |v5|, v17
	v_mul_f32_e32 v20, v19, v19
	v_log_f32_e32 v17, v17
	v_fmaak_f32 v22, s11, v20, 0x3a5b3dd2
	v_fmaak_f32 v22, v20, v22, 0xba1c065c
	v_mul_f32_e32 v21, 0x3f317217, v17
	v_fmaak_f32 v22, v20, v22, 0x3a500cfd
	v_cmp_gt_f32_e64 s11, 0x7f800000, |v17|
	v_fma_f32 v23, 0x3f317217, v17, -v21
	v_fmaak_f32 v22, v20, v22, 0xbb360b61
	v_fmamk_f32 v23, v17, 0x3377d1cf, v23
	v_fmaak_f32 v20, v20, v22, 0x3daaaaab
	v_add_f32_e32 v21, v21, v23
	v_cndmask_b32_e64 v17, v17, v21, s11
	v_cndmask_b32_e64 v21, 0, 0x41b17218, s23
	v_sub_f32_e32 v21, v17, v21
	v_fmaak_f32 v17, v19, v20, 0x3ed67f1d
	v_add_f32_e64 v19, |v5|, -0.5
	v_add_f32_e32 v20, -1.0, v21
	v_fmac_f32_e32 v17, v19, v20
.LBB160_276:
	s_or_b32 exec_lo, exec_lo, s22
.LBB160_277:
	s_andn2_saveexec_b32 s22, s12
	s_cbranch_execz .LBB160_279
; %bb.278:
	v_cvt_i32_f32_e32 v17, v18
	s_mov_b32 s12, 0x3805ff67
	v_cvt_f32_i32_e32 v19, v17
	v_cmp_lt_i32_e64 s11, 2, v17
	v_sub_f32_e64 v19, |v5|, v19
	v_add_f32_e32 v20, 2.0, v19
	v_add_f32_e32 v21, 0x40400000, v19
	v_add_f32_e32 v22, 4.0, v19
	v_add_f32_e32 v23, 0x40a00000, v19
	v_cndmask_b32_e64 v20, 1.0, v20, s11
	v_cmp_lt_i32_e64 s11, 3, v17
	v_cndmask_b32_e64 v21, 1.0, v21, s11
	v_cmp_lt_i32_e64 s11, 4, v17
	v_mul_f32_e32 v20, v20, v21
	v_cndmask_b32_e64 v22, 1.0, v22, s11
	v_cmp_lt_i32_e64 s11, 5, v17
	v_add_f32_e32 v21, 0x40c00000, v19
	v_mul_f32_e32 v20, v22, v20
	v_cndmask_b32_e64 v23, 1.0, v23, s11
	v_cmp_lt_i32_e64 s11, 6, v17
	v_fmaak_f32 v22, s12, v19, 0x3af135b4
	v_mul_f32_e32 v20, v23, v20
	v_cndmask_b32_e64 v17, 1.0, v21, s11
	s_mov_b32 s11, 0x36f5d7bd
	v_mul_f32_e32 v17, v17, v20
	v_fmaak_f32 v20, s11, v19, 0x3a4beed6
	v_cmp_gt_f32_e64 s11, 0x800000, v17
	v_fmaak_f32 v20, v19, v20, 0x3c98bf54
	v_cndmask_b32_e64 v21, 0, 32, s11
	v_fmaak_f32 v20, v19, v20, 0x3e300f6e
	v_ldexp_f32 v17, v17, v21
	v_fmaak_f32 v21, v19, v22, 0x3cda40e4
	v_fmaak_f32 v20, v19, v20, 0x3f38d0c5
	v_log_f32_e32 v17, v17
	v_fmaak_f32 v21, v19, v21, 0x3e15dce6
	v_fmaak_f32 v20, v19, v20, 0x3fb22d3b
	;; [unrolled: 1-line block ×3, first 2 shown]
	v_fma_f32 v20, v19, v20, 1.0
	v_mul_f32_e32 v22, 0x3f317217, v17
	v_fmaak_f32 v21, v19, v21, 0x3e5c245a
	v_rcp_f32_e32 v20, v20
	v_cmp_gt_f32_e64 s12, 0x7f800000, |v17|
	v_fma_f32 v23, 0x3f317217, v17, -v22
	v_fmaak_f32 v21, v19, v21, 0xbd9e233f
	v_fmamk_f32 v23, v17, 0x3377d1cf, v23
	v_mul_f32_e32 v21, v19, v21
	v_add_f32_e32 v22, v22, v23
	v_mul_f32_e32 v20, v21, v20
	v_cndmask_b32_e64 v21, 0, 0x41b17218, s11
	v_cndmask_b32_e64 v17, v17, v22, s12
	v_fmac_f32_e32 v20, 0.5, v19
	v_sub_f32_e32 v17, v17, v21
	v_add_f32_e32 v17, v17, v20
.LBB160_279:
	s_or_b32 exec_lo, exec_lo, s22
.LBB160_280:
	s_andn2_saveexec_b32 s21, s21
	s_cbranch_execz .LBB160_298
; %bb.281:
                                        ; implicit-def: $vgpr17
                                        ; implicit-def: $vgpr20
                                        ; implicit-def: $vgpr19
	s_mov_b32 s12, exec_lo
	v_cmpx_ge_f32_e64 0x3f666666, |v5|
	s_xor_b32 s22, exec_lo, s12
	s_cbranch_execz .LBB160_283
; %bb.282:
	v_cmp_gt_f32_e64 s12, 0x800000, |v5|
	v_sub_f32_e64 v21, 1.0, |v5|
	v_cmp_gt_f32_e64 s11, 0x3f3b4a23, |v5|
	v_cndmask_b32_e64 v17, 0, 32, s12
	v_cndmask_b32_e64 v22, 0, 0x41b17218, s12
	v_ldexp_f32 v17, |v5|, v17
	v_log_f32_e32 v17, v17
	v_mul_f32_e32 v19, 0x3f317217, v17
	v_cmp_gt_f32_e64 s12, 0x7f800000, |v17|
	v_fma_f32 v20, 0x3f317217, v17, -v19
	v_fmamk_f32 v20, v17, 0x3377d1cf, v20
	v_add_f32_e32 v19, v19, v20
	v_add_f32_e64 v20, 0xbeec5b0c, |v5|
	v_cndmask_b32_e64 v17, v17, v19, s12
	v_cndmask_b32_e64 v19, v21, v20, s11
	;; [unrolled: 1-line block ×3, first 2 shown]
	v_cmp_gt_f32_e64 s11, 0x3e6d3309, |v5|
	v_sub_f32_e32 v17, v17, v22
	v_cndmask_b32_e64 v19, v19, |v5|, s11
	v_cndmask_b32_e64 v20, v20, 2, s11
	v_xor_b32_e32 v17, 0x80000000, v17
.LBB160_283:
	s_andn2_saveexec_b32 s12, s22
	s_cbranch_execz .LBB160_285
; %bb.284:
	v_sub_f32_e64 v17, 2.0, |v5|
	v_add_f32_e64 v19, 0xbfbb16c3, |v5|
	v_cmp_gt_f32_e64 s11, 0x3fdda512, |v5|
	v_add_f32_e64 v20, |v5|, -1.0
	v_cndmask_b32_e64 v19, v17, v19, s11
	v_cndmask_b32_e64 v17, v17, 1.0, s11
	v_cmp_gt_f32_e64 s11, 0x3f9d70a4, |v5|
	v_cvt_i32_f32_e32 v17, v17
	v_cndmask_b32_e64 v19, v19, v20, s11
	v_cndmask_b32_e64 v20, v17, 2, s11
	v_mov_b32_e32 v17, 0
.LBB160_285:
	s_or_b32 exec_lo, exec_lo, s12
	s_mov_b32 s12, exec_lo
	v_cmpx_lt_i32_e32 0, v20
	s_xor_b32 s12, exec_lo, s12
	s_cbranch_execz .LBB160_293
; %bb.286:
	s_mov_b32 s22, exec_lo
	v_cmpx_lt_i32_e32 1, v20
	s_xor_b32 s22, exec_lo, s22
	s_cbranch_execz .LBB160_290
; %bb.287:
	s_mov_b32 s23, exec_lo
	v_cmpx_eq_u32_e32 2, v20
	s_cbranch_execz .LBB160_289
; %bb.288:
	s_mov_b32 s11, 0x3b52d5db
	v_fmaak_f32 v20, s11, v19, 0x3dd572af
	s_mov_b32 s11, 0x3c5b3c5e
	v_fmaak_f32 v21, s11, v19, 0x3e6a7578
	v_fmaak_f32 v20, v19, v20, 0x3f44efdf
	;; [unrolled: 1-line block ×7, first 2 shown]
	v_fma_f32 v20, v19, v20, 1.0
	v_fmaak_f32 v21, v19, v21, 0xbd9e233f
	v_rcp_f32_e32 v20, v20
	v_mul_f32_e32 v21, v19, v21
	v_mul_f32_e32 v20, v21, v20
	v_fmac_f32_e32 v20, -0.5, v19
	v_add_f32_e32 v17, v17, v20
.LBB160_289:
	s_or_b32 exec_lo, exec_lo, s23
                                        ; implicit-def: $vgpr19
.LBB160_290:
	s_andn2_saveexec_b32 s11, s22
	s_cbranch_execz .LBB160_292
; %bb.291:
	v_mul_f32_e32 v20, v19, v19
	s_mov_b32 s22, 0xb9a3f927
	s_mov_b32 s23, 0x39afe9f7
	v_mul_f32_e32 v21, v19, v20
	v_fmaak_f32 v22, s22, v21, 0x3a66f867
	v_fmaak_f32 v23, s23, v21, 0xba0d3085
	s_mov_b32 s22, 0x39a57b6b
	v_fmaak_f32 v24, s22, v21, 0xbab7f476
	v_fmaak_f32 v22, v21, v22, 0xbb7177fe
	;; [unrolled: 1-line block ×9, first 2 shown]
	v_fmac_f32_e32 v22, v19, v23
	v_fmaak_f32 v19, v21, v24, 0x3ef7b95e
	v_fma_f32 v21, v21, -v22, 0xa2863e55
	v_fma_f32 v19, v20, v19, -v21
	v_add_f32_e32 v19, 0xbdf8cdce, v19
	v_add_f32_e32 v17, v17, v19
.LBB160_292:
	s_or_b32 exec_lo, exec_lo, s11
                                        ; implicit-def: $vgpr20
                                        ; implicit-def: $vgpr19
.LBB160_293:
	s_andn2_saveexec_b32 s12, s12
	s_cbranch_execz .LBB160_297
; %bb.294:
	s_mov_b32 s22, exec_lo
	v_cmpx_eq_u32_e32 0, v20
	s_cbranch_execz .LBB160_296
; %bb.295:
	v_mul_f32_e32 v20, v19, v19
	s_mov_b32 s11, 0x383c2c75
	v_fmaak_f32 v21, s11, v20, 0x38e28445
	s_mov_b32 s11, 0x37d383a2
	v_fmaak_f32 v22, s11, v20, 0x39679767
	v_fmaak_f32 v21, v20, v21, 0x3a05b634
	;; [unrolled: 1-line block ×9, first 2 shown]
	v_mul_f32_e32 v20, v20, v21
	v_fmac_f32_e32 v20, v19, v22
	v_fmac_f32_e32 v20, -0.5, v19
	v_add_f32_e32 v17, v17, v20
.LBB160_296:
	s_or_b32 exec_lo, exec_lo, s22
.LBB160_297:
	s_or_b32 exec_lo, exec_lo, s12
.LBB160_298:
	s_or_b32 exec_lo, exec_lo, s21
.LBB160_299:
	s_andn2_saveexec_b32 s12, s13
	s_cbranch_execz .LBB160_301
; %bb.300:
	v_cmp_gt_f32_e64 s13, 0x800000, |v5|
	s_mov_b32 s11, 0x3e8a8991
	v_fma_f32 v21, |v5|, s11, 0xbecd26ab
	v_cndmask_b32_e64 v17, 0, 32, s13
	v_ldexp_f32 v17, |v5|, v17
	v_log_f32_e32 v17, v17
	v_mul_f32_e32 v19, 0x3f317217, v17
	v_cmp_gt_f32_e64 s11, 0x7f800000, |v17|
	v_fma_f32 v20, 0x3f317217, v17, -v19
	v_fmamk_f32 v20, v17, 0x3377d1cf, v20
	v_add_f32_e32 v19, v19, v20
	v_fma_f32 v20, |v5|, v21, 0x3f528d33
	v_cndmask_b32_e64 v17, v17, v19, s11
	v_cndmask_b32_e64 v19, 0, 0x41b17218, s13
	v_fma_f32 v20, |v5|, v20, 0xbf13c468
	v_sub_f32_e32 v17, v17, v19
	v_fma_f32 v17, |v5|, v20, -v17
.LBB160_301:
	s_or_b32 exec_lo, exec_lo, s12
	v_cmp_le_f32_e64 s11, 0, v5
	s_mov_b32 s13, exec_lo
	v_cmpx_nle_f32_e32 0, v5
	s_xor_b32 s21, exec_lo, s13
	s_cbranch_execz .LBB160_305
; %bb.302:
	v_cmp_gt_f32_e64 s12, 0x4b000000, |v5|
	v_cmp_lt_f32_e64 s13, 0x35000000, |v5|
	s_and_b32 s12, s12, s13
	s_and_saveexec_b32 s22, s12
	s_cbranch_execz .LBB160_304
; %bb.303:
	v_mul_f32_e64 v19, |v5|, 0.5
	s_mov_b32 s13, 0x3d4be544
	v_floor_f32_e32 v20, v19
	v_cmp_neq_f32_e64 s12, 0x7f800000, v19
	v_sub_f32_e32 v20, v19, v20
	v_min_f32_e32 v20, 0x3f7fffff, v20
	v_add_f32_e32 v20, v20, v20
	v_cndmask_b32_e64 v19, 0, v20, s12
	v_cmp_gt_f32_e64 s12, |v5|, 1.0
	v_cndmask_b32_e64 v19, |v5|, v19, s12
	s_mov_b32 s12, 0x3e75aa41
	v_add_f32_e32 v20, v19, v19
	v_rndne_f32_e32 v20, v20
	v_fmac_f32_e32 v19, -0.5, v20
	v_cvt_i32_f32_e32 v20, v20
	v_mul_f32_e32 v21, v19, v19
	v_fmaak_f32 v22, s12, v21, 0xbf1f24be
	v_fmaak_f32 v23, s13, v21, 0x3e642e9d
	v_mul_f32_e32 v24, v19, v21
	v_fmaak_f32 v22, v21, v22, 0x40234736
	v_fmaak_f32 v23, v21, v23, 0xbfaad1da
	;; [unrolled: 1-line block ×4, first 2 shown]
	v_mul_f32_e32 v22, v24, v22
	v_fmaak_f32 v23, v21, v23, 0xc09de9e6
	v_and_b32_e32 v24, 1, v20
	v_lshlrev_b32_e32 v20, 30, v20
	v_fmamk_f32 v19, v19, 0x40490fdb, v22
	v_fma_f32 v21, v21, v23, 1.0
	v_cmp_eq_u32_e64 s12, 0, v24
	v_and_or_b32 v18, 0x80000000, v20, v18
	v_cndmask_b32_e64 v19, v21, v19, s12
	v_xor3_b32 v18, v18, v19, v5
	v_mul_f32_e32 v18, v5, v18
	v_frexp_mant_f32_e64 v19, |v18|
	v_frexp_exp_i32_f32_e32 v18, v18
	v_rcp_f32_e32 v19, v19
	v_sub_nc_u32_e32 v18, 2, v18
	v_mul_f32_e32 v19, 0x3f490fdb, v19
	v_ldexp_f32 v18, v19, v18
	v_cmp_gt_f32_e64 s12, 0x800000, v18
	v_cndmask_b32_e64 v19, 0, 32, s12
	v_ldexp_f32 v18, v18, v19
	v_log_f32_e32 v18, v18
	v_mul_f32_e32 v19, 0x3f317217, v18
	v_cmp_gt_f32_e64 s13, 0x7f800000, |v18|
	v_fma_f32 v20, 0x3f317217, v18, -v19
	v_fmamk_f32 v20, v18, 0x3377d1cf, v20
	v_add_f32_e32 v19, v19, v20
	v_floor_f32_e32 v20, v5
	v_cndmask_b32_e64 v18, v18, v19, s13
	v_cndmask_b32_e64 v19, 0, 0x41b17218, s12
	v_sub_f32_e32 v20, v5, v20
	v_sub_f32_e32 v18, v18, v19
	v_min_f32_e32 v19, 0x3f7fffff, v20
	v_sub_f32_e32 v17, v18, v17
	v_cmp_neq_f32_e64 s12, 0, v19
	v_cndmask_b32_e64 v17, 0x7f800000, v17, s12
.LBB160_304:
	s_or_b32 exec_lo, exec_lo, s22
.LBB160_305:
	s_andn2_saveexec_b32 s21, s21
; %bb.306:
	v_cmp_eq_f32_e64 s12, 1.0, v5
	v_cmp_eq_f32_e64 s13, 2.0, v5
	s_or_b32 s12, s12, s13
	v_cndmask_b32_e64 v17, v17, 0, s12
; %bb.307:
	s_or_b32 exec_lo, exec_lo, s21
	v_cmp_gt_f32_e64 s12, 0x4b000000, |v15|
	v_cmp_gt_f32_e64 s13, 0x4b000000, |v12|
	v_cmp_gt_f32_e64 s21, 0x4b000000, |v10|
	s_or_b32 s10, s10, s12
	s_or_b32 s8, s8, s13
	v_cndmask_b32_e64 v16, 0x7f800000, v16, s10
	v_cndmask_b32_e64 v13, 0x7f800000, v13, s8
	v_cmp_class_f32_e64 s8, v15, 0x264
	v_cmp_gt_f32_e64 s10, 0x4b000000, |v7|
	v_cndmask_b32_e64 v16, v16, 0x7f800000, s8
	v_cmp_class_f32_e64 s8, v12, 0x264
	s_or_b32 s5, s5, s10
	v_cndmask_b32_e64 v8, 0x7f800000, v8, s5
	v_cmp_u_f32_e64 s5, v10, v10
	v_cndmask_b32_e64 v13, v13, 0x7f800000, s8
	s_or_b32 s8, s9, s21
	v_cndmask_b32_e64 v14, 0x7f800000, v14, s8
	v_cmp_u_f32_e64 s8, v15, v15
	v_cndmask_b32_e64 v15, v16, v15, s8
	v_cmp_u_f32_e64 s8, v12, v12
	v_cndmask_b32_e64 v12, v13, v12, s8
	v_cmp_class_f32_e64 s8, v10, 0x264
	v_bfe_u32 v16, v12, 16, 1
	v_cndmask_b32_e64 v13, v14, 0x7f800000, s8
	v_bfe_u32 v14, v15, 16, 1
	v_cmp_gt_f32_e64 s8, 0x4b000000, |v9|
	v_cndmask_b32_e64 v10, v13, v10, s5
	v_cmp_class_f32_e64 s5, v7, 0x264
	v_add3_u32 v13, v15, v14, 0x7fff
	v_add3_u32 v14, v12, v16, 0x7fff
	v_bfe_u32 v16, v10, 16, 1
	v_cndmask_b32_e64 v8, v8, 0x7f800000, s5
	v_cmp_u_f32_e64 s5, v7, v7
	v_cndmask_b32_e64 v7, v8, v7, s5
	v_lshrrev_b32_e32 v8, 16, v13
	v_lshrrev_b32_e32 v13, 16, v14
	v_cmp_o_f32_e64 s5, v12, v12
	v_add3_u32 v14, v10, v16, 0x7fff
	v_bfe_u32 v16, v7, 16, 1
	v_cndmask_b32_e64 v12, 0x7fc0, v13, s5
	s_or_b32 s5, s7, s8
	v_and_b32_e32 v13, 0xffff0000, v14
	v_cndmask_b32_e64 v11, 0x7f800000, v11, s5
	v_cmp_o_f32_e64 s5, v10, v10
	v_cmp_gt_f32_e64 s7, 0x4b000000, |v2|
	v_cmp_gt_f32_e64 s8, 0x4b000000, |v4|
	v_add3_u32 v14, v7, v16, 0x7fff
	v_cndmask_b32_e64 v10, 0x7fc00000, v13, s5
	v_cmp_class_f32_e64 s5, v9, 0x264
	s_or_b32 vcc_lo, vcc_lo, s7
	v_lshrrev_b32_e32 v13, 16, v14
	v_cndmask_b32_e32 v3, 0x7f800000, v3, vcc_lo
	s_or_b32 vcc_lo, s4, s8
	v_cmp_class_f32_e64 s4, v2, 0x264
	v_cndmask_b32_e64 v11, v11, 0x7f800000, s5
	v_cmp_o_f32_e64 s5, v7, v7
	v_cndmask_b32_e32 v6, 0x7f800000, v6, vcc_lo
	v_cmp_u_f32_e32 vcc_lo, v2, v2
	v_cndmask_b32_e64 v3, v3, 0x7f800000, s4
	v_cmp_class_f32_e64 s4, v4, 0x264
	v_cndmask_b32_e64 v7, 0x7fc0, v13, s5
	v_cmp_u_f32_e64 s5, v9, v9
	v_cndmask_b32_e32 v2, v3, v2, vcc_lo
	v_cndmask_b32_e64 v6, v6, 0x7f800000, s4
	v_cmp_gt_f32_e64 s4, 0x4b000000, |v5|
	v_cmp_u_f32_e32 vcc_lo, v4, v4
	v_cndmask_b32_e64 v9, v11, v9, s5
	v_cndmask_b32_e32 v3, v6, v4, vcc_lo
	s_or_b32 vcc_lo, s11, s4
	v_bfe_u32 v11, v9, 16, 1
	v_cndmask_b32_e32 v4, 0x7f800000, v17, vcc_lo
	v_cmp_class_f32_e64 s4, v5, 0x264
	v_bfe_u32 v6, v2, 16, 1
	v_cmp_u_f32_e32 vcc_lo, v5, v5
	v_add3_u32 v11, v9, v11, 0x7fff
	v_bfe_u32 v13, v3, 16, 1
	v_cndmask_b32_e64 v4, v4, 0x7f800000, s4
	v_add3_u32 v6, v2, v6, 0x7fff
	s_add_u32 s4, s16, s14
	v_and_b32_e32 v11, 0xffff0000, v11
	v_add3_u32 v13, v3, v13, 0x7fff
	v_cndmask_b32_e32 v4, v4, v5, vcc_lo
	v_cmp_o_f32_e32 vcc_lo, v9, v9
	v_lshrrev_b32_e32 v5, 16, v6
	s_addc_u32 s5, s17, s15
	v_and_b32_e32 v9, 0xffff0000, v13
	v_cndmask_b32_e32 v6, 0x7fc00000, v11, vcc_lo
	v_cmp_o_f32_e32 vcc_lo, v2, v2
	v_bfe_u32 v11, v4, 16, 1
	v_or_b32_e32 v6, v6, v7
	v_cndmask_b32_e32 v2, 0x7fc0, v5, vcc_lo
	v_cmp_o_f32_e32 vcc_lo, v3, v3
	v_add3_u32 v5, v4, v11, 0x7fff
	v_cndmask_b32_e32 v3, 0x7fc00000, v9, vcc_lo
	v_cmp_o_f32_e32 vcc_lo, v15, v15
	v_or_b32_e32 v9, v10, v12
	v_or_b32_e32 v7, v3, v2
	v_cndmask_b32_e32 v8, 0x7fc0, v8, vcc_lo
	v_and_b32_e32 v2, 0xffff0000, v5
	v_cmp_o_f32_e32 vcc_lo, v4, v4
	v_add_co_u32 v3, s7, s4, v1
	v_add_co_ci_u32_e64 v5, null, s5, 0, s7
	v_cndmask_b32_e32 v4, 0x7fc00000, v2, vcc_lo
	v_add_co_u32 v2, vcc_lo, 0x800, v3
	v_add_co_ci_u32_e64 v3, null, 0, v5, vcc_lo
	v_or_b32_e32 v4, v4, v8
	global_store_dword v1, v7, s[4:5]
	global_store_dword v1, v6, s[4:5] offset:1024
	global_store_dword v[2:3], v9, off
	global_store_dword v[2:3], v4, off offset:1024
	s_branch .LBB160_2
.LBB160_308:
	v_mov_b32_e32 v31, v0
	v_mov_b32_e32 v0, s16
	;; [unrolled: 1-line block ×6, first 2 shown]
	s_getpc_b64 s[4:5]
	s_add_u32 s4, s4, _ZN2at6native25elementwise_kernel_helperILb0EZZZNS0_18lgamma_kernel_cudaERNS_18TensorIteratorBaseEENKUlvE_clEvENKUlvE2_clEvEUlN3c108BFloat16EE_NS0_6memory8policies11unroll_baseILi256ESt5arrayIPcLm2EE23TrivialOffsetCalculatorILi1EjESG_NS9_15LoadWithoutCastENS9_16StoreWithoutCastELi8ELi1EEEEEvT0_T1_@rel32@lo+4
	s_addc_u32 s5, s5, _ZN2at6native25elementwise_kernel_helperILb0EZZZNS0_18lgamma_kernel_cudaERNS_18TensorIteratorBaseEENKUlvE_clEvENKUlvE2_clEvEUlN3c108BFloat16EE_NS0_6memory8policies11unroll_baseILi256ESt5arrayIPcLm2EE23TrivialOffsetCalculatorILi1EjESG_NS9_15LoadWithoutCastENS9_16StoreWithoutCastELi8ELi1EEEEEvT0_T1_@rel32@hi+12
	s_mov_b32 s12, s6
	s_swappc_b64 s[30:31], s[4:5]
	s_endpgm
	.section	.rodata,"a",@progbits
	.p2align	6, 0x0
	.amdhsa_kernel _ZN2at6native29vectorized_elementwise_kernelILi2EZZZNS0_18lgamma_kernel_cudaERNS_18TensorIteratorBaseEENKUlvE_clEvENKUlvE2_clEvEUlN3c108BFloat16EE_St5arrayIPcLm2EEEEviT0_T1_
		.amdhsa_group_segment_fixed_size 0
		.amdhsa_private_segment_fixed_size 0
		.amdhsa_kernarg_size 24
		.amdhsa_user_sgpr_count 6
		.amdhsa_user_sgpr_private_segment_buffer 1
		.amdhsa_user_sgpr_dispatch_ptr 0
		.amdhsa_user_sgpr_queue_ptr 0
		.amdhsa_user_sgpr_kernarg_segment_ptr 1
		.amdhsa_user_sgpr_dispatch_id 0
		.amdhsa_user_sgpr_flat_scratch_init 0
		.amdhsa_user_sgpr_private_segment_size 0
		.amdhsa_wavefront_size32 1
		.amdhsa_uses_dynamic_stack 0
		.amdhsa_system_sgpr_private_segment_wavefront_offset 0
		.amdhsa_system_sgpr_workgroup_id_x 1
		.amdhsa_system_sgpr_workgroup_id_y 0
		.amdhsa_system_sgpr_workgroup_id_z 0
		.amdhsa_system_sgpr_workgroup_info 0
		.amdhsa_system_vgpr_workitem_id 0
		.amdhsa_next_free_vgpr 32
		.amdhsa_next_free_sgpr 33
		.amdhsa_reserve_vcc 1
		.amdhsa_reserve_flat_scratch 0
		.amdhsa_float_round_mode_32 0
		.amdhsa_float_round_mode_16_64 0
		.amdhsa_float_denorm_mode_32 3
		.amdhsa_float_denorm_mode_16_64 3
		.amdhsa_dx10_clamp 1
		.amdhsa_ieee_mode 1
		.amdhsa_fp16_overflow 0
		.amdhsa_workgroup_processor_mode 1
		.amdhsa_memory_ordered 1
		.amdhsa_forward_progress 1
		.amdhsa_shared_vgpr_count 0
		.amdhsa_exception_fp_ieee_invalid_op 0
		.amdhsa_exception_fp_denorm_src 0
		.amdhsa_exception_fp_ieee_div_zero 0
		.amdhsa_exception_fp_ieee_overflow 0
		.amdhsa_exception_fp_ieee_underflow 0
		.amdhsa_exception_fp_ieee_inexact 0
		.amdhsa_exception_int_div_zero 0
	.end_amdhsa_kernel
	.section	.text._ZN2at6native29vectorized_elementwise_kernelILi2EZZZNS0_18lgamma_kernel_cudaERNS_18TensorIteratorBaseEENKUlvE_clEvENKUlvE2_clEvEUlN3c108BFloat16EE_St5arrayIPcLm2EEEEviT0_T1_,"axG",@progbits,_ZN2at6native29vectorized_elementwise_kernelILi2EZZZNS0_18lgamma_kernel_cudaERNS_18TensorIteratorBaseEENKUlvE_clEvENKUlvE2_clEvEUlN3c108BFloat16EE_St5arrayIPcLm2EEEEviT0_T1_,comdat
.Lfunc_end160:
	.size	_ZN2at6native29vectorized_elementwise_kernelILi2EZZZNS0_18lgamma_kernel_cudaERNS_18TensorIteratorBaseEENKUlvE_clEvENKUlvE2_clEvEUlN3c108BFloat16EE_St5arrayIPcLm2EEEEviT0_T1_, .Lfunc_end160-_ZN2at6native29vectorized_elementwise_kernelILi2EZZZNS0_18lgamma_kernel_cudaERNS_18TensorIteratorBaseEENKUlvE_clEvENKUlvE2_clEvEUlN3c108BFloat16EE_St5arrayIPcLm2EEEEviT0_T1_
                                        ; -- End function
	.set _ZN2at6native29vectorized_elementwise_kernelILi2EZZZNS0_18lgamma_kernel_cudaERNS_18TensorIteratorBaseEENKUlvE_clEvENKUlvE2_clEvEUlN3c108BFloat16EE_St5arrayIPcLm2EEEEviT0_T1_.num_vgpr, max(32, .L_ZN2at6native25elementwise_kernel_helperILb0EZZZNS0_18lgamma_kernel_cudaERNS_18TensorIteratorBaseEENKUlvE_clEvENKUlvE2_clEvEUlN3c108BFloat16EE_NS0_6memory8policies11unroll_baseILi256ESt5arrayIPcLm2EE23TrivialOffsetCalculatorILi1EjESG_NS9_15LoadWithoutCastENS9_16StoreWithoutCastELi8ELi1EEEEEvT0_T1_.num_vgpr)
	.set _ZN2at6native29vectorized_elementwise_kernelILi2EZZZNS0_18lgamma_kernel_cudaERNS_18TensorIteratorBaseEENKUlvE_clEvENKUlvE2_clEvEUlN3c108BFloat16EE_St5arrayIPcLm2EEEEviT0_T1_.num_agpr, max(0, .L_ZN2at6native25elementwise_kernel_helperILb0EZZZNS0_18lgamma_kernel_cudaERNS_18TensorIteratorBaseEENKUlvE_clEvENKUlvE2_clEvEUlN3c108BFloat16EE_NS0_6memory8policies11unroll_baseILi256ESt5arrayIPcLm2EE23TrivialOffsetCalculatorILi1EjESG_NS9_15LoadWithoutCastENS9_16StoreWithoutCastELi8ELi1EEEEEvT0_T1_.num_agpr)
	.set _ZN2at6native29vectorized_elementwise_kernelILi2EZZZNS0_18lgamma_kernel_cudaERNS_18TensorIteratorBaseEENKUlvE_clEvENKUlvE2_clEvEUlN3c108BFloat16EE_St5arrayIPcLm2EEEEviT0_T1_.numbered_sgpr, max(33, .L_ZN2at6native25elementwise_kernel_helperILb0EZZZNS0_18lgamma_kernel_cudaERNS_18TensorIteratorBaseEENKUlvE_clEvENKUlvE2_clEvEUlN3c108BFloat16EE_NS0_6memory8policies11unroll_baseILi256ESt5arrayIPcLm2EE23TrivialOffsetCalculatorILi1EjESG_NS9_15LoadWithoutCastENS9_16StoreWithoutCastELi8ELi1EEEEEvT0_T1_.numbered_sgpr)
	.set _ZN2at6native29vectorized_elementwise_kernelILi2EZZZNS0_18lgamma_kernel_cudaERNS_18TensorIteratorBaseEENKUlvE_clEvENKUlvE2_clEvEUlN3c108BFloat16EE_St5arrayIPcLm2EEEEviT0_T1_.num_named_barrier, max(0, .L_ZN2at6native25elementwise_kernel_helperILb0EZZZNS0_18lgamma_kernel_cudaERNS_18TensorIteratorBaseEENKUlvE_clEvENKUlvE2_clEvEUlN3c108BFloat16EE_NS0_6memory8policies11unroll_baseILi256ESt5arrayIPcLm2EE23TrivialOffsetCalculatorILi1EjESG_NS9_15LoadWithoutCastENS9_16StoreWithoutCastELi8ELi1EEEEEvT0_T1_.num_named_barrier)
	.set _ZN2at6native29vectorized_elementwise_kernelILi2EZZZNS0_18lgamma_kernel_cudaERNS_18TensorIteratorBaseEENKUlvE_clEvENKUlvE2_clEvEUlN3c108BFloat16EE_St5arrayIPcLm2EEEEviT0_T1_.private_seg_size, 0+max(.L_ZN2at6native25elementwise_kernel_helperILb0EZZZNS0_18lgamma_kernel_cudaERNS_18TensorIteratorBaseEENKUlvE_clEvENKUlvE2_clEvEUlN3c108BFloat16EE_NS0_6memory8policies11unroll_baseILi256ESt5arrayIPcLm2EE23TrivialOffsetCalculatorILi1EjESG_NS9_15LoadWithoutCastENS9_16StoreWithoutCastELi8ELi1EEEEEvT0_T1_.private_seg_size)
	.set _ZN2at6native29vectorized_elementwise_kernelILi2EZZZNS0_18lgamma_kernel_cudaERNS_18TensorIteratorBaseEENKUlvE_clEvENKUlvE2_clEvEUlN3c108BFloat16EE_St5arrayIPcLm2EEEEviT0_T1_.uses_vcc, or(1, .L_ZN2at6native25elementwise_kernel_helperILb0EZZZNS0_18lgamma_kernel_cudaERNS_18TensorIteratorBaseEENKUlvE_clEvENKUlvE2_clEvEUlN3c108BFloat16EE_NS0_6memory8policies11unroll_baseILi256ESt5arrayIPcLm2EE23TrivialOffsetCalculatorILi1EjESG_NS9_15LoadWithoutCastENS9_16StoreWithoutCastELi8ELi1EEEEEvT0_T1_.uses_vcc)
	.set _ZN2at6native29vectorized_elementwise_kernelILi2EZZZNS0_18lgamma_kernel_cudaERNS_18TensorIteratorBaseEENKUlvE_clEvENKUlvE2_clEvEUlN3c108BFloat16EE_St5arrayIPcLm2EEEEviT0_T1_.uses_flat_scratch, or(0, .L_ZN2at6native25elementwise_kernel_helperILb0EZZZNS0_18lgamma_kernel_cudaERNS_18TensorIteratorBaseEENKUlvE_clEvENKUlvE2_clEvEUlN3c108BFloat16EE_NS0_6memory8policies11unroll_baseILi256ESt5arrayIPcLm2EE23TrivialOffsetCalculatorILi1EjESG_NS9_15LoadWithoutCastENS9_16StoreWithoutCastELi8ELi1EEEEEvT0_T1_.uses_flat_scratch)
	.set _ZN2at6native29vectorized_elementwise_kernelILi2EZZZNS0_18lgamma_kernel_cudaERNS_18TensorIteratorBaseEENKUlvE_clEvENKUlvE2_clEvEUlN3c108BFloat16EE_St5arrayIPcLm2EEEEviT0_T1_.has_dyn_sized_stack, or(0, .L_ZN2at6native25elementwise_kernel_helperILb0EZZZNS0_18lgamma_kernel_cudaERNS_18TensorIteratorBaseEENKUlvE_clEvENKUlvE2_clEvEUlN3c108BFloat16EE_NS0_6memory8policies11unroll_baseILi256ESt5arrayIPcLm2EE23TrivialOffsetCalculatorILi1EjESG_NS9_15LoadWithoutCastENS9_16StoreWithoutCastELi8ELi1EEEEEvT0_T1_.has_dyn_sized_stack)
	.set _ZN2at6native29vectorized_elementwise_kernelILi2EZZZNS0_18lgamma_kernel_cudaERNS_18TensorIteratorBaseEENKUlvE_clEvENKUlvE2_clEvEUlN3c108BFloat16EE_St5arrayIPcLm2EEEEviT0_T1_.has_recursion, or(0, .L_ZN2at6native25elementwise_kernel_helperILb0EZZZNS0_18lgamma_kernel_cudaERNS_18TensorIteratorBaseEENKUlvE_clEvENKUlvE2_clEvEUlN3c108BFloat16EE_NS0_6memory8policies11unroll_baseILi256ESt5arrayIPcLm2EE23TrivialOffsetCalculatorILi1EjESG_NS9_15LoadWithoutCastENS9_16StoreWithoutCastELi8ELi1EEEEEvT0_T1_.has_recursion)
	.set _ZN2at6native29vectorized_elementwise_kernelILi2EZZZNS0_18lgamma_kernel_cudaERNS_18TensorIteratorBaseEENKUlvE_clEvENKUlvE2_clEvEUlN3c108BFloat16EE_St5arrayIPcLm2EEEEviT0_T1_.has_indirect_call, or(0, .L_ZN2at6native25elementwise_kernel_helperILb0EZZZNS0_18lgamma_kernel_cudaERNS_18TensorIteratorBaseEENKUlvE_clEvENKUlvE2_clEvEUlN3c108BFloat16EE_NS0_6memory8policies11unroll_baseILi256ESt5arrayIPcLm2EE23TrivialOffsetCalculatorILi1EjESG_NS9_15LoadWithoutCastENS9_16StoreWithoutCastELi8ELi1EEEEEvT0_T1_.has_indirect_call)
	.section	.AMDGPU.csdata,"",@progbits
; Kernel info:
; codeLenInByte = 19284
; TotalNumSgprs: 35
; NumVgprs: 32
; ScratchSize: 0
; MemoryBound: 0
; FloatMode: 240
; IeeeMode: 1
; LDSByteSize: 0 bytes/workgroup (compile time only)
; SGPRBlocks: 0
; VGPRBlocks: 3
; NumSGPRsForWavesPerEU: 35
; NumVGPRsForWavesPerEU: 32
; Occupancy: 16
; WaveLimiterHint : 1
; COMPUTE_PGM_RSRC2:SCRATCH_EN: 0
; COMPUTE_PGM_RSRC2:USER_SGPR: 6
; COMPUTE_PGM_RSRC2:TRAP_HANDLER: 0
; COMPUTE_PGM_RSRC2:TGID_X_EN: 1
; COMPUTE_PGM_RSRC2:TGID_Y_EN: 0
; COMPUTE_PGM_RSRC2:TGID_Z_EN: 0
; COMPUTE_PGM_RSRC2:TIDIG_COMP_CNT: 0
	.section	.text._ZN2at6native27unrolled_elementwise_kernelIZZZNS0_18lgamma_kernel_cudaERNS_18TensorIteratorBaseEENKUlvE_clEvENKUlvE2_clEvEUlN3c108BFloat16EE_St5arrayIPcLm2EELi4E23TrivialOffsetCalculatorILi1EjESD_NS0_6memory15LoadWithoutCastENSE_16StoreWithoutCastEEEviT_T0_T2_T3_T4_T5_,"axG",@progbits,_ZN2at6native27unrolled_elementwise_kernelIZZZNS0_18lgamma_kernel_cudaERNS_18TensorIteratorBaseEENKUlvE_clEvENKUlvE2_clEvEUlN3c108BFloat16EE_St5arrayIPcLm2EELi4E23TrivialOffsetCalculatorILi1EjESD_NS0_6memory15LoadWithoutCastENSE_16StoreWithoutCastEEEviT_T0_T2_T3_T4_T5_,comdat
	.globl	_ZN2at6native27unrolled_elementwise_kernelIZZZNS0_18lgamma_kernel_cudaERNS_18TensorIteratorBaseEENKUlvE_clEvENKUlvE2_clEvEUlN3c108BFloat16EE_St5arrayIPcLm2EELi4E23TrivialOffsetCalculatorILi1EjESD_NS0_6memory15LoadWithoutCastENSE_16StoreWithoutCastEEEviT_T0_T2_T3_T4_T5_ ; -- Begin function _ZN2at6native27unrolled_elementwise_kernelIZZZNS0_18lgamma_kernel_cudaERNS_18TensorIteratorBaseEENKUlvE_clEvENKUlvE2_clEvEUlN3c108BFloat16EE_St5arrayIPcLm2EELi4E23TrivialOffsetCalculatorILi1EjESD_NS0_6memory15LoadWithoutCastENSE_16StoreWithoutCastEEEviT_T0_T2_T3_T4_T5_
	.p2align	8
	.type	_ZN2at6native27unrolled_elementwise_kernelIZZZNS0_18lgamma_kernel_cudaERNS_18TensorIteratorBaseEENKUlvE_clEvENKUlvE2_clEvEUlN3c108BFloat16EE_St5arrayIPcLm2EELi4E23TrivialOffsetCalculatorILi1EjESD_NS0_6memory15LoadWithoutCastENSE_16StoreWithoutCastEEEviT_T0_T2_T3_T4_T5_,@function
_ZN2at6native27unrolled_elementwise_kernelIZZZNS0_18lgamma_kernel_cudaERNS_18TensorIteratorBaseEENKUlvE_clEvENKUlvE2_clEvEUlN3c108BFloat16EE_St5arrayIPcLm2EELi4E23TrivialOffsetCalculatorILi1EjESD_NS0_6memory15LoadWithoutCastENSE_16StoreWithoutCastEEEviT_T0_T2_T3_T4_T5_: ; @_ZN2at6native27unrolled_elementwise_kernelIZZZNS0_18lgamma_kernel_cudaERNS_18TensorIteratorBaseEENKUlvE_clEvENKUlvE2_clEvEUlN3c108BFloat16EE_St5arrayIPcLm2EELi4E23TrivialOffsetCalculatorILi1EjESD_NS0_6memory15LoadWithoutCastENSE_16StoreWithoutCastEEEviT_T0_T2_T3_T4_T5_
; %bb.0:
	s_clause 0x1
	s_load_dword s0, s[4:5], 0x0
	s_load_dwordx4 s[8:11], s[4:5], 0x8
	s_lshl_b32 s3, s6, 10
	v_mov_b32_e32 v6, 0
	v_mov_b32_e32 v7, 0
	v_or_b32_e32 v1, s3, v0
	v_or_b32_e32 v3, 0x100, v0
	v_mov_b32_e32 v4, v0
	s_waitcnt lgkmcnt(0)
	s_sub_i32 s4, s0, s3
	v_cmp_gt_i32_e64 s0, s4, v0
	s_and_saveexec_b32 s1, s0
	s_cbranch_execz .LBB161_2
; %bb.1:
	v_mov_b32_e32 v2, 0
	v_lshlrev_b64 v[4:5], 1, v[1:2]
	v_add_co_u32 v4, vcc_lo, s10, v4
	v_add_co_ci_u32_e64 v5, null, s11, v5, vcc_lo
	global_load_ushort v2, v[4:5], off
	v_or_b32_e32 v4, 0x100, v0
	s_waitcnt vmcnt(0)
	v_lshlrev_b32_e32 v7, 16, v2
.LBB161_2:
	s_or_b32 exec_lo, exec_lo, s1
	s_mov_b32 s1, exec_lo
	v_cmpx_gt_i32_e64 s4, v4
	s_cbranch_execz .LBB161_4
; %bb.3:
	v_add_nc_u32_e32 v5, s3, v4
	v_mov_b32_e32 v6, 0
	v_add_nc_u32_e32 v4, 0x100, v4
	v_lshlrev_b64 v[5:6], 1, v[5:6]
	v_add_co_u32 v5, vcc_lo, s10, v5
	v_add_co_ci_u32_e64 v6, null, s11, v6, vcc_lo
	global_load_ushort v2, v[5:6], off
	s_waitcnt vmcnt(0)
	v_lshlrev_b32_e32 v6, 16, v2
.LBB161_4:
	s_or_b32 exec_lo, exec_lo, s1
	v_mov_b32_e32 v2, 0
	v_mov_b32_e32 v5, 0
	s_mov_b32 s1, exec_lo
	v_cmpx_gt_i32_e64 s4, v4
	s_cbranch_execz .LBB161_8
; %bb.5:
	v_add_nc_u32_e32 v8, s3, v4
	v_mov_b32_e32 v9, 0
	v_add_nc_u32_e32 v4, 0x100, v4
	v_lshlrev_b64 v[8:9], 1, v[8:9]
	v_add_co_u32 v8, vcc_lo, s10, v8
	v_add_co_ci_u32_e64 v9, null, s11, v9, vcc_lo
	global_load_ushort v5, v[8:9], off
	s_waitcnt vmcnt(0)
	v_lshlrev_b32_e32 v5, 16, v5
	s_or_b32 exec_lo, exec_lo, s1
	s_mov_b32 s1, exec_lo
	v_cmpx_gt_i32_e64 s4, v4
	s_cbranch_execnz .LBB161_9
.LBB161_6:
	s_or_b32 exec_lo, exec_lo, s1
                                        ; implicit-def: $vgpr4
	s_and_saveexec_b32 s5, s0
	s_cbranch_execnz .LBB161_10
.LBB161_7:
	s_or_b32 exec_lo, exec_lo, s5
	s_mov_b32 s5, exec_lo
                                        ; implicit-def: $vgpr7
	v_cmpx_gt_i32_e64 s4, v3
	s_cbranch_execz .LBB161_88
	s_branch .LBB161_49
.LBB161_8:
	s_or_b32 exec_lo, exec_lo, s1
	s_mov_b32 s1, exec_lo
	v_cmpx_gt_i32_e64 s4, v4
	s_cbranch_execz .LBB161_6
.LBB161_9:
	v_add_nc_u32_e32 v8, s3, v4
	v_mov_b32_e32 v9, 0
	v_lshlrev_b64 v[8:9], 1, v[8:9]
	v_add_co_u32 v8, vcc_lo, s10, v8
	v_add_co_ci_u32_e64 v9, null, s11, v9, vcc_lo
	global_load_ushort v2, v[8:9], off
	s_waitcnt vmcnt(0)
	v_lshlrev_b32_e32 v2, 16, v2
	s_or_b32 exec_lo, exec_lo, s1
                                        ; implicit-def: $vgpr4
	s_and_saveexec_b32 s5, s0
	s_cbranch_execz .LBB161_7
.LBB161_10:
	v_and_b32_e32 v4, 0x7fffffff, v7
	s_mov_b32 s2, exec_lo
                                        ; implicit-def: $vgpr8
	v_cmpx_ngt_f32_e64 0x3c800000, |v7|
	s_xor_b32 s2, exec_lo, s2
	s_cbranch_execz .LBB161_40
; %bb.11:
	s_mov_b32 s6, exec_lo
                                        ; implicit-def: $vgpr8
	v_cmpx_nlt_f32_e64 |v7|, 2.0
	s_xor_b32 s6, exec_lo, s6
	s_cbranch_execz .LBB161_21
; %bb.12:
	v_cmp_ngt_f32_e64 s1, 0x41000000, |v7|
                                        ; implicit-def: $vgpr8
	s_and_saveexec_b32 s7, s1
	s_xor_b32 s1, exec_lo, s7
	s_cbranch_execz .LBB161_18
; %bb.13:
	v_cmp_ngt_f32_e64 s7, 0x5c800000, |v7|
                                        ; implicit-def: $vgpr8
	s_and_saveexec_b32 s10, s7
	s_xor_b32 s7, exec_lo, s10
	s_cbranch_execz .LBB161_15
; %bb.14:
	v_cmp_gt_f32_e64 s10, 0x800000, |v7|
	v_cndmask_b32_e64 v8, 0, 32, s10
	v_ldexp_f32 v8, |v7|, v8
	v_log_f32_e32 v8, v8
	v_mul_f32_e32 v9, 0x3f317217, v8
	v_cmp_gt_f32_e64 vcc_lo, 0x7f800000, |v8|
	v_fma_f32 v10, 0x3f317217, v8, -v9
	v_fmamk_f32 v10, v8, 0x3377d1cf, v10
	v_add_f32_e32 v9, v9, v10
	v_cndmask_b32_e32 v8, v8, v9, vcc_lo
	v_cndmask_b32_e64 v9, 0, 0x41b17218, s10
	v_sub_f32_e32 v8, v8, v9
	v_fma_f32 v8, |v7|, v8, -|v7|
.LBB161_15:
	s_andn2_saveexec_b32 s7, s7
	s_cbranch_execz .LBB161_17
; %bb.16:
	v_cmp_gt_f32_e64 s10, 0x800000, |v7|
	v_rcp_f32_e64 v9, |v7|
	s_mov_b32 s11, 0xbad5c4e8
	v_cndmask_b32_e64 v8, 0, 32, s10
	v_ldexp_f32 v8, |v7|, v8
	v_mul_f32_e32 v10, v9, v9
	v_log_f32_e32 v8, v8
	v_fmaak_f32 v12, s11, v10, 0x3a5b3dd2
	v_fmaak_f32 v12, v10, v12, 0xba1c065c
	v_mul_f32_e32 v11, 0x3f317217, v8
	v_fmaak_f32 v12, v10, v12, 0x3a500cfd
	v_cmp_gt_f32_e64 vcc_lo, 0x7f800000, |v8|
	v_fma_f32 v13, 0x3f317217, v8, -v11
	v_fmaak_f32 v12, v10, v12, 0xbb360b61
	v_fmamk_f32 v13, v8, 0x3377d1cf, v13
	v_fmaak_f32 v10, v10, v12, 0x3daaaaab
	v_add_f32_e32 v11, v11, v13
	v_cndmask_b32_e32 v8, v8, v11, vcc_lo
	v_cndmask_b32_e64 v11, 0, 0x41b17218, s10
	v_sub_f32_e32 v11, v8, v11
	v_fmaak_f32 v8, v9, v10, 0x3ed67f1d
	v_add_f32_e64 v9, |v7|, -0.5
	v_add_f32_e32 v10, -1.0, v11
	v_fmac_f32_e32 v8, v9, v10
.LBB161_17:
	s_or_b32 exec_lo, exec_lo, s7
.LBB161_18:
	s_andn2_saveexec_b32 s7, s1
	s_cbranch_execz .LBB161_20
; %bb.19:
	v_cvt_i32_f32_e32 v8, v4
	s_mov_b32 s1, 0x36f5d7bd
	s_mov_b32 s10, 0x3805ff67
	v_cvt_f32_i32_e32 v9, v8
	v_cmp_lt_i32_e32 vcc_lo, 2, v8
	v_sub_f32_e64 v9, |v7|, v9
	v_add_f32_e32 v10, 2.0, v9
	v_add_f32_e32 v11, 0x40400000, v9
	v_add_f32_e32 v12, 4.0, v9
	v_add_f32_e32 v13, 0x40a00000, v9
	v_cndmask_b32_e32 v10, 1.0, v10, vcc_lo
	v_cmp_lt_i32_e32 vcc_lo, 3, v8
	v_cndmask_b32_e32 v11, 1.0, v11, vcc_lo
	v_cmp_lt_i32_e32 vcc_lo, 4, v8
	v_mul_f32_e32 v10, v10, v11
	v_cndmask_b32_e32 v12, 1.0, v12, vcc_lo
	v_cmp_lt_i32_e32 vcc_lo, 5, v8
	v_add_f32_e32 v11, 0x40c00000, v9
	v_mul_f32_e32 v10, v12, v10
	v_cndmask_b32_e32 v13, 1.0, v13, vcc_lo
	v_cmp_lt_i32_e32 vcc_lo, 6, v8
	v_fmaak_f32 v12, s10, v9, 0x3af135b4
	v_mul_f32_e32 v10, v13, v10
	v_cndmask_b32_e32 v8, 1.0, v11, vcc_lo
	v_mul_f32_e32 v8, v8, v10
	v_fmaak_f32 v10, s1, v9, 0x3a4beed6
	v_cmp_gt_f32_e32 vcc_lo, 0x800000, v8
	v_fmaak_f32 v10, v9, v10, 0x3c98bf54
	v_cndmask_b32_e64 v11, 0, 32, vcc_lo
	v_fmaak_f32 v10, v9, v10, 0x3e300f6e
	v_ldexp_f32 v8, v8, v11
	v_fmaak_f32 v11, v9, v12, 0x3cda40e4
	v_fmaak_f32 v10, v9, v10, 0x3f38d0c5
	v_log_f32_e32 v8, v8
	v_fmaak_f32 v11, v9, v11, 0x3e15dce6
	v_fmaak_f32 v10, v9, v10, 0x3fb22d3b
	;; [unrolled: 1-line block ×3, first 2 shown]
	v_fma_f32 v10, v9, v10, 1.0
	v_mul_f32_e32 v12, 0x3f317217, v8
	v_fmaak_f32 v11, v9, v11, 0x3e5c245a
	v_rcp_f32_e32 v10, v10
	v_cmp_gt_f32_e64 s1, 0x7f800000, |v8|
	v_fma_f32 v13, 0x3f317217, v8, -v12
	v_fmaak_f32 v11, v9, v11, 0xbd9e233f
	v_fmamk_f32 v13, v8, 0x3377d1cf, v13
	v_mul_f32_e32 v11, v9, v11
	v_add_f32_e32 v12, v12, v13
	v_mul_f32_e32 v10, v11, v10
	v_cndmask_b32_e64 v11, 0, 0x41b17218, vcc_lo
	v_cndmask_b32_e64 v8, v8, v12, s1
	v_fmac_f32_e32 v10, 0.5, v9
	v_sub_f32_e32 v8, v8, v11
	v_add_f32_e32 v8, v8, v10
.LBB161_20:
	s_or_b32 exec_lo, exec_lo, s7
.LBB161_21:
	s_andn2_saveexec_b32 s6, s6
	s_cbranch_execz .LBB161_39
; %bb.22:
	s_mov_b32 s7, exec_lo
                                        ; implicit-def: $vgpr8
                                        ; implicit-def: $vgpr10
                                        ; implicit-def: $vgpr9
	v_cmpx_ge_f32_e64 0x3f666666, |v7|
	s_xor_b32 s7, exec_lo, s7
	s_cbranch_execz .LBB161_24
; %bb.23:
	v_cmp_gt_f32_e64 s1, 0x800000, |v7|
	v_sub_f32_e64 v11, 1.0, |v7|
	v_cmp_gt_f32_e64 vcc_lo, 0x3f3b4a23, |v7|
	v_cndmask_b32_e64 v8, 0, 32, s1
	v_cndmask_b32_e64 v12, 0, 0x41b17218, s1
	v_ldexp_f32 v8, |v7|, v8
	v_log_f32_e32 v8, v8
	v_mul_f32_e32 v9, 0x3f317217, v8
	v_cmp_gt_f32_e64 s1, 0x7f800000, |v8|
	v_fma_f32 v10, 0x3f317217, v8, -v9
	v_fmamk_f32 v10, v8, 0x3377d1cf, v10
	v_add_f32_e32 v9, v9, v10
	v_add_f32_e64 v10, 0xbeec5b0c, |v7|
	v_cndmask_b32_e64 v8, v8, v9, s1
	v_cndmask_b32_e32 v9, v11, v10, vcc_lo
	v_cndmask_b32_e64 v10, 0, 1, vcc_lo
	v_cmp_gt_f32_e64 s1, 0x3e6d3309, |v7|
	v_sub_f32_e32 v8, v8, v12
	v_cndmask_b32_e64 v9, v9, |v7|, s1
	v_cndmask_b32_e64 v10, v10, 2, s1
	v_xor_b32_e32 v8, 0x80000000, v8
.LBB161_24:
	s_andn2_saveexec_b32 s1, s7
	s_cbranch_execz .LBB161_26
; %bb.25:
	v_sub_f32_e64 v8, 2.0, |v7|
	v_add_f32_e64 v9, 0xbfbb16c3, |v7|
	v_cmp_gt_f32_e64 vcc_lo, 0x3fdda512, |v7|
	v_add_f32_e64 v10, |v7|, -1.0
	v_cndmask_b32_e32 v9, v8, v9, vcc_lo
	v_cndmask_b32_e64 v8, v8, 1.0, vcc_lo
	v_cmp_gt_f32_e64 vcc_lo, 0x3f9d70a4, |v7|
	v_cvt_i32_f32_e32 v8, v8
	v_cndmask_b32_e32 v9, v9, v10, vcc_lo
	v_cndmask_b32_e64 v10, v8, 2, vcc_lo
	v_mov_b32_e32 v8, 0
.LBB161_26:
	s_or_b32 exec_lo, exec_lo, s1
	s_mov_b32 s1, exec_lo
	v_cmpx_lt_i32_e32 0, v10
	s_xor_b32 s1, exec_lo, s1
	s_cbranch_execz .LBB161_34
; %bb.27:
	s_mov_b32 s7, exec_lo
	v_cmpx_lt_i32_e32 1, v10
	s_xor_b32 s7, exec_lo, s7
	s_cbranch_execz .LBB161_31
; %bb.28:
	s_mov_b32 s10, exec_lo
	v_cmpx_eq_u32_e32 2, v10
	s_cbranch_execz .LBB161_30
; %bb.29:
	s_mov_b32 s11, 0x3b52d5db
	v_fmaak_f32 v10, s11, v9, 0x3dd572af
	s_mov_b32 s11, 0x3c5b3c5e
	v_fmaak_f32 v11, s11, v9, 0x3e6a7578
	v_fmaak_f32 v10, v9, v10, 0x3f44efdf
	;; [unrolled: 1-line block ×7, first 2 shown]
	v_fma_f32 v10, v9, v10, 1.0
	v_fmaak_f32 v11, v9, v11, 0xbd9e233f
	v_rcp_f32_e32 v10, v10
	v_mul_f32_e32 v11, v9, v11
	v_mul_f32_e32 v10, v11, v10
	v_fmac_f32_e32 v10, -0.5, v9
	v_add_f32_e32 v8, v8, v10
.LBB161_30:
	s_or_b32 exec_lo, exec_lo, s10
                                        ; implicit-def: $vgpr9
.LBB161_31:
	s_andn2_saveexec_b32 s7, s7
	s_cbranch_execz .LBB161_33
; %bb.32:
	v_mul_f32_e32 v10, v9, v9
	s_mov_b32 s10, 0xb9a3f927
	s_mov_b32 s11, 0x39afe9f7
	v_mul_f32_e32 v11, v9, v10
	v_fmaak_f32 v12, s10, v11, 0x3a66f867
	v_fmaak_f32 v13, s11, v11, 0xba0d3085
	s_mov_b32 s10, 0x39a57b6b
	v_fmaak_f32 v14, s10, v11, 0xbab7f476
	v_fmaak_f32 v12, v11, v12, 0xbb7177fe
	v_fmaak_f32 v13, v11, v13, 0x3b141699
	v_fmaak_f32 v14, v11, v14, 0x3bc7e707
	v_fmaak_f32 v12, v11, v12, 0x3c93373d
	v_fmaak_f32 v13, v11, v13, 0xbc28fcfe
	v_fmaak_f32 v14, v11, v14, 0xbd064d47
	v_fmaak_f32 v12, v11, v12, 0xbe17213c
	v_fmaak_f32 v13, v11, v13, 0x3d845a15
	v_fmac_f32_e32 v12, v9, v13
	v_fmaak_f32 v9, v11, v14, 0x3ef7b95e
	v_fma_f32 v11, v11, -v12, 0xa2863e55
	v_fma_f32 v9, v10, v9, -v11
	v_add_f32_e32 v9, 0xbdf8cdce, v9
	v_add_f32_e32 v8, v8, v9
.LBB161_33:
	s_or_b32 exec_lo, exec_lo, s7
                                        ; implicit-def: $vgpr10
                                        ; implicit-def: $vgpr9
.LBB161_34:
	s_andn2_saveexec_b32 s1, s1
	s_cbranch_execz .LBB161_38
; %bb.35:
	s_mov_b32 s7, exec_lo
	v_cmpx_eq_u32_e32 0, v10
	s_cbranch_execz .LBB161_37
; %bb.36:
	v_mul_f32_e32 v10, v9, v9
	s_mov_b32 s10, 0x383c2c75
	v_fmaak_f32 v11, s10, v10, 0x38e28445
	s_mov_b32 s10, 0x37d383a2
	v_fmaak_f32 v12, s10, v10, 0x39679767
	v_fmaak_f32 v11, v10, v11, 0x3a05b634
	;; [unrolled: 1-line block ×9, first 2 shown]
	v_mul_f32_e32 v10, v10, v11
	v_fmac_f32_e32 v10, v9, v12
	v_fmac_f32_e32 v10, -0.5, v9
	v_add_f32_e32 v8, v8, v10
.LBB161_37:
	s_or_b32 exec_lo, exec_lo, s7
.LBB161_38:
	s_or_b32 exec_lo, exec_lo, s1
.LBB161_39:
	s_or_b32 exec_lo, exec_lo, s6
.LBB161_40:
	s_andn2_saveexec_b32 s1, s2
	s_cbranch_execz .LBB161_42
; %bb.41:
	v_cmp_gt_f32_e64 s2, 0x800000, |v7|
	s_mov_b32 s6, 0x3e8a8991
	v_fma_f32 v11, |v7|, s6, 0xbecd26ab
	v_cndmask_b32_e64 v8, 0, 32, s2
	v_ldexp_f32 v8, |v7|, v8
	v_log_f32_e32 v8, v8
	v_mul_f32_e32 v9, 0x3f317217, v8
	v_cmp_gt_f32_e64 vcc_lo, 0x7f800000, |v8|
	v_fma_f32 v10, 0x3f317217, v8, -v9
	v_fmamk_f32 v10, v8, 0x3377d1cf, v10
	v_add_f32_e32 v9, v9, v10
	v_fma_f32 v10, |v7|, v11, 0x3f528d33
	v_cndmask_b32_e32 v8, v8, v9, vcc_lo
	v_cndmask_b32_e64 v9, 0, 0x41b17218, s2
	v_fma_f32 v10, |v7|, v10, 0xbf13c468
	v_sub_f32_e32 v8, v8, v9
	v_fma_f32 v8, |v7|, v10, -v8
.LBB161_42:
	s_or_b32 exec_lo, exec_lo, s1
	v_cmp_le_f32_e32 vcc_lo, 0, v7
	s_mov_b32 s2, exec_lo
	v_cmpx_nle_f32_e32 0, v7
	s_xor_b32 s6, exec_lo, s2
	s_cbranch_execz .LBB161_46
; %bb.43:
	v_cmp_gt_f32_e64 s1, 0x4b000000, |v7|
	v_cmp_lt_f32_e64 s2, 0x35000000, |v7|
	s_and_b32 s1, s1, s2
	s_and_saveexec_b32 s7, s1
	s_cbranch_execz .LBB161_45
; %bb.44:
	v_mul_f32_e64 v9, |v7|, 0.5
	s_mov_b32 s2, 0x3d4be544
	v_floor_f32_e32 v10, v9
	v_cmp_neq_f32_e64 s1, 0x7f800000, v9
	v_sub_f32_e32 v10, v9, v10
	v_min_f32_e32 v10, 0x3f7fffff, v10
	v_add_f32_e32 v10, v10, v10
	v_cndmask_b32_e64 v9, 0, v10, s1
	v_cmp_gt_f32_e64 s1, |v7|, 1.0
	v_cndmask_b32_e64 v9, |v7|, v9, s1
	s_mov_b32 s1, 0x3e75aa41
	v_add_f32_e32 v10, v9, v9
	v_rndne_f32_e32 v10, v10
	v_fmac_f32_e32 v9, -0.5, v10
	v_cvt_i32_f32_e32 v10, v10
	v_mul_f32_e32 v11, v9, v9
	v_fmaak_f32 v12, s1, v11, 0xbf1f24be
	v_fmaak_f32 v13, s2, v11, 0x3e642e9d
	v_mul_f32_e32 v14, v9, v11
	v_fmaak_f32 v12, v11, v12, 0x40234736
	v_fmaak_f32 v13, v11, v13, 0xbfaad1da
	;; [unrolled: 1-line block ×4, first 2 shown]
	v_mul_f32_e32 v12, v14, v12
	v_fmaak_f32 v13, v11, v13, 0xc09de9e6
	v_and_b32_e32 v14, 1, v10
	v_lshlrev_b32_e32 v10, 30, v10
	v_fmamk_f32 v9, v9, 0x40490fdb, v12
	v_fma_f32 v11, v11, v13, 1.0
	v_cmp_eq_u32_e64 s1, 0, v14
	v_and_or_b32 v4, 0x80000000, v10, v4
	v_cndmask_b32_e64 v9, v11, v9, s1
	v_xor3_b32 v4, v4, v9, v7
	v_mul_f32_e32 v4, v7, v4
	v_frexp_mant_f32_e64 v9, |v4|
	v_frexp_exp_i32_f32_e32 v4, v4
	v_rcp_f32_e32 v9, v9
	v_sub_nc_u32_e32 v4, 2, v4
	v_mul_f32_e32 v9, 0x3f490fdb, v9
	v_ldexp_f32 v4, v9, v4
	v_cmp_gt_f32_e64 s1, 0x800000, v4
	v_cndmask_b32_e64 v9, 0, 32, s1
	v_ldexp_f32 v4, v4, v9
	v_log_f32_e32 v4, v4
	v_mul_f32_e32 v9, 0x3f317217, v4
	v_cmp_gt_f32_e64 s2, 0x7f800000, |v4|
	v_fma_f32 v10, 0x3f317217, v4, -v9
	v_fmamk_f32 v10, v4, 0x3377d1cf, v10
	v_add_f32_e32 v9, v9, v10
	v_floor_f32_e32 v10, v7
	v_cndmask_b32_e64 v4, v4, v9, s2
	v_cndmask_b32_e64 v9, 0, 0x41b17218, s1
	v_sub_f32_e32 v10, v7, v10
	v_sub_f32_e32 v4, v4, v9
	v_min_f32_e32 v9, 0x3f7fffff, v10
	v_sub_f32_e32 v4, v4, v8
	v_cmp_neq_f32_e64 s1, 0, v9
	v_cndmask_b32_e64 v8, 0x7f800000, v4, s1
.LBB161_45:
	s_or_b32 exec_lo, exec_lo, s7
.LBB161_46:
	s_andn2_saveexec_b32 s6, s6
; %bb.47:
	v_cmp_eq_f32_e64 s1, 1.0, v7
	v_cmp_eq_f32_e64 s2, 2.0, v7
	s_or_b32 s1, s1, s2
	v_cndmask_b32_e64 v8, v8, 0, s1
; %bb.48:
	s_or_b32 exec_lo, exec_lo, s6
	v_cmp_gt_f32_e64 s1, 0x4b000000, |v7|
	s_or_b32 vcc_lo, vcc_lo, s1
	v_cmp_class_f32_e64 s1, v7, 0x264
	v_cndmask_b32_e32 v4, 0x7f800000, v8, vcc_lo
	v_cmp_u_f32_e32 vcc_lo, v7, v7
	v_cndmask_b32_e64 v4, v4, 0x7f800000, s1
	v_cndmask_b32_e32 v4, v4, v7, vcc_lo
	v_bfe_u32 v7, v4, 16, 1
	v_cmp_o_f32_e32 vcc_lo, v4, v4
	v_add3_u32 v4, v4, v7, 0x7fff
	v_mov_b32_e32 v7, 0x7fc0
	v_cndmask_b32_sdwa v4, v7, v4, vcc_lo dst_sel:DWORD dst_unused:UNUSED_PAD src0_sel:DWORD src1_sel:WORD_1
	s_or_b32 exec_lo, exec_lo, s5
	s_mov_b32 s5, exec_lo
                                        ; implicit-def: $vgpr7
	v_cmpx_gt_i32_e64 s4, v3
	s_cbranch_execz .LBB161_88
.LBB161_49:
	v_and_b32_e32 v7, 0x7fffffff, v6
	s_mov_b32 s2, exec_lo
                                        ; implicit-def: $vgpr8
	v_cmpx_ngt_f32_e64 0x3c800000, |v6|
	s_xor_b32 s2, exec_lo, s2
	s_cbranch_execz .LBB161_79
; %bb.50:
	s_mov_b32 s6, exec_lo
                                        ; implicit-def: $vgpr8
	v_cmpx_nlt_f32_e64 |v6|, 2.0
	s_xor_b32 s6, exec_lo, s6
	s_cbranch_execz .LBB161_60
; %bb.51:
	v_cmp_ngt_f32_e64 s1, 0x41000000, |v6|
                                        ; implicit-def: $vgpr8
	s_and_saveexec_b32 s7, s1
	s_xor_b32 s1, exec_lo, s7
	s_cbranch_execz .LBB161_57
; %bb.52:
	v_cmp_ngt_f32_e64 s7, 0x5c800000, |v6|
                                        ; implicit-def: $vgpr8
	s_and_saveexec_b32 s10, s7
	s_xor_b32 s7, exec_lo, s10
	s_cbranch_execz .LBB161_54
; %bb.53:
	v_cmp_gt_f32_e64 s10, 0x800000, |v6|
	v_cndmask_b32_e64 v8, 0, 32, s10
	v_ldexp_f32 v8, |v6|, v8
	v_log_f32_e32 v8, v8
	v_mul_f32_e32 v9, 0x3f317217, v8
	v_cmp_gt_f32_e64 vcc_lo, 0x7f800000, |v8|
	v_fma_f32 v10, 0x3f317217, v8, -v9
	v_fmamk_f32 v10, v8, 0x3377d1cf, v10
	v_add_f32_e32 v9, v9, v10
	v_cndmask_b32_e32 v8, v8, v9, vcc_lo
	v_cndmask_b32_e64 v9, 0, 0x41b17218, s10
	v_sub_f32_e32 v8, v8, v9
	v_fma_f32 v8, |v6|, v8, -|v6|
.LBB161_54:
	s_andn2_saveexec_b32 s7, s7
	s_cbranch_execz .LBB161_56
; %bb.55:
	v_cmp_gt_f32_e64 s10, 0x800000, |v6|
	v_rcp_f32_e64 v9, |v6|
	s_mov_b32 s11, 0xbad5c4e8
	v_cndmask_b32_e64 v8, 0, 32, s10
	v_ldexp_f32 v8, |v6|, v8
	v_mul_f32_e32 v10, v9, v9
	v_log_f32_e32 v8, v8
	v_fmaak_f32 v12, s11, v10, 0x3a5b3dd2
	v_fmaak_f32 v12, v10, v12, 0xba1c065c
	v_mul_f32_e32 v11, 0x3f317217, v8
	v_fmaak_f32 v12, v10, v12, 0x3a500cfd
	v_cmp_gt_f32_e64 vcc_lo, 0x7f800000, |v8|
	v_fma_f32 v13, 0x3f317217, v8, -v11
	v_fmaak_f32 v12, v10, v12, 0xbb360b61
	v_fmamk_f32 v13, v8, 0x3377d1cf, v13
	v_fmaak_f32 v10, v10, v12, 0x3daaaaab
	v_add_f32_e32 v11, v11, v13
	v_cndmask_b32_e32 v8, v8, v11, vcc_lo
	v_cndmask_b32_e64 v11, 0, 0x41b17218, s10
	v_sub_f32_e32 v11, v8, v11
	v_fmaak_f32 v8, v9, v10, 0x3ed67f1d
	v_add_f32_e64 v9, |v6|, -0.5
	v_add_f32_e32 v10, -1.0, v11
	v_fmac_f32_e32 v8, v9, v10
.LBB161_56:
	s_or_b32 exec_lo, exec_lo, s7
.LBB161_57:
	s_andn2_saveexec_b32 s7, s1
	s_cbranch_execz .LBB161_59
; %bb.58:
	v_cvt_i32_f32_e32 v8, v7
	s_mov_b32 s1, 0x36f5d7bd
	s_mov_b32 s10, 0x3805ff67
	v_cvt_f32_i32_e32 v9, v8
	v_cmp_lt_i32_e32 vcc_lo, 2, v8
	v_sub_f32_e64 v9, |v6|, v9
	v_add_f32_e32 v10, 2.0, v9
	v_add_f32_e32 v11, 0x40400000, v9
	v_add_f32_e32 v12, 4.0, v9
	v_add_f32_e32 v13, 0x40a00000, v9
	v_cndmask_b32_e32 v10, 1.0, v10, vcc_lo
	v_cmp_lt_i32_e32 vcc_lo, 3, v8
	v_cndmask_b32_e32 v11, 1.0, v11, vcc_lo
	v_cmp_lt_i32_e32 vcc_lo, 4, v8
	v_mul_f32_e32 v10, v10, v11
	v_cndmask_b32_e32 v12, 1.0, v12, vcc_lo
	v_cmp_lt_i32_e32 vcc_lo, 5, v8
	v_add_f32_e32 v11, 0x40c00000, v9
	v_mul_f32_e32 v10, v12, v10
	v_cndmask_b32_e32 v13, 1.0, v13, vcc_lo
	v_cmp_lt_i32_e32 vcc_lo, 6, v8
	v_fmaak_f32 v12, s10, v9, 0x3af135b4
	v_mul_f32_e32 v10, v13, v10
	v_cndmask_b32_e32 v8, 1.0, v11, vcc_lo
	v_mul_f32_e32 v8, v8, v10
	v_fmaak_f32 v10, s1, v9, 0x3a4beed6
	v_cmp_gt_f32_e32 vcc_lo, 0x800000, v8
	v_fmaak_f32 v10, v9, v10, 0x3c98bf54
	v_cndmask_b32_e64 v11, 0, 32, vcc_lo
	v_fmaak_f32 v10, v9, v10, 0x3e300f6e
	v_ldexp_f32 v8, v8, v11
	v_fmaak_f32 v11, v9, v12, 0x3cda40e4
	v_fmaak_f32 v10, v9, v10, 0x3f38d0c5
	v_log_f32_e32 v8, v8
	v_fmaak_f32 v11, v9, v11, 0x3e15dce6
	v_fmaak_f32 v10, v9, v10, 0x3fb22d3b
	;; [unrolled: 1-line block ×3, first 2 shown]
	v_fma_f32 v10, v9, v10, 1.0
	v_mul_f32_e32 v12, 0x3f317217, v8
	v_fmaak_f32 v11, v9, v11, 0x3e5c245a
	v_rcp_f32_e32 v10, v10
	v_cmp_gt_f32_e64 s1, 0x7f800000, |v8|
	v_fma_f32 v13, 0x3f317217, v8, -v12
	v_fmaak_f32 v11, v9, v11, 0xbd9e233f
	v_fmamk_f32 v13, v8, 0x3377d1cf, v13
	v_mul_f32_e32 v11, v9, v11
	v_add_f32_e32 v12, v12, v13
	v_mul_f32_e32 v10, v11, v10
	v_cndmask_b32_e64 v11, 0, 0x41b17218, vcc_lo
	v_cndmask_b32_e64 v8, v8, v12, s1
	v_fmac_f32_e32 v10, 0.5, v9
	v_sub_f32_e32 v8, v8, v11
	v_add_f32_e32 v8, v8, v10
.LBB161_59:
	s_or_b32 exec_lo, exec_lo, s7
.LBB161_60:
	s_andn2_saveexec_b32 s6, s6
	s_cbranch_execz .LBB161_78
; %bb.61:
	s_mov_b32 s7, exec_lo
                                        ; implicit-def: $vgpr8
                                        ; implicit-def: $vgpr10
                                        ; implicit-def: $vgpr9
	v_cmpx_ge_f32_e64 0x3f666666, |v6|
	s_xor_b32 s7, exec_lo, s7
	s_cbranch_execz .LBB161_63
; %bb.62:
	v_cmp_gt_f32_e64 s1, 0x800000, |v6|
	v_sub_f32_e64 v11, 1.0, |v6|
	v_cmp_gt_f32_e64 vcc_lo, 0x3f3b4a23, |v6|
	v_cndmask_b32_e64 v8, 0, 32, s1
	v_cndmask_b32_e64 v12, 0, 0x41b17218, s1
	v_ldexp_f32 v8, |v6|, v8
	v_log_f32_e32 v8, v8
	v_mul_f32_e32 v9, 0x3f317217, v8
	v_cmp_gt_f32_e64 s1, 0x7f800000, |v8|
	v_fma_f32 v10, 0x3f317217, v8, -v9
	v_fmamk_f32 v10, v8, 0x3377d1cf, v10
	v_add_f32_e32 v9, v9, v10
	v_add_f32_e64 v10, 0xbeec5b0c, |v6|
	v_cndmask_b32_e64 v8, v8, v9, s1
	v_cndmask_b32_e32 v9, v11, v10, vcc_lo
	v_cndmask_b32_e64 v10, 0, 1, vcc_lo
	v_cmp_gt_f32_e64 s1, 0x3e6d3309, |v6|
	v_sub_f32_e32 v8, v8, v12
	v_cndmask_b32_e64 v9, v9, |v6|, s1
	v_cndmask_b32_e64 v10, v10, 2, s1
	v_xor_b32_e32 v8, 0x80000000, v8
.LBB161_63:
	s_andn2_saveexec_b32 s1, s7
	s_cbranch_execz .LBB161_65
; %bb.64:
	v_sub_f32_e64 v8, 2.0, |v6|
	v_add_f32_e64 v9, 0xbfbb16c3, |v6|
	v_cmp_gt_f32_e64 vcc_lo, 0x3fdda512, |v6|
	v_add_f32_e64 v10, |v6|, -1.0
	v_cndmask_b32_e32 v9, v8, v9, vcc_lo
	v_cndmask_b32_e64 v8, v8, 1.0, vcc_lo
	v_cmp_gt_f32_e64 vcc_lo, 0x3f9d70a4, |v6|
	v_cvt_i32_f32_e32 v8, v8
	v_cndmask_b32_e32 v9, v9, v10, vcc_lo
	v_cndmask_b32_e64 v10, v8, 2, vcc_lo
	v_mov_b32_e32 v8, 0
.LBB161_65:
	s_or_b32 exec_lo, exec_lo, s1
	s_mov_b32 s1, exec_lo
	v_cmpx_lt_i32_e32 0, v10
	s_xor_b32 s1, exec_lo, s1
	s_cbranch_execz .LBB161_73
; %bb.66:
	s_mov_b32 s7, exec_lo
	v_cmpx_lt_i32_e32 1, v10
	s_xor_b32 s7, exec_lo, s7
	s_cbranch_execz .LBB161_70
; %bb.67:
	s_mov_b32 s10, exec_lo
	v_cmpx_eq_u32_e32 2, v10
	s_cbranch_execz .LBB161_69
; %bb.68:
	s_mov_b32 s11, 0x3b52d5db
	v_fmaak_f32 v10, s11, v9, 0x3dd572af
	s_mov_b32 s11, 0x3c5b3c5e
	v_fmaak_f32 v11, s11, v9, 0x3e6a7578
	v_fmaak_f32 v10, v9, v10, 0x3f44efdf
	;; [unrolled: 1-line block ×7, first 2 shown]
	v_fma_f32 v10, v9, v10, 1.0
	v_fmaak_f32 v11, v9, v11, 0xbd9e233f
	v_rcp_f32_e32 v10, v10
	v_mul_f32_e32 v11, v9, v11
	v_mul_f32_e32 v10, v11, v10
	v_fmac_f32_e32 v10, -0.5, v9
	v_add_f32_e32 v8, v8, v10
.LBB161_69:
	s_or_b32 exec_lo, exec_lo, s10
                                        ; implicit-def: $vgpr9
.LBB161_70:
	s_andn2_saveexec_b32 s7, s7
	s_cbranch_execz .LBB161_72
; %bb.71:
	v_mul_f32_e32 v10, v9, v9
	s_mov_b32 s10, 0xb9a3f927
	s_mov_b32 s11, 0x39afe9f7
	v_mul_f32_e32 v11, v9, v10
	v_fmaak_f32 v12, s10, v11, 0x3a66f867
	v_fmaak_f32 v13, s11, v11, 0xba0d3085
	s_mov_b32 s10, 0x39a57b6b
	v_fmaak_f32 v14, s10, v11, 0xbab7f476
	v_fmaak_f32 v12, v11, v12, 0xbb7177fe
	;; [unrolled: 1-line block ×9, first 2 shown]
	v_fmac_f32_e32 v12, v9, v13
	v_fmaak_f32 v9, v11, v14, 0x3ef7b95e
	v_fma_f32 v11, v11, -v12, 0xa2863e55
	v_fma_f32 v9, v10, v9, -v11
	v_add_f32_e32 v9, 0xbdf8cdce, v9
	v_add_f32_e32 v8, v8, v9
.LBB161_72:
	s_or_b32 exec_lo, exec_lo, s7
                                        ; implicit-def: $vgpr10
                                        ; implicit-def: $vgpr9
.LBB161_73:
	s_andn2_saveexec_b32 s1, s1
	s_cbranch_execz .LBB161_77
; %bb.74:
	s_mov_b32 s7, exec_lo
	v_cmpx_eq_u32_e32 0, v10
	s_cbranch_execz .LBB161_76
; %bb.75:
	v_mul_f32_e32 v10, v9, v9
	s_mov_b32 s10, 0x383c2c75
	v_fmaak_f32 v11, s10, v10, 0x38e28445
	s_mov_b32 s10, 0x37d383a2
	v_fmaak_f32 v12, s10, v10, 0x39679767
	v_fmaak_f32 v11, v10, v11, 0x3a05b634
	;; [unrolled: 1-line block ×9, first 2 shown]
	v_mul_f32_e32 v10, v10, v11
	v_fmac_f32_e32 v10, v9, v12
	v_fmac_f32_e32 v10, -0.5, v9
	v_add_f32_e32 v8, v8, v10
.LBB161_76:
	s_or_b32 exec_lo, exec_lo, s7
.LBB161_77:
	s_or_b32 exec_lo, exec_lo, s1
.LBB161_78:
	s_or_b32 exec_lo, exec_lo, s6
.LBB161_79:
	s_andn2_saveexec_b32 s1, s2
	s_cbranch_execz .LBB161_81
; %bb.80:
	v_cmp_gt_f32_e64 s2, 0x800000, |v6|
	s_mov_b32 s6, 0x3e8a8991
	v_fma_f32 v11, |v6|, s6, 0xbecd26ab
	v_cndmask_b32_e64 v8, 0, 32, s2
	v_ldexp_f32 v8, |v6|, v8
	v_log_f32_e32 v8, v8
	v_mul_f32_e32 v9, 0x3f317217, v8
	v_cmp_gt_f32_e64 vcc_lo, 0x7f800000, |v8|
	v_fma_f32 v10, 0x3f317217, v8, -v9
	v_fmamk_f32 v10, v8, 0x3377d1cf, v10
	v_add_f32_e32 v9, v9, v10
	v_fma_f32 v10, |v6|, v11, 0x3f528d33
	v_cndmask_b32_e32 v8, v8, v9, vcc_lo
	v_cndmask_b32_e64 v9, 0, 0x41b17218, s2
	v_fma_f32 v10, |v6|, v10, 0xbf13c468
	v_sub_f32_e32 v8, v8, v9
	v_fma_f32 v8, |v6|, v10, -v8
.LBB161_81:
	s_or_b32 exec_lo, exec_lo, s1
	v_cmp_le_f32_e32 vcc_lo, 0, v6
	s_mov_b32 s2, exec_lo
	v_cmpx_nle_f32_e32 0, v6
	s_xor_b32 s6, exec_lo, s2
	s_cbranch_execz .LBB161_85
; %bb.82:
	v_cmp_gt_f32_e64 s1, 0x4b000000, |v6|
	v_cmp_lt_f32_e64 s2, 0x35000000, |v6|
	s_and_b32 s1, s1, s2
	s_and_saveexec_b32 s7, s1
	s_cbranch_execz .LBB161_84
; %bb.83:
	v_mul_f32_e64 v9, |v6|, 0.5
	s_mov_b32 s2, 0x3d4be544
	v_floor_f32_e32 v10, v9
	v_cmp_neq_f32_e64 s1, 0x7f800000, v9
	v_sub_f32_e32 v10, v9, v10
	v_min_f32_e32 v10, 0x3f7fffff, v10
	v_add_f32_e32 v10, v10, v10
	v_cndmask_b32_e64 v9, 0, v10, s1
	v_cmp_gt_f32_e64 s1, |v6|, 1.0
	v_cndmask_b32_e64 v9, |v6|, v9, s1
	s_mov_b32 s1, 0x3e75aa41
	v_add_f32_e32 v10, v9, v9
	v_rndne_f32_e32 v10, v10
	v_fmac_f32_e32 v9, -0.5, v10
	v_cvt_i32_f32_e32 v10, v10
	v_mul_f32_e32 v11, v9, v9
	v_fmaak_f32 v12, s1, v11, 0xbf1f24be
	v_fmaak_f32 v13, s2, v11, 0x3e642e9d
	v_mul_f32_e32 v14, v9, v11
	v_fmaak_f32 v12, v11, v12, 0x40234736
	v_fmaak_f32 v13, v11, v13, 0xbfaad1da
	;; [unrolled: 1-line block ×4, first 2 shown]
	v_mul_f32_e32 v12, v14, v12
	v_fmaak_f32 v13, v11, v13, 0xc09de9e6
	v_and_b32_e32 v14, 1, v10
	v_lshlrev_b32_e32 v10, 30, v10
	v_fmamk_f32 v9, v9, 0x40490fdb, v12
	v_fma_f32 v11, v11, v13, 1.0
	v_cmp_eq_u32_e64 s1, 0, v14
	v_and_or_b32 v7, 0x80000000, v10, v7
	v_cndmask_b32_e64 v9, v11, v9, s1
	v_xor3_b32 v7, v7, v9, v6
	v_mul_f32_e32 v7, v6, v7
	v_frexp_mant_f32_e64 v9, |v7|
	v_frexp_exp_i32_f32_e32 v7, v7
	v_rcp_f32_e32 v9, v9
	v_sub_nc_u32_e32 v7, 2, v7
	v_mul_f32_e32 v9, 0x3f490fdb, v9
	v_ldexp_f32 v7, v9, v7
	v_cmp_gt_f32_e64 s1, 0x800000, v7
	v_cndmask_b32_e64 v9, 0, 32, s1
	v_ldexp_f32 v7, v7, v9
	v_log_f32_e32 v7, v7
	v_mul_f32_e32 v9, 0x3f317217, v7
	v_cmp_gt_f32_e64 s2, 0x7f800000, |v7|
	v_fma_f32 v10, 0x3f317217, v7, -v9
	v_fmamk_f32 v10, v7, 0x3377d1cf, v10
	v_add_f32_e32 v9, v9, v10
	v_floor_f32_e32 v10, v6
	v_cndmask_b32_e64 v7, v7, v9, s2
	v_cndmask_b32_e64 v9, 0, 0x41b17218, s1
	v_sub_f32_e32 v10, v6, v10
	v_sub_f32_e32 v7, v7, v9
	v_min_f32_e32 v9, 0x3f7fffff, v10
	v_sub_f32_e32 v7, v7, v8
	v_cmp_neq_f32_e64 s1, 0, v9
	v_cndmask_b32_e64 v8, 0x7f800000, v7, s1
.LBB161_84:
	s_or_b32 exec_lo, exec_lo, s7
.LBB161_85:
	s_andn2_saveexec_b32 s6, s6
; %bb.86:
	v_cmp_eq_f32_e64 s1, 1.0, v6
	v_cmp_eq_f32_e64 s2, 2.0, v6
	s_or_b32 s1, s1, s2
	v_cndmask_b32_e64 v8, v8, 0, s1
; %bb.87:
	s_or_b32 exec_lo, exec_lo, s6
	v_cmp_gt_f32_e64 s1, 0x4b000000, |v6|
	s_or_b32 vcc_lo, vcc_lo, s1
	v_cmp_class_f32_e64 s1, v6, 0x264
	v_cndmask_b32_e32 v7, 0x7f800000, v8, vcc_lo
	v_cmp_u_f32_e32 vcc_lo, v6, v6
	v_cndmask_b32_e64 v7, v7, 0x7f800000, s1
	v_cndmask_b32_e32 v6, v7, v6, vcc_lo
	v_bfe_u32 v7, v6, 16, 1
	v_cmp_o_f32_e32 vcc_lo, v6, v6
	v_add3_u32 v6, v6, v7, 0x7fff
	v_mov_b32_e32 v7, 0x7fc0
	v_cndmask_b32_sdwa v7, v7, v6, vcc_lo dst_sel:DWORD dst_unused:UNUSED_PAD src0_sel:DWORD src1_sel:WORD_1
.LBB161_88:
	s_or_b32 exec_lo, exec_lo, s5
	v_or_b32_e32 v6, 0x200, v0
	v_cmp_gt_i32_e32 vcc_lo, s4, v6
                                        ; implicit-def: $vgpr6
	s_and_saveexec_b32 s5, vcc_lo
	s_cbranch_execz .LBB161_128
; %bb.89:
	v_and_b32_e32 v6, 0x7fffffff, v5
	s_mov_b32 s2, exec_lo
                                        ; implicit-def: $vgpr8
	v_cmpx_ngt_f32_e64 0x3c800000, |v5|
	s_xor_b32 s2, exec_lo, s2
	s_cbranch_execz .LBB161_119
; %bb.90:
	s_mov_b32 s6, exec_lo
                                        ; implicit-def: $vgpr8
	v_cmpx_nlt_f32_e64 |v5|, 2.0
	s_xor_b32 s6, exec_lo, s6
	s_cbranch_execz .LBB161_100
; %bb.91:
	v_cmp_ngt_f32_e64 s1, 0x41000000, |v5|
                                        ; implicit-def: $vgpr8
	s_and_saveexec_b32 s7, s1
	s_xor_b32 s1, exec_lo, s7
	s_cbranch_execz .LBB161_97
; %bb.92:
	v_cmp_ngt_f32_e64 s7, 0x5c800000, |v5|
                                        ; implicit-def: $vgpr8
	s_and_saveexec_b32 s10, s7
	s_xor_b32 s7, exec_lo, s10
	s_cbranch_execz .LBB161_94
; %bb.93:
	v_cmp_gt_f32_e64 s10, 0x800000, |v5|
	v_cndmask_b32_e64 v8, 0, 32, s10
	v_ldexp_f32 v8, |v5|, v8
	v_log_f32_e32 v8, v8
	v_mul_f32_e32 v9, 0x3f317217, v8
	v_cmp_gt_f32_e64 vcc_lo, 0x7f800000, |v8|
	v_fma_f32 v10, 0x3f317217, v8, -v9
	v_fmamk_f32 v10, v8, 0x3377d1cf, v10
	v_add_f32_e32 v9, v9, v10
	v_cndmask_b32_e32 v8, v8, v9, vcc_lo
	v_cndmask_b32_e64 v9, 0, 0x41b17218, s10
	v_sub_f32_e32 v8, v8, v9
	v_fma_f32 v8, |v5|, v8, -|v5|
.LBB161_94:
	s_andn2_saveexec_b32 s7, s7
	s_cbranch_execz .LBB161_96
; %bb.95:
	v_cmp_gt_f32_e64 s10, 0x800000, |v5|
	v_rcp_f32_e64 v9, |v5|
	s_mov_b32 s11, 0xbad5c4e8
	v_cndmask_b32_e64 v8, 0, 32, s10
	v_ldexp_f32 v8, |v5|, v8
	v_mul_f32_e32 v10, v9, v9
	v_log_f32_e32 v8, v8
	v_fmaak_f32 v12, s11, v10, 0x3a5b3dd2
	v_fmaak_f32 v12, v10, v12, 0xba1c065c
	v_mul_f32_e32 v11, 0x3f317217, v8
	v_fmaak_f32 v12, v10, v12, 0x3a500cfd
	v_cmp_gt_f32_e64 vcc_lo, 0x7f800000, |v8|
	v_fma_f32 v13, 0x3f317217, v8, -v11
	v_fmaak_f32 v12, v10, v12, 0xbb360b61
	v_fmamk_f32 v13, v8, 0x3377d1cf, v13
	v_fmaak_f32 v10, v10, v12, 0x3daaaaab
	v_add_f32_e32 v11, v11, v13
	v_cndmask_b32_e32 v8, v8, v11, vcc_lo
	v_cndmask_b32_e64 v11, 0, 0x41b17218, s10
	v_sub_f32_e32 v11, v8, v11
	v_fmaak_f32 v8, v9, v10, 0x3ed67f1d
	v_add_f32_e64 v9, |v5|, -0.5
	v_add_f32_e32 v10, -1.0, v11
	v_fmac_f32_e32 v8, v9, v10
.LBB161_96:
	s_or_b32 exec_lo, exec_lo, s7
.LBB161_97:
	s_andn2_saveexec_b32 s7, s1
	s_cbranch_execz .LBB161_99
; %bb.98:
	v_cvt_i32_f32_e32 v8, v6
	s_mov_b32 s1, 0x36f5d7bd
	s_mov_b32 s10, 0x3805ff67
	v_cvt_f32_i32_e32 v9, v8
	v_cmp_lt_i32_e32 vcc_lo, 2, v8
	v_sub_f32_e64 v9, |v5|, v9
	v_add_f32_e32 v10, 2.0, v9
	v_add_f32_e32 v11, 0x40400000, v9
	v_add_f32_e32 v12, 4.0, v9
	v_add_f32_e32 v13, 0x40a00000, v9
	v_cndmask_b32_e32 v10, 1.0, v10, vcc_lo
	v_cmp_lt_i32_e32 vcc_lo, 3, v8
	v_cndmask_b32_e32 v11, 1.0, v11, vcc_lo
	v_cmp_lt_i32_e32 vcc_lo, 4, v8
	v_mul_f32_e32 v10, v10, v11
	v_cndmask_b32_e32 v12, 1.0, v12, vcc_lo
	v_cmp_lt_i32_e32 vcc_lo, 5, v8
	v_add_f32_e32 v11, 0x40c00000, v9
	v_mul_f32_e32 v10, v12, v10
	v_cndmask_b32_e32 v13, 1.0, v13, vcc_lo
	v_cmp_lt_i32_e32 vcc_lo, 6, v8
	v_fmaak_f32 v12, s10, v9, 0x3af135b4
	v_mul_f32_e32 v10, v13, v10
	v_cndmask_b32_e32 v8, 1.0, v11, vcc_lo
	v_mul_f32_e32 v8, v8, v10
	v_fmaak_f32 v10, s1, v9, 0x3a4beed6
	v_cmp_gt_f32_e32 vcc_lo, 0x800000, v8
	v_fmaak_f32 v10, v9, v10, 0x3c98bf54
	v_cndmask_b32_e64 v11, 0, 32, vcc_lo
	v_fmaak_f32 v10, v9, v10, 0x3e300f6e
	v_ldexp_f32 v8, v8, v11
	v_fmaak_f32 v11, v9, v12, 0x3cda40e4
	v_fmaak_f32 v10, v9, v10, 0x3f38d0c5
	v_log_f32_e32 v8, v8
	v_fmaak_f32 v11, v9, v11, 0x3e15dce6
	v_fmaak_f32 v10, v9, v10, 0x3fb22d3b
	;; [unrolled: 1-line block ×3, first 2 shown]
	v_fma_f32 v10, v9, v10, 1.0
	v_mul_f32_e32 v12, 0x3f317217, v8
	v_fmaak_f32 v11, v9, v11, 0x3e5c245a
	v_rcp_f32_e32 v10, v10
	v_cmp_gt_f32_e64 s1, 0x7f800000, |v8|
	v_fma_f32 v13, 0x3f317217, v8, -v12
	v_fmaak_f32 v11, v9, v11, 0xbd9e233f
	v_fmamk_f32 v13, v8, 0x3377d1cf, v13
	v_mul_f32_e32 v11, v9, v11
	v_add_f32_e32 v12, v12, v13
	v_mul_f32_e32 v10, v11, v10
	v_cndmask_b32_e64 v11, 0, 0x41b17218, vcc_lo
	v_cndmask_b32_e64 v8, v8, v12, s1
	v_fmac_f32_e32 v10, 0.5, v9
	v_sub_f32_e32 v8, v8, v11
	v_add_f32_e32 v8, v8, v10
.LBB161_99:
	s_or_b32 exec_lo, exec_lo, s7
.LBB161_100:
	s_andn2_saveexec_b32 s6, s6
	s_cbranch_execz .LBB161_118
; %bb.101:
	s_mov_b32 s7, exec_lo
                                        ; implicit-def: $vgpr8
                                        ; implicit-def: $vgpr10
                                        ; implicit-def: $vgpr9
	v_cmpx_ge_f32_e64 0x3f666666, |v5|
	s_xor_b32 s7, exec_lo, s7
	s_cbranch_execz .LBB161_103
; %bb.102:
	v_cmp_gt_f32_e64 s1, 0x800000, |v5|
	v_sub_f32_e64 v11, 1.0, |v5|
	v_cmp_gt_f32_e64 vcc_lo, 0x3f3b4a23, |v5|
	v_cndmask_b32_e64 v8, 0, 32, s1
	v_cndmask_b32_e64 v12, 0, 0x41b17218, s1
	v_ldexp_f32 v8, |v5|, v8
	v_log_f32_e32 v8, v8
	v_mul_f32_e32 v9, 0x3f317217, v8
	v_cmp_gt_f32_e64 s1, 0x7f800000, |v8|
	v_fma_f32 v10, 0x3f317217, v8, -v9
	v_fmamk_f32 v10, v8, 0x3377d1cf, v10
	v_add_f32_e32 v9, v9, v10
	v_add_f32_e64 v10, 0xbeec5b0c, |v5|
	v_cndmask_b32_e64 v8, v8, v9, s1
	v_cndmask_b32_e32 v9, v11, v10, vcc_lo
	v_cndmask_b32_e64 v10, 0, 1, vcc_lo
	v_cmp_gt_f32_e64 s1, 0x3e6d3309, |v5|
	v_sub_f32_e32 v8, v8, v12
	v_cndmask_b32_e64 v9, v9, |v5|, s1
	v_cndmask_b32_e64 v10, v10, 2, s1
	v_xor_b32_e32 v8, 0x80000000, v8
.LBB161_103:
	s_andn2_saveexec_b32 s1, s7
	s_cbranch_execz .LBB161_105
; %bb.104:
	v_sub_f32_e64 v8, 2.0, |v5|
	v_add_f32_e64 v9, 0xbfbb16c3, |v5|
	v_cmp_gt_f32_e64 vcc_lo, 0x3fdda512, |v5|
	v_add_f32_e64 v10, |v5|, -1.0
	v_cndmask_b32_e32 v9, v8, v9, vcc_lo
	v_cndmask_b32_e64 v8, v8, 1.0, vcc_lo
	v_cmp_gt_f32_e64 vcc_lo, 0x3f9d70a4, |v5|
	v_cvt_i32_f32_e32 v8, v8
	v_cndmask_b32_e32 v9, v9, v10, vcc_lo
	v_cndmask_b32_e64 v10, v8, 2, vcc_lo
	v_mov_b32_e32 v8, 0
.LBB161_105:
	s_or_b32 exec_lo, exec_lo, s1
	s_mov_b32 s1, exec_lo
	v_cmpx_lt_i32_e32 0, v10
	s_xor_b32 s1, exec_lo, s1
	s_cbranch_execz .LBB161_113
; %bb.106:
	s_mov_b32 s7, exec_lo
	v_cmpx_lt_i32_e32 1, v10
	s_xor_b32 s7, exec_lo, s7
	s_cbranch_execz .LBB161_110
; %bb.107:
	s_mov_b32 s10, exec_lo
	v_cmpx_eq_u32_e32 2, v10
	s_cbranch_execz .LBB161_109
; %bb.108:
	s_mov_b32 s11, 0x3b52d5db
	v_fmaak_f32 v10, s11, v9, 0x3dd572af
	s_mov_b32 s11, 0x3c5b3c5e
	v_fmaak_f32 v11, s11, v9, 0x3e6a7578
	v_fmaak_f32 v10, v9, v10, 0x3f44efdf
	;; [unrolled: 1-line block ×7, first 2 shown]
	v_fma_f32 v10, v9, v10, 1.0
	v_fmaak_f32 v11, v9, v11, 0xbd9e233f
	v_rcp_f32_e32 v10, v10
	v_mul_f32_e32 v11, v9, v11
	v_mul_f32_e32 v10, v11, v10
	v_fmac_f32_e32 v10, -0.5, v9
	v_add_f32_e32 v8, v8, v10
.LBB161_109:
	s_or_b32 exec_lo, exec_lo, s10
                                        ; implicit-def: $vgpr9
.LBB161_110:
	s_andn2_saveexec_b32 s7, s7
	s_cbranch_execz .LBB161_112
; %bb.111:
	v_mul_f32_e32 v10, v9, v9
	s_mov_b32 s10, 0xb9a3f927
	s_mov_b32 s11, 0x39afe9f7
	v_mul_f32_e32 v11, v9, v10
	v_fmaak_f32 v12, s10, v11, 0x3a66f867
	v_fmaak_f32 v13, s11, v11, 0xba0d3085
	s_mov_b32 s10, 0x39a57b6b
	v_fmaak_f32 v14, s10, v11, 0xbab7f476
	v_fmaak_f32 v12, v11, v12, 0xbb7177fe
	v_fmaak_f32 v13, v11, v13, 0x3b141699
	v_fmaak_f32 v14, v11, v14, 0x3bc7e707
	v_fmaak_f32 v12, v11, v12, 0x3c93373d
	v_fmaak_f32 v13, v11, v13, 0xbc28fcfe
	v_fmaak_f32 v14, v11, v14, 0xbd064d47
	v_fmaak_f32 v12, v11, v12, 0xbe17213c
	v_fmaak_f32 v13, v11, v13, 0x3d845a15
	v_fmac_f32_e32 v12, v9, v13
	v_fmaak_f32 v9, v11, v14, 0x3ef7b95e
	v_fma_f32 v11, v11, -v12, 0xa2863e55
	v_fma_f32 v9, v10, v9, -v11
	v_add_f32_e32 v9, 0xbdf8cdce, v9
	v_add_f32_e32 v8, v8, v9
.LBB161_112:
	s_or_b32 exec_lo, exec_lo, s7
                                        ; implicit-def: $vgpr10
                                        ; implicit-def: $vgpr9
.LBB161_113:
	s_andn2_saveexec_b32 s1, s1
	s_cbranch_execz .LBB161_117
; %bb.114:
	s_mov_b32 s7, exec_lo
	v_cmpx_eq_u32_e32 0, v10
	s_cbranch_execz .LBB161_116
; %bb.115:
	v_mul_f32_e32 v10, v9, v9
	s_mov_b32 s10, 0x383c2c75
	v_fmaak_f32 v11, s10, v10, 0x38e28445
	s_mov_b32 s10, 0x37d383a2
	v_fmaak_f32 v12, s10, v10, 0x39679767
	v_fmaak_f32 v11, v10, v11, 0x3a05b634
	;; [unrolled: 1-line block ×9, first 2 shown]
	v_mul_f32_e32 v10, v10, v11
	v_fmac_f32_e32 v10, v9, v12
	v_fmac_f32_e32 v10, -0.5, v9
	v_add_f32_e32 v8, v8, v10
.LBB161_116:
	s_or_b32 exec_lo, exec_lo, s7
.LBB161_117:
	s_or_b32 exec_lo, exec_lo, s1
.LBB161_118:
	s_or_b32 exec_lo, exec_lo, s6
.LBB161_119:
	s_andn2_saveexec_b32 s1, s2
	s_cbranch_execz .LBB161_121
; %bb.120:
	v_cmp_gt_f32_e64 s2, 0x800000, |v5|
	s_mov_b32 s6, 0x3e8a8991
	v_fma_f32 v11, |v5|, s6, 0xbecd26ab
	v_cndmask_b32_e64 v8, 0, 32, s2
	v_ldexp_f32 v8, |v5|, v8
	v_log_f32_e32 v8, v8
	v_mul_f32_e32 v9, 0x3f317217, v8
	v_cmp_gt_f32_e64 vcc_lo, 0x7f800000, |v8|
	v_fma_f32 v10, 0x3f317217, v8, -v9
	v_fmamk_f32 v10, v8, 0x3377d1cf, v10
	v_add_f32_e32 v9, v9, v10
	v_fma_f32 v10, |v5|, v11, 0x3f528d33
	v_cndmask_b32_e32 v8, v8, v9, vcc_lo
	v_cndmask_b32_e64 v9, 0, 0x41b17218, s2
	v_fma_f32 v10, |v5|, v10, 0xbf13c468
	v_sub_f32_e32 v8, v8, v9
	v_fma_f32 v8, |v5|, v10, -v8
.LBB161_121:
	s_or_b32 exec_lo, exec_lo, s1
	v_cmp_le_f32_e32 vcc_lo, 0, v5
	s_mov_b32 s2, exec_lo
	v_cmpx_nle_f32_e32 0, v5
	s_xor_b32 s6, exec_lo, s2
	s_cbranch_execz .LBB161_125
; %bb.122:
	v_cmp_gt_f32_e64 s1, 0x4b000000, |v5|
	v_cmp_lt_f32_e64 s2, 0x35000000, |v5|
	s_and_b32 s1, s1, s2
	s_and_saveexec_b32 s7, s1
	s_cbranch_execz .LBB161_124
; %bb.123:
	v_mul_f32_e64 v9, |v5|, 0.5
	s_mov_b32 s2, 0x3d4be544
	v_floor_f32_e32 v10, v9
	v_cmp_neq_f32_e64 s1, 0x7f800000, v9
	v_sub_f32_e32 v10, v9, v10
	v_min_f32_e32 v10, 0x3f7fffff, v10
	v_add_f32_e32 v10, v10, v10
	v_cndmask_b32_e64 v9, 0, v10, s1
	v_cmp_gt_f32_e64 s1, |v5|, 1.0
	v_cndmask_b32_e64 v9, |v5|, v9, s1
	s_mov_b32 s1, 0x3e75aa41
	v_add_f32_e32 v10, v9, v9
	v_rndne_f32_e32 v10, v10
	v_fmac_f32_e32 v9, -0.5, v10
	v_cvt_i32_f32_e32 v10, v10
	v_mul_f32_e32 v11, v9, v9
	v_fmaak_f32 v12, s1, v11, 0xbf1f24be
	v_fmaak_f32 v13, s2, v11, 0x3e642e9d
	v_mul_f32_e32 v14, v9, v11
	v_fmaak_f32 v12, v11, v12, 0x40234736
	v_fmaak_f32 v13, v11, v13, 0xbfaad1da
	;; [unrolled: 1-line block ×4, first 2 shown]
	v_mul_f32_e32 v12, v14, v12
	v_fmaak_f32 v13, v11, v13, 0xc09de9e6
	v_and_b32_e32 v14, 1, v10
	v_lshlrev_b32_e32 v10, 30, v10
	v_fmamk_f32 v9, v9, 0x40490fdb, v12
	v_fma_f32 v11, v11, v13, 1.0
	v_cmp_eq_u32_e64 s1, 0, v14
	v_and_or_b32 v6, 0x80000000, v10, v6
	v_cndmask_b32_e64 v9, v11, v9, s1
	v_xor3_b32 v6, v6, v9, v5
	v_mul_f32_e32 v6, v5, v6
	v_frexp_mant_f32_e64 v9, |v6|
	v_frexp_exp_i32_f32_e32 v6, v6
	v_rcp_f32_e32 v9, v9
	v_sub_nc_u32_e32 v6, 2, v6
	v_mul_f32_e32 v9, 0x3f490fdb, v9
	v_ldexp_f32 v6, v9, v6
	v_cmp_gt_f32_e64 s1, 0x800000, v6
	v_cndmask_b32_e64 v9, 0, 32, s1
	v_ldexp_f32 v6, v6, v9
	v_log_f32_e32 v6, v6
	v_mul_f32_e32 v9, 0x3f317217, v6
	v_cmp_gt_f32_e64 s2, 0x7f800000, |v6|
	v_fma_f32 v10, 0x3f317217, v6, -v9
	v_fmamk_f32 v10, v6, 0x3377d1cf, v10
	v_add_f32_e32 v9, v9, v10
	v_floor_f32_e32 v10, v5
	v_cndmask_b32_e64 v6, v6, v9, s2
	v_cndmask_b32_e64 v9, 0, 0x41b17218, s1
	v_sub_f32_e32 v10, v5, v10
	v_sub_f32_e32 v6, v6, v9
	v_min_f32_e32 v9, 0x3f7fffff, v10
	v_sub_f32_e32 v6, v6, v8
	v_cmp_neq_f32_e64 s1, 0, v9
	v_cndmask_b32_e64 v8, 0x7f800000, v6, s1
.LBB161_124:
	s_or_b32 exec_lo, exec_lo, s7
.LBB161_125:
	s_andn2_saveexec_b32 s6, s6
; %bb.126:
	v_cmp_eq_f32_e64 s1, 1.0, v5
	v_cmp_eq_f32_e64 s2, 2.0, v5
	s_or_b32 s1, s1, s2
	v_cndmask_b32_e64 v8, v8, 0, s1
; %bb.127:
	s_or_b32 exec_lo, exec_lo, s6
	v_cmp_gt_f32_e64 s1, 0x4b000000, |v5|
	s_or_b32 vcc_lo, vcc_lo, s1
	v_cmp_class_f32_e64 s1, v5, 0x264
	v_cndmask_b32_e32 v6, 0x7f800000, v8, vcc_lo
	v_cmp_u_f32_e32 vcc_lo, v5, v5
	v_cndmask_b32_e64 v6, v6, 0x7f800000, s1
	v_cndmask_b32_e32 v5, v6, v5, vcc_lo
	v_bfe_u32 v6, v5, 16, 1
	v_cmp_o_f32_e32 vcc_lo, v5, v5
	v_add3_u32 v5, v5, v6, 0x7fff
	v_mov_b32_e32 v6, 0x7fc0
	v_cndmask_b32_sdwa v6, v6, v5, vcc_lo dst_sel:DWORD dst_unused:UNUSED_PAD src0_sel:DWORD src1_sel:WORD_1
.LBB161_128:
	s_or_b32 exec_lo, exec_lo, s5
	v_or_b32_e32 v5, 0x300, v0
	v_cmp_gt_i32_e32 vcc_lo, s4, v5
                                        ; implicit-def: $vgpr5
	s_and_saveexec_b32 s5, vcc_lo
	s_cbranch_execz .LBB161_172
; %bb.129:
	v_and_b32_e32 v5, 0x7fffffff, v2
	s_mov_b32 s2, exec_lo
                                        ; implicit-def: $vgpr8
	v_cmpx_ngt_f32_e64 0x3c800000, |v2|
	s_xor_b32 s2, exec_lo, s2
	s_cbranch_execz .LBB161_159
; %bb.130:
	s_mov_b32 s6, exec_lo
                                        ; implicit-def: $vgpr8
	v_cmpx_nlt_f32_e64 |v2|, 2.0
	s_xor_b32 s6, exec_lo, s6
	s_cbranch_execz .LBB161_140
; %bb.131:
	v_cmp_ngt_f32_e64 s1, 0x41000000, |v2|
                                        ; implicit-def: $vgpr8
	s_and_saveexec_b32 s7, s1
	s_xor_b32 s1, exec_lo, s7
	s_cbranch_execz .LBB161_137
; %bb.132:
	v_cmp_ngt_f32_e64 s7, 0x5c800000, |v2|
                                        ; implicit-def: $vgpr8
	s_and_saveexec_b32 s10, s7
	s_xor_b32 s7, exec_lo, s10
	s_cbranch_execz .LBB161_134
; %bb.133:
	v_cmp_gt_f32_e64 s10, 0x800000, |v2|
	v_cndmask_b32_e64 v8, 0, 32, s10
	v_ldexp_f32 v8, |v2|, v8
	v_log_f32_e32 v8, v8
	v_mul_f32_e32 v9, 0x3f317217, v8
	v_cmp_gt_f32_e64 vcc_lo, 0x7f800000, |v8|
	v_fma_f32 v10, 0x3f317217, v8, -v9
	v_fmamk_f32 v10, v8, 0x3377d1cf, v10
	v_add_f32_e32 v9, v9, v10
	v_cndmask_b32_e32 v8, v8, v9, vcc_lo
	v_cndmask_b32_e64 v9, 0, 0x41b17218, s10
	v_sub_f32_e32 v8, v8, v9
	v_fma_f32 v8, |v2|, v8, -|v2|
.LBB161_134:
	s_andn2_saveexec_b32 s7, s7
	s_cbranch_execz .LBB161_136
; %bb.135:
	v_cmp_gt_f32_e64 s10, 0x800000, |v2|
	v_rcp_f32_e64 v9, |v2|
	s_mov_b32 s11, 0xbad5c4e8
	v_cndmask_b32_e64 v8, 0, 32, s10
	v_ldexp_f32 v8, |v2|, v8
	v_mul_f32_e32 v10, v9, v9
	v_log_f32_e32 v8, v8
	v_fmaak_f32 v12, s11, v10, 0x3a5b3dd2
	v_fmaak_f32 v12, v10, v12, 0xba1c065c
	v_mul_f32_e32 v11, 0x3f317217, v8
	v_fmaak_f32 v12, v10, v12, 0x3a500cfd
	v_cmp_gt_f32_e64 vcc_lo, 0x7f800000, |v8|
	v_fma_f32 v13, 0x3f317217, v8, -v11
	v_fmaak_f32 v12, v10, v12, 0xbb360b61
	v_fmamk_f32 v13, v8, 0x3377d1cf, v13
	v_fmaak_f32 v10, v10, v12, 0x3daaaaab
	v_add_f32_e32 v11, v11, v13
	v_cndmask_b32_e32 v8, v8, v11, vcc_lo
	v_cndmask_b32_e64 v11, 0, 0x41b17218, s10
	v_sub_f32_e32 v11, v8, v11
	v_fmaak_f32 v8, v9, v10, 0x3ed67f1d
	v_add_f32_e64 v9, |v2|, -0.5
	v_add_f32_e32 v10, -1.0, v11
	v_fmac_f32_e32 v8, v9, v10
.LBB161_136:
	s_or_b32 exec_lo, exec_lo, s7
.LBB161_137:
	s_andn2_saveexec_b32 s7, s1
	s_cbranch_execz .LBB161_139
; %bb.138:
	v_cvt_i32_f32_e32 v8, v5
	s_mov_b32 s1, 0x36f5d7bd
	s_mov_b32 s10, 0x3805ff67
	v_cvt_f32_i32_e32 v9, v8
	v_cmp_lt_i32_e32 vcc_lo, 2, v8
	v_sub_f32_e64 v9, |v2|, v9
	v_add_f32_e32 v10, 2.0, v9
	v_add_f32_e32 v11, 0x40400000, v9
	v_add_f32_e32 v12, 4.0, v9
	v_add_f32_e32 v13, 0x40a00000, v9
	v_cndmask_b32_e32 v10, 1.0, v10, vcc_lo
	v_cmp_lt_i32_e32 vcc_lo, 3, v8
	v_cndmask_b32_e32 v11, 1.0, v11, vcc_lo
	v_cmp_lt_i32_e32 vcc_lo, 4, v8
	v_mul_f32_e32 v10, v10, v11
	v_cndmask_b32_e32 v12, 1.0, v12, vcc_lo
	v_cmp_lt_i32_e32 vcc_lo, 5, v8
	v_add_f32_e32 v11, 0x40c00000, v9
	v_mul_f32_e32 v10, v12, v10
	v_cndmask_b32_e32 v13, 1.0, v13, vcc_lo
	v_cmp_lt_i32_e32 vcc_lo, 6, v8
	v_fmaak_f32 v12, s10, v9, 0x3af135b4
	v_mul_f32_e32 v10, v13, v10
	v_cndmask_b32_e32 v8, 1.0, v11, vcc_lo
	v_mul_f32_e32 v8, v8, v10
	v_fmaak_f32 v10, s1, v9, 0x3a4beed6
	v_cmp_gt_f32_e32 vcc_lo, 0x800000, v8
	v_fmaak_f32 v10, v9, v10, 0x3c98bf54
	v_cndmask_b32_e64 v11, 0, 32, vcc_lo
	v_fmaak_f32 v10, v9, v10, 0x3e300f6e
	v_ldexp_f32 v8, v8, v11
	v_fmaak_f32 v11, v9, v12, 0x3cda40e4
	v_fmaak_f32 v10, v9, v10, 0x3f38d0c5
	v_log_f32_e32 v8, v8
	v_fmaak_f32 v11, v9, v11, 0x3e15dce6
	v_fmaak_f32 v10, v9, v10, 0x3fb22d3b
	;; [unrolled: 1-line block ×3, first 2 shown]
	v_fma_f32 v10, v9, v10, 1.0
	v_mul_f32_e32 v12, 0x3f317217, v8
	v_fmaak_f32 v11, v9, v11, 0x3e5c245a
	v_rcp_f32_e32 v10, v10
	v_cmp_gt_f32_e64 s1, 0x7f800000, |v8|
	v_fma_f32 v13, 0x3f317217, v8, -v12
	v_fmaak_f32 v11, v9, v11, 0xbd9e233f
	v_fmamk_f32 v13, v8, 0x3377d1cf, v13
	v_mul_f32_e32 v11, v9, v11
	v_add_f32_e32 v12, v12, v13
	v_mul_f32_e32 v10, v11, v10
	v_cndmask_b32_e64 v11, 0, 0x41b17218, vcc_lo
	v_cndmask_b32_e64 v8, v8, v12, s1
	v_fmac_f32_e32 v10, 0.5, v9
	v_sub_f32_e32 v8, v8, v11
	v_add_f32_e32 v8, v8, v10
.LBB161_139:
	s_or_b32 exec_lo, exec_lo, s7
.LBB161_140:
	s_andn2_saveexec_b32 s6, s6
	s_cbranch_execz .LBB161_158
; %bb.141:
	s_mov_b32 s7, exec_lo
                                        ; implicit-def: $vgpr8
                                        ; implicit-def: $vgpr10
                                        ; implicit-def: $vgpr9
	v_cmpx_ge_f32_e64 0x3f666666, |v2|
	s_xor_b32 s7, exec_lo, s7
	s_cbranch_execz .LBB161_143
; %bb.142:
	v_cmp_gt_f32_e64 s1, 0x800000, |v2|
	v_sub_f32_e64 v11, 1.0, |v2|
	v_cmp_gt_f32_e64 vcc_lo, 0x3f3b4a23, |v2|
	v_cndmask_b32_e64 v8, 0, 32, s1
	v_cndmask_b32_e64 v12, 0, 0x41b17218, s1
	v_ldexp_f32 v8, |v2|, v8
	v_log_f32_e32 v8, v8
	v_mul_f32_e32 v9, 0x3f317217, v8
	v_cmp_gt_f32_e64 s1, 0x7f800000, |v8|
	v_fma_f32 v10, 0x3f317217, v8, -v9
	v_fmamk_f32 v10, v8, 0x3377d1cf, v10
	v_add_f32_e32 v9, v9, v10
	v_add_f32_e64 v10, 0xbeec5b0c, |v2|
	v_cndmask_b32_e64 v8, v8, v9, s1
	v_cndmask_b32_e32 v9, v11, v10, vcc_lo
	v_cndmask_b32_e64 v10, 0, 1, vcc_lo
	v_cmp_gt_f32_e64 s1, 0x3e6d3309, |v2|
	v_sub_f32_e32 v8, v8, v12
	v_cndmask_b32_e64 v9, v9, |v2|, s1
	v_cndmask_b32_e64 v10, v10, 2, s1
	v_xor_b32_e32 v8, 0x80000000, v8
.LBB161_143:
	s_andn2_saveexec_b32 s1, s7
	s_cbranch_execz .LBB161_145
; %bb.144:
	v_sub_f32_e64 v8, 2.0, |v2|
	v_add_f32_e64 v9, 0xbfbb16c3, |v2|
	v_cmp_gt_f32_e64 vcc_lo, 0x3fdda512, |v2|
	v_add_f32_e64 v10, |v2|, -1.0
	v_cndmask_b32_e32 v9, v8, v9, vcc_lo
	v_cndmask_b32_e64 v8, v8, 1.0, vcc_lo
	v_cmp_gt_f32_e64 vcc_lo, 0x3f9d70a4, |v2|
	v_cvt_i32_f32_e32 v8, v8
	v_cndmask_b32_e32 v9, v9, v10, vcc_lo
	v_cndmask_b32_e64 v10, v8, 2, vcc_lo
	v_mov_b32_e32 v8, 0
.LBB161_145:
	s_or_b32 exec_lo, exec_lo, s1
	s_mov_b32 s1, exec_lo
	v_cmpx_lt_i32_e32 0, v10
	s_xor_b32 s1, exec_lo, s1
	s_cbranch_execz .LBB161_153
; %bb.146:
	s_mov_b32 s7, exec_lo
	v_cmpx_lt_i32_e32 1, v10
	s_xor_b32 s7, exec_lo, s7
	s_cbranch_execz .LBB161_150
; %bb.147:
	s_mov_b32 s10, exec_lo
	v_cmpx_eq_u32_e32 2, v10
	s_cbranch_execz .LBB161_149
; %bb.148:
	s_mov_b32 s11, 0x3b52d5db
	v_fmaak_f32 v10, s11, v9, 0x3dd572af
	s_mov_b32 s11, 0x3c5b3c5e
	v_fmaak_f32 v11, s11, v9, 0x3e6a7578
	v_fmaak_f32 v10, v9, v10, 0x3f44efdf
	;; [unrolled: 1-line block ×7, first 2 shown]
	v_fma_f32 v10, v9, v10, 1.0
	v_fmaak_f32 v11, v9, v11, 0xbd9e233f
	v_rcp_f32_e32 v10, v10
	v_mul_f32_e32 v11, v9, v11
	v_mul_f32_e32 v10, v11, v10
	v_fmac_f32_e32 v10, -0.5, v9
	v_add_f32_e32 v8, v8, v10
.LBB161_149:
	s_or_b32 exec_lo, exec_lo, s10
                                        ; implicit-def: $vgpr9
.LBB161_150:
	s_andn2_saveexec_b32 s7, s7
	s_cbranch_execz .LBB161_152
; %bb.151:
	v_mul_f32_e32 v10, v9, v9
	s_mov_b32 s10, 0xb9a3f927
	s_mov_b32 s11, 0x39afe9f7
	v_mul_f32_e32 v11, v9, v10
	v_fmaak_f32 v12, s10, v11, 0x3a66f867
	v_fmaak_f32 v13, s11, v11, 0xba0d3085
	s_mov_b32 s10, 0x39a57b6b
	v_fmaak_f32 v14, s10, v11, 0xbab7f476
	v_fmaak_f32 v12, v11, v12, 0xbb7177fe
	;; [unrolled: 1-line block ×9, first 2 shown]
	v_fmac_f32_e32 v12, v9, v13
	v_fmaak_f32 v9, v11, v14, 0x3ef7b95e
	v_fma_f32 v11, v11, -v12, 0xa2863e55
	v_fma_f32 v9, v10, v9, -v11
	v_add_f32_e32 v9, 0xbdf8cdce, v9
	v_add_f32_e32 v8, v8, v9
.LBB161_152:
	s_or_b32 exec_lo, exec_lo, s7
                                        ; implicit-def: $vgpr10
                                        ; implicit-def: $vgpr9
.LBB161_153:
	s_andn2_saveexec_b32 s1, s1
	s_cbranch_execz .LBB161_157
; %bb.154:
	s_mov_b32 s7, exec_lo
	v_cmpx_eq_u32_e32 0, v10
	s_cbranch_execz .LBB161_156
; %bb.155:
	v_mul_f32_e32 v10, v9, v9
	s_mov_b32 s10, 0x383c2c75
	v_fmaak_f32 v11, s10, v10, 0x38e28445
	s_mov_b32 s10, 0x37d383a2
	v_fmaak_f32 v12, s10, v10, 0x39679767
	v_fmaak_f32 v11, v10, v11, 0x3a05b634
	;; [unrolled: 1-line block ×9, first 2 shown]
	v_mul_f32_e32 v10, v10, v11
	v_fmac_f32_e32 v10, v9, v12
	v_fmac_f32_e32 v10, -0.5, v9
	v_add_f32_e32 v8, v8, v10
.LBB161_156:
	s_or_b32 exec_lo, exec_lo, s7
.LBB161_157:
	s_or_b32 exec_lo, exec_lo, s1
.LBB161_158:
	s_or_b32 exec_lo, exec_lo, s6
.LBB161_159:
	s_andn2_saveexec_b32 s1, s2
	s_cbranch_execz .LBB161_161
; %bb.160:
	v_cmp_gt_f32_e64 s2, 0x800000, |v2|
	s_mov_b32 s6, 0x3e8a8991
	v_fma_f32 v11, |v2|, s6, 0xbecd26ab
	v_cndmask_b32_e64 v8, 0, 32, s2
	v_ldexp_f32 v8, |v2|, v8
	v_log_f32_e32 v8, v8
	v_mul_f32_e32 v9, 0x3f317217, v8
	v_cmp_gt_f32_e64 vcc_lo, 0x7f800000, |v8|
	v_fma_f32 v10, 0x3f317217, v8, -v9
	v_fmamk_f32 v10, v8, 0x3377d1cf, v10
	v_add_f32_e32 v9, v9, v10
	v_fma_f32 v10, |v2|, v11, 0x3f528d33
	v_cndmask_b32_e32 v8, v8, v9, vcc_lo
	v_cndmask_b32_e64 v9, 0, 0x41b17218, s2
	v_fma_f32 v10, |v2|, v10, 0xbf13c468
	v_sub_f32_e32 v8, v8, v9
	v_fma_f32 v8, |v2|, v10, -v8
.LBB161_161:
	s_or_b32 exec_lo, exec_lo, s1
	v_cmp_le_f32_e32 vcc_lo, 0, v2
	s_mov_b32 s2, exec_lo
	v_cmpx_nle_f32_e32 0, v2
	s_xor_b32 s6, exec_lo, s2
	s_cbranch_execz .LBB161_165
; %bb.162:
	v_cmp_gt_f32_e64 s1, 0x4b000000, |v2|
	v_cmp_lt_f32_e64 s2, 0x35000000, |v2|
	s_and_b32 s1, s1, s2
	s_and_saveexec_b32 s7, s1
	s_cbranch_execz .LBB161_164
; %bb.163:
	v_mul_f32_e64 v9, |v2|, 0.5
	s_mov_b32 s2, 0x3d4be544
	v_floor_f32_e32 v10, v9
	v_cmp_neq_f32_e64 s1, 0x7f800000, v9
	v_sub_f32_e32 v10, v9, v10
	v_min_f32_e32 v10, 0x3f7fffff, v10
	v_add_f32_e32 v10, v10, v10
	v_cndmask_b32_e64 v9, 0, v10, s1
	v_cmp_gt_f32_e64 s1, |v2|, 1.0
	v_cndmask_b32_e64 v9, |v2|, v9, s1
	s_mov_b32 s1, 0x3e75aa41
	v_add_f32_e32 v10, v9, v9
	v_rndne_f32_e32 v10, v10
	v_fmac_f32_e32 v9, -0.5, v10
	v_cvt_i32_f32_e32 v10, v10
	v_mul_f32_e32 v11, v9, v9
	v_fmaak_f32 v12, s1, v11, 0xbf1f24be
	v_fmaak_f32 v13, s2, v11, 0x3e642e9d
	v_mul_f32_e32 v14, v9, v11
	v_fmaak_f32 v12, v11, v12, 0x40234736
	v_fmaak_f32 v13, v11, v13, 0xbfaad1da
	;; [unrolled: 1-line block ×4, first 2 shown]
	v_mul_f32_e32 v12, v14, v12
	v_fmaak_f32 v13, v11, v13, 0xc09de9e6
	v_and_b32_e32 v14, 1, v10
	v_lshlrev_b32_e32 v10, 30, v10
	v_fmamk_f32 v9, v9, 0x40490fdb, v12
	v_fma_f32 v11, v11, v13, 1.0
	v_cmp_eq_u32_e64 s1, 0, v14
	v_and_or_b32 v5, 0x80000000, v10, v5
	v_cndmask_b32_e64 v9, v11, v9, s1
	v_xor3_b32 v5, v5, v9, v2
	v_mul_f32_e32 v5, v2, v5
	v_frexp_mant_f32_e64 v9, |v5|
	v_frexp_exp_i32_f32_e32 v5, v5
	v_rcp_f32_e32 v9, v9
	v_sub_nc_u32_e32 v5, 2, v5
	v_mul_f32_e32 v9, 0x3f490fdb, v9
	v_ldexp_f32 v5, v9, v5
	v_cmp_gt_f32_e64 s1, 0x800000, v5
	v_cndmask_b32_e64 v9, 0, 32, s1
	v_ldexp_f32 v5, v5, v9
	v_log_f32_e32 v5, v5
	v_mul_f32_e32 v9, 0x3f317217, v5
	v_cmp_gt_f32_e64 s2, 0x7f800000, |v5|
	v_fma_f32 v10, 0x3f317217, v5, -v9
	v_fmamk_f32 v10, v5, 0x3377d1cf, v10
	v_add_f32_e32 v9, v9, v10
	v_floor_f32_e32 v10, v2
	v_cndmask_b32_e64 v5, v5, v9, s2
	v_cndmask_b32_e64 v9, 0, 0x41b17218, s1
	v_sub_f32_e32 v10, v2, v10
	v_sub_f32_e32 v5, v5, v9
	v_min_f32_e32 v9, 0x3f7fffff, v10
	v_sub_f32_e32 v5, v5, v8
	v_cmp_neq_f32_e64 s1, 0, v9
	v_cndmask_b32_e64 v8, 0x7f800000, v5, s1
.LBB161_164:
	s_or_b32 exec_lo, exec_lo, s7
.LBB161_165:
	s_andn2_saveexec_b32 s6, s6
; %bb.166:
	v_cmp_eq_f32_e64 s1, 1.0, v2
	v_cmp_eq_f32_e64 s2, 2.0, v2
	s_or_b32 s1, s1, s2
	v_cndmask_b32_e64 v8, v8, 0, s1
; %bb.167:
	s_or_b32 exec_lo, exec_lo, s6
	v_cmp_gt_f32_e64 s1, 0x4b000000, |v2|
	s_or_b32 vcc_lo, vcc_lo, s1
	v_cmp_class_f32_e64 s1, v2, 0x264
	v_cndmask_b32_e32 v5, 0x7f800000, v8, vcc_lo
	v_cmp_u_f32_e32 vcc_lo, v2, v2
	v_cndmask_b32_e64 v5, v5, 0x7f800000, s1
	v_cndmask_b32_e32 v2, v5, v2, vcc_lo
	v_bfe_u32 v5, v2, 16, 1
	v_cmp_o_f32_e32 vcc_lo, v2, v2
	v_add3_u32 v2, v2, v5, 0x7fff
	v_mov_b32_e32 v5, 0x7fc0
	v_cndmask_b32_sdwa v5, v5, v2, vcc_lo dst_sel:DWORD dst_unused:UNUSED_PAD src0_sel:DWORD src1_sel:WORD_1
	s_or_b32 exec_lo, exec_lo, s5
	s_and_saveexec_b32 s1, s0
	s_xor_b32 s0, exec_lo, s1
	s_cbranch_execnz .LBB161_173
.LBB161_168:
	s_or_b32 exec_lo, exec_lo, s0
	s_mov_b32 s0, exec_lo
	v_cmpx_gt_i32_e64 s4, v0
	s_cbranch_execz .LBB161_174
.LBB161_169:
	v_add_nc_u32_e32 v1, s3, v0
	v_mov_b32_e32 v2, 0
	v_add_nc_u32_e32 v0, 0x100, v0
	v_lshlrev_b64 v[1:2], 1, v[1:2]
	v_add_co_u32 v1, vcc_lo, s8, v1
	v_add_co_ci_u32_e64 v2, null, s9, v2, vcc_lo
	global_store_short v[1:2], v7, off
	s_or_b32 exec_lo, exec_lo, s0
	s_mov_b32 s0, exec_lo
	v_cmpx_gt_i32_e64 s4, v0
	s_cbranch_execnz .LBB161_175
.LBB161_170:
	s_or_b32 exec_lo, exec_lo, s0
	s_mov_b32 s0, exec_lo
	v_cmpx_gt_i32_e64 s4, v0
	s_cbranch_execz .LBB161_176
.LBB161_171:
	v_add_nc_u32_e32 v0, s3, v0
	v_mov_b32_e32 v1, 0
	v_lshlrev_b64 v[0:1], 1, v[0:1]
	v_add_co_u32 v0, vcc_lo, s8, v0
	v_add_co_ci_u32_e64 v1, null, s9, v1, vcc_lo
	global_store_short v[0:1], v5, off
	s_endpgm
.LBB161_172:
	s_or_b32 exec_lo, exec_lo, s5
	s_and_saveexec_b32 s1, s0
	s_xor_b32 s0, exec_lo, s1
	s_cbranch_execz .LBB161_168
.LBB161_173:
	v_mov_b32_e32 v2, 0
	v_lshlrev_b64 v[0:1], 1, v[1:2]
	v_add_co_u32 v8, vcc_lo, s8, v0
	v_add_co_ci_u32_e64 v9, null, s9, v1, vcc_lo
	v_mov_b32_e32 v0, v3
	global_store_short v[8:9], v4, off
	s_or_b32 exec_lo, exec_lo, s0
	s_mov_b32 s0, exec_lo
	v_cmpx_gt_i32_e64 s4, v0
	s_cbranch_execnz .LBB161_169
.LBB161_174:
	s_or_b32 exec_lo, exec_lo, s0
	s_mov_b32 s0, exec_lo
	v_cmpx_gt_i32_e64 s4, v0
	s_cbranch_execz .LBB161_170
.LBB161_175:
	v_add_nc_u32_e32 v1, s3, v0
	v_mov_b32_e32 v2, 0
	v_add_nc_u32_e32 v0, 0x100, v0
	v_lshlrev_b64 v[1:2], 1, v[1:2]
	v_add_co_u32 v1, vcc_lo, s8, v1
	v_add_co_ci_u32_e64 v2, null, s9, v2, vcc_lo
	global_store_short v[1:2], v6, off
	s_or_b32 exec_lo, exec_lo, s0
	s_mov_b32 s0, exec_lo
	v_cmpx_gt_i32_e64 s4, v0
	s_cbranch_execnz .LBB161_171
.LBB161_176:
	s_endpgm
	.section	.rodata,"a",@progbits
	.p2align	6, 0x0
	.amdhsa_kernel _ZN2at6native27unrolled_elementwise_kernelIZZZNS0_18lgamma_kernel_cudaERNS_18TensorIteratorBaseEENKUlvE_clEvENKUlvE2_clEvEUlN3c108BFloat16EE_St5arrayIPcLm2EELi4E23TrivialOffsetCalculatorILi1EjESD_NS0_6memory15LoadWithoutCastENSE_16StoreWithoutCastEEEviT_T0_T2_T3_T4_T5_
		.amdhsa_group_segment_fixed_size 0
		.amdhsa_private_segment_fixed_size 0
		.amdhsa_kernarg_size 28
		.amdhsa_user_sgpr_count 6
		.amdhsa_user_sgpr_private_segment_buffer 1
		.amdhsa_user_sgpr_dispatch_ptr 0
		.amdhsa_user_sgpr_queue_ptr 0
		.amdhsa_user_sgpr_kernarg_segment_ptr 1
		.amdhsa_user_sgpr_dispatch_id 0
		.amdhsa_user_sgpr_flat_scratch_init 0
		.amdhsa_user_sgpr_private_segment_size 0
		.amdhsa_wavefront_size32 1
		.amdhsa_uses_dynamic_stack 0
		.amdhsa_system_sgpr_private_segment_wavefront_offset 0
		.amdhsa_system_sgpr_workgroup_id_x 1
		.amdhsa_system_sgpr_workgroup_id_y 0
		.amdhsa_system_sgpr_workgroup_id_z 0
		.amdhsa_system_sgpr_workgroup_info 0
		.amdhsa_system_vgpr_workitem_id 0
		.amdhsa_next_free_vgpr 15
		.amdhsa_next_free_sgpr 12
		.amdhsa_reserve_vcc 1
		.amdhsa_reserve_flat_scratch 0
		.amdhsa_float_round_mode_32 0
		.amdhsa_float_round_mode_16_64 0
		.amdhsa_float_denorm_mode_32 3
		.amdhsa_float_denorm_mode_16_64 3
		.amdhsa_dx10_clamp 1
		.amdhsa_ieee_mode 1
		.amdhsa_fp16_overflow 0
		.amdhsa_workgroup_processor_mode 1
		.amdhsa_memory_ordered 1
		.amdhsa_forward_progress 1
		.amdhsa_shared_vgpr_count 0
		.amdhsa_exception_fp_ieee_invalid_op 0
		.amdhsa_exception_fp_denorm_src 0
		.amdhsa_exception_fp_ieee_div_zero 0
		.amdhsa_exception_fp_ieee_overflow 0
		.amdhsa_exception_fp_ieee_underflow 0
		.amdhsa_exception_fp_ieee_inexact 0
		.amdhsa_exception_int_div_zero 0
	.end_amdhsa_kernel
	.section	.text._ZN2at6native27unrolled_elementwise_kernelIZZZNS0_18lgamma_kernel_cudaERNS_18TensorIteratorBaseEENKUlvE_clEvENKUlvE2_clEvEUlN3c108BFloat16EE_St5arrayIPcLm2EELi4E23TrivialOffsetCalculatorILi1EjESD_NS0_6memory15LoadWithoutCastENSE_16StoreWithoutCastEEEviT_T0_T2_T3_T4_T5_,"axG",@progbits,_ZN2at6native27unrolled_elementwise_kernelIZZZNS0_18lgamma_kernel_cudaERNS_18TensorIteratorBaseEENKUlvE_clEvENKUlvE2_clEvEUlN3c108BFloat16EE_St5arrayIPcLm2EELi4E23TrivialOffsetCalculatorILi1EjESD_NS0_6memory15LoadWithoutCastENSE_16StoreWithoutCastEEEviT_T0_T2_T3_T4_T5_,comdat
.Lfunc_end161:
	.size	_ZN2at6native27unrolled_elementwise_kernelIZZZNS0_18lgamma_kernel_cudaERNS_18TensorIteratorBaseEENKUlvE_clEvENKUlvE2_clEvEUlN3c108BFloat16EE_St5arrayIPcLm2EELi4E23TrivialOffsetCalculatorILi1EjESD_NS0_6memory15LoadWithoutCastENSE_16StoreWithoutCastEEEviT_T0_T2_T3_T4_T5_, .Lfunc_end161-_ZN2at6native27unrolled_elementwise_kernelIZZZNS0_18lgamma_kernel_cudaERNS_18TensorIteratorBaseEENKUlvE_clEvENKUlvE2_clEvEUlN3c108BFloat16EE_St5arrayIPcLm2EELi4E23TrivialOffsetCalculatorILi1EjESD_NS0_6memory15LoadWithoutCastENSE_16StoreWithoutCastEEEviT_T0_T2_T3_T4_T5_
                                        ; -- End function
	.set _ZN2at6native27unrolled_elementwise_kernelIZZZNS0_18lgamma_kernel_cudaERNS_18TensorIteratorBaseEENKUlvE_clEvENKUlvE2_clEvEUlN3c108BFloat16EE_St5arrayIPcLm2EELi4E23TrivialOffsetCalculatorILi1EjESD_NS0_6memory15LoadWithoutCastENSE_16StoreWithoutCastEEEviT_T0_T2_T3_T4_T5_.num_vgpr, 15
	.set _ZN2at6native27unrolled_elementwise_kernelIZZZNS0_18lgamma_kernel_cudaERNS_18TensorIteratorBaseEENKUlvE_clEvENKUlvE2_clEvEUlN3c108BFloat16EE_St5arrayIPcLm2EELi4E23TrivialOffsetCalculatorILi1EjESD_NS0_6memory15LoadWithoutCastENSE_16StoreWithoutCastEEEviT_T0_T2_T3_T4_T5_.num_agpr, 0
	.set _ZN2at6native27unrolled_elementwise_kernelIZZZNS0_18lgamma_kernel_cudaERNS_18TensorIteratorBaseEENKUlvE_clEvENKUlvE2_clEvEUlN3c108BFloat16EE_St5arrayIPcLm2EELi4E23TrivialOffsetCalculatorILi1EjESD_NS0_6memory15LoadWithoutCastENSE_16StoreWithoutCastEEEviT_T0_T2_T3_T4_T5_.numbered_sgpr, 12
	.set _ZN2at6native27unrolled_elementwise_kernelIZZZNS0_18lgamma_kernel_cudaERNS_18TensorIteratorBaseEENKUlvE_clEvENKUlvE2_clEvEUlN3c108BFloat16EE_St5arrayIPcLm2EELi4E23TrivialOffsetCalculatorILi1EjESD_NS0_6memory15LoadWithoutCastENSE_16StoreWithoutCastEEEviT_T0_T2_T3_T4_T5_.num_named_barrier, 0
	.set _ZN2at6native27unrolled_elementwise_kernelIZZZNS0_18lgamma_kernel_cudaERNS_18TensorIteratorBaseEENKUlvE_clEvENKUlvE2_clEvEUlN3c108BFloat16EE_St5arrayIPcLm2EELi4E23TrivialOffsetCalculatorILi1EjESD_NS0_6memory15LoadWithoutCastENSE_16StoreWithoutCastEEEviT_T0_T2_T3_T4_T5_.private_seg_size, 0
	.set _ZN2at6native27unrolled_elementwise_kernelIZZZNS0_18lgamma_kernel_cudaERNS_18TensorIteratorBaseEENKUlvE_clEvENKUlvE2_clEvEUlN3c108BFloat16EE_St5arrayIPcLm2EELi4E23TrivialOffsetCalculatorILi1EjESD_NS0_6memory15LoadWithoutCastENSE_16StoreWithoutCastEEEviT_T0_T2_T3_T4_T5_.uses_vcc, 1
	.set _ZN2at6native27unrolled_elementwise_kernelIZZZNS0_18lgamma_kernel_cudaERNS_18TensorIteratorBaseEENKUlvE_clEvENKUlvE2_clEvEUlN3c108BFloat16EE_St5arrayIPcLm2EELi4E23TrivialOffsetCalculatorILi1EjESD_NS0_6memory15LoadWithoutCastENSE_16StoreWithoutCastEEEviT_T0_T2_T3_T4_T5_.uses_flat_scratch, 0
	.set _ZN2at6native27unrolled_elementwise_kernelIZZZNS0_18lgamma_kernel_cudaERNS_18TensorIteratorBaseEENKUlvE_clEvENKUlvE2_clEvEUlN3c108BFloat16EE_St5arrayIPcLm2EELi4E23TrivialOffsetCalculatorILi1EjESD_NS0_6memory15LoadWithoutCastENSE_16StoreWithoutCastEEEviT_T0_T2_T3_T4_T5_.has_dyn_sized_stack, 0
	.set _ZN2at6native27unrolled_elementwise_kernelIZZZNS0_18lgamma_kernel_cudaERNS_18TensorIteratorBaseEENKUlvE_clEvENKUlvE2_clEvEUlN3c108BFloat16EE_St5arrayIPcLm2EELi4E23TrivialOffsetCalculatorILi1EjESD_NS0_6memory15LoadWithoutCastENSE_16StoreWithoutCastEEEviT_T0_T2_T3_T4_T5_.has_recursion, 0
	.set _ZN2at6native27unrolled_elementwise_kernelIZZZNS0_18lgamma_kernel_cudaERNS_18TensorIteratorBaseEENKUlvE_clEvENKUlvE2_clEvEUlN3c108BFloat16EE_St5arrayIPcLm2EELi4E23TrivialOffsetCalculatorILi1EjESD_NS0_6memory15LoadWithoutCastENSE_16StoreWithoutCastEEEviT_T0_T2_T3_T4_T5_.has_indirect_call, 0
	.section	.AMDGPU.csdata,"",@progbits
; Kernel info:
; codeLenInByte = 9992
; TotalNumSgprs: 14
; NumVgprs: 15
; ScratchSize: 0
; MemoryBound: 0
; FloatMode: 240
; IeeeMode: 1
; LDSByteSize: 0 bytes/workgroup (compile time only)
; SGPRBlocks: 0
; VGPRBlocks: 1
; NumSGPRsForWavesPerEU: 14
; NumVGPRsForWavesPerEU: 15
; Occupancy: 16
; WaveLimiterHint : 0
; COMPUTE_PGM_RSRC2:SCRATCH_EN: 0
; COMPUTE_PGM_RSRC2:USER_SGPR: 6
; COMPUTE_PGM_RSRC2:TRAP_HANDLER: 0
; COMPUTE_PGM_RSRC2:TGID_X_EN: 1
; COMPUTE_PGM_RSRC2:TGID_Y_EN: 0
; COMPUTE_PGM_RSRC2:TGID_Z_EN: 0
; COMPUTE_PGM_RSRC2:TIDIG_COMP_CNT: 0
	.section	.text._ZN2at6native32elementwise_kernel_manual_unrollILi128ELi8EZNS0_22gpu_kernel_impl_nocastIZZZNS0_18lgamma_kernel_cudaERNS_18TensorIteratorBaseEENKUlvE_clEvENKUlvE2_clEvEUlN3c108BFloat16EE_EEvS4_RKT_EUlibE_EEviT1_,"axG",@progbits,_ZN2at6native32elementwise_kernel_manual_unrollILi128ELi8EZNS0_22gpu_kernel_impl_nocastIZZZNS0_18lgamma_kernel_cudaERNS_18TensorIteratorBaseEENKUlvE_clEvENKUlvE2_clEvEUlN3c108BFloat16EE_EEvS4_RKT_EUlibE_EEviT1_,comdat
	.globl	_ZN2at6native32elementwise_kernel_manual_unrollILi128ELi8EZNS0_22gpu_kernel_impl_nocastIZZZNS0_18lgamma_kernel_cudaERNS_18TensorIteratorBaseEENKUlvE_clEvENKUlvE2_clEvEUlN3c108BFloat16EE_EEvS4_RKT_EUlibE_EEviT1_ ; -- Begin function _ZN2at6native32elementwise_kernel_manual_unrollILi128ELi8EZNS0_22gpu_kernel_impl_nocastIZZZNS0_18lgamma_kernel_cudaERNS_18TensorIteratorBaseEENKUlvE_clEvENKUlvE2_clEvEUlN3c108BFloat16EE_EEvS4_RKT_EUlibE_EEviT1_
	.p2align	8
	.type	_ZN2at6native32elementwise_kernel_manual_unrollILi128ELi8EZNS0_22gpu_kernel_impl_nocastIZZZNS0_18lgamma_kernel_cudaERNS_18TensorIteratorBaseEENKUlvE_clEvENKUlvE2_clEvEUlN3c108BFloat16EE_EEvS4_RKT_EUlibE_EEviT1_,@function
_ZN2at6native32elementwise_kernel_manual_unrollILi128ELi8EZNS0_22gpu_kernel_impl_nocastIZZZNS0_18lgamma_kernel_cudaERNS_18TensorIteratorBaseEENKUlvE_clEvENKUlvE2_clEvEUlN3c108BFloat16EE_EEvS4_RKT_EUlibE_EEviT1_: ; @_ZN2at6native32elementwise_kernel_manual_unrollILi128ELi8EZNS0_22gpu_kernel_impl_nocastIZZZNS0_18lgamma_kernel_cudaERNS_18TensorIteratorBaseEENKUlvE_clEvENKUlvE2_clEvEUlN3c108BFloat16EE_EEvS4_RKT_EUlibE_EEviT1_
; %bb.0:
	s_clause 0x1
	s_load_dword s22, s[4:5], 0x8
	s_load_dword s27, s[4:5], 0x0
	v_lshl_or_b32 v7, s6, 10, v0
	s_add_u32 s2, s4, 8
	s_addc_u32 s3, s5, 0
	s_mov_b32 s0, exec_lo
	v_or_b32_e32 v25, 0x380, v7
	s_waitcnt lgkmcnt(0)
	s_add_i32 s23, s22, -1
	s_cmp_gt_u32 s23, 1
	s_cselect_b32 s24, -1, 0
	v_cmpx_le_i32_e64 s27, v25
	s_xor_b32 s25, exec_lo, s0
	s_cbranch_execz .LBB162_7
; %bb.1:
	s_clause 0x3
	s_load_dwordx4 s[12:15], s[2:3], 0x4
	s_load_dwordx2 s[16:17], s[2:3], 0x14
	s_load_dwordx4 s[8:11], s[2:3], 0xc4
	s_load_dwordx4 s[4:7], s[2:3], 0x148
	s_cmp_lg_u32 s22, 0
	s_mov_b32 s30, exec_lo
	s_cselect_b32 s29, -1, 0
	s_add_u32 s18, s2, 0xc4
	s_addc_u32 s19, s3, 0
	s_min_u32 s28, s23, 15
	s_cmp_gt_u32 s22, 1
	s_cselect_b32 s26, -1, 0
	v_cmpx_gt_i32_e64 s27, v7
	s_cbranch_execz .LBB162_14
; %bb.2:
	s_andn2_b32 vcc_lo, exec_lo, s24
	s_cbranch_vccnz .LBB162_21
; %bb.3:
	s_andn2_b32 vcc_lo, exec_lo, s29
	s_cbranch_vccnz .LBB162_433
; %bb.4:
	s_add_i32 s33, s28, 1
	s_cmp_eq_u32 s23, 2
	s_cbranch_scc1 .LBB162_435
; %bb.5:
	v_mov_b32_e32 v2, 0
	v_mov_b32_e32 v0, 0
	;; [unrolled: 1-line block ×3, first 2 shown]
	s_and_b32 s31, s33, 28
	s_mov_b32 s34, 0
	s_mov_b64 s[0:1], s[2:3]
	s_mov_b64 s[20:21], s[18:19]
.LBB162_6:                              ; =>This Inner Loop Header: Depth=1
	s_clause 0x1
	s_load_dwordx8 s[36:43], s[0:1], 0x4
	s_load_dwordx4 s[52:55], s[0:1], 0x24
	s_load_dwordx8 s[44:51], s[20:21], 0x0
	s_add_u32 s0, s0, 48
	s_addc_u32 s1, s1, 0
	s_add_i32 s34, s34, 4
	s_add_u32 s20, s20, 32
	s_addc_u32 s21, s21, 0
	s_cmp_lg_u32 s31, s34
	s_waitcnt lgkmcnt(0)
	v_mul_hi_u32 v3, s37, v1
	v_add_nc_u32_e32 v3, v1, v3
	v_lshrrev_b32_e32 v3, s38, v3
	v_mul_hi_u32 v4, s40, v3
	v_mul_lo_u32 v6, v3, s36
	v_add_nc_u32_e32 v4, v3, v4
	v_sub_nc_u32_e32 v1, v1, v6
	v_lshrrev_b32_e32 v4, s41, v4
	v_mul_lo_u32 v6, v1, s44
	v_mul_lo_u32 v9, v1, s45
	v_mul_hi_u32 v5, s43, v4
	v_add_nc_u32_e32 v5, v4, v5
	v_lshrrev_b32_e32 v5, s52, v5
	v_mul_hi_u32 v8, s54, v5
	v_mul_lo_u32 v10, v5, s42
	v_add_nc_u32_e32 v1, v5, v8
	v_mul_lo_u32 v8, v4, s39
	v_sub_nc_u32_e32 v4, v4, v10
	v_lshrrev_b32_e32 v1, s55, v1
	v_mul_lo_u32 v10, v4, s48
	v_mul_lo_u32 v4, v4, s49
	v_sub_nc_u32_e32 v3, v3, v8
	v_mul_lo_u32 v11, v1, s53
	v_mul_lo_u32 v8, v3, s46
	;; [unrolled: 1-line block ×3, first 2 shown]
	v_sub_nc_u32_e32 v5, v5, v11
	v_add3_u32 v0, v6, v0, v8
	v_mul_lo_u32 v11, v5, s50
	v_mul_lo_u32 v5, v5, s51
	v_add3_u32 v2, v9, v2, v3
	v_add3_u32 v0, v10, v0, v11
	;; [unrolled: 1-line block ×3, first 2 shown]
	s_cbranch_scc1 .LBB162_6
	s_branch .LBB162_436
.LBB162_7:
	s_andn2_saveexec_b32 s0, s25
	s_cbranch_execz .LBB162_753
.LBB162_8:
	v_cndmask_b32_e64 v8, 0, 1, s24
	s_andn2_b32 vcc_lo, exec_lo, s24
	s_cbranch_vccnz .LBB162_20
; %bb.9:
	s_cmp_lg_u32 s22, 0
	s_waitcnt lgkmcnt(0)
	s_mov_b32 s6, 0
	s_cbranch_scc0 .LBB162_23
; %bb.10:
	s_min_u32 s8, s23, 15
	s_add_i32 s8, s8, 1
	s_cmp_eq_u32 s23, 2
	s_cbranch_scc1 .LBB162_24
; %bb.11:
	v_mov_b32_e32 v23, 0
	v_mov_b32_e32 v0, 0
	;; [unrolled: 1-line block ×3, first 2 shown]
	s_and_b32 s7, s8, 28
	s_add_u32 s0, s2, 0xc4
	s_addc_u32 s1, s3, 0
	s_mov_b32 s9, 0
	s_mov_b64 s[4:5], s[2:3]
.LBB162_12:                             ; =>This Inner Loop Header: Depth=1
	s_clause 0x1
	s_load_dwordx8 s[12:19], s[4:5], 0x4
	s_load_dwordx4 s[36:39], s[4:5], 0x24
	s_load_dwordx8 s[24:31], s[0:1], 0x0
	s_add_u32 s4, s4, 48
	s_addc_u32 s5, s5, 0
	s_add_i32 s9, s9, 4
	s_add_u32 s0, s0, 32
	s_addc_u32 s1, s1, 0
	s_cmp_lg_u32 s7, s9
	s_waitcnt lgkmcnt(0)
	v_mul_hi_u32 v2, s13, v1
	v_add_nc_u32_e32 v2, v1, v2
	v_lshrrev_b32_e32 v2, s14, v2
	v_mul_hi_u32 v3, s16, v2
	v_mul_lo_u32 v5, v2, s12
	v_add_nc_u32_e32 v3, v2, v3
	v_sub_nc_u32_e32 v1, v1, v5
	v_lshrrev_b32_e32 v3, s17, v3
	v_mul_lo_u32 v5, v1, s24
	v_mul_lo_u32 v9, v1, s25
	v_mul_hi_u32 v4, s19, v3
	v_add_nc_u32_e32 v4, v3, v4
	v_lshrrev_b32_e32 v4, s36, v4
	v_mul_hi_u32 v6, s38, v4
	v_mul_lo_u32 v10, v4, s18
	v_add_nc_u32_e32 v1, v4, v6
	v_mul_lo_u32 v6, v3, s15
	v_sub_nc_u32_e32 v3, v3, v10
	v_lshrrev_b32_e32 v1, s39, v1
	v_mul_lo_u32 v10, v3, s28
	v_mul_lo_u32 v3, v3, s29
	v_sub_nc_u32_e32 v2, v2, v6
	v_mul_lo_u32 v11, v1, s37
	v_mul_lo_u32 v6, v2, s26
	;; [unrolled: 1-line block ×3, first 2 shown]
	v_sub_nc_u32_e32 v4, v4, v11
	v_add3_u32 v0, v5, v0, v6
	v_mul_lo_u32 v11, v4, s30
	v_mul_lo_u32 v4, v4, s31
	v_add3_u32 v2, v9, v23, v2
	v_add3_u32 v0, v10, v0, v11
	;; [unrolled: 1-line block ×3, first 2 shown]
	s_cbranch_scc1 .LBB162_12
; %bb.13:
	s_and_b32 s8, s8, 3
	s_cmp_eq_u32 s8, 0
	s_cbranch_scc0 .LBB162_25
	s_branch .LBB162_27
.LBB162_14:
	s_or_b32 exec_lo, exec_lo, s30
	s_mov_b32 s30, exec_lo
	v_cmpx_gt_i32_e64 s27, v7
	s_cbranch_execz .LBB162_481
.LBB162_15:
	s_andn2_b32 vcc_lo, exec_lo, s24
	s_cbranch_vccnz .LBB162_22
; %bb.16:
	s_andn2_b32 vcc_lo, exec_lo, s29
	s_cbranch_vccnz .LBB162_434
; %bb.17:
	s_add_i32 s33, s28, 1
	s_cmp_eq_u32 s23, 2
	s_cbranch_scc1 .LBB162_489
; %bb.18:
	v_mov_b32_e32 v2, 0
	v_mov_b32_e32 v0, 0
	;; [unrolled: 1-line block ×3, first 2 shown]
	s_and_b32 s31, s33, 28
	s_mov_b32 s34, 0
	s_mov_b64 s[0:1], s[2:3]
	s_mov_b64 s[20:21], s[18:19]
.LBB162_19:                             ; =>This Inner Loop Header: Depth=1
	s_clause 0x1
	s_load_dwordx8 s[36:43], s[0:1], 0x4
	s_load_dwordx4 s[52:55], s[0:1], 0x24
	s_load_dwordx8 s[44:51], s[20:21], 0x0
	s_add_u32 s0, s0, 48
	s_addc_u32 s1, s1, 0
	s_add_i32 s34, s34, 4
	s_add_u32 s20, s20, 32
	s_addc_u32 s21, s21, 0
	s_cmp_eq_u32 s31, s34
	s_waitcnt lgkmcnt(0)
	v_mul_hi_u32 v3, s37, v1
	v_add_nc_u32_e32 v3, v1, v3
	v_lshrrev_b32_e32 v3, s38, v3
	v_mul_hi_u32 v4, s40, v3
	v_mul_lo_u32 v6, v3, s36
	v_add_nc_u32_e32 v4, v3, v4
	v_sub_nc_u32_e32 v1, v1, v6
	v_lshrrev_b32_e32 v4, s41, v4
	v_mul_lo_u32 v6, v1, s44
	v_mul_lo_u32 v9, v1, s45
	v_mul_hi_u32 v5, s43, v4
	v_add_nc_u32_e32 v5, v4, v5
	v_lshrrev_b32_e32 v5, s52, v5
	v_mul_hi_u32 v8, s54, v5
	v_mul_lo_u32 v10, v5, s42
	v_add_nc_u32_e32 v1, v5, v8
	v_mul_lo_u32 v8, v4, s39
	v_sub_nc_u32_e32 v4, v4, v10
	v_lshrrev_b32_e32 v1, s55, v1
	v_mul_lo_u32 v10, v4, s48
	v_mul_lo_u32 v4, v4, s49
	v_sub_nc_u32_e32 v3, v3, v8
	v_mul_lo_u32 v11, v1, s53
	v_mul_lo_u32 v8, v3, s46
	;; [unrolled: 1-line block ×3, first 2 shown]
	v_sub_nc_u32_e32 v5, v5, v11
	v_add3_u32 v0, v6, v0, v8
	v_mul_lo_u32 v11, v5, s50
	v_mul_lo_u32 v5, v5, s51
	v_add3_u32 v2, v9, v2, v3
	v_add3_u32 v0, v10, v0, v11
	;; [unrolled: 1-line block ×3, first 2 shown]
	s_cbranch_scc0 .LBB162_19
	s_branch .LBB162_490
.LBB162_20:
	s_waitcnt lgkmcnt(0)
	s_mov_b32 s6, -1
                                        ; implicit-def: $vgpr0
                                        ; implicit-def: $vgpr23
	s_branch .LBB162_27
.LBB162_21:
                                        ; implicit-def: $vgpr0
                                        ; implicit-def: $vgpr2
	s_branch .LBB162_440
.LBB162_22:
                                        ; implicit-def: $vgpr0
                                        ; implicit-def: $vgpr2
	s_branch .LBB162_494
.LBB162_23:
	v_mov_b32_e32 v0, 0
	v_mov_b32_e32 v23, 0
	s_branch .LBB162_27
.LBB162_24:
	v_mov_b32_e32 v0, 0
	v_mov_b32_e32 v23, 0
	;; [unrolled: 1-line block ×3, first 2 shown]
	s_mov_b32 s7, 0
	s_and_b32 s8, s8, 3
	s_cmp_eq_u32 s8, 0
	s_cbranch_scc1 .LBB162_27
.LBB162_25:
	s_lshl_b32 s0, s7, 3
	s_mul_i32 s4, s7, 12
	s_add_u32 s0, s2, s0
	s_addc_u32 s1, s3, 0
	s_add_u32 s0, s0, 0xc4
	s_addc_u32 s1, s1, 0
	;; [unrolled: 2-line block ×3, first 2 shown]
	.p2align	6
.LBB162_26:                             ; =>This Inner Loop Header: Depth=1
	s_clause 0x1
	s_load_dwordx2 s[10:11], s[4:5], 0x4
	s_load_dword s7, s[4:5], 0xc
	s_load_dwordx2 s[12:13], s[0:1], 0x0
	s_add_u32 s4, s4, 12
	s_addc_u32 s5, s5, 0
	s_add_u32 s0, s0, 8
	s_addc_u32 s1, s1, 0
	s_add_i32 s8, s8, -1
	s_cmp_lg_u32 s8, 0
	s_waitcnt lgkmcnt(0)
	v_mul_hi_u32 v2, s11, v1
	v_add_nc_u32_e32 v2, v1, v2
	v_lshrrev_b32_e32 v2, s7, v2
	v_mul_lo_u32 v3, v2, s10
	v_sub_nc_u32_e32 v3, v1, v3
	v_mad_u64_u32 v[0:1], null, v3, s12, v[0:1]
	v_mad_u64_u32 v[23:24], null, v3, s13, v[23:24]
	v_mov_b32_e32 v1, v2
	s_cbranch_scc1 .LBB162_26
.LBB162_27:
	s_andn2_b32 vcc_lo, exec_lo, s6
	s_cbranch_vccnz .LBB162_30
; %bb.28:
	s_clause 0x1
	s_load_dwordx4 s[4:7], s[2:3], 0x4
	s_load_dwordx2 s[0:1], s[2:3], 0xc4
	s_cmp_lt_u32 s22, 2
	s_waitcnt lgkmcnt(0)
	v_mul_hi_u32 v0, s5, v7
	v_add_nc_u32_e32 v0, v7, v0
	v_lshrrev_b32_e32 v1, s6, v0
	v_mul_lo_u32 v0, v1, s4
	v_sub_nc_u32_e32 v2, v7, v0
	v_mul_lo_u32 v0, v2, s0
	v_mul_lo_u32 v23, v2, s1
	s_cbranch_scc1 .LBB162_30
; %bb.29:
	s_clause 0x1
	s_load_dwordx4 s[4:7], s[2:3], 0x10
	s_load_dwordx2 s[0:1], s[2:3], 0xcc
	s_waitcnt lgkmcnt(0)
	v_mul_hi_u32 v2, s5, v1
	v_add_nc_u32_e32 v2, v1, v2
	v_lshrrev_b32_e32 v2, s6, v2
	v_mul_lo_u32 v2, v2, s4
	v_sub_nc_u32_e32 v2, v1, v2
	v_mad_u64_u32 v[0:1], null, v2, s0, v[0:1]
	v_mad_u64_u32 v[23:24], null, v2, s1, v[23:24]
.LBB162_30:
	v_cmp_ne_u32_e32 vcc_lo, 1, v8
	v_add_nc_u32_e32 v3, 0x80, v7
	s_cbranch_vccnz .LBB162_36
; %bb.31:
	s_cmp_lg_u32 s22, 0
	s_mov_b32 s6, 0
	s_cbranch_scc0 .LBB162_37
; %bb.32:
	s_min_u32 s8, s23, 15
	s_add_i32 s8, s8, 1
	s_cmp_eq_u32 s23, 2
	s_cbranch_scc1 .LBB162_38
; %bb.33:
	v_mov_b32_e32 v21, 0
	v_mov_b32_e32 v1, 0
	;; [unrolled: 1-line block ×3, first 2 shown]
	s_and_b32 s7, s8, 28
	s_add_u32 s0, s2, 0xc4
	s_addc_u32 s1, s3, 0
	s_mov_b32 s9, 0
	s_mov_b64 s[4:5], s[2:3]
.LBB162_34:                             ; =>This Inner Loop Header: Depth=1
	s_clause 0x1
	s_load_dwordx8 s[12:19], s[4:5], 0x4
	s_load_dwordx4 s[36:39], s[4:5], 0x24
	s_load_dwordx8 s[24:31], s[0:1], 0x0
	s_add_u32 s4, s4, 48
	s_addc_u32 s5, s5, 0
	s_add_i32 s9, s9, 4
	s_add_u32 s0, s0, 32
	s_addc_u32 s1, s1, 0
	s_cmp_lg_u32 s7, s9
	s_waitcnt lgkmcnt(0)
	v_mul_hi_u32 v4, s13, v2
	v_add_nc_u32_e32 v4, v2, v4
	v_lshrrev_b32_e32 v4, s14, v4
	v_mul_hi_u32 v5, s16, v4
	v_mul_lo_u32 v9, v4, s12
	v_add_nc_u32_e32 v5, v4, v5
	v_sub_nc_u32_e32 v2, v2, v9
	v_lshrrev_b32_e32 v5, s17, v5
	v_mul_lo_u32 v9, v2, s24
	v_mul_lo_u32 v11, v2, s25
	v_mul_hi_u32 v6, s19, v5
	v_add_nc_u32_e32 v6, v5, v6
	v_lshrrev_b32_e32 v6, s36, v6
	v_mul_hi_u32 v10, s38, v6
	v_mul_lo_u32 v12, v6, s18
	v_add_nc_u32_e32 v2, v6, v10
	v_mul_lo_u32 v10, v5, s15
	v_sub_nc_u32_e32 v5, v5, v12
	v_lshrrev_b32_e32 v2, s39, v2
	v_mul_lo_u32 v12, v5, s28
	v_mul_lo_u32 v5, v5, s29
	v_sub_nc_u32_e32 v4, v4, v10
	v_mul_lo_u32 v13, v2, s37
	v_mul_lo_u32 v10, v4, s26
	;; [unrolled: 1-line block ×3, first 2 shown]
	v_sub_nc_u32_e32 v6, v6, v13
	v_add3_u32 v1, v9, v1, v10
	v_mul_lo_u32 v13, v6, s30
	v_mul_lo_u32 v6, v6, s31
	v_add3_u32 v4, v11, v21, v4
	v_add3_u32 v1, v12, v1, v13
	;; [unrolled: 1-line block ×3, first 2 shown]
	s_cbranch_scc1 .LBB162_34
; %bb.35:
	s_and_b32 s8, s8, 3
	s_cmp_eq_u32 s8, 0
	s_cbranch_scc0 .LBB162_39
	s_branch .LBB162_41
.LBB162_36:
	s_mov_b32 s6, -1
                                        ; implicit-def: $vgpr1
                                        ; implicit-def: $vgpr21
	s_branch .LBB162_41
.LBB162_37:
	v_mov_b32_e32 v1, 0
	v_mov_b32_e32 v21, 0
	s_branch .LBB162_41
.LBB162_38:
	v_mov_b32_e32 v1, 0
	v_mov_b32_e32 v21, 0
	;; [unrolled: 1-line block ×3, first 2 shown]
	s_mov_b32 s7, 0
	s_and_b32 s8, s8, 3
	s_cmp_eq_u32 s8, 0
	s_cbranch_scc1 .LBB162_41
.LBB162_39:
	s_lshl_b32 s0, s7, 3
	s_mul_i32 s4, s7, 12
	s_add_u32 s0, s2, s0
	s_addc_u32 s1, s3, 0
	s_add_u32 s0, s0, 0xc4
	s_addc_u32 s1, s1, 0
	;; [unrolled: 2-line block ×3, first 2 shown]
	.p2align	6
.LBB162_40:                             ; =>This Inner Loop Header: Depth=1
	s_clause 0x1
	s_load_dwordx2 s[10:11], s[4:5], 0x4
	s_load_dword s7, s[4:5], 0xc
	s_load_dwordx2 s[12:13], s[0:1], 0x0
	s_add_u32 s4, s4, 12
	s_addc_u32 s5, s5, 0
	s_add_u32 s0, s0, 8
	s_addc_u32 s1, s1, 0
	s_add_i32 s8, s8, -1
	s_cmp_lg_u32 s8, 0
	s_waitcnt lgkmcnt(0)
	v_mul_hi_u32 v4, s11, v2
	v_add_nc_u32_e32 v4, v2, v4
	v_lshrrev_b32_e32 v4, s7, v4
	v_mul_lo_u32 v5, v4, s10
	v_sub_nc_u32_e32 v5, v2, v5
	v_mad_u64_u32 v[1:2], null, v5, s12, v[1:2]
	v_mad_u64_u32 v[21:22], null, v5, s13, v[21:22]
	v_mov_b32_e32 v2, v4
	s_cbranch_scc1 .LBB162_40
.LBB162_41:
	s_andn2_b32 vcc_lo, exec_lo, s6
	s_cbranch_vccnz .LBB162_44
; %bb.42:
	s_clause 0x1
	s_load_dwordx4 s[4:7], s[2:3], 0x4
	s_load_dwordx2 s[0:1], s[2:3], 0xc4
	s_cmp_lt_u32 s22, 2
	s_waitcnt lgkmcnt(0)
	v_mul_hi_u32 v1, s5, v3
	v_add_nc_u32_e32 v1, v3, v1
	v_lshrrev_b32_e32 v2, s6, v1
	v_mul_lo_u32 v1, v2, s4
	v_sub_nc_u32_e32 v3, v3, v1
	v_mul_lo_u32 v1, v3, s0
	v_mul_lo_u32 v21, v3, s1
	s_cbranch_scc1 .LBB162_44
; %bb.43:
	s_clause 0x1
	s_load_dwordx4 s[4:7], s[2:3], 0x10
	s_load_dwordx2 s[0:1], s[2:3], 0xcc
	s_waitcnt lgkmcnt(0)
	v_mul_hi_u32 v3, s5, v2
	v_add_nc_u32_e32 v3, v2, v3
	v_lshrrev_b32_e32 v3, s6, v3
	v_mul_lo_u32 v3, v3, s4
	v_sub_nc_u32_e32 v3, v2, v3
	v_mad_u64_u32 v[1:2], null, v3, s0, v[1:2]
	v_mad_u64_u32 v[21:22], null, v3, s1, v[21:22]
.LBB162_44:
	v_cmp_ne_u32_e32 vcc_lo, 1, v8
	v_add_nc_u32_e32 v4, 0x100, v7
	s_cbranch_vccnz .LBB162_50
; %bb.45:
	s_cmp_lg_u32 s22, 0
	s_mov_b32 s6, 0
	s_cbranch_scc0 .LBB162_51
; %bb.46:
	s_min_u32 s8, s23, 15
	s_add_i32 s8, s8, 1
	s_cmp_eq_u32 s23, 2
	s_cbranch_scc1 .LBB162_52
; %bb.47:
	v_mov_b32_e32 v19, 0
	v_mov_b32_e32 v2, 0
	;; [unrolled: 1-line block ×3, first 2 shown]
	s_and_b32 s7, s8, 28
	s_add_u32 s0, s2, 0xc4
	s_addc_u32 s1, s3, 0
	s_mov_b32 s9, 0
	s_mov_b64 s[4:5], s[2:3]
.LBB162_48:                             ; =>This Inner Loop Header: Depth=1
	s_clause 0x1
	s_load_dwordx8 s[12:19], s[4:5], 0x4
	s_load_dwordx4 s[36:39], s[4:5], 0x24
	s_load_dwordx8 s[24:31], s[0:1], 0x0
	s_add_u32 s4, s4, 48
	s_addc_u32 s5, s5, 0
	s_add_i32 s9, s9, 4
	s_add_u32 s0, s0, 32
	s_addc_u32 s1, s1, 0
	s_cmp_lg_u32 s7, s9
	s_waitcnt lgkmcnt(0)
	v_mul_hi_u32 v5, s13, v3
	v_add_nc_u32_e32 v5, v3, v5
	v_lshrrev_b32_e32 v5, s14, v5
	v_mul_hi_u32 v6, s16, v5
	v_mul_lo_u32 v10, v5, s12
	v_add_nc_u32_e32 v6, v5, v6
	v_sub_nc_u32_e32 v3, v3, v10
	v_lshrrev_b32_e32 v6, s17, v6
	v_mul_lo_u32 v10, v3, s24
	v_mul_lo_u32 v12, v3, s25
	v_mul_hi_u32 v9, s19, v6
	v_add_nc_u32_e32 v9, v6, v9
	v_lshrrev_b32_e32 v9, s36, v9
	v_mul_hi_u32 v11, s38, v9
	v_mul_lo_u32 v13, v9, s18
	v_add_nc_u32_e32 v3, v9, v11
	v_mul_lo_u32 v11, v6, s15
	v_sub_nc_u32_e32 v6, v6, v13
	v_lshrrev_b32_e32 v3, s39, v3
	v_mul_lo_u32 v13, v6, s28
	v_mul_lo_u32 v6, v6, s29
	v_sub_nc_u32_e32 v5, v5, v11
	v_mul_lo_u32 v14, v3, s37
	v_mul_lo_u32 v11, v5, s26
	;; [unrolled: 1-line block ×3, first 2 shown]
	v_sub_nc_u32_e32 v9, v9, v14
	v_add3_u32 v2, v10, v2, v11
	v_mul_lo_u32 v14, v9, s30
	v_mul_lo_u32 v9, v9, s31
	v_add3_u32 v5, v12, v19, v5
	v_add3_u32 v2, v13, v2, v14
	;; [unrolled: 1-line block ×3, first 2 shown]
	s_cbranch_scc1 .LBB162_48
; %bb.49:
	s_and_b32 s8, s8, 3
	s_cmp_eq_u32 s8, 0
	s_cbranch_scc0 .LBB162_53
	s_branch .LBB162_55
.LBB162_50:
	s_mov_b32 s6, -1
                                        ; implicit-def: $vgpr2
                                        ; implicit-def: $vgpr19
	s_branch .LBB162_55
.LBB162_51:
	v_mov_b32_e32 v2, 0
	v_mov_b32_e32 v19, 0
	s_branch .LBB162_55
.LBB162_52:
	v_mov_b32_e32 v2, 0
	v_mov_b32_e32 v19, 0
	;; [unrolled: 1-line block ×3, first 2 shown]
	s_mov_b32 s7, 0
	s_and_b32 s8, s8, 3
	s_cmp_eq_u32 s8, 0
	s_cbranch_scc1 .LBB162_55
.LBB162_53:
	s_lshl_b32 s0, s7, 3
	s_mul_i32 s4, s7, 12
	s_add_u32 s0, s2, s0
	s_addc_u32 s1, s3, 0
	s_add_u32 s0, s0, 0xc4
	s_addc_u32 s1, s1, 0
	;; [unrolled: 2-line block ×3, first 2 shown]
	.p2align	6
.LBB162_54:                             ; =>This Inner Loop Header: Depth=1
	s_clause 0x1
	s_load_dwordx2 s[10:11], s[4:5], 0x4
	s_load_dword s7, s[4:5], 0xc
	s_load_dwordx2 s[12:13], s[0:1], 0x0
	s_add_u32 s4, s4, 12
	s_addc_u32 s5, s5, 0
	s_add_u32 s0, s0, 8
	s_addc_u32 s1, s1, 0
	s_add_i32 s8, s8, -1
	s_cmp_lg_u32 s8, 0
	s_waitcnt lgkmcnt(0)
	v_mul_hi_u32 v5, s11, v3
	v_add_nc_u32_e32 v5, v3, v5
	v_lshrrev_b32_e32 v5, s7, v5
	v_mul_lo_u32 v6, v5, s10
	v_sub_nc_u32_e32 v6, v3, v6
	v_mad_u64_u32 v[2:3], null, v6, s12, v[2:3]
	v_mad_u64_u32 v[19:20], null, v6, s13, v[19:20]
	v_mov_b32_e32 v3, v5
	s_cbranch_scc1 .LBB162_54
.LBB162_55:
	s_andn2_b32 vcc_lo, exec_lo, s6
	s_cbranch_vccnz .LBB162_58
; %bb.56:
	s_clause 0x1
	s_load_dwordx4 s[4:7], s[2:3], 0x4
	s_load_dwordx2 s[0:1], s[2:3], 0xc4
	s_cmp_lt_u32 s22, 2
	s_waitcnt lgkmcnt(0)
	v_mul_hi_u32 v2, s5, v4
	v_add_nc_u32_e32 v2, v4, v2
	v_lshrrev_b32_e32 v3, s6, v2
	v_mul_lo_u32 v2, v3, s4
	v_sub_nc_u32_e32 v4, v4, v2
	v_mul_lo_u32 v2, v4, s0
	v_mul_lo_u32 v19, v4, s1
	s_cbranch_scc1 .LBB162_58
; %bb.57:
	s_clause 0x1
	s_load_dwordx4 s[4:7], s[2:3], 0x10
	s_load_dwordx2 s[0:1], s[2:3], 0xcc
	s_waitcnt lgkmcnt(0)
	v_mul_hi_u32 v4, s5, v3
	v_add_nc_u32_e32 v4, v3, v4
	v_lshrrev_b32_e32 v4, s6, v4
	v_mul_lo_u32 v4, v4, s4
	v_sub_nc_u32_e32 v4, v3, v4
	v_mad_u64_u32 v[2:3], null, v4, s0, v[2:3]
	v_mad_u64_u32 v[19:20], null, v4, s1, v[19:20]
.LBB162_58:
	v_cmp_ne_u32_e32 vcc_lo, 1, v8
	v_add_nc_u32_e32 v5, 0x180, v7
	s_cbranch_vccnz .LBB162_64
; %bb.59:
	s_cmp_lg_u32 s22, 0
	s_mov_b32 s6, 0
	s_cbranch_scc0 .LBB162_65
; %bb.60:
	s_min_u32 s8, s23, 15
	s_add_i32 s8, s8, 1
	s_cmp_eq_u32 s23, 2
	s_cbranch_scc1 .LBB162_66
; %bb.61:
	v_mov_b32_e32 v17, 0
	v_mov_b32_e32 v3, 0
	;; [unrolled: 1-line block ×3, first 2 shown]
	s_and_b32 s7, s8, 28
	s_add_u32 s0, s2, 0xc4
	s_addc_u32 s1, s3, 0
	s_mov_b32 s9, 0
	s_mov_b64 s[4:5], s[2:3]
.LBB162_62:                             ; =>This Inner Loop Header: Depth=1
	s_clause 0x1
	s_load_dwordx8 s[12:19], s[4:5], 0x4
	s_load_dwordx4 s[36:39], s[4:5], 0x24
	s_load_dwordx8 s[24:31], s[0:1], 0x0
	s_add_u32 s4, s4, 48
	s_addc_u32 s5, s5, 0
	s_add_i32 s9, s9, 4
	s_add_u32 s0, s0, 32
	s_addc_u32 s1, s1, 0
	s_cmp_lg_u32 s7, s9
	s_waitcnt lgkmcnt(0)
	v_mul_hi_u32 v6, s13, v4
	v_add_nc_u32_e32 v6, v4, v6
	v_lshrrev_b32_e32 v6, s14, v6
	v_mul_hi_u32 v9, s16, v6
	v_mul_lo_u32 v11, v6, s12
	v_add_nc_u32_e32 v9, v6, v9
	v_sub_nc_u32_e32 v4, v4, v11
	v_lshrrev_b32_e32 v9, s17, v9
	v_mul_lo_u32 v11, v4, s24
	v_mul_lo_u32 v13, v4, s25
	v_mul_hi_u32 v10, s19, v9
	v_add_nc_u32_e32 v10, v9, v10
	v_lshrrev_b32_e32 v10, s36, v10
	v_mul_hi_u32 v12, s38, v10
	v_mul_lo_u32 v14, v10, s18
	v_add_nc_u32_e32 v4, v10, v12
	v_mul_lo_u32 v12, v9, s15
	v_sub_nc_u32_e32 v9, v9, v14
	v_lshrrev_b32_e32 v4, s39, v4
	v_mul_lo_u32 v14, v9, s28
	v_mul_lo_u32 v9, v9, s29
	v_sub_nc_u32_e32 v6, v6, v12
	v_mul_lo_u32 v15, v4, s37
	v_mul_lo_u32 v12, v6, s26
	;; [unrolled: 1-line block ×3, first 2 shown]
	v_sub_nc_u32_e32 v10, v10, v15
	v_add3_u32 v3, v11, v3, v12
	v_mul_lo_u32 v15, v10, s30
	v_mul_lo_u32 v10, v10, s31
	v_add3_u32 v6, v13, v17, v6
	v_add3_u32 v3, v14, v3, v15
	;; [unrolled: 1-line block ×3, first 2 shown]
	s_cbranch_scc1 .LBB162_62
; %bb.63:
	s_and_b32 s8, s8, 3
	s_cmp_eq_u32 s8, 0
	s_cbranch_scc0 .LBB162_67
	s_branch .LBB162_69
.LBB162_64:
	s_mov_b32 s6, -1
                                        ; implicit-def: $vgpr3
                                        ; implicit-def: $vgpr17
	s_branch .LBB162_69
.LBB162_65:
	v_mov_b32_e32 v3, 0
	v_mov_b32_e32 v17, 0
	s_branch .LBB162_69
.LBB162_66:
	v_mov_b32_e32 v3, 0
	v_mov_b32_e32 v17, 0
	;; [unrolled: 1-line block ×3, first 2 shown]
	s_mov_b32 s7, 0
	s_and_b32 s8, s8, 3
	s_cmp_eq_u32 s8, 0
	s_cbranch_scc1 .LBB162_69
.LBB162_67:
	s_lshl_b32 s0, s7, 3
	s_mul_i32 s4, s7, 12
	s_add_u32 s0, s2, s0
	s_addc_u32 s1, s3, 0
	s_add_u32 s0, s0, 0xc4
	s_addc_u32 s1, s1, 0
	;; [unrolled: 2-line block ×3, first 2 shown]
	.p2align	6
.LBB162_68:                             ; =>This Inner Loop Header: Depth=1
	s_clause 0x1
	s_load_dwordx2 s[10:11], s[4:5], 0x4
	s_load_dword s7, s[4:5], 0xc
	s_load_dwordx2 s[12:13], s[0:1], 0x0
	s_add_u32 s4, s4, 12
	s_addc_u32 s5, s5, 0
	s_add_u32 s0, s0, 8
	s_addc_u32 s1, s1, 0
	s_add_i32 s8, s8, -1
	s_cmp_lg_u32 s8, 0
	s_waitcnt lgkmcnt(0)
	v_mul_hi_u32 v6, s11, v4
	v_add_nc_u32_e32 v6, v4, v6
	v_lshrrev_b32_e32 v6, s7, v6
	v_mul_lo_u32 v9, v6, s10
	v_sub_nc_u32_e32 v9, v4, v9
	v_mad_u64_u32 v[3:4], null, v9, s12, v[3:4]
	v_mad_u64_u32 v[17:18], null, v9, s13, v[17:18]
	v_mov_b32_e32 v4, v6
	s_cbranch_scc1 .LBB162_68
.LBB162_69:
	s_andn2_b32 vcc_lo, exec_lo, s6
	s_cbranch_vccnz .LBB162_72
; %bb.70:
	s_clause 0x1
	s_load_dwordx4 s[4:7], s[2:3], 0x4
	s_load_dwordx2 s[0:1], s[2:3], 0xc4
	s_cmp_lt_u32 s22, 2
	s_waitcnt lgkmcnt(0)
	v_mul_hi_u32 v3, s5, v5
	v_add_nc_u32_e32 v3, v5, v3
	v_lshrrev_b32_e32 v4, s6, v3
	v_mul_lo_u32 v3, v4, s4
	v_sub_nc_u32_e32 v5, v5, v3
	v_mul_lo_u32 v3, v5, s0
	v_mul_lo_u32 v17, v5, s1
	s_cbranch_scc1 .LBB162_72
; %bb.71:
	s_clause 0x1
	s_load_dwordx4 s[4:7], s[2:3], 0x10
	s_load_dwordx2 s[0:1], s[2:3], 0xcc
	s_waitcnt lgkmcnt(0)
	v_mul_hi_u32 v5, s5, v4
	v_add_nc_u32_e32 v5, v4, v5
	v_lshrrev_b32_e32 v5, s6, v5
	v_mul_lo_u32 v5, v5, s4
	v_sub_nc_u32_e32 v5, v4, v5
	v_mad_u64_u32 v[3:4], null, v5, s0, v[3:4]
	v_mad_u64_u32 v[17:18], null, v5, s1, v[17:18]
.LBB162_72:
	v_cmp_ne_u32_e32 vcc_lo, 1, v8
	v_add_nc_u32_e32 v6, 0x200, v7
	s_cbranch_vccnz .LBB162_78
; %bb.73:
	s_cmp_lg_u32 s22, 0
	s_mov_b32 s6, 0
	s_cbranch_scc0 .LBB162_79
; %bb.74:
	s_min_u32 s8, s23, 15
	s_add_i32 s8, s8, 1
	s_cmp_eq_u32 s23, 2
	s_cbranch_scc1 .LBB162_80
; %bb.75:
	v_mov_b32_e32 v15, 0
	v_mov_b32_e32 v4, 0
	;; [unrolled: 1-line block ×3, first 2 shown]
	s_and_b32 s7, s8, 28
	s_add_u32 s0, s2, 0xc4
	s_addc_u32 s1, s3, 0
	s_mov_b32 s9, 0
	s_mov_b64 s[4:5], s[2:3]
.LBB162_76:                             ; =>This Inner Loop Header: Depth=1
	s_clause 0x1
	s_load_dwordx8 s[12:19], s[4:5], 0x4
	s_load_dwordx4 s[36:39], s[4:5], 0x24
	s_load_dwordx8 s[24:31], s[0:1], 0x0
	s_add_u32 s4, s4, 48
	s_addc_u32 s5, s5, 0
	s_add_i32 s9, s9, 4
	s_add_u32 s0, s0, 32
	s_addc_u32 s1, s1, 0
	s_cmp_lg_u32 s7, s9
	s_waitcnt lgkmcnt(0)
	v_mul_hi_u32 v9, s13, v5
	v_add_nc_u32_e32 v9, v5, v9
	v_lshrrev_b32_e32 v9, s14, v9
	v_mul_hi_u32 v10, s16, v9
	v_mul_lo_u32 v12, v9, s12
	v_add_nc_u32_e32 v10, v9, v10
	v_sub_nc_u32_e32 v5, v5, v12
	v_lshrrev_b32_e32 v10, s17, v10
	v_mul_lo_u32 v12, v5, s24
	v_mul_lo_u32 v14, v5, s25
	v_mul_hi_u32 v11, s19, v10
	v_add_nc_u32_e32 v11, v10, v11
	v_lshrrev_b32_e32 v11, s36, v11
	v_mul_hi_u32 v13, s38, v11
	v_mul_lo_u32 v16, v11, s18
	v_add_nc_u32_e32 v5, v11, v13
	v_mul_lo_u32 v13, v10, s15
	v_sub_nc_u32_e32 v10, v10, v16
	v_lshrrev_b32_e32 v5, s39, v5
	v_mul_lo_u32 v16, v10, s28
	v_mul_lo_u32 v10, v10, s29
	v_sub_nc_u32_e32 v9, v9, v13
	v_mul_lo_u32 v18, v5, s37
	v_mul_lo_u32 v13, v9, s26
	;; [unrolled: 1-line block ×3, first 2 shown]
	v_sub_nc_u32_e32 v11, v11, v18
	v_add3_u32 v4, v12, v4, v13
	v_mul_lo_u32 v18, v11, s30
	v_mul_lo_u32 v11, v11, s31
	v_add3_u32 v9, v14, v15, v9
	v_add3_u32 v4, v16, v4, v18
	v_add3_u32 v15, v10, v9, v11
	s_cbranch_scc1 .LBB162_76
; %bb.77:
	s_and_b32 s8, s8, 3
	s_cmp_eq_u32 s8, 0
	s_cbranch_scc0 .LBB162_81
	s_branch .LBB162_83
.LBB162_78:
	s_mov_b32 s6, -1
                                        ; implicit-def: $vgpr4
                                        ; implicit-def: $vgpr15
	s_branch .LBB162_83
.LBB162_79:
	v_mov_b32_e32 v4, 0
	v_mov_b32_e32 v15, 0
	s_branch .LBB162_83
.LBB162_80:
	v_mov_b32_e32 v4, 0
	v_mov_b32_e32 v15, 0
	;; [unrolled: 1-line block ×3, first 2 shown]
	s_mov_b32 s7, 0
	s_and_b32 s8, s8, 3
	s_cmp_eq_u32 s8, 0
	s_cbranch_scc1 .LBB162_83
.LBB162_81:
	s_lshl_b32 s0, s7, 3
	s_mul_i32 s4, s7, 12
	s_add_u32 s0, s2, s0
	s_addc_u32 s1, s3, 0
	s_add_u32 s0, s0, 0xc4
	s_addc_u32 s1, s1, 0
	;; [unrolled: 2-line block ×3, first 2 shown]
	.p2align	6
.LBB162_82:                             ; =>This Inner Loop Header: Depth=1
	s_clause 0x1
	s_load_dwordx2 s[10:11], s[4:5], 0x4
	s_load_dword s7, s[4:5], 0xc
	s_load_dwordx2 s[12:13], s[0:1], 0x0
	s_add_u32 s4, s4, 12
	s_addc_u32 s5, s5, 0
	s_add_u32 s0, s0, 8
	s_addc_u32 s1, s1, 0
	s_add_i32 s8, s8, -1
	s_cmp_lg_u32 s8, 0
	s_waitcnt lgkmcnt(0)
	v_mul_hi_u32 v9, s11, v5
	v_add_nc_u32_e32 v9, v5, v9
	v_lshrrev_b32_e32 v9, s7, v9
	v_mul_lo_u32 v10, v9, s10
	v_sub_nc_u32_e32 v10, v5, v10
	v_mad_u64_u32 v[4:5], null, v10, s12, v[4:5]
	v_mad_u64_u32 v[15:16], null, v10, s13, v[15:16]
	v_mov_b32_e32 v5, v9
	s_cbranch_scc1 .LBB162_82
.LBB162_83:
	s_andn2_b32 vcc_lo, exec_lo, s6
	s_cbranch_vccnz .LBB162_86
; %bb.84:
	s_clause 0x1
	s_load_dwordx4 s[4:7], s[2:3], 0x4
	s_load_dwordx2 s[0:1], s[2:3], 0xc4
	s_cmp_lt_u32 s22, 2
	s_waitcnt lgkmcnt(0)
	v_mul_hi_u32 v4, s5, v6
	v_add_nc_u32_e32 v4, v6, v4
	v_lshrrev_b32_e32 v5, s6, v4
	v_mul_lo_u32 v4, v5, s4
	v_sub_nc_u32_e32 v6, v6, v4
	v_mul_lo_u32 v4, v6, s0
	v_mul_lo_u32 v15, v6, s1
	s_cbranch_scc1 .LBB162_86
; %bb.85:
	s_clause 0x1
	s_load_dwordx4 s[4:7], s[2:3], 0x10
	s_load_dwordx2 s[0:1], s[2:3], 0xcc
	s_waitcnt lgkmcnt(0)
	v_mul_hi_u32 v6, s5, v5
	v_add_nc_u32_e32 v6, v5, v6
	v_lshrrev_b32_e32 v6, s6, v6
	v_mul_lo_u32 v6, v6, s4
	v_sub_nc_u32_e32 v6, v5, v6
	v_mad_u64_u32 v[4:5], null, v6, s0, v[4:5]
	v_mad_u64_u32 v[15:16], null, v6, s1, v[15:16]
.LBB162_86:
	v_cmp_ne_u32_e32 vcc_lo, 1, v8
	v_add_nc_u32_e32 v9, 0x280, v7
	s_cbranch_vccnz .LBB162_92
; %bb.87:
	s_cmp_lg_u32 s22, 0
	s_mov_b32 s6, 0
	s_cbranch_scc0 .LBB162_93
; %bb.88:
	s_min_u32 s8, s23, 15
	s_add_i32 s8, s8, 1
	s_cmp_eq_u32 s23, 2
	s_cbranch_scc1 .LBB162_94
; %bb.89:
	v_mov_b32_e32 v13, 0
	v_mov_b32_e32 v5, 0
	;; [unrolled: 1-line block ×3, first 2 shown]
	s_and_b32 s7, s8, 28
	s_add_u32 s0, s2, 0xc4
	s_addc_u32 s1, s3, 0
	s_mov_b32 s9, 0
	s_mov_b64 s[4:5], s[2:3]
.LBB162_90:                             ; =>This Inner Loop Header: Depth=1
	s_clause 0x1
	s_load_dwordx8 s[12:19], s[4:5], 0x4
	s_load_dwordx4 s[36:39], s[4:5], 0x24
	s_load_dwordx8 s[24:31], s[0:1], 0x0
	s_add_u32 s4, s4, 48
	s_addc_u32 s5, s5, 0
	s_add_i32 s9, s9, 4
	s_add_u32 s0, s0, 32
	s_addc_u32 s1, s1, 0
	s_cmp_lg_u32 s7, s9
	s_waitcnt lgkmcnt(0)
	v_mul_hi_u32 v10, s13, v6
	v_add_nc_u32_e32 v10, v6, v10
	v_lshrrev_b32_e32 v10, s14, v10
	v_mul_hi_u32 v11, s16, v10
	v_mul_lo_u32 v14, v10, s12
	v_add_nc_u32_e32 v11, v10, v11
	v_sub_nc_u32_e32 v6, v6, v14
	v_lshrrev_b32_e32 v11, s17, v11
	v_mul_lo_u32 v14, v6, s24
	v_mul_lo_u32 v18, v6, s25
	v_mul_hi_u32 v12, s19, v11
	v_add_nc_u32_e32 v12, v11, v12
	v_lshrrev_b32_e32 v12, s36, v12
	v_mul_hi_u32 v16, s38, v12
	v_mul_lo_u32 v20, v12, s18
	v_add_nc_u32_e32 v6, v12, v16
	v_mul_lo_u32 v16, v11, s15
	v_sub_nc_u32_e32 v11, v11, v20
	v_lshrrev_b32_e32 v6, s39, v6
	v_mul_lo_u32 v20, v11, s28
	v_mul_lo_u32 v11, v11, s29
	v_sub_nc_u32_e32 v10, v10, v16
	v_mul_lo_u32 v22, v6, s37
	v_mul_lo_u32 v16, v10, s26
	;; [unrolled: 1-line block ×3, first 2 shown]
	v_sub_nc_u32_e32 v12, v12, v22
	v_add3_u32 v5, v14, v5, v16
	v_mul_lo_u32 v22, v12, s30
	v_mul_lo_u32 v12, v12, s31
	v_add3_u32 v10, v18, v13, v10
	v_add3_u32 v5, v20, v5, v22
	;; [unrolled: 1-line block ×3, first 2 shown]
	s_cbranch_scc1 .LBB162_90
; %bb.91:
	s_and_b32 s8, s8, 3
	s_cmp_eq_u32 s8, 0
	s_cbranch_scc0 .LBB162_95
	s_branch .LBB162_97
.LBB162_92:
	s_mov_b32 s6, -1
                                        ; implicit-def: $vgpr5
                                        ; implicit-def: $vgpr13
	s_branch .LBB162_97
.LBB162_93:
	v_mov_b32_e32 v5, 0
	v_mov_b32_e32 v13, 0
	s_branch .LBB162_97
.LBB162_94:
	v_mov_b32_e32 v5, 0
	v_mov_b32_e32 v13, 0
	;; [unrolled: 1-line block ×3, first 2 shown]
	s_mov_b32 s7, 0
	s_and_b32 s8, s8, 3
	s_cmp_eq_u32 s8, 0
	s_cbranch_scc1 .LBB162_97
.LBB162_95:
	s_lshl_b32 s0, s7, 3
	s_mul_i32 s4, s7, 12
	s_add_u32 s0, s2, s0
	s_addc_u32 s1, s3, 0
	s_add_u32 s0, s0, 0xc4
	s_addc_u32 s1, s1, 0
	;; [unrolled: 2-line block ×3, first 2 shown]
	.p2align	6
.LBB162_96:                             ; =>This Inner Loop Header: Depth=1
	s_clause 0x1
	s_load_dwordx2 s[10:11], s[4:5], 0x4
	s_load_dword s7, s[4:5], 0xc
	s_load_dwordx2 s[12:13], s[0:1], 0x0
	s_add_u32 s4, s4, 12
	s_addc_u32 s5, s5, 0
	s_add_u32 s0, s0, 8
	s_addc_u32 s1, s1, 0
	s_add_i32 s8, s8, -1
	s_cmp_lg_u32 s8, 0
	s_waitcnt lgkmcnt(0)
	v_mul_hi_u32 v10, s11, v6
	v_add_nc_u32_e32 v10, v6, v10
	v_lshrrev_b32_e32 v10, s7, v10
	v_mul_lo_u32 v11, v10, s10
	v_sub_nc_u32_e32 v11, v6, v11
	v_mad_u64_u32 v[5:6], null, v11, s12, v[5:6]
	v_mad_u64_u32 v[13:14], null, v11, s13, v[13:14]
	v_mov_b32_e32 v6, v10
	s_cbranch_scc1 .LBB162_96
.LBB162_97:
	s_andn2_b32 vcc_lo, exec_lo, s6
	s_cbranch_vccnz .LBB162_100
; %bb.98:
	s_clause 0x1
	s_load_dwordx4 s[4:7], s[2:3], 0x4
	s_load_dwordx2 s[0:1], s[2:3], 0xc4
	s_cmp_lt_u32 s22, 2
	s_waitcnt lgkmcnt(0)
	v_mul_hi_u32 v5, s5, v9
	v_add_nc_u32_e32 v5, v9, v5
	v_lshrrev_b32_e32 v6, s6, v5
	v_mul_lo_u32 v5, v6, s4
	v_sub_nc_u32_e32 v9, v9, v5
	v_mul_lo_u32 v5, v9, s0
	v_mul_lo_u32 v13, v9, s1
	s_cbranch_scc1 .LBB162_100
; %bb.99:
	s_clause 0x1
	s_load_dwordx4 s[4:7], s[2:3], 0x10
	s_load_dwordx2 s[0:1], s[2:3], 0xcc
	s_waitcnt lgkmcnt(0)
	v_mul_hi_u32 v9, s5, v6
	v_add_nc_u32_e32 v9, v6, v9
	v_lshrrev_b32_e32 v9, s6, v9
	v_mul_lo_u32 v9, v9, s4
	v_sub_nc_u32_e32 v9, v6, v9
	v_mad_u64_u32 v[5:6], null, v9, s0, v[5:6]
	v_mad_u64_u32 v[13:14], null, v9, s1, v[13:14]
.LBB162_100:
	v_cmp_ne_u32_e32 vcc_lo, 1, v8
	v_add_nc_u32_e32 v9, 0x300, v7
	s_cbranch_vccnz .LBB162_106
; %bb.101:
	s_cmp_lg_u32 s22, 0
	s_mov_b32 s6, 0
	s_cbranch_scc0 .LBB162_107
; %bb.102:
	s_min_u32 s8, s23, 15
	s_add_i32 s8, s8, 1
	s_cmp_eq_u32 s23, 2
	s_cbranch_scc1 .LBB162_108
; %bb.103:
	v_mov_b32_e32 v11, 0
	v_mov_b32_e32 v6, 0
	;; [unrolled: 1-line block ×3, first 2 shown]
	s_and_b32 s7, s8, 28
	s_add_u32 s0, s2, 0xc4
	s_addc_u32 s1, s3, 0
	s_mov_b32 s9, 0
	s_mov_b64 s[4:5], s[2:3]
.LBB162_104:                            ; =>This Inner Loop Header: Depth=1
	s_clause 0x1
	s_load_dwordx8 s[12:19], s[4:5], 0x4
	s_load_dwordx4 s[36:39], s[4:5], 0x24
	s_load_dwordx8 s[24:31], s[0:1], 0x0
	s_add_u32 s4, s4, 48
	s_addc_u32 s5, s5, 0
	s_add_i32 s9, s9, 4
	s_add_u32 s0, s0, 32
	s_addc_u32 s1, s1, 0
	s_cmp_lg_u32 s7, s9
	s_waitcnt lgkmcnt(0)
	v_mul_hi_u32 v10, s13, v7
	v_add_nc_u32_e32 v10, v7, v10
	v_lshrrev_b32_e32 v10, s14, v10
	v_mul_hi_u32 v12, s16, v10
	v_mul_lo_u32 v16, v10, s12
	v_add_nc_u32_e32 v12, v10, v12
	v_sub_nc_u32_e32 v7, v7, v16
	v_lshrrev_b32_e32 v12, s17, v12
	v_mul_lo_u32 v16, v7, s24
	v_mul_lo_u32 v20, v7, s25
	v_mul_hi_u32 v14, s19, v12
	v_add_nc_u32_e32 v14, v12, v14
	v_lshrrev_b32_e32 v14, s36, v14
	v_mul_hi_u32 v18, s38, v14
	v_mul_lo_u32 v22, v14, s18
	v_add_nc_u32_e32 v7, v14, v18
	v_mul_lo_u32 v18, v12, s15
	v_sub_nc_u32_e32 v12, v12, v22
	v_lshrrev_b32_e32 v7, s39, v7
	v_mul_lo_u32 v22, v12, s28
	v_mul_lo_u32 v12, v12, s29
	v_sub_nc_u32_e32 v10, v10, v18
	v_mul_lo_u32 v24, v7, s37
	v_mul_lo_u32 v18, v10, s26
	;; [unrolled: 1-line block ×3, first 2 shown]
	v_sub_nc_u32_e32 v14, v14, v24
	v_add3_u32 v6, v16, v6, v18
	v_mul_lo_u32 v24, v14, s30
	v_mul_lo_u32 v14, v14, s31
	v_add3_u32 v10, v20, v11, v10
	v_add3_u32 v6, v22, v6, v24
	;; [unrolled: 1-line block ×3, first 2 shown]
	s_cbranch_scc1 .LBB162_104
; %bb.105:
	s_and_b32 s8, s8, 3
	s_cmp_eq_u32 s8, 0
	s_cbranch_scc0 .LBB162_109
	s_branch .LBB162_111
.LBB162_106:
	s_mov_b32 s6, -1
                                        ; implicit-def: $vgpr6
                                        ; implicit-def: $vgpr11
	s_branch .LBB162_111
.LBB162_107:
	v_mov_b32_e32 v6, 0
	v_mov_b32_e32 v11, 0
	s_branch .LBB162_111
.LBB162_108:
	v_mov_b32_e32 v6, 0
	v_mov_b32_e32 v11, 0
	;; [unrolled: 1-line block ×3, first 2 shown]
	s_mov_b32 s7, 0
	s_and_b32 s8, s8, 3
	s_cmp_eq_u32 s8, 0
	s_cbranch_scc1 .LBB162_111
.LBB162_109:
	s_lshl_b32 s0, s7, 3
	s_mul_i32 s4, s7, 12
	s_add_u32 s0, s2, s0
	s_addc_u32 s1, s3, 0
	s_add_u32 s0, s0, 0xc4
	s_addc_u32 s1, s1, 0
	;; [unrolled: 2-line block ×3, first 2 shown]
	.p2align	6
.LBB162_110:                            ; =>This Inner Loop Header: Depth=1
	s_clause 0x1
	s_load_dwordx2 s[10:11], s[4:5], 0x4
	s_load_dword s7, s[4:5], 0xc
	s_load_dwordx2 s[12:13], s[0:1], 0x0
	s_add_u32 s4, s4, 12
	s_addc_u32 s5, s5, 0
	s_add_u32 s0, s0, 8
	s_addc_u32 s1, s1, 0
	s_add_i32 s8, s8, -1
	s_cmp_lg_u32 s8, 0
	s_waitcnt lgkmcnt(0)
	v_mul_hi_u32 v10, s11, v7
	v_add_nc_u32_e32 v10, v7, v10
	v_lshrrev_b32_e32 v10, s7, v10
	v_mul_lo_u32 v12, v10, s10
	v_sub_nc_u32_e32 v12, v7, v12
	v_mad_u64_u32 v[6:7], null, v12, s12, v[6:7]
	v_mad_u64_u32 v[11:12], null, v12, s13, v[11:12]
	v_mov_b32_e32 v7, v10
	s_cbranch_scc1 .LBB162_110
.LBB162_111:
	s_andn2_b32 vcc_lo, exec_lo, s6
	s_cbranch_vccnz .LBB162_114
; %bb.112:
	s_clause 0x1
	s_load_dwordx4 s[4:7], s[2:3], 0x4
	s_load_dwordx2 s[0:1], s[2:3], 0xc4
	s_cmp_lt_u32 s22, 2
	s_waitcnt lgkmcnt(0)
	v_mul_hi_u32 v6, s5, v9
	v_add_nc_u32_e32 v6, v9, v6
	v_lshrrev_b32_e32 v7, s6, v6
	v_mul_lo_u32 v6, v7, s4
	v_sub_nc_u32_e32 v9, v9, v6
	v_mul_lo_u32 v6, v9, s0
	v_mul_lo_u32 v11, v9, s1
	s_cbranch_scc1 .LBB162_114
; %bb.113:
	s_clause 0x1
	s_load_dwordx4 s[4:7], s[2:3], 0x10
	s_load_dwordx2 s[0:1], s[2:3], 0xcc
	s_waitcnt lgkmcnt(0)
	v_mul_hi_u32 v9, s5, v7
	v_add_nc_u32_e32 v9, v7, v9
	v_lshrrev_b32_e32 v9, s6, v9
	v_mul_lo_u32 v9, v9, s4
	v_sub_nc_u32_e32 v9, v7, v9
	v_mad_u64_u32 v[6:7], null, v9, s0, v[6:7]
	v_mad_u64_u32 v[11:12], null, v9, s1, v[11:12]
.LBB162_114:
	v_cmp_ne_u32_e32 vcc_lo, 1, v8
	s_cbranch_vccnz .LBB162_120
; %bb.115:
	s_cmp_lg_u32 s22, 0
	s_mov_b32 s6, 0
	s_cbranch_scc0 .LBB162_121
; %bb.116:
	s_min_u32 s8, s23, 15
	s_add_i32 s8, s8, 1
	s_cmp_eq_u32 s23, 2
	s_cbranch_scc1 .LBB162_122
; %bb.117:
	v_mov_b32_e32 v9, 0
	v_mov_b32_e32 v7, 0
	;; [unrolled: 1-line block ×3, first 2 shown]
	s_and_b32 s7, s8, 28
	s_add_u32 s0, s2, 0xc4
	s_addc_u32 s1, s3, 0
	s_mov_b32 s9, 0
	s_mov_b64 s[4:5], s[2:3]
.LBB162_118:                            ; =>This Inner Loop Header: Depth=1
	s_clause 0x1
	s_load_dwordx8 s[12:19], s[4:5], 0x4
	s_load_dwordx4 s[36:39], s[4:5], 0x24
	s_load_dwordx8 s[24:31], s[0:1], 0x0
	s_add_u32 s4, s4, 48
	s_addc_u32 s5, s5, 0
	s_add_i32 s9, s9, 4
	s_add_u32 s0, s0, 32
	s_addc_u32 s1, s1, 0
	s_cmp_lg_u32 s7, s9
	s_waitcnt lgkmcnt(0)
	v_mul_hi_u32 v10, s13, v8
	v_add_nc_u32_e32 v10, v8, v10
	v_lshrrev_b32_e32 v10, s14, v10
	v_mul_hi_u32 v12, s16, v10
	v_mul_lo_u32 v16, v10, s12
	v_add_nc_u32_e32 v12, v10, v12
	v_sub_nc_u32_e32 v8, v8, v16
	v_lshrrev_b32_e32 v12, s17, v12
	v_mul_lo_u32 v16, v8, s24
	v_mul_lo_u32 v20, v8, s25
	v_mul_hi_u32 v14, s19, v12
	v_add_nc_u32_e32 v14, v12, v14
	v_lshrrev_b32_e32 v14, s36, v14
	v_mul_hi_u32 v18, s38, v14
	v_mul_lo_u32 v22, v14, s18
	v_add_nc_u32_e32 v8, v14, v18
	v_mul_lo_u32 v18, v12, s15
	v_sub_nc_u32_e32 v12, v12, v22
	v_lshrrev_b32_e32 v8, s39, v8
	v_mul_lo_u32 v22, v12, s28
	v_mul_lo_u32 v12, v12, s29
	v_sub_nc_u32_e32 v10, v10, v18
	v_mul_lo_u32 v24, v8, s37
	v_mul_lo_u32 v18, v10, s26
	;; [unrolled: 1-line block ×3, first 2 shown]
	v_sub_nc_u32_e32 v14, v14, v24
	v_add3_u32 v7, v16, v7, v18
	v_mul_lo_u32 v24, v14, s30
	v_mul_lo_u32 v14, v14, s31
	v_add3_u32 v9, v20, v9, v10
	v_add3_u32 v7, v22, v7, v24
	;; [unrolled: 1-line block ×3, first 2 shown]
	s_cbranch_scc1 .LBB162_118
; %bb.119:
	s_and_b32 s8, s8, 3
	s_cmp_eq_u32 s8, 0
	s_cbranch_scc0 .LBB162_123
	s_branch .LBB162_125
.LBB162_120:
	s_mov_b32 s6, -1
                                        ; implicit-def: $vgpr7
                                        ; implicit-def: $vgpr9
	s_branch .LBB162_125
.LBB162_121:
	v_mov_b32_e32 v7, 0
	v_mov_b32_e32 v9, 0
	s_branch .LBB162_125
.LBB162_122:
	v_mov_b32_e32 v7, 0
	v_mov_b32_e32 v9, 0
	;; [unrolled: 1-line block ×3, first 2 shown]
	s_mov_b32 s7, 0
	s_and_b32 s8, s8, 3
	s_cmp_eq_u32 s8, 0
	s_cbranch_scc1 .LBB162_125
.LBB162_123:
	s_lshl_b32 s0, s7, 3
	s_mul_i32 s4, s7, 12
	s_add_u32 s0, s2, s0
	s_addc_u32 s1, s3, 0
	s_add_u32 s0, s0, 0xc4
	s_addc_u32 s1, s1, 0
	;; [unrolled: 2-line block ×3, first 2 shown]
	.p2align	6
.LBB162_124:                            ; =>This Inner Loop Header: Depth=1
	s_clause 0x1
	s_load_dwordx2 s[10:11], s[4:5], 0x4
	s_load_dword s7, s[4:5], 0xc
	s_load_dwordx2 s[12:13], s[0:1], 0x0
	s_add_u32 s4, s4, 12
	s_addc_u32 s5, s5, 0
	s_add_u32 s0, s0, 8
	s_addc_u32 s1, s1, 0
	s_add_i32 s8, s8, -1
	s_cmp_lg_u32 s8, 0
	s_waitcnt lgkmcnt(0)
	v_mul_hi_u32 v10, s11, v8
	v_add_nc_u32_e32 v10, v8, v10
	v_lshrrev_b32_e32 v12, s7, v10
	v_mul_lo_u32 v10, v12, s10
	v_sub_nc_u32_e32 v10, v8, v10
	v_mad_u64_u32 v[7:8], null, v10, s12, v[7:8]
	v_mad_u64_u32 v[9:10], null, v10, s13, v[9:10]
	v_mov_b32_e32 v8, v12
	s_cbranch_scc1 .LBB162_124
.LBB162_125:
	s_andn2_b32 vcc_lo, exec_lo, s6
	s_cbranch_vccnz .LBB162_128
; %bb.126:
	s_clause 0x1
	s_load_dwordx4 s[4:7], s[2:3], 0x4
	s_load_dwordx2 s[0:1], s[2:3], 0xc4
	s_cmp_lt_u32 s22, 2
	s_waitcnt lgkmcnt(0)
	v_mul_hi_u32 v7, s5, v25
	v_add_nc_u32_e32 v7, v25, v7
	v_lshrrev_b32_e32 v8, s6, v7
	v_mul_lo_u32 v7, v8, s4
	v_sub_nc_u32_e32 v9, v25, v7
	v_mul_lo_u32 v7, v9, s0
	v_mul_lo_u32 v9, v9, s1
	s_cbranch_scc1 .LBB162_128
; %bb.127:
	s_clause 0x1
	s_load_dwordx4 s[4:7], s[2:3], 0x10
	s_load_dwordx2 s[0:1], s[2:3], 0xcc
	s_waitcnt lgkmcnt(0)
	v_mul_hi_u32 v10, s5, v8
	v_add_nc_u32_e32 v10, v8, v10
	v_lshrrev_b32_e32 v10, s6, v10
	v_mul_lo_u32 v10, v10, s4
	v_sub_nc_u32_e32 v10, v8, v10
	v_mad_u64_u32 v[7:8], null, v10, s0, v[7:8]
	v_mad_u64_u32 v[9:10], null, v10, s1, v[9:10]
.LBB162_128:
	s_load_dwordx4 s[12:15], s[2:3], 0x148
	s_mov_b32 s1, exec_lo
                                        ; implicit-def: $vgpr10
	s_waitcnt lgkmcnt(0)
	global_load_ushort v8, v23, s[14:15]
	s_waitcnt vmcnt(0)
	v_lshlrev_b32_e32 v8, 16, v8
	v_and_b32_e32 v12, 0x7fffffff, v8
	v_cmpx_ngt_f32_e64 0x3c800000, |v8|
	s_xor_b32 s1, exec_lo, s1
	s_cbranch_execz .LBB162_158
; %bb.129:
	s_mov_b32 s2, exec_lo
                                        ; implicit-def: $vgpr10
	v_cmpx_nlt_f32_e64 |v8|, 2.0
	s_xor_b32 s2, exec_lo, s2
	s_cbranch_execz .LBB162_139
; %bb.130:
	v_cmp_ngt_f32_e64 s0, 0x41000000, |v8|
                                        ; implicit-def: $vgpr10
	s_and_saveexec_b32 s3, s0
	s_xor_b32 s0, exec_lo, s3
	s_cbranch_execz .LBB162_136
; %bb.131:
	v_cmp_ngt_f32_e64 s3, 0x5c800000, |v8|
                                        ; implicit-def: $vgpr10
	s_and_saveexec_b32 s4, s3
	s_xor_b32 s3, exec_lo, s4
	s_cbranch_execz .LBB162_133
; %bb.132:
	v_cmp_gt_f32_e64 s4, 0x800000, |v8|
	v_cndmask_b32_e64 v10, 0, 32, s4
	v_ldexp_f32 v10, |v8|, v10
	v_log_f32_e32 v10, v10
	v_mul_f32_e32 v14, 0x3f317217, v10
	v_cmp_gt_f32_e64 vcc_lo, 0x7f800000, |v10|
	v_fma_f32 v16, 0x3f317217, v10, -v14
	v_fmamk_f32 v16, v10, 0x3377d1cf, v16
	v_add_f32_e32 v14, v14, v16
	v_cndmask_b32_e32 v10, v10, v14, vcc_lo
	v_cndmask_b32_e64 v14, 0, 0x41b17218, s4
	v_sub_f32_e32 v10, v10, v14
	v_fma_f32 v10, |v8|, v10, -|v8|
.LBB162_133:
	s_andn2_saveexec_b32 s3, s3
	s_cbranch_execz .LBB162_135
; %bb.134:
	v_cmp_gt_f32_e64 s4, 0x800000, |v8|
	v_rcp_f32_e64 v14, |v8|
	s_mov_b32 s5, 0xbad5c4e8
	v_cndmask_b32_e64 v10, 0, 32, s4
	v_ldexp_f32 v10, |v8|, v10
	v_mul_f32_e32 v16, v14, v14
	v_log_f32_e32 v10, v10
	v_fmaak_f32 v20, s5, v16, 0x3a5b3dd2
	v_fmaak_f32 v20, v16, v20, 0xba1c065c
	v_mul_f32_e32 v18, 0x3f317217, v10
	v_fmaak_f32 v20, v16, v20, 0x3a500cfd
	v_cmp_gt_f32_e64 vcc_lo, 0x7f800000, |v10|
	v_fma_f32 v22, 0x3f317217, v10, -v18
	v_fmaak_f32 v20, v16, v20, 0xbb360b61
	v_fmamk_f32 v22, v10, 0x3377d1cf, v22
	v_fmaak_f32 v16, v16, v20, 0x3daaaaab
	v_add_f32_e32 v18, v18, v22
	v_cndmask_b32_e32 v10, v10, v18, vcc_lo
	v_cndmask_b32_e64 v18, 0, 0x41b17218, s4
	v_sub_f32_e32 v18, v10, v18
	v_fmaak_f32 v10, v14, v16, 0x3ed67f1d
	v_add_f32_e64 v14, |v8|, -0.5
	v_add_f32_e32 v16, -1.0, v18
	v_fmac_f32_e32 v10, v14, v16
.LBB162_135:
	s_or_b32 exec_lo, exec_lo, s3
.LBB162_136:
	s_andn2_saveexec_b32 s3, s0
	s_cbranch_execz .LBB162_138
; %bb.137:
	v_cvt_i32_f32_e32 v10, v12
	s_mov_b32 s0, 0x36f5d7bd
	s_mov_b32 s4, 0x3805ff67
	v_cvt_f32_i32_e32 v14, v10
	v_cmp_lt_i32_e32 vcc_lo, 2, v10
	v_sub_f32_e64 v14, |v8|, v14
	v_add_f32_e32 v16, 2.0, v14
	v_add_f32_e32 v18, 0x40400000, v14
	v_add_f32_e32 v20, 4.0, v14
	v_add_f32_e32 v22, 0x40a00000, v14
	v_cndmask_b32_e32 v16, 1.0, v16, vcc_lo
	v_cmp_lt_i32_e32 vcc_lo, 3, v10
	v_cndmask_b32_e32 v18, 1.0, v18, vcc_lo
	v_cmp_lt_i32_e32 vcc_lo, 4, v10
	v_mul_f32_e32 v16, v16, v18
	v_cndmask_b32_e32 v20, 1.0, v20, vcc_lo
	v_cmp_lt_i32_e32 vcc_lo, 5, v10
	v_add_f32_e32 v18, 0x40c00000, v14
	v_mul_f32_e32 v16, v20, v16
	v_cndmask_b32_e32 v22, 1.0, v22, vcc_lo
	v_cmp_lt_i32_e32 vcc_lo, 6, v10
	v_fmaak_f32 v20, s4, v14, 0x3af135b4
	v_mul_f32_e32 v16, v22, v16
	v_cndmask_b32_e32 v10, 1.0, v18, vcc_lo
	v_mul_f32_e32 v10, v10, v16
	v_fmaak_f32 v16, s0, v14, 0x3a4beed6
	v_cmp_gt_f32_e32 vcc_lo, 0x800000, v10
	v_fmaak_f32 v16, v14, v16, 0x3c98bf54
	v_cndmask_b32_e64 v18, 0, 32, vcc_lo
	v_fmaak_f32 v16, v14, v16, 0x3e300f6e
	v_ldexp_f32 v10, v10, v18
	v_fmaak_f32 v18, v14, v20, 0x3cda40e4
	v_fmaak_f32 v16, v14, v16, 0x3f38d0c5
	v_log_f32_e32 v10, v10
	v_fmaak_f32 v18, v14, v18, 0x3e15dce6
	v_fmaak_f32 v16, v14, v16, 0x3fb22d3b
	;; [unrolled: 1-line block ×3, first 2 shown]
	v_fma_f32 v16, v14, v16, 1.0
	v_mul_f32_e32 v20, 0x3f317217, v10
	v_fmaak_f32 v18, v14, v18, 0x3e5c245a
	v_rcp_f32_e32 v16, v16
	v_cmp_gt_f32_e64 s0, 0x7f800000, |v10|
	v_fma_f32 v22, 0x3f317217, v10, -v20
	v_fmaak_f32 v18, v14, v18, 0xbd9e233f
	v_fmamk_f32 v22, v10, 0x3377d1cf, v22
	v_mul_f32_e32 v18, v14, v18
	v_add_f32_e32 v20, v20, v22
	v_mul_f32_e32 v16, v18, v16
	v_cndmask_b32_e64 v18, 0, 0x41b17218, vcc_lo
	v_cndmask_b32_e64 v10, v10, v20, s0
	v_fmac_f32_e32 v16, 0.5, v14
	v_sub_f32_e32 v10, v10, v18
	v_add_f32_e32 v10, v10, v16
.LBB162_138:
	s_or_b32 exec_lo, exec_lo, s3
.LBB162_139:
	s_andn2_saveexec_b32 s2, s2
	s_cbranch_execz .LBB162_157
; %bb.140:
	s_mov_b32 s3, exec_lo
                                        ; implicit-def: $vgpr10
                                        ; implicit-def: $vgpr16
                                        ; implicit-def: $vgpr14
	v_cmpx_ge_f32_e64 0x3f666666, |v8|
	s_xor_b32 s3, exec_lo, s3
	s_cbranch_execz .LBB162_142
; %bb.141:
	v_cmp_gt_f32_e64 s0, 0x800000, |v8|
	v_sub_f32_e64 v18, 1.0, |v8|
	v_cmp_gt_f32_e64 vcc_lo, 0x3f3b4a23, |v8|
	v_cndmask_b32_e64 v10, 0, 32, s0
	v_cndmask_b32_e64 v20, 0, 0x41b17218, s0
	v_ldexp_f32 v10, |v8|, v10
	v_log_f32_e32 v10, v10
	v_mul_f32_e32 v14, 0x3f317217, v10
	v_cmp_gt_f32_e64 s0, 0x7f800000, |v10|
	v_fma_f32 v16, 0x3f317217, v10, -v14
	v_fmamk_f32 v16, v10, 0x3377d1cf, v16
	v_add_f32_e32 v14, v14, v16
	v_add_f32_e64 v16, 0xbeec5b0c, |v8|
	v_cndmask_b32_e64 v10, v10, v14, s0
	v_cndmask_b32_e32 v14, v18, v16, vcc_lo
	v_cndmask_b32_e64 v16, 0, 1, vcc_lo
	v_cmp_gt_f32_e64 s0, 0x3e6d3309, |v8|
	v_sub_f32_e32 v10, v10, v20
	v_cndmask_b32_e64 v14, v14, |v8|, s0
	v_cndmask_b32_e64 v16, v16, 2, s0
	v_xor_b32_e32 v10, 0x80000000, v10
.LBB162_142:
	s_andn2_saveexec_b32 s0, s3
	s_cbranch_execz .LBB162_144
; %bb.143:
	v_sub_f32_e64 v10, 2.0, |v8|
	v_add_f32_e64 v14, 0xbfbb16c3, |v8|
	v_cmp_gt_f32_e64 vcc_lo, 0x3fdda512, |v8|
	v_add_f32_e64 v16, |v8|, -1.0
	v_cndmask_b32_e32 v14, v10, v14, vcc_lo
	v_cndmask_b32_e64 v10, v10, 1.0, vcc_lo
	v_cmp_gt_f32_e64 vcc_lo, 0x3f9d70a4, |v8|
	v_cvt_i32_f32_e32 v10, v10
	v_cndmask_b32_e32 v14, v14, v16, vcc_lo
	v_cndmask_b32_e64 v16, v10, 2, vcc_lo
	v_mov_b32_e32 v10, 0
.LBB162_144:
	s_or_b32 exec_lo, exec_lo, s0
	s_mov_b32 s0, exec_lo
	v_cmpx_lt_i32_e32 0, v16
	s_xor_b32 s0, exec_lo, s0
	s_cbranch_execz .LBB162_152
; %bb.145:
	s_mov_b32 s3, exec_lo
	v_cmpx_lt_i32_e32 1, v16
	s_xor_b32 s3, exec_lo, s3
	s_cbranch_execz .LBB162_149
; %bb.146:
	s_mov_b32 s4, exec_lo
	v_cmpx_eq_u32_e32 2, v16
	s_cbranch_execz .LBB162_148
; %bb.147:
	s_mov_b32 s5, 0x3b52d5db
	v_fmaak_f32 v16, s5, v14, 0x3dd572af
	s_mov_b32 s5, 0x3c5b3c5e
	v_fmaak_f32 v18, s5, v14, 0x3e6a7578
	v_fmaak_f32 v16, v14, v16, 0x3f44efdf
	;; [unrolled: 1-line block ×7, first 2 shown]
	v_fma_f32 v16, v14, v16, 1.0
	v_fmaak_f32 v18, v14, v18, 0xbd9e233f
	v_rcp_f32_e32 v16, v16
	v_mul_f32_e32 v18, v14, v18
	v_mul_f32_e32 v16, v18, v16
	v_fmac_f32_e32 v16, -0.5, v14
	v_add_f32_e32 v10, v10, v16
.LBB162_148:
	s_or_b32 exec_lo, exec_lo, s4
                                        ; implicit-def: $vgpr14
.LBB162_149:
	s_andn2_saveexec_b32 s3, s3
	s_cbranch_execz .LBB162_151
; %bb.150:
	v_mul_f32_e32 v16, v14, v14
	s_mov_b32 s4, 0xb9a3f927
	s_mov_b32 s5, 0x39afe9f7
	v_mul_f32_e32 v18, v14, v16
	v_fmaak_f32 v20, s4, v18, 0x3a66f867
	v_fmaak_f32 v22, s5, v18, 0xba0d3085
	s_mov_b32 s4, 0x39a57b6b
	v_fmaak_f32 v23, s4, v18, 0xbab7f476
	v_fmaak_f32 v20, v18, v20, 0xbb7177fe
	;; [unrolled: 1-line block ×9, first 2 shown]
	v_fmac_f32_e32 v20, v14, v22
	v_fmaak_f32 v14, v18, v23, 0x3ef7b95e
	v_fma_f32 v18, v18, -v20, 0xa2863e55
	v_fma_f32 v14, v16, v14, -v18
	v_add_f32_e32 v14, 0xbdf8cdce, v14
	v_add_f32_e32 v10, v10, v14
.LBB162_151:
	s_or_b32 exec_lo, exec_lo, s3
                                        ; implicit-def: $vgpr16
                                        ; implicit-def: $vgpr14
.LBB162_152:
	s_andn2_saveexec_b32 s0, s0
	s_cbranch_execz .LBB162_156
; %bb.153:
	s_mov_b32 s3, exec_lo
	v_cmpx_eq_u32_e32 0, v16
	s_cbranch_execz .LBB162_155
; %bb.154:
	v_mul_f32_e32 v16, v14, v14
	s_mov_b32 s4, 0x383c2c75
	v_fmaak_f32 v18, s4, v16, 0x38e28445
	s_mov_b32 s4, 0x37d383a2
	v_fmaak_f32 v20, s4, v16, 0x39679767
	v_fmaak_f32 v18, v16, v18, 0x3a05b634
	;; [unrolled: 1-line block ×9, first 2 shown]
	v_mul_f32_e32 v16, v16, v18
	v_fmac_f32_e32 v16, v14, v20
	v_fmac_f32_e32 v16, -0.5, v14
	v_add_f32_e32 v10, v10, v16
.LBB162_155:
	s_or_b32 exec_lo, exec_lo, s3
.LBB162_156:
	s_or_b32 exec_lo, exec_lo, s0
.LBB162_157:
	s_or_b32 exec_lo, exec_lo, s2
.LBB162_158:
	s_andn2_saveexec_b32 s0, s1
	s_cbranch_execz .LBB162_160
; %bb.159:
	v_cmp_gt_f32_e64 s1, 0x800000, |v8|
	s_mov_b32 s2, 0x3e8a8991
	v_fma_f32 v18, |v8|, s2, 0xbecd26ab
	v_cndmask_b32_e64 v10, 0, 32, s1
	v_ldexp_f32 v10, |v8|, v10
	v_log_f32_e32 v10, v10
	v_mul_f32_e32 v14, 0x3f317217, v10
	v_cmp_gt_f32_e64 vcc_lo, 0x7f800000, |v10|
	v_fma_f32 v16, 0x3f317217, v10, -v14
	v_fmamk_f32 v16, v10, 0x3377d1cf, v16
	v_add_f32_e32 v14, v14, v16
	v_fma_f32 v16, |v8|, v18, 0x3f528d33
	v_cndmask_b32_e32 v10, v10, v14, vcc_lo
	v_cndmask_b32_e64 v14, 0, 0x41b17218, s1
	v_fma_f32 v16, |v8|, v16, 0xbf13c468
	v_sub_f32_e32 v10, v10, v14
	v_fma_f32 v10, |v8|, v16, -v10
.LBB162_160:
	s_or_b32 exec_lo, exec_lo, s0
	v_cmp_le_f32_e32 vcc_lo, 0, v8
	s_mov_b32 s1, exec_lo
	v_cmpx_nle_f32_e32 0, v8
	s_xor_b32 s2, exec_lo, s1
	s_cbranch_execz .LBB162_164
; %bb.161:
	v_cmp_gt_f32_e64 s0, 0x4b000000, |v8|
	v_cmp_lt_f32_e64 s1, 0x35000000, |v8|
	s_and_b32 s0, s0, s1
	s_and_saveexec_b32 s3, s0
	s_cbranch_execz .LBB162_163
; %bb.162:
	v_mul_f32_e64 v14, |v8|, 0.5
	s_mov_b32 s1, 0x3d4be544
	v_floor_f32_e32 v16, v14
	v_cmp_neq_f32_e64 s0, 0x7f800000, v14
	v_sub_f32_e32 v16, v14, v16
	v_min_f32_e32 v16, 0x3f7fffff, v16
	v_add_f32_e32 v16, v16, v16
	v_cndmask_b32_e64 v14, 0, v16, s0
	v_cmp_gt_f32_e64 s0, |v8|, 1.0
	v_cndmask_b32_e64 v14, |v8|, v14, s0
	s_mov_b32 s0, 0x3e75aa41
	v_add_f32_e32 v16, v14, v14
	v_rndne_f32_e32 v16, v16
	v_fmac_f32_e32 v14, -0.5, v16
	v_cvt_i32_f32_e32 v16, v16
	v_mul_f32_e32 v18, v14, v14
	v_fmaak_f32 v20, s0, v18, 0xbf1f24be
	v_fmaak_f32 v22, s1, v18, 0x3e642e9d
	v_mul_f32_e32 v23, v14, v18
	v_fmaak_f32 v20, v18, v20, 0x40234736
	v_fmaak_f32 v22, v18, v22, 0xbfaad1da
	;; [unrolled: 1-line block ×4, first 2 shown]
	v_mul_f32_e32 v20, v23, v20
	v_fmaak_f32 v22, v18, v22, 0xc09de9e6
	v_and_b32_e32 v23, 1, v16
	v_lshlrev_b32_e32 v16, 30, v16
	v_fmamk_f32 v14, v14, 0x40490fdb, v20
	v_fma_f32 v18, v18, v22, 1.0
	v_cmp_eq_u32_e64 s0, 0, v23
	v_and_or_b32 v12, 0x80000000, v16, v12
	v_cndmask_b32_e64 v14, v18, v14, s0
	v_xor3_b32 v12, v12, v14, v8
	v_mul_f32_e32 v12, v8, v12
	v_frexp_mant_f32_e64 v14, |v12|
	v_frexp_exp_i32_f32_e32 v12, v12
	v_rcp_f32_e32 v14, v14
	v_sub_nc_u32_e32 v12, 2, v12
	v_mul_f32_e32 v14, 0x3f490fdb, v14
	v_ldexp_f32 v12, v14, v12
	v_cmp_gt_f32_e64 s0, 0x800000, v12
	v_cndmask_b32_e64 v14, 0, 32, s0
	v_ldexp_f32 v12, v12, v14
	v_log_f32_e32 v12, v12
	v_mul_f32_e32 v14, 0x3f317217, v12
	v_cmp_gt_f32_e64 s1, 0x7f800000, |v12|
	v_fma_f32 v16, 0x3f317217, v12, -v14
	v_fmamk_f32 v16, v12, 0x3377d1cf, v16
	v_add_f32_e32 v14, v14, v16
	v_floor_f32_e32 v16, v8
	v_cndmask_b32_e64 v12, v12, v14, s1
	v_cndmask_b32_e64 v14, 0, 0x41b17218, s0
	v_sub_f32_e32 v16, v8, v16
	v_sub_f32_e32 v12, v12, v14
	v_min_f32_e32 v14, 0x3f7fffff, v16
	v_sub_f32_e32 v10, v12, v10
	v_cmp_neq_f32_e64 s0, 0, v14
	v_cndmask_b32_e64 v10, 0x7f800000, v10, s0
.LBB162_163:
	s_or_b32 exec_lo, exec_lo, s3
.LBB162_164:
	s_andn2_saveexec_b32 s2, s2
; %bb.165:
	v_cmp_eq_f32_e64 s0, 1.0, v8
	v_cmp_eq_f32_e64 s1, 2.0, v8
	s_or_b32 s0, s0, s1
	v_cndmask_b32_e64 v10, v10, 0, s0
; %bb.166:
	s_or_b32 exec_lo, exec_lo, s2
	global_load_ushort v12, v21, s[14:15]
                                        ; implicit-def: $vgpr14
	s_mov_b32 s1, exec_lo
	s_waitcnt vmcnt(0)
	v_lshlrev_b32_e32 v12, 16, v12
	v_and_b32_e32 v16, 0x7fffffff, v12
	v_cmpx_ngt_f32_e64 0x3c800000, |v12|
	s_xor_b32 s2, exec_lo, s1
	s_cbranch_execz .LBB162_196
; %bb.167:
                                        ; implicit-def: $vgpr14
	s_mov_b32 s1, exec_lo
	v_cmpx_nlt_f32_e64 |v12|, 2.0
	s_xor_b32 s3, exec_lo, s1
	s_cbranch_execz .LBB162_177
; %bb.168:
	s_mov_b32 s1, exec_lo
                                        ; implicit-def: $vgpr14
	v_cmpx_ngt_f32_e64 0x41000000, |v12|
	s_xor_b32 s1, exec_lo, s1
	s_cbranch_execz .LBB162_174
; %bb.169:
	s_mov_b32 s4, exec_lo
                                        ; implicit-def: $vgpr14
	v_cmpx_ngt_f32_e64 0x5c800000, |v12|
	s_xor_b32 s4, exec_lo, s4
	s_cbranch_execz .LBB162_171
; %bb.170:
	v_cmp_gt_f32_e64 s5, 0x800000, |v12|
	v_cndmask_b32_e64 v14, 0, 32, s5
	v_ldexp_f32 v14, |v12|, v14
	v_log_f32_e32 v14, v14
	v_mul_f32_e32 v18, 0x3f317217, v14
	v_cmp_gt_f32_e64 s0, 0x7f800000, |v14|
	v_fma_f32 v20, 0x3f317217, v14, -v18
	v_fmamk_f32 v20, v14, 0x3377d1cf, v20
	v_add_f32_e32 v18, v18, v20
	v_cndmask_b32_e64 v14, v14, v18, s0
	v_cndmask_b32_e64 v18, 0, 0x41b17218, s5
	v_sub_f32_e32 v14, v14, v18
	v_fma_f32 v14, |v12|, v14, -|v12|
.LBB162_171:
	s_andn2_saveexec_b32 s4, s4
	s_cbranch_execz .LBB162_173
; %bb.172:
	v_cmp_gt_f32_e64 s5, 0x800000, |v12|
	v_rcp_f32_e64 v18, |v12|
	s_mov_b32 s0, 0xbad5c4e8
	v_cndmask_b32_e64 v14, 0, 32, s5
	v_ldexp_f32 v14, |v12|, v14
	v_mul_f32_e32 v20, v18, v18
	v_log_f32_e32 v14, v14
	v_fmaak_f32 v22, s0, v20, 0x3a5b3dd2
	v_fmaak_f32 v22, v20, v22, 0xba1c065c
	v_mul_f32_e32 v21, 0x3f317217, v14
	v_fmaak_f32 v22, v20, v22, 0x3a500cfd
	v_cmp_gt_f32_e64 s0, 0x7f800000, |v14|
	v_fma_f32 v23, 0x3f317217, v14, -v21
	v_fmaak_f32 v22, v20, v22, 0xbb360b61
	v_fmamk_f32 v23, v14, 0x3377d1cf, v23
	v_fmaak_f32 v20, v20, v22, 0x3daaaaab
	v_add_f32_e32 v21, v21, v23
	v_cndmask_b32_e64 v14, v14, v21, s0
	v_cndmask_b32_e64 v21, 0, 0x41b17218, s5
	v_sub_f32_e32 v21, v14, v21
	v_fmaak_f32 v14, v18, v20, 0x3ed67f1d
	v_add_f32_e64 v18, |v12|, -0.5
	v_add_f32_e32 v20, -1.0, v21
	v_fmac_f32_e32 v14, v18, v20
.LBB162_173:
	s_or_b32 exec_lo, exec_lo, s4
.LBB162_174:
	s_andn2_saveexec_b32 s4, s1
	s_cbranch_execz .LBB162_176
; %bb.175:
	v_cvt_i32_f32_e32 v14, v16
	s_mov_b32 s1, 0x3805ff67
	v_cvt_f32_i32_e32 v18, v14
	v_cmp_lt_i32_e64 s0, 2, v14
	v_sub_f32_e64 v18, |v12|, v18
	v_add_f32_e32 v20, 2.0, v18
	v_add_f32_e32 v21, 0x40400000, v18
	v_add_f32_e32 v22, 4.0, v18
	v_add_f32_e32 v23, 0x40a00000, v18
	v_cndmask_b32_e64 v20, 1.0, v20, s0
	v_cmp_lt_i32_e64 s0, 3, v14
	v_cndmask_b32_e64 v21, 1.0, v21, s0
	v_cmp_lt_i32_e64 s0, 4, v14
	v_mul_f32_e32 v20, v20, v21
	v_cndmask_b32_e64 v22, 1.0, v22, s0
	v_cmp_lt_i32_e64 s0, 5, v14
	v_add_f32_e32 v21, 0x40c00000, v18
	v_mul_f32_e32 v20, v22, v20
	v_cndmask_b32_e64 v23, 1.0, v23, s0
	v_cmp_lt_i32_e64 s0, 6, v14
	v_fmaak_f32 v22, s1, v18, 0x3af135b4
	v_mul_f32_e32 v20, v23, v20
	v_cndmask_b32_e64 v14, 1.0, v21, s0
	s_mov_b32 s0, 0x36f5d7bd
	v_mul_f32_e32 v14, v14, v20
	v_fmaak_f32 v20, s0, v18, 0x3a4beed6
	v_cmp_gt_f32_e64 s0, 0x800000, v14
	v_fmaak_f32 v20, v18, v20, 0x3c98bf54
	v_cndmask_b32_e64 v21, 0, 32, s0
	v_fmaak_f32 v20, v18, v20, 0x3e300f6e
	v_ldexp_f32 v14, v14, v21
	v_fmaak_f32 v21, v18, v22, 0x3cda40e4
	v_fmaak_f32 v20, v18, v20, 0x3f38d0c5
	v_log_f32_e32 v14, v14
	v_fmaak_f32 v21, v18, v21, 0x3e15dce6
	v_fmaak_f32 v20, v18, v20, 0x3fb22d3b
	;; [unrolled: 1-line block ×3, first 2 shown]
	v_fma_f32 v20, v18, v20, 1.0
	v_mul_f32_e32 v22, 0x3f317217, v14
	v_fmaak_f32 v21, v18, v21, 0x3e5c245a
	v_rcp_f32_e32 v20, v20
	v_cmp_gt_f32_e64 s1, 0x7f800000, |v14|
	v_fma_f32 v23, 0x3f317217, v14, -v22
	v_fmaak_f32 v21, v18, v21, 0xbd9e233f
	v_fmamk_f32 v23, v14, 0x3377d1cf, v23
	v_mul_f32_e32 v21, v18, v21
	v_add_f32_e32 v22, v22, v23
	v_mul_f32_e32 v20, v21, v20
	v_cndmask_b32_e64 v21, 0, 0x41b17218, s0
	v_cndmask_b32_e64 v14, v14, v22, s1
	v_fmac_f32_e32 v20, 0.5, v18
	v_sub_f32_e32 v14, v14, v21
	v_add_f32_e32 v14, v14, v20
.LBB162_176:
	s_or_b32 exec_lo, exec_lo, s4
.LBB162_177:
	s_andn2_saveexec_b32 s3, s3
	s_cbranch_execz .LBB162_195
; %bb.178:
                                        ; implicit-def: $vgpr14
                                        ; implicit-def: $vgpr20
                                        ; implicit-def: $vgpr18
	s_mov_b32 s1, exec_lo
	v_cmpx_ge_f32_e64 0x3f666666, |v12|
	s_xor_b32 s4, exec_lo, s1
	s_cbranch_execz .LBB162_180
; %bb.179:
	v_cmp_gt_f32_e64 s1, 0x800000, |v12|
	v_sub_f32_e64 v21, 1.0, |v12|
	v_cmp_gt_f32_e64 s0, 0x3f3b4a23, |v12|
	v_cndmask_b32_e64 v14, 0, 32, s1
	v_cndmask_b32_e64 v22, 0, 0x41b17218, s1
	v_ldexp_f32 v14, |v12|, v14
	v_log_f32_e32 v14, v14
	v_mul_f32_e32 v18, 0x3f317217, v14
	v_cmp_gt_f32_e64 s1, 0x7f800000, |v14|
	v_fma_f32 v20, 0x3f317217, v14, -v18
	v_fmamk_f32 v20, v14, 0x3377d1cf, v20
	v_add_f32_e32 v18, v18, v20
	v_add_f32_e64 v20, 0xbeec5b0c, |v12|
	v_cndmask_b32_e64 v14, v14, v18, s1
	v_cndmask_b32_e64 v18, v21, v20, s0
	;; [unrolled: 1-line block ×3, first 2 shown]
	v_cmp_gt_f32_e64 s0, 0x3e6d3309, |v12|
	v_sub_f32_e32 v14, v14, v22
	v_cndmask_b32_e64 v18, v18, |v12|, s0
	v_cndmask_b32_e64 v20, v20, 2, s0
	v_xor_b32_e32 v14, 0x80000000, v14
.LBB162_180:
	s_andn2_saveexec_b32 s1, s4
	s_cbranch_execz .LBB162_182
; %bb.181:
	v_sub_f32_e64 v14, 2.0, |v12|
	v_add_f32_e64 v18, 0xbfbb16c3, |v12|
	v_cmp_gt_f32_e64 s0, 0x3fdda512, |v12|
	v_add_f32_e64 v20, |v12|, -1.0
	v_cndmask_b32_e64 v18, v14, v18, s0
	v_cndmask_b32_e64 v14, v14, 1.0, s0
	v_cmp_gt_f32_e64 s0, 0x3f9d70a4, |v12|
	v_cvt_i32_f32_e32 v14, v14
	v_cndmask_b32_e64 v18, v18, v20, s0
	v_cndmask_b32_e64 v20, v14, 2, s0
	v_mov_b32_e32 v14, 0
.LBB162_182:
	s_or_b32 exec_lo, exec_lo, s1
	s_mov_b32 s1, exec_lo
	v_cmpx_lt_i32_e32 0, v20
	s_xor_b32 s1, exec_lo, s1
	s_cbranch_execz .LBB162_190
; %bb.183:
	s_mov_b32 s4, exec_lo
	v_cmpx_lt_i32_e32 1, v20
	s_xor_b32 s4, exec_lo, s4
	s_cbranch_execz .LBB162_187
; %bb.184:
	s_mov_b32 s5, exec_lo
	v_cmpx_eq_u32_e32 2, v20
	s_cbranch_execz .LBB162_186
; %bb.185:
	s_mov_b32 s0, 0x3b52d5db
	v_fmaak_f32 v20, s0, v18, 0x3dd572af
	s_mov_b32 s0, 0x3c5b3c5e
	v_fmaak_f32 v21, s0, v18, 0x3e6a7578
	v_fmaak_f32 v20, v18, v20, 0x3f44efdf
	;; [unrolled: 1-line block ×7, first 2 shown]
	v_fma_f32 v20, v18, v20, 1.0
	v_fmaak_f32 v21, v18, v21, 0xbd9e233f
	v_rcp_f32_e32 v20, v20
	v_mul_f32_e32 v21, v18, v21
	v_mul_f32_e32 v20, v21, v20
	v_fmac_f32_e32 v20, -0.5, v18
	v_add_f32_e32 v14, v14, v20
.LBB162_186:
	s_or_b32 exec_lo, exec_lo, s5
                                        ; implicit-def: $vgpr18
.LBB162_187:
	s_andn2_saveexec_b32 s0, s4
	s_cbranch_execz .LBB162_189
; %bb.188:
	v_mul_f32_e32 v20, v18, v18
	s_mov_b32 s4, 0xb9a3f927
	s_mov_b32 s5, 0x39afe9f7
	v_mul_f32_e32 v21, v18, v20
	v_fmaak_f32 v22, s4, v21, 0x3a66f867
	v_fmaak_f32 v23, s5, v21, 0xba0d3085
	s_mov_b32 s4, 0x39a57b6b
	v_fmaak_f32 v24, s4, v21, 0xbab7f476
	v_fmaak_f32 v22, v21, v22, 0xbb7177fe
	;; [unrolled: 1-line block ×9, first 2 shown]
	v_fmac_f32_e32 v22, v18, v23
	v_fmaak_f32 v18, v21, v24, 0x3ef7b95e
	v_fma_f32 v21, v21, -v22, 0xa2863e55
	v_fma_f32 v18, v20, v18, -v21
	v_add_f32_e32 v18, 0xbdf8cdce, v18
	v_add_f32_e32 v14, v14, v18
.LBB162_189:
	s_or_b32 exec_lo, exec_lo, s0
                                        ; implicit-def: $vgpr20
                                        ; implicit-def: $vgpr18
.LBB162_190:
	s_andn2_saveexec_b32 s1, s1
	s_cbranch_execz .LBB162_194
; %bb.191:
	s_mov_b32 s4, exec_lo
	v_cmpx_eq_u32_e32 0, v20
	s_cbranch_execz .LBB162_193
; %bb.192:
	v_mul_f32_e32 v20, v18, v18
	s_mov_b32 s0, 0x383c2c75
	v_fmaak_f32 v21, s0, v20, 0x38e28445
	s_mov_b32 s0, 0x37d383a2
	v_fmaak_f32 v22, s0, v20, 0x39679767
	v_fmaak_f32 v21, v20, v21, 0x3a05b634
	;; [unrolled: 1-line block ×9, first 2 shown]
	v_mul_f32_e32 v20, v20, v21
	v_fmac_f32_e32 v20, v18, v22
	v_fmac_f32_e32 v20, -0.5, v18
	v_add_f32_e32 v14, v14, v20
.LBB162_193:
	s_or_b32 exec_lo, exec_lo, s4
.LBB162_194:
	s_or_b32 exec_lo, exec_lo, s1
.LBB162_195:
	s_or_b32 exec_lo, exec_lo, s3
.LBB162_196:
	s_andn2_saveexec_b32 s1, s2
	s_cbranch_execz .LBB162_198
; %bb.197:
	v_cmp_gt_f32_e64 s2, 0x800000, |v12|
	s_mov_b32 s0, 0x3e8a8991
	v_fma_f32 v21, |v12|, s0, 0xbecd26ab
	v_cndmask_b32_e64 v14, 0, 32, s2
	v_ldexp_f32 v14, |v12|, v14
	v_log_f32_e32 v14, v14
	v_mul_f32_e32 v18, 0x3f317217, v14
	v_cmp_gt_f32_e64 s0, 0x7f800000, |v14|
	v_fma_f32 v20, 0x3f317217, v14, -v18
	v_fmamk_f32 v20, v14, 0x3377d1cf, v20
	v_add_f32_e32 v18, v18, v20
	v_fma_f32 v20, |v12|, v21, 0x3f528d33
	v_cndmask_b32_e64 v14, v14, v18, s0
	v_cndmask_b32_e64 v18, 0, 0x41b17218, s2
	v_fma_f32 v20, |v12|, v20, 0xbf13c468
	v_sub_f32_e32 v14, v14, v18
	v_fma_f32 v14, |v12|, v20, -v14
.LBB162_198:
	s_or_b32 exec_lo, exec_lo, s1
	v_cmp_le_f32_e64 s0, 0, v12
	s_mov_b32 s2, exec_lo
	v_cmpx_nle_f32_e32 0, v12
	s_xor_b32 s3, exec_lo, s2
	s_cbranch_execz .LBB162_202
; %bb.199:
	v_cmp_gt_f32_e64 s1, 0x4b000000, |v12|
	v_cmp_lt_f32_e64 s2, 0x35000000, |v12|
	s_and_b32 s1, s1, s2
	s_and_saveexec_b32 s4, s1
	s_cbranch_execz .LBB162_201
; %bb.200:
	v_mul_f32_e64 v18, |v12|, 0.5
	s_mov_b32 s2, 0x3d4be544
	v_floor_f32_e32 v20, v18
	v_cmp_neq_f32_e64 s1, 0x7f800000, v18
	v_sub_f32_e32 v20, v18, v20
	v_min_f32_e32 v20, 0x3f7fffff, v20
	v_add_f32_e32 v20, v20, v20
	v_cndmask_b32_e64 v18, 0, v20, s1
	v_cmp_gt_f32_e64 s1, |v12|, 1.0
	v_cndmask_b32_e64 v18, |v12|, v18, s1
	s_mov_b32 s1, 0x3e75aa41
	v_add_f32_e32 v20, v18, v18
	v_rndne_f32_e32 v20, v20
	v_fmac_f32_e32 v18, -0.5, v20
	v_cvt_i32_f32_e32 v20, v20
	v_mul_f32_e32 v21, v18, v18
	v_fmaak_f32 v22, s1, v21, 0xbf1f24be
	v_fmaak_f32 v23, s2, v21, 0x3e642e9d
	v_mul_f32_e32 v24, v18, v21
	v_fmaak_f32 v22, v21, v22, 0x40234736
	v_fmaak_f32 v23, v21, v23, 0xbfaad1da
	;; [unrolled: 1-line block ×4, first 2 shown]
	v_mul_f32_e32 v22, v24, v22
	v_fmaak_f32 v23, v21, v23, 0xc09de9e6
	v_and_b32_e32 v24, 1, v20
	v_lshlrev_b32_e32 v20, 30, v20
	v_fmamk_f32 v18, v18, 0x40490fdb, v22
	v_fma_f32 v21, v21, v23, 1.0
	v_cmp_eq_u32_e64 s1, 0, v24
	v_and_or_b32 v16, 0x80000000, v20, v16
	v_cndmask_b32_e64 v18, v21, v18, s1
	v_xor3_b32 v16, v16, v18, v12
	v_mul_f32_e32 v16, v12, v16
	v_frexp_mant_f32_e64 v18, |v16|
	v_frexp_exp_i32_f32_e32 v16, v16
	v_rcp_f32_e32 v18, v18
	v_sub_nc_u32_e32 v16, 2, v16
	v_mul_f32_e32 v18, 0x3f490fdb, v18
	v_ldexp_f32 v16, v18, v16
	v_cmp_gt_f32_e64 s1, 0x800000, v16
	v_cndmask_b32_e64 v18, 0, 32, s1
	v_ldexp_f32 v16, v16, v18
	v_log_f32_e32 v16, v16
	v_mul_f32_e32 v18, 0x3f317217, v16
	v_cmp_gt_f32_e64 s2, 0x7f800000, |v16|
	v_fma_f32 v20, 0x3f317217, v16, -v18
	v_fmamk_f32 v20, v16, 0x3377d1cf, v20
	v_add_f32_e32 v18, v18, v20
	v_floor_f32_e32 v20, v12
	v_cndmask_b32_e64 v16, v16, v18, s2
	v_cndmask_b32_e64 v18, 0, 0x41b17218, s1
	v_sub_f32_e32 v20, v12, v20
	v_sub_f32_e32 v16, v16, v18
	v_min_f32_e32 v18, 0x3f7fffff, v20
	v_sub_f32_e32 v14, v16, v14
	v_cmp_neq_f32_e64 s1, 0, v18
	v_cndmask_b32_e64 v14, 0x7f800000, v14, s1
.LBB162_201:
	s_or_b32 exec_lo, exec_lo, s4
.LBB162_202:
	s_andn2_saveexec_b32 s3, s3
; %bb.203:
	v_cmp_eq_f32_e64 s1, 1.0, v12
	v_cmp_eq_f32_e64 s2, 2.0, v12
	s_or_b32 s1, s1, s2
	v_cndmask_b32_e64 v14, v14, 0, s1
; %bb.204:
	s_or_b32 exec_lo, exec_lo, s3
	global_load_ushort v16, v19, s[14:15]
                                        ; implicit-def: $vgpr18
	s_mov_b32 s2, exec_lo
	s_waitcnt vmcnt(0)
	v_lshlrev_b32_e32 v16, 16, v16
	v_and_b32_e32 v19, 0x7fffffff, v16
	v_cmpx_ngt_f32_e64 0x3c800000, |v16|
	s_xor_b32 s3, exec_lo, s2
	s_cbranch_execz .LBB162_234
; %bb.205:
                                        ; implicit-def: $vgpr18
	s_mov_b32 s2, exec_lo
	v_cmpx_nlt_f32_e64 |v16|, 2.0
	s_xor_b32 s4, exec_lo, s2
	s_cbranch_execz .LBB162_215
; %bb.206:
	s_mov_b32 s2, exec_lo
                                        ; implicit-def: $vgpr18
	v_cmpx_ngt_f32_e64 0x41000000, |v16|
	s_xor_b32 s2, exec_lo, s2
	s_cbranch_execz .LBB162_212
; %bb.207:
	s_mov_b32 s5, exec_lo
                                        ; implicit-def: $vgpr18
	v_cmpx_ngt_f32_e64 0x5c800000, |v16|
	s_xor_b32 s5, exec_lo, s5
	s_cbranch_execz .LBB162_209
; %bb.208:
	v_cmp_gt_f32_e64 s6, 0x800000, |v16|
	v_cndmask_b32_e64 v18, 0, 32, s6
	v_ldexp_f32 v18, |v16|, v18
	v_log_f32_e32 v18, v18
	v_mul_f32_e32 v20, 0x3f317217, v18
	v_cmp_gt_f32_e64 s1, 0x7f800000, |v18|
	v_fma_f32 v21, 0x3f317217, v18, -v20
	v_fmamk_f32 v21, v18, 0x3377d1cf, v21
	v_add_f32_e32 v20, v20, v21
	v_cndmask_b32_e64 v18, v18, v20, s1
	v_cndmask_b32_e64 v20, 0, 0x41b17218, s6
	v_sub_f32_e32 v18, v18, v20
	v_fma_f32 v18, |v16|, v18, -|v16|
.LBB162_209:
	s_andn2_saveexec_b32 s5, s5
	s_cbranch_execz .LBB162_211
; %bb.210:
	v_cmp_gt_f32_e64 s6, 0x800000, |v16|
	v_rcp_f32_e64 v20, |v16|
	s_mov_b32 s1, 0xbad5c4e8
	v_cndmask_b32_e64 v18, 0, 32, s6
	v_ldexp_f32 v18, |v16|, v18
	v_mul_f32_e32 v21, v20, v20
	v_log_f32_e32 v18, v18
	v_fmaak_f32 v23, s1, v21, 0x3a5b3dd2
	v_fmaak_f32 v23, v21, v23, 0xba1c065c
	v_mul_f32_e32 v22, 0x3f317217, v18
	v_fmaak_f32 v23, v21, v23, 0x3a500cfd
	v_cmp_gt_f32_e64 s1, 0x7f800000, |v18|
	v_fma_f32 v24, 0x3f317217, v18, -v22
	v_fmaak_f32 v23, v21, v23, 0xbb360b61
	v_fmamk_f32 v24, v18, 0x3377d1cf, v24
	v_fmaak_f32 v21, v21, v23, 0x3daaaaab
	v_add_f32_e32 v22, v22, v24
	v_cndmask_b32_e64 v18, v18, v22, s1
	v_cndmask_b32_e64 v22, 0, 0x41b17218, s6
	v_sub_f32_e32 v22, v18, v22
	v_fmaak_f32 v18, v20, v21, 0x3ed67f1d
	v_add_f32_e64 v20, |v16|, -0.5
	v_add_f32_e32 v21, -1.0, v22
	v_fmac_f32_e32 v18, v20, v21
.LBB162_211:
	s_or_b32 exec_lo, exec_lo, s5
.LBB162_212:
	s_andn2_saveexec_b32 s5, s2
	s_cbranch_execz .LBB162_214
; %bb.213:
	v_cvt_i32_f32_e32 v18, v19
	s_mov_b32 s2, 0x3805ff67
	v_cvt_f32_i32_e32 v20, v18
	v_cmp_lt_i32_e64 s1, 2, v18
	v_sub_f32_e64 v20, |v16|, v20
	v_add_f32_e32 v21, 2.0, v20
	v_add_f32_e32 v22, 0x40400000, v20
	v_add_f32_e32 v23, 4.0, v20
	v_add_f32_e32 v24, 0x40a00000, v20
	v_cndmask_b32_e64 v21, 1.0, v21, s1
	v_cmp_lt_i32_e64 s1, 3, v18
	v_cndmask_b32_e64 v22, 1.0, v22, s1
	v_cmp_lt_i32_e64 s1, 4, v18
	v_mul_f32_e32 v21, v21, v22
	v_cndmask_b32_e64 v23, 1.0, v23, s1
	v_cmp_lt_i32_e64 s1, 5, v18
	v_add_f32_e32 v22, 0x40c00000, v20
	v_mul_f32_e32 v21, v23, v21
	v_cndmask_b32_e64 v24, 1.0, v24, s1
	v_cmp_lt_i32_e64 s1, 6, v18
	v_fmaak_f32 v23, s2, v20, 0x3af135b4
	v_mul_f32_e32 v21, v24, v21
	v_cndmask_b32_e64 v18, 1.0, v22, s1
	s_mov_b32 s1, 0x36f5d7bd
	v_mul_f32_e32 v18, v18, v21
	v_fmaak_f32 v21, s1, v20, 0x3a4beed6
	v_cmp_gt_f32_e64 s1, 0x800000, v18
	v_fmaak_f32 v21, v20, v21, 0x3c98bf54
	v_cndmask_b32_e64 v22, 0, 32, s1
	v_fmaak_f32 v21, v20, v21, 0x3e300f6e
	v_ldexp_f32 v18, v18, v22
	v_fmaak_f32 v22, v20, v23, 0x3cda40e4
	v_fmaak_f32 v21, v20, v21, 0x3f38d0c5
	v_log_f32_e32 v18, v18
	v_fmaak_f32 v22, v20, v22, 0x3e15dce6
	v_fmaak_f32 v21, v20, v21, 0x3fb22d3b
	;; [unrolled: 1-line block ×3, first 2 shown]
	v_fma_f32 v21, v20, v21, 1.0
	v_mul_f32_e32 v23, 0x3f317217, v18
	v_fmaak_f32 v22, v20, v22, 0x3e5c245a
	v_rcp_f32_e32 v21, v21
	v_cmp_gt_f32_e64 s2, 0x7f800000, |v18|
	v_fma_f32 v24, 0x3f317217, v18, -v23
	v_fmaak_f32 v22, v20, v22, 0xbd9e233f
	v_fmamk_f32 v24, v18, 0x3377d1cf, v24
	v_mul_f32_e32 v22, v20, v22
	v_add_f32_e32 v23, v23, v24
	v_mul_f32_e32 v21, v22, v21
	v_cndmask_b32_e64 v22, 0, 0x41b17218, s1
	v_cndmask_b32_e64 v18, v18, v23, s2
	v_fmac_f32_e32 v21, 0.5, v20
	v_sub_f32_e32 v18, v18, v22
	v_add_f32_e32 v18, v18, v21
.LBB162_214:
	s_or_b32 exec_lo, exec_lo, s5
.LBB162_215:
	s_andn2_saveexec_b32 s4, s4
	s_cbranch_execz .LBB162_233
; %bb.216:
                                        ; implicit-def: $vgpr18
                                        ; implicit-def: $vgpr21
                                        ; implicit-def: $vgpr20
	s_mov_b32 s2, exec_lo
	v_cmpx_ge_f32_e64 0x3f666666, |v16|
	s_xor_b32 s5, exec_lo, s2
	s_cbranch_execz .LBB162_218
; %bb.217:
	v_cmp_gt_f32_e64 s2, 0x800000, |v16|
	v_sub_f32_e64 v22, 1.0, |v16|
	v_cmp_gt_f32_e64 s1, 0x3f3b4a23, |v16|
	v_cndmask_b32_e64 v18, 0, 32, s2
	v_cndmask_b32_e64 v23, 0, 0x41b17218, s2
	v_ldexp_f32 v18, |v16|, v18
	v_log_f32_e32 v18, v18
	v_mul_f32_e32 v20, 0x3f317217, v18
	v_cmp_gt_f32_e64 s2, 0x7f800000, |v18|
	v_fma_f32 v21, 0x3f317217, v18, -v20
	v_fmamk_f32 v21, v18, 0x3377d1cf, v21
	v_add_f32_e32 v20, v20, v21
	v_add_f32_e64 v21, 0xbeec5b0c, |v16|
	v_cndmask_b32_e64 v18, v18, v20, s2
	v_cndmask_b32_e64 v20, v22, v21, s1
	;; [unrolled: 1-line block ×3, first 2 shown]
	v_cmp_gt_f32_e64 s1, 0x3e6d3309, |v16|
	v_sub_f32_e32 v18, v18, v23
	v_cndmask_b32_e64 v20, v20, |v16|, s1
	v_cndmask_b32_e64 v21, v21, 2, s1
	v_xor_b32_e32 v18, 0x80000000, v18
.LBB162_218:
	s_andn2_saveexec_b32 s2, s5
	s_cbranch_execz .LBB162_220
; %bb.219:
	v_sub_f32_e64 v18, 2.0, |v16|
	v_add_f32_e64 v20, 0xbfbb16c3, |v16|
	v_cmp_gt_f32_e64 s1, 0x3fdda512, |v16|
	v_add_f32_e64 v21, |v16|, -1.0
	v_cndmask_b32_e64 v20, v18, v20, s1
	v_cndmask_b32_e64 v18, v18, 1.0, s1
	v_cmp_gt_f32_e64 s1, 0x3f9d70a4, |v16|
	v_cvt_i32_f32_e32 v18, v18
	v_cndmask_b32_e64 v20, v20, v21, s1
	v_cndmask_b32_e64 v21, v18, 2, s1
	v_mov_b32_e32 v18, 0
.LBB162_220:
	s_or_b32 exec_lo, exec_lo, s2
	s_mov_b32 s2, exec_lo
	v_cmpx_lt_i32_e32 0, v21
	s_xor_b32 s2, exec_lo, s2
	s_cbranch_execz .LBB162_228
; %bb.221:
	s_mov_b32 s5, exec_lo
	v_cmpx_lt_i32_e32 1, v21
	s_xor_b32 s5, exec_lo, s5
	s_cbranch_execz .LBB162_225
; %bb.222:
	s_mov_b32 s6, exec_lo
	v_cmpx_eq_u32_e32 2, v21
	s_cbranch_execz .LBB162_224
; %bb.223:
	s_mov_b32 s1, 0x3b52d5db
	v_fmaak_f32 v21, s1, v20, 0x3dd572af
	s_mov_b32 s1, 0x3c5b3c5e
	v_fmaak_f32 v22, s1, v20, 0x3e6a7578
	v_fmaak_f32 v21, v20, v21, 0x3f44efdf
	;; [unrolled: 1-line block ×7, first 2 shown]
	v_fma_f32 v21, v20, v21, 1.0
	v_fmaak_f32 v22, v20, v22, 0xbd9e233f
	v_rcp_f32_e32 v21, v21
	v_mul_f32_e32 v22, v20, v22
	v_mul_f32_e32 v21, v22, v21
	v_fmac_f32_e32 v21, -0.5, v20
	v_add_f32_e32 v18, v18, v21
.LBB162_224:
	s_or_b32 exec_lo, exec_lo, s6
                                        ; implicit-def: $vgpr20
.LBB162_225:
	s_andn2_saveexec_b32 s1, s5
	s_cbranch_execz .LBB162_227
; %bb.226:
	v_mul_f32_e32 v21, v20, v20
	s_mov_b32 s5, 0xb9a3f927
	s_mov_b32 s6, 0x39afe9f7
	v_mul_f32_e32 v22, v20, v21
	v_fmaak_f32 v23, s5, v22, 0x3a66f867
	v_fmaak_f32 v24, s6, v22, 0xba0d3085
	s_mov_b32 s5, 0x39a57b6b
	v_fmaak_f32 v25, s5, v22, 0xbab7f476
	v_fmaak_f32 v23, v22, v23, 0xbb7177fe
	;; [unrolled: 1-line block ×9, first 2 shown]
	v_fmac_f32_e32 v23, v20, v24
	v_fmaak_f32 v20, v22, v25, 0x3ef7b95e
	v_fma_f32 v22, v22, -v23, 0xa2863e55
	v_fma_f32 v20, v21, v20, -v22
	v_add_f32_e32 v20, 0xbdf8cdce, v20
	v_add_f32_e32 v18, v18, v20
.LBB162_227:
	s_or_b32 exec_lo, exec_lo, s1
                                        ; implicit-def: $vgpr21
                                        ; implicit-def: $vgpr20
.LBB162_228:
	s_andn2_saveexec_b32 s2, s2
	s_cbranch_execz .LBB162_232
; %bb.229:
	s_mov_b32 s5, exec_lo
	v_cmpx_eq_u32_e32 0, v21
	s_cbranch_execz .LBB162_231
; %bb.230:
	v_mul_f32_e32 v21, v20, v20
	s_mov_b32 s1, 0x383c2c75
	v_fmaak_f32 v22, s1, v21, 0x38e28445
	s_mov_b32 s1, 0x37d383a2
	v_fmaak_f32 v23, s1, v21, 0x39679767
	v_fmaak_f32 v22, v21, v22, 0x3a05b634
	;; [unrolled: 1-line block ×9, first 2 shown]
	v_mul_f32_e32 v21, v21, v22
	v_fmac_f32_e32 v21, v20, v23
	v_fmac_f32_e32 v21, -0.5, v20
	v_add_f32_e32 v18, v18, v21
.LBB162_231:
	s_or_b32 exec_lo, exec_lo, s5
.LBB162_232:
	s_or_b32 exec_lo, exec_lo, s2
.LBB162_233:
	s_or_b32 exec_lo, exec_lo, s4
.LBB162_234:
	s_andn2_saveexec_b32 s2, s3
	s_cbranch_execz .LBB162_236
; %bb.235:
	v_cmp_gt_f32_e64 s3, 0x800000, |v16|
	s_mov_b32 s1, 0x3e8a8991
	v_fma_f32 v22, |v16|, s1, 0xbecd26ab
	v_cndmask_b32_e64 v18, 0, 32, s3
	v_ldexp_f32 v18, |v16|, v18
	v_log_f32_e32 v18, v18
	v_mul_f32_e32 v20, 0x3f317217, v18
	v_cmp_gt_f32_e64 s1, 0x7f800000, |v18|
	v_fma_f32 v21, 0x3f317217, v18, -v20
	v_fmamk_f32 v21, v18, 0x3377d1cf, v21
	v_add_f32_e32 v20, v20, v21
	v_fma_f32 v21, |v16|, v22, 0x3f528d33
	v_cndmask_b32_e64 v18, v18, v20, s1
	v_cndmask_b32_e64 v20, 0, 0x41b17218, s3
	v_fma_f32 v21, |v16|, v21, 0xbf13c468
	v_sub_f32_e32 v18, v18, v20
	v_fma_f32 v18, |v16|, v21, -v18
.LBB162_236:
	s_or_b32 exec_lo, exec_lo, s2
	v_cmp_le_f32_e64 s1, 0, v16
	s_mov_b32 s3, exec_lo
	v_cmpx_nle_f32_e32 0, v16
	s_xor_b32 s4, exec_lo, s3
	s_cbranch_execz .LBB162_240
; %bb.237:
	v_cmp_gt_f32_e64 s2, 0x4b000000, |v16|
	v_cmp_lt_f32_e64 s3, 0x35000000, |v16|
	s_and_b32 s2, s2, s3
	s_and_saveexec_b32 s5, s2
	s_cbranch_execz .LBB162_239
; %bb.238:
	v_mul_f32_e64 v20, |v16|, 0.5
	s_mov_b32 s3, 0x3d4be544
	v_floor_f32_e32 v21, v20
	v_cmp_neq_f32_e64 s2, 0x7f800000, v20
	v_sub_f32_e32 v21, v20, v21
	v_min_f32_e32 v21, 0x3f7fffff, v21
	v_add_f32_e32 v21, v21, v21
	v_cndmask_b32_e64 v20, 0, v21, s2
	v_cmp_gt_f32_e64 s2, |v16|, 1.0
	v_cndmask_b32_e64 v20, |v16|, v20, s2
	s_mov_b32 s2, 0x3e75aa41
	v_add_f32_e32 v21, v20, v20
	v_rndne_f32_e32 v21, v21
	v_fmac_f32_e32 v20, -0.5, v21
	v_cvt_i32_f32_e32 v21, v21
	v_mul_f32_e32 v22, v20, v20
	v_fmaak_f32 v23, s2, v22, 0xbf1f24be
	v_fmaak_f32 v24, s3, v22, 0x3e642e9d
	v_mul_f32_e32 v25, v20, v22
	v_fmaak_f32 v23, v22, v23, 0x40234736
	v_fmaak_f32 v24, v22, v24, 0xbfaad1da
	;; [unrolled: 1-line block ×4, first 2 shown]
	v_mul_f32_e32 v23, v25, v23
	v_fmaak_f32 v24, v22, v24, 0xc09de9e6
	v_and_b32_e32 v25, 1, v21
	v_lshlrev_b32_e32 v21, 30, v21
	v_fmamk_f32 v20, v20, 0x40490fdb, v23
	v_fma_f32 v22, v22, v24, 1.0
	v_cmp_eq_u32_e64 s2, 0, v25
	v_and_or_b32 v19, 0x80000000, v21, v19
	v_cndmask_b32_e64 v20, v22, v20, s2
	v_xor3_b32 v19, v19, v20, v16
	v_mul_f32_e32 v19, v16, v19
	v_frexp_mant_f32_e64 v20, |v19|
	v_frexp_exp_i32_f32_e32 v19, v19
	v_rcp_f32_e32 v20, v20
	v_sub_nc_u32_e32 v19, 2, v19
	v_mul_f32_e32 v20, 0x3f490fdb, v20
	v_ldexp_f32 v19, v20, v19
	v_cmp_gt_f32_e64 s2, 0x800000, v19
	v_cndmask_b32_e64 v20, 0, 32, s2
	v_ldexp_f32 v19, v19, v20
	v_log_f32_e32 v19, v19
	v_mul_f32_e32 v20, 0x3f317217, v19
	v_cmp_gt_f32_e64 s3, 0x7f800000, |v19|
	v_fma_f32 v21, 0x3f317217, v19, -v20
	v_fmamk_f32 v21, v19, 0x3377d1cf, v21
	v_add_f32_e32 v20, v20, v21
	v_floor_f32_e32 v21, v16
	v_cndmask_b32_e64 v19, v19, v20, s3
	v_cndmask_b32_e64 v20, 0, 0x41b17218, s2
	v_sub_f32_e32 v21, v16, v21
	v_sub_f32_e32 v19, v19, v20
	v_min_f32_e32 v20, 0x3f7fffff, v21
	v_sub_f32_e32 v18, v19, v18
	v_cmp_neq_f32_e64 s2, 0, v20
	v_cndmask_b32_e64 v18, 0x7f800000, v18, s2
.LBB162_239:
	s_or_b32 exec_lo, exec_lo, s5
.LBB162_240:
	s_andn2_saveexec_b32 s4, s4
; %bb.241:
	v_cmp_eq_f32_e64 s2, 1.0, v16
	v_cmp_eq_f32_e64 s3, 2.0, v16
	s_or_b32 s2, s2, s3
	v_cndmask_b32_e64 v18, v18, 0, s2
; %bb.242:
	s_or_b32 exec_lo, exec_lo, s4
	global_load_ushort v17, v17, s[14:15]
                                        ; implicit-def: $vgpr19
	s_mov_b32 s3, exec_lo
	s_waitcnt vmcnt(0)
	v_lshlrev_b32_e32 v17, 16, v17
	v_and_b32_e32 v20, 0x7fffffff, v17
	v_cmpx_ngt_f32_e64 0x3c800000, |v17|
	s_xor_b32 s4, exec_lo, s3
	s_cbranch_execz .LBB162_272
; %bb.243:
                                        ; implicit-def: $vgpr19
	s_mov_b32 s3, exec_lo
	v_cmpx_nlt_f32_e64 |v17|, 2.0
	s_xor_b32 s5, exec_lo, s3
	s_cbranch_execz .LBB162_253
; %bb.244:
	s_mov_b32 s3, exec_lo
                                        ; implicit-def: $vgpr19
	v_cmpx_ngt_f32_e64 0x41000000, |v17|
	s_xor_b32 s3, exec_lo, s3
	s_cbranch_execz .LBB162_250
; %bb.245:
	s_mov_b32 s6, exec_lo
                                        ; implicit-def: $vgpr19
	v_cmpx_ngt_f32_e64 0x5c800000, |v17|
	s_xor_b32 s6, exec_lo, s6
	s_cbranch_execz .LBB162_247
; %bb.246:
	v_cmp_gt_f32_e64 s7, 0x800000, |v17|
	v_cndmask_b32_e64 v19, 0, 32, s7
	v_ldexp_f32 v19, |v17|, v19
	v_log_f32_e32 v19, v19
	v_mul_f32_e32 v21, 0x3f317217, v19
	v_cmp_gt_f32_e64 s2, 0x7f800000, |v19|
	v_fma_f32 v22, 0x3f317217, v19, -v21
	v_fmamk_f32 v22, v19, 0x3377d1cf, v22
	v_add_f32_e32 v21, v21, v22
	v_cndmask_b32_e64 v19, v19, v21, s2
	v_cndmask_b32_e64 v21, 0, 0x41b17218, s7
	v_sub_f32_e32 v19, v19, v21
	v_fma_f32 v19, |v17|, v19, -|v17|
.LBB162_247:
	s_andn2_saveexec_b32 s6, s6
	s_cbranch_execz .LBB162_249
; %bb.248:
	v_cmp_gt_f32_e64 s7, 0x800000, |v17|
	v_rcp_f32_e64 v21, |v17|
	s_mov_b32 s2, 0xbad5c4e8
	v_cndmask_b32_e64 v19, 0, 32, s7
	v_ldexp_f32 v19, |v17|, v19
	v_mul_f32_e32 v22, v21, v21
	v_log_f32_e32 v19, v19
	v_fmaak_f32 v24, s2, v22, 0x3a5b3dd2
	v_fmaak_f32 v24, v22, v24, 0xba1c065c
	v_mul_f32_e32 v23, 0x3f317217, v19
	v_fmaak_f32 v24, v22, v24, 0x3a500cfd
	v_cmp_gt_f32_e64 s2, 0x7f800000, |v19|
	v_fma_f32 v25, 0x3f317217, v19, -v23
	v_fmaak_f32 v24, v22, v24, 0xbb360b61
	v_fmamk_f32 v25, v19, 0x3377d1cf, v25
	v_fmaak_f32 v22, v22, v24, 0x3daaaaab
	v_add_f32_e32 v23, v23, v25
	v_cndmask_b32_e64 v19, v19, v23, s2
	v_cndmask_b32_e64 v23, 0, 0x41b17218, s7
	v_sub_f32_e32 v23, v19, v23
	v_fmaak_f32 v19, v21, v22, 0x3ed67f1d
	v_add_f32_e64 v21, |v17|, -0.5
	v_add_f32_e32 v22, -1.0, v23
	v_fmac_f32_e32 v19, v21, v22
.LBB162_249:
	s_or_b32 exec_lo, exec_lo, s6
.LBB162_250:
	s_andn2_saveexec_b32 s6, s3
	s_cbranch_execz .LBB162_252
; %bb.251:
	v_cvt_i32_f32_e32 v19, v20
	s_mov_b32 s3, 0x3805ff67
	v_cvt_f32_i32_e32 v21, v19
	v_cmp_lt_i32_e64 s2, 2, v19
	v_sub_f32_e64 v21, |v17|, v21
	v_add_f32_e32 v22, 2.0, v21
	v_add_f32_e32 v23, 0x40400000, v21
	v_add_f32_e32 v24, 4.0, v21
	v_add_f32_e32 v25, 0x40a00000, v21
	v_cndmask_b32_e64 v22, 1.0, v22, s2
	v_cmp_lt_i32_e64 s2, 3, v19
	v_cndmask_b32_e64 v23, 1.0, v23, s2
	v_cmp_lt_i32_e64 s2, 4, v19
	v_mul_f32_e32 v22, v22, v23
	v_cndmask_b32_e64 v24, 1.0, v24, s2
	v_cmp_lt_i32_e64 s2, 5, v19
	v_add_f32_e32 v23, 0x40c00000, v21
	v_mul_f32_e32 v22, v24, v22
	v_cndmask_b32_e64 v25, 1.0, v25, s2
	v_cmp_lt_i32_e64 s2, 6, v19
	v_fmaak_f32 v24, s3, v21, 0x3af135b4
	v_mul_f32_e32 v22, v25, v22
	v_cndmask_b32_e64 v19, 1.0, v23, s2
	s_mov_b32 s2, 0x36f5d7bd
	v_mul_f32_e32 v19, v19, v22
	v_fmaak_f32 v22, s2, v21, 0x3a4beed6
	v_cmp_gt_f32_e64 s2, 0x800000, v19
	v_fmaak_f32 v22, v21, v22, 0x3c98bf54
	v_cndmask_b32_e64 v23, 0, 32, s2
	v_fmaak_f32 v22, v21, v22, 0x3e300f6e
	v_ldexp_f32 v19, v19, v23
	v_fmaak_f32 v23, v21, v24, 0x3cda40e4
	v_fmaak_f32 v22, v21, v22, 0x3f38d0c5
	v_log_f32_e32 v19, v19
	v_fmaak_f32 v23, v21, v23, 0x3e15dce6
	v_fmaak_f32 v22, v21, v22, 0x3fb22d3b
	;; [unrolled: 1-line block ×3, first 2 shown]
	v_fma_f32 v22, v21, v22, 1.0
	v_mul_f32_e32 v24, 0x3f317217, v19
	v_fmaak_f32 v23, v21, v23, 0x3e5c245a
	v_rcp_f32_e32 v22, v22
	v_cmp_gt_f32_e64 s3, 0x7f800000, |v19|
	v_fma_f32 v25, 0x3f317217, v19, -v24
	v_fmaak_f32 v23, v21, v23, 0xbd9e233f
	v_fmamk_f32 v25, v19, 0x3377d1cf, v25
	v_mul_f32_e32 v23, v21, v23
	v_add_f32_e32 v24, v24, v25
	v_mul_f32_e32 v22, v23, v22
	v_cndmask_b32_e64 v23, 0, 0x41b17218, s2
	v_cndmask_b32_e64 v19, v19, v24, s3
	v_fmac_f32_e32 v22, 0.5, v21
	v_sub_f32_e32 v19, v19, v23
	v_add_f32_e32 v19, v19, v22
.LBB162_252:
	s_or_b32 exec_lo, exec_lo, s6
.LBB162_253:
	s_andn2_saveexec_b32 s5, s5
	s_cbranch_execz .LBB162_271
; %bb.254:
                                        ; implicit-def: $vgpr19
                                        ; implicit-def: $vgpr22
                                        ; implicit-def: $vgpr21
	s_mov_b32 s3, exec_lo
	v_cmpx_ge_f32_e64 0x3f666666, |v17|
	s_xor_b32 s6, exec_lo, s3
	s_cbranch_execz .LBB162_256
; %bb.255:
	v_cmp_gt_f32_e64 s3, 0x800000, |v17|
	v_sub_f32_e64 v23, 1.0, |v17|
	v_cmp_gt_f32_e64 s2, 0x3f3b4a23, |v17|
	v_cndmask_b32_e64 v19, 0, 32, s3
	v_cndmask_b32_e64 v24, 0, 0x41b17218, s3
	v_ldexp_f32 v19, |v17|, v19
	v_log_f32_e32 v19, v19
	v_mul_f32_e32 v21, 0x3f317217, v19
	v_cmp_gt_f32_e64 s3, 0x7f800000, |v19|
	v_fma_f32 v22, 0x3f317217, v19, -v21
	v_fmamk_f32 v22, v19, 0x3377d1cf, v22
	v_add_f32_e32 v21, v21, v22
	v_add_f32_e64 v22, 0xbeec5b0c, |v17|
	v_cndmask_b32_e64 v19, v19, v21, s3
	v_cndmask_b32_e64 v21, v23, v22, s2
	v_cndmask_b32_e64 v22, 0, 1, s2
	v_cmp_gt_f32_e64 s2, 0x3e6d3309, |v17|
	v_sub_f32_e32 v19, v19, v24
	v_cndmask_b32_e64 v21, v21, |v17|, s2
	v_cndmask_b32_e64 v22, v22, 2, s2
	v_xor_b32_e32 v19, 0x80000000, v19
.LBB162_256:
	s_andn2_saveexec_b32 s3, s6
	s_cbranch_execz .LBB162_258
; %bb.257:
	v_sub_f32_e64 v19, 2.0, |v17|
	v_add_f32_e64 v21, 0xbfbb16c3, |v17|
	v_cmp_gt_f32_e64 s2, 0x3fdda512, |v17|
	v_add_f32_e64 v22, |v17|, -1.0
	v_cndmask_b32_e64 v21, v19, v21, s2
	v_cndmask_b32_e64 v19, v19, 1.0, s2
	v_cmp_gt_f32_e64 s2, 0x3f9d70a4, |v17|
	v_cvt_i32_f32_e32 v19, v19
	v_cndmask_b32_e64 v21, v21, v22, s2
	v_cndmask_b32_e64 v22, v19, 2, s2
	v_mov_b32_e32 v19, 0
.LBB162_258:
	s_or_b32 exec_lo, exec_lo, s3
	s_mov_b32 s3, exec_lo
	v_cmpx_lt_i32_e32 0, v22
	s_xor_b32 s3, exec_lo, s3
	s_cbranch_execz .LBB162_266
; %bb.259:
	s_mov_b32 s6, exec_lo
	v_cmpx_lt_i32_e32 1, v22
	s_xor_b32 s6, exec_lo, s6
	s_cbranch_execz .LBB162_263
; %bb.260:
	s_mov_b32 s7, exec_lo
	v_cmpx_eq_u32_e32 2, v22
	s_cbranch_execz .LBB162_262
; %bb.261:
	s_mov_b32 s2, 0x3b52d5db
	v_fmaak_f32 v22, s2, v21, 0x3dd572af
	s_mov_b32 s2, 0x3c5b3c5e
	v_fmaak_f32 v23, s2, v21, 0x3e6a7578
	v_fmaak_f32 v22, v21, v22, 0x3f44efdf
	;; [unrolled: 1-line block ×7, first 2 shown]
	v_fma_f32 v22, v21, v22, 1.0
	v_fmaak_f32 v23, v21, v23, 0xbd9e233f
	v_rcp_f32_e32 v22, v22
	v_mul_f32_e32 v23, v21, v23
	v_mul_f32_e32 v22, v23, v22
	v_fmac_f32_e32 v22, -0.5, v21
	v_add_f32_e32 v19, v19, v22
.LBB162_262:
	s_or_b32 exec_lo, exec_lo, s7
                                        ; implicit-def: $vgpr21
.LBB162_263:
	s_andn2_saveexec_b32 s2, s6
	s_cbranch_execz .LBB162_265
; %bb.264:
	v_mul_f32_e32 v22, v21, v21
	s_mov_b32 s6, 0xb9a3f927
	s_mov_b32 s7, 0x39afe9f7
	v_mul_f32_e32 v23, v21, v22
	v_fmaak_f32 v24, s6, v23, 0x3a66f867
	v_fmaak_f32 v25, s7, v23, 0xba0d3085
	s_mov_b32 s6, 0x39a57b6b
	v_fmaak_f32 v26, s6, v23, 0xbab7f476
	v_fmaak_f32 v24, v23, v24, 0xbb7177fe
	;; [unrolled: 1-line block ×9, first 2 shown]
	v_fmac_f32_e32 v24, v21, v25
	v_fmaak_f32 v21, v23, v26, 0x3ef7b95e
	v_fma_f32 v23, v23, -v24, 0xa2863e55
	v_fma_f32 v21, v22, v21, -v23
	v_add_f32_e32 v21, 0xbdf8cdce, v21
	v_add_f32_e32 v19, v19, v21
.LBB162_265:
	s_or_b32 exec_lo, exec_lo, s2
                                        ; implicit-def: $vgpr22
                                        ; implicit-def: $vgpr21
.LBB162_266:
	s_andn2_saveexec_b32 s3, s3
	s_cbranch_execz .LBB162_270
; %bb.267:
	s_mov_b32 s6, exec_lo
	v_cmpx_eq_u32_e32 0, v22
	s_cbranch_execz .LBB162_269
; %bb.268:
	v_mul_f32_e32 v22, v21, v21
	s_mov_b32 s2, 0x383c2c75
	v_fmaak_f32 v23, s2, v22, 0x38e28445
	s_mov_b32 s2, 0x37d383a2
	v_fmaak_f32 v24, s2, v22, 0x39679767
	v_fmaak_f32 v23, v22, v23, 0x3a05b634
	v_fmaak_f32 v24, v22, v24, 0x3a9c54a1
	v_fmaak_f32 v23, v22, v23, 0x3b3d6ec6
	v_fmaak_f32 v24, v22, v24, 0x3bf2027e
	v_fmaak_f32 v23, v22, v23, 0x3ca89915
	v_fmaak_f32 v24, v22, v24, 0x3d89f001
	v_fmaak_f32 v23, v22, v23, 0x3ea51a66
	v_fmaak_f32 v24, v22, v24, 0x3d9e233f
	v_mul_f32_e32 v22, v22, v23
	v_fmac_f32_e32 v22, v21, v24
	v_fmac_f32_e32 v22, -0.5, v21
	v_add_f32_e32 v19, v19, v22
.LBB162_269:
	s_or_b32 exec_lo, exec_lo, s6
.LBB162_270:
	s_or_b32 exec_lo, exec_lo, s3
.LBB162_271:
	s_or_b32 exec_lo, exec_lo, s5
.LBB162_272:
	s_andn2_saveexec_b32 s3, s4
	s_cbranch_execz .LBB162_274
; %bb.273:
	v_cmp_gt_f32_e64 s4, 0x800000, |v17|
	s_mov_b32 s2, 0x3e8a8991
	v_fma_f32 v23, |v17|, s2, 0xbecd26ab
	v_cndmask_b32_e64 v19, 0, 32, s4
	v_ldexp_f32 v19, |v17|, v19
	v_log_f32_e32 v19, v19
	v_mul_f32_e32 v21, 0x3f317217, v19
	v_cmp_gt_f32_e64 s2, 0x7f800000, |v19|
	v_fma_f32 v22, 0x3f317217, v19, -v21
	v_fmamk_f32 v22, v19, 0x3377d1cf, v22
	v_add_f32_e32 v21, v21, v22
	v_fma_f32 v22, |v17|, v23, 0x3f528d33
	v_cndmask_b32_e64 v19, v19, v21, s2
	v_cndmask_b32_e64 v21, 0, 0x41b17218, s4
	v_fma_f32 v22, |v17|, v22, 0xbf13c468
	v_sub_f32_e32 v19, v19, v21
	v_fma_f32 v19, |v17|, v22, -v19
.LBB162_274:
	s_or_b32 exec_lo, exec_lo, s3
	v_cmp_le_f32_e64 s2, 0, v17
	s_mov_b32 s4, exec_lo
	v_cmpx_nle_f32_e32 0, v17
	s_xor_b32 s5, exec_lo, s4
	s_cbranch_execz .LBB162_278
; %bb.275:
	v_cmp_gt_f32_e64 s3, 0x4b000000, |v17|
	v_cmp_lt_f32_e64 s4, 0x35000000, |v17|
	s_and_b32 s3, s3, s4
	s_and_saveexec_b32 s6, s3
	s_cbranch_execz .LBB162_277
; %bb.276:
	v_mul_f32_e64 v21, |v17|, 0.5
	s_mov_b32 s4, 0x3d4be544
	v_floor_f32_e32 v22, v21
	v_cmp_neq_f32_e64 s3, 0x7f800000, v21
	v_sub_f32_e32 v22, v21, v22
	v_min_f32_e32 v22, 0x3f7fffff, v22
	v_add_f32_e32 v22, v22, v22
	v_cndmask_b32_e64 v21, 0, v22, s3
	v_cmp_gt_f32_e64 s3, |v17|, 1.0
	v_cndmask_b32_e64 v21, |v17|, v21, s3
	s_mov_b32 s3, 0x3e75aa41
	v_add_f32_e32 v22, v21, v21
	v_rndne_f32_e32 v22, v22
	v_fmac_f32_e32 v21, -0.5, v22
	v_cvt_i32_f32_e32 v22, v22
	v_mul_f32_e32 v23, v21, v21
	v_fmaak_f32 v24, s3, v23, 0xbf1f24be
	v_fmaak_f32 v25, s4, v23, 0x3e642e9d
	v_mul_f32_e32 v26, v21, v23
	v_fmaak_f32 v24, v23, v24, 0x40234736
	v_fmaak_f32 v25, v23, v25, 0xbfaad1da
	v_fmaak_f32 v24, v23, v24, 0xc0a55e0e
	v_fmaak_f32 v25, v23, v25, 0x4081e0d3
	v_mul_f32_e32 v24, v26, v24
	v_fmaak_f32 v25, v23, v25, 0xc09de9e6
	v_and_b32_e32 v26, 1, v22
	v_lshlrev_b32_e32 v22, 30, v22
	v_fmamk_f32 v21, v21, 0x40490fdb, v24
	v_fma_f32 v23, v23, v25, 1.0
	v_cmp_eq_u32_e64 s3, 0, v26
	v_and_or_b32 v20, 0x80000000, v22, v20
	v_cndmask_b32_e64 v21, v23, v21, s3
	v_xor3_b32 v20, v20, v21, v17
	v_mul_f32_e32 v20, v17, v20
	v_frexp_mant_f32_e64 v21, |v20|
	v_frexp_exp_i32_f32_e32 v20, v20
	v_rcp_f32_e32 v21, v21
	v_sub_nc_u32_e32 v20, 2, v20
	v_mul_f32_e32 v21, 0x3f490fdb, v21
	v_ldexp_f32 v20, v21, v20
	v_cmp_gt_f32_e64 s3, 0x800000, v20
	v_cndmask_b32_e64 v21, 0, 32, s3
	v_ldexp_f32 v20, v20, v21
	v_log_f32_e32 v20, v20
	v_mul_f32_e32 v21, 0x3f317217, v20
	v_cmp_gt_f32_e64 s4, 0x7f800000, |v20|
	v_fma_f32 v22, 0x3f317217, v20, -v21
	v_fmamk_f32 v22, v20, 0x3377d1cf, v22
	v_add_f32_e32 v21, v21, v22
	v_floor_f32_e32 v22, v17
	v_cndmask_b32_e64 v20, v20, v21, s4
	v_cndmask_b32_e64 v21, 0, 0x41b17218, s3
	v_sub_f32_e32 v22, v17, v22
	v_sub_f32_e32 v20, v20, v21
	v_min_f32_e32 v21, 0x3f7fffff, v22
	v_sub_f32_e32 v19, v20, v19
	v_cmp_neq_f32_e64 s3, 0, v21
	v_cndmask_b32_e64 v19, 0x7f800000, v19, s3
.LBB162_277:
	s_or_b32 exec_lo, exec_lo, s6
.LBB162_278:
	s_andn2_saveexec_b32 s5, s5
; %bb.279:
	v_cmp_eq_f32_e64 s3, 1.0, v17
	v_cmp_eq_f32_e64 s4, 2.0, v17
	s_or_b32 s3, s3, s4
	v_cndmask_b32_e64 v19, v19, 0, s3
; %bb.280:
	s_or_b32 exec_lo, exec_lo, s5
	global_load_ushort v15, v15, s[14:15]
                                        ; implicit-def: $vgpr20
	s_mov_b32 s4, exec_lo
	s_waitcnt vmcnt(0)
	v_lshlrev_b32_e32 v15, 16, v15
	v_and_b32_e32 v21, 0x7fffffff, v15
	v_cmpx_ngt_f32_e64 0x3c800000, |v15|
	s_xor_b32 s5, exec_lo, s4
	s_cbranch_execz .LBB162_310
; %bb.281:
                                        ; implicit-def: $vgpr20
	s_mov_b32 s4, exec_lo
	v_cmpx_nlt_f32_e64 |v15|, 2.0
	s_xor_b32 s6, exec_lo, s4
	s_cbranch_execz .LBB162_291
; %bb.282:
	s_mov_b32 s4, exec_lo
                                        ; implicit-def: $vgpr20
	v_cmpx_ngt_f32_e64 0x41000000, |v15|
	s_xor_b32 s4, exec_lo, s4
	s_cbranch_execz .LBB162_288
; %bb.283:
	s_mov_b32 s7, exec_lo
                                        ; implicit-def: $vgpr20
	v_cmpx_ngt_f32_e64 0x5c800000, |v15|
	s_xor_b32 s7, exec_lo, s7
	s_cbranch_execz .LBB162_285
; %bb.284:
	v_cmp_gt_f32_e64 s8, 0x800000, |v15|
	v_cndmask_b32_e64 v20, 0, 32, s8
	v_ldexp_f32 v20, |v15|, v20
	v_log_f32_e32 v20, v20
	v_mul_f32_e32 v22, 0x3f317217, v20
	v_cmp_gt_f32_e64 s3, 0x7f800000, |v20|
	v_fma_f32 v23, 0x3f317217, v20, -v22
	v_fmamk_f32 v23, v20, 0x3377d1cf, v23
	v_add_f32_e32 v22, v22, v23
	v_cndmask_b32_e64 v20, v20, v22, s3
	v_cndmask_b32_e64 v22, 0, 0x41b17218, s8
	v_sub_f32_e32 v20, v20, v22
	v_fma_f32 v20, |v15|, v20, -|v15|
.LBB162_285:
	s_andn2_saveexec_b32 s7, s7
	s_cbranch_execz .LBB162_287
; %bb.286:
	v_cmp_gt_f32_e64 s8, 0x800000, |v15|
	v_rcp_f32_e64 v22, |v15|
	s_mov_b32 s3, 0xbad5c4e8
	v_cndmask_b32_e64 v20, 0, 32, s8
	v_ldexp_f32 v20, |v15|, v20
	v_mul_f32_e32 v23, v22, v22
	v_log_f32_e32 v20, v20
	v_fmaak_f32 v25, s3, v23, 0x3a5b3dd2
	v_fmaak_f32 v25, v23, v25, 0xba1c065c
	v_mul_f32_e32 v24, 0x3f317217, v20
	v_fmaak_f32 v25, v23, v25, 0x3a500cfd
	v_cmp_gt_f32_e64 s3, 0x7f800000, |v20|
	v_fma_f32 v26, 0x3f317217, v20, -v24
	v_fmaak_f32 v25, v23, v25, 0xbb360b61
	v_fmamk_f32 v26, v20, 0x3377d1cf, v26
	v_fmaak_f32 v23, v23, v25, 0x3daaaaab
	v_add_f32_e32 v24, v24, v26
	v_cndmask_b32_e64 v20, v20, v24, s3
	v_cndmask_b32_e64 v24, 0, 0x41b17218, s8
	v_sub_f32_e32 v24, v20, v24
	v_fmaak_f32 v20, v22, v23, 0x3ed67f1d
	v_add_f32_e64 v22, |v15|, -0.5
	v_add_f32_e32 v23, -1.0, v24
	v_fmac_f32_e32 v20, v22, v23
.LBB162_287:
	s_or_b32 exec_lo, exec_lo, s7
.LBB162_288:
	s_andn2_saveexec_b32 s7, s4
	s_cbranch_execz .LBB162_290
; %bb.289:
	v_cvt_i32_f32_e32 v20, v21
	s_mov_b32 s4, 0x3805ff67
	v_cvt_f32_i32_e32 v22, v20
	v_cmp_lt_i32_e64 s3, 2, v20
	v_sub_f32_e64 v22, |v15|, v22
	v_add_f32_e32 v23, 2.0, v22
	v_add_f32_e32 v24, 0x40400000, v22
	v_add_f32_e32 v25, 4.0, v22
	v_add_f32_e32 v26, 0x40a00000, v22
	v_cndmask_b32_e64 v23, 1.0, v23, s3
	v_cmp_lt_i32_e64 s3, 3, v20
	v_cndmask_b32_e64 v24, 1.0, v24, s3
	v_cmp_lt_i32_e64 s3, 4, v20
	v_mul_f32_e32 v23, v23, v24
	v_cndmask_b32_e64 v25, 1.0, v25, s3
	v_cmp_lt_i32_e64 s3, 5, v20
	v_add_f32_e32 v24, 0x40c00000, v22
	v_mul_f32_e32 v23, v25, v23
	v_cndmask_b32_e64 v26, 1.0, v26, s3
	v_cmp_lt_i32_e64 s3, 6, v20
	v_fmaak_f32 v25, s4, v22, 0x3af135b4
	v_mul_f32_e32 v23, v26, v23
	v_cndmask_b32_e64 v20, 1.0, v24, s3
	s_mov_b32 s3, 0x36f5d7bd
	v_mul_f32_e32 v20, v20, v23
	v_fmaak_f32 v23, s3, v22, 0x3a4beed6
	v_cmp_gt_f32_e64 s3, 0x800000, v20
	v_fmaak_f32 v23, v22, v23, 0x3c98bf54
	v_cndmask_b32_e64 v24, 0, 32, s3
	v_fmaak_f32 v23, v22, v23, 0x3e300f6e
	v_ldexp_f32 v20, v20, v24
	v_fmaak_f32 v24, v22, v25, 0x3cda40e4
	v_fmaak_f32 v23, v22, v23, 0x3f38d0c5
	v_log_f32_e32 v20, v20
	v_fmaak_f32 v24, v22, v24, 0x3e15dce6
	v_fmaak_f32 v23, v22, v23, 0x3fb22d3b
	;; [unrolled: 1-line block ×3, first 2 shown]
	v_fma_f32 v23, v22, v23, 1.0
	v_mul_f32_e32 v25, 0x3f317217, v20
	v_fmaak_f32 v24, v22, v24, 0x3e5c245a
	v_rcp_f32_e32 v23, v23
	v_cmp_gt_f32_e64 s4, 0x7f800000, |v20|
	v_fma_f32 v26, 0x3f317217, v20, -v25
	v_fmaak_f32 v24, v22, v24, 0xbd9e233f
	v_fmamk_f32 v26, v20, 0x3377d1cf, v26
	v_mul_f32_e32 v24, v22, v24
	v_add_f32_e32 v25, v25, v26
	v_mul_f32_e32 v23, v24, v23
	v_cndmask_b32_e64 v24, 0, 0x41b17218, s3
	v_cndmask_b32_e64 v20, v20, v25, s4
	v_fmac_f32_e32 v23, 0.5, v22
	v_sub_f32_e32 v20, v20, v24
	v_add_f32_e32 v20, v20, v23
.LBB162_290:
	s_or_b32 exec_lo, exec_lo, s7
.LBB162_291:
	s_andn2_saveexec_b32 s6, s6
	s_cbranch_execz .LBB162_309
; %bb.292:
                                        ; implicit-def: $vgpr20
                                        ; implicit-def: $vgpr23
                                        ; implicit-def: $vgpr22
	s_mov_b32 s4, exec_lo
	v_cmpx_ge_f32_e64 0x3f666666, |v15|
	s_xor_b32 s7, exec_lo, s4
	s_cbranch_execz .LBB162_294
; %bb.293:
	v_cmp_gt_f32_e64 s4, 0x800000, |v15|
	v_sub_f32_e64 v24, 1.0, |v15|
	v_cmp_gt_f32_e64 s3, 0x3f3b4a23, |v15|
	v_cndmask_b32_e64 v20, 0, 32, s4
	v_cndmask_b32_e64 v25, 0, 0x41b17218, s4
	v_ldexp_f32 v20, |v15|, v20
	v_log_f32_e32 v20, v20
	v_mul_f32_e32 v22, 0x3f317217, v20
	v_cmp_gt_f32_e64 s4, 0x7f800000, |v20|
	v_fma_f32 v23, 0x3f317217, v20, -v22
	v_fmamk_f32 v23, v20, 0x3377d1cf, v23
	v_add_f32_e32 v22, v22, v23
	v_add_f32_e64 v23, 0xbeec5b0c, |v15|
	v_cndmask_b32_e64 v20, v20, v22, s4
	v_cndmask_b32_e64 v22, v24, v23, s3
	;; [unrolled: 1-line block ×3, first 2 shown]
	v_cmp_gt_f32_e64 s3, 0x3e6d3309, |v15|
	v_sub_f32_e32 v20, v20, v25
	v_cndmask_b32_e64 v22, v22, |v15|, s3
	v_cndmask_b32_e64 v23, v23, 2, s3
	v_xor_b32_e32 v20, 0x80000000, v20
.LBB162_294:
	s_andn2_saveexec_b32 s4, s7
	s_cbranch_execz .LBB162_296
; %bb.295:
	v_sub_f32_e64 v20, 2.0, |v15|
	v_add_f32_e64 v22, 0xbfbb16c3, |v15|
	v_cmp_gt_f32_e64 s3, 0x3fdda512, |v15|
	v_add_f32_e64 v23, |v15|, -1.0
	v_cndmask_b32_e64 v22, v20, v22, s3
	v_cndmask_b32_e64 v20, v20, 1.0, s3
	v_cmp_gt_f32_e64 s3, 0x3f9d70a4, |v15|
	v_cvt_i32_f32_e32 v20, v20
	v_cndmask_b32_e64 v22, v22, v23, s3
	v_cndmask_b32_e64 v23, v20, 2, s3
	v_mov_b32_e32 v20, 0
.LBB162_296:
	s_or_b32 exec_lo, exec_lo, s4
	s_mov_b32 s4, exec_lo
	v_cmpx_lt_i32_e32 0, v23
	s_xor_b32 s4, exec_lo, s4
	s_cbranch_execz .LBB162_304
; %bb.297:
	s_mov_b32 s7, exec_lo
	v_cmpx_lt_i32_e32 1, v23
	s_xor_b32 s7, exec_lo, s7
	s_cbranch_execz .LBB162_301
; %bb.298:
	s_mov_b32 s8, exec_lo
	v_cmpx_eq_u32_e32 2, v23
	s_cbranch_execz .LBB162_300
; %bb.299:
	s_mov_b32 s3, 0x3b52d5db
	v_fmaak_f32 v23, s3, v22, 0x3dd572af
	s_mov_b32 s3, 0x3c5b3c5e
	v_fmaak_f32 v24, s3, v22, 0x3e6a7578
	v_fmaak_f32 v23, v22, v23, 0x3f44efdf
	;; [unrolled: 1-line block ×7, first 2 shown]
	v_fma_f32 v23, v22, v23, 1.0
	v_fmaak_f32 v24, v22, v24, 0xbd9e233f
	v_rcp_f32_e32 v23, v23
	v_mul_f32_e32 v24, v22, v24
	v_mul_f32_e32 v23, v24, v23
	v_fmac_f32_e32 v23, -0.5, v22
	v_add_f32_e32 v20, v20, v23
.LBB162_300:
	s_or_b32 exec_lo, exec_lo, s8
                                        ; implicit-def: $vgpr22
.LBB162_301:
	s_andn2_saveexec_b32 s3, s7
	s_cbranch_execz .LBB162_303
; %bb.302:
	v_mul_f32_e32 v23, v22, v22
	s_mov_b32 s7, 0xb9a3f927
	s_mov_b32 s8, 0x39afe9f7
	v_mul_f32_e32 v24, v22, v23
	v_fmaak_f32 v25, s7, v24, 0x3a66f867
	v_fmaak_f32 v26, s8, v24, 0xba0d3085
	s_mov_b32 s7, 0x39a57b6b
	v_fmaak_f32 v27, s7, v24, 0xbab7f476
	v_fmaak_f32 v25, v24, v25, 0xbb7177fe
	;; [unrolled: 1-line block ×9, first 2 shown]
	v_fmac_f32_e32 v25, v22, v26
	v_fmaak_f32 v22, v24, v27, 0x3ef7b95e
	v_fma_f32 v24, v24, -v25, 0xa2863e55
	v_fma_f32 v22, v23, v22, -v24
	v_add_f32_e32 v22, 0xbdf8cdce, v22
	v_add_f32_e32 v20, v20, v22
.LBB162_303:
	s_or_b32 exec_lo, exec_lo, s3
                                        ; implicit-def: $vgpr23
                                        ; implicit-def: $vgpr22
.LBB162_304:
	s_andn2_saveexec_b32 s4, s4
	s_cbranch_execz .LBB162_308
; %bb.305:
	s_mov_b32 s7, exec_lo
	v_cmpx_eq_u32_e32 0, v23
	s_cbranch_execz .LBB162_307
; %bb.306:
	v_mul_f32_e32 v23, v22, v22
	s_mov_b32 s3, 0x383c2c75
	v_fmaak_f32 v24, s3, v23, 0x38e28445
	s_mov_b32 s3, 0x37d383a2
	v_fmaak_f32 v25, s3, v23, 0x39679767
	v_fmaak_f32 v24, v23, v24, 0x3a05b634
	;; [unrolled: 1-line block ×9, first 2 shown]
	v_mul_f32_e32 v23, v23, v24
	v_fmac_f32_e32 v23, v22, v25
	v_fmac_f32_e32 v23, -0.5, v22
	v_add_f32_e32 v20, v20, v23
.LBB162_307:
	s_or_b32 exec_lo, exec_lo, s7
.LBB162_308:
	s_or_b32 exec_lo, exec_lo, s4
.LBB162_309:
	s_or_b32 exec_lo, exec_lo, s6
.LBB162_310:
	s_andn2_saveexec_b32 s4, s5
	s_cbranch_execz .LBB162_312
; %bb.311:
	v_cmp_gt_f32_e64 s5, 0x800000, |v15|
	s_mov_b32 s3, 0x3e8a8991
	v_fma_f32 v24, |v15|, s3, 0xbecd26ab
	v_cndmask_b32_e64 v20, 0, 32, s5
	v_ldexp_f32 v20, |v15|, v20
	v_log_f32_e32 v20, v20
	v_mul_f32_e32 v22, 0x3f317217, v20
	v_cmp_gt_f32_e64 s3, 0x7f800000, |v20|
	v_fma_f32 v23, 0x3f317217, v20, -v22
	v_fmamk_f32 v23, v20, 0x3377d1cf, v23
	v_add_f32_e32 v22, v22, v23
	v_fma_f32 v23, |v15|, v24, 0x3f528d33
	v_cndmask_b32_e64 v20, v20, v22, s3
	v_cndmask_b32_e64 v22, 0, 0x41b17218, s5
	v_fma_f32 v23, |v15|, v23, 0xbf13c468
	v_sub_f32_e32 v20, v20, v22
	v_fma_f32 v20, |v15|, v23, -v20
.LBB162_312:
	s_or_b32 exec_lo, exec_lo, s4
	v_cmp_le_f32_e64 s3, 0, v15
	s_mov_b32 s5, exec_lo
	v_cmpx_nle_f32_e32 0, v15
	s_xor_b32 s6, exec_lo, s5
	s_cbranch_execz .LBB162_316
; %bb.313:
	v_cmp_gt_f32_e64 s4, 0x4b000000, |v15|
	v_cmp_lt_f32_e64 s5, 0x35000000, |v15|
	s_and_b32 s4, s4, s5
	s_and_saveexec_b32 s7, s4
	s_cbranch_execz .LBB162_315
; %bb.314:
	v_mul_f32_e64 v22, |v15|, 0.5
	s_mov_b32 s5, 0x3d4be544
	v_floor_f32_e32 v23, v22
	v_cmp_neq_f32_e64 s4, 0x7f800000, v22
	v_sub_f32_e32 v23, v22, v23
	v_min_f32_e32 v23, 0x3f7fffff, v23
	v_add_f32_e32 v23, v23, v23
	v_cndmask_b32_e64 v22, 0, v23, s4
	v_cmp_gt_f32_e64 s4, |v15|, 1.0
	v_cndmask_b32_e64 v22, |v15|, v22, s4
	s_mov_b32 s4, 0x3e75aa41
	v_add_f32_e32 v23, v22, v22
	v_rndne_f32_e32 v23, v23
	v_fmac_f32_e32 v22, -0.5, v23
	v_cvt_i32_f32_e32 v23, v23
	v_mul_f32_e32 v24, v22, v22
	v_fmaak_f32 v25, s4, v24, 0xbf1f24be
	v_fmaak_f32 v26, s5, v24, 0x3e642e9d
	v_mul_f32_e32 v27, v22, v24
	v_fmaak_f32 v25, v24, v25, 0x40234736
	v_fmaak_f32 v26, v24, v26, 0xbfaad1da
	;; [unrolled: 1-line block ×4, first 2 shown]
	v_mul_f32_e32 v25, v27, v25
	v_fmaak_f32 v26, v24, v26, 0xc09de9e6
	v_and_b32_e32 v27, 1, v23
	v_lshlrev_b32_e32 v23, 30, v23
	v_fmamk_f32 v22, v22, 0x40490fdb, v25
	v_fma_f32 v24, v24, v26, 1.0
	v_cmp_eq_u32_e64 s4, 0, v27
	v_and_or_b32 v21, 0x80000000, v23, v21
	v_cndmask_b32_e64 v22, v24, v22, s4
	v_xor3_b32 v21, v21, v22, v15
	v_mul_f32_e32 v21, v15, v21
	v_frexp_mant_f32_e64 v22, |v21|
	v_frexp_exp_i32_f32_e32 v21, v21
	v_rcp_f32_e32 v22, v22
	v_sub_nc_u32_e32 v21, 2, v21
	v_mul_f32_e32 v22, 0x3f490fdb, v22
	v_ldexp_f32 v21, v22, v21
	v_cmp_gt_f32_e64 s4, 0x800000, v21
	v_cndmask_b32_e64 v22, 0, 32, s4
	v_ldexp_f32 v21, v21, v22
	v_log_f32_e32 v21, v21
	v_mul_f32_e32 v22, 0x3f317217, v21
	v_cmp_gt_f32_e64 s5, 0x7f800000, |v21|
	v_fma_f32 v23, 0x3f317217, v21, -v22
	v_fmamk_f32 v23, v21, 0x3377d1cf, v23
	v_add_f32_e32 v22, v22, v23
	v_floor_f32_e32 v23, v15
	v_cndmask_b32_e64 v21, v21, v22, s5
	v_cndmask_b32_e64 v22, 0, 0x41b17218, s4
	v_sub_f32_e32 v23, v15, v23
	v_sub_f32_e32 v21, v21, v22
	v_min_f32_e32 v22, 0x3f7fffff, v23
	v_sub_f32_e32 v20, v21, v20
	v_cmp_neq_f32_e64 s4, 0, v22
	v_cndmask_b32_e64 v20, 0x7f800000, v20, s4
.LBB162_315:
	s_or_b32 exec_lo, exec_lo, s7
.LBB162_316:
	s_andn2_saveexec_b32 s6, s6
; %bb.317:
	v_cmp_eq_f32_e64 s4, 1.0, v15
	v_cmp_eq_f32_e64 s5, 2.0, v15
	s_or_b32 s4, s4, s5
	v_cndmask_b32_e64 v20, v20, 0, s4
; %bb.318:
	s_or_b32 exec_lo, exec_lo, s6
	global_load_ushort v13, v13, s[14:15]
                                        ; implicit-def: $vgpr21
	s_mov_b32 s5, exec_lo
	s_waitcnt vmcnt(0)
	v_lshlrev_b32_e32 v13, 16, v13
	v_and_b32_e32 v22, 0x7fffffff, v13
	v_cmpx_ngt_f32_e64 0x3c800000, |v13|
	s_xor_b32 s6, exec_lo, s5
	s_cbranch_execz .LBB162_348
; %bb.319:
                                        ; implicit-def: $vgpr21
	s_mov_b32 s5, exec_lo
	v_cmpx_nlt_f32_e64 |v13|, 2.0
	s_xor_b32 s7, exec_lo, s5
	s_cbranch_execz .LBB162_329
; %bb.320:
	s_mov_b32 s5, exec_lo
                                        ; implicit-def: $vgpr21
	v_cmpx_ngt_f32_e64 0x41000000, |v13|
	s_xor_b32 s5, exec_lo, s5
	s_cbranch_execz .LBB162_326
; %bb.321:
	s_mov_b32 s8, exec_lo
                                        ; implicit-def: $vgpr21
	v_cmpx_ngt_f32_e64 0x5c800000, |v13|
	s_xor_b32 s8, exec_lo, s8
	s_cbranch_execz .LBB162_323
; %bb.322:
	v_cmp_gt_f32_e64 s9, 0x800000, |v13|
	v_cndmask_b32_e64 v21, 0, 32, s9
	v_ldexp_f32 v21, |v13|, v21
	v_log_f32_e32 v21, v21
	v_mul_f32_e32 v23, 0x3f317217, v21
	v_cmp_gt_f32_e64 s4, 0x7f800000, |v21|
	v_fma_f32 v24, 0x3f317217, v21, -v23
	v_fmamk_f32 v24, v21, 0x3377d1cf, v24
	v_add_f32_e32 v23, v23, v24
	v_cndmask_b32_e64 v21, v21, v23, s4
	v_cndmask_b32_e64 v23, 0, 0x41b17218, s9
	v_sub_f32_e32 v21, v21, v23
	v_fma_f32 v21, |v13|, v21, -|v13|
.LBB162_323:
	s_andn2_saveexec_b32 s8, s8
	s_cbranch_execz .LBB162_325
; %bb.324:
	v_cmp_gt_f32_e64 s9, 0x800000, |v13|
	v_rcp_f32_e64 v23, |v13|
	s_mov_b32 s4, 0xbad5c4e8
	v_cndmask_b32_e64 v21, 0, 32, s9
	v_ldexp_f32 v21, |v13|, v21
	v_mul_f32_e32 v24, v23, v23
	v_log_f32_e32 v21, v21
	v_fmaak_f32 v26, s4, v24, 0x3a5b3dd2
	v_fmaak_f32 v26, v24, v26, 0xba1c065c
	v_mul_f32_e32 v25, 0x3f317217, v21
	v_fmaak_f32 v26, v24, v26, 0x3a500cfd
	v_cmp_gt_f32_e64 s4, 0x7f800000, |v21|
	v_fma_f32 v27, 0x3f317217, v21, -v25
	v_fmaak_f32 v26, v24, v26, 0xbb360b61
	v_fmamk_f32 v27, v21, 0x3377d1cf, v27
	v_fmaak_f32 v24, v24, v26, 0x3daaaaab
	v_add_f32_e32 v25, v25, v27
	v_cndmask_b32_e64 v21, v21, v25, s4
	v_cndmask_b32_e64 v25, 0, 0x41b17218, s9
	v_sub_f32_e32 v25, v21, v25
	v_fmaak_f32 v21, v23, v24, 0x3ed67f1d
	v_add_f32_e64 v23, |v13|, -0.5
	v_add_f32_e32 v24, -1.0, v25
	v_fmac_f32_e32 v21, v23, v24
.LBB162_325:
	s_or_b32 exec_lo, exec_lo, s8
.LBB162_326:
	s_andn2_saveexec_b32 s8, s5
	s_cbranch_execz .LBB162_328
; %bb.327:
	v_cvt_i32_f32_e32 v21, v22
	s_mov_b32 s5, 0x3805ff67
	v_cvt_f32_i32_e32 v23, v21
	v_cmp_lt_i32_e64 s4, 2, v21
	v_sub_f32_e64 v23, |v13|, v23
	v_add_f32_e32 v24, 2.0, v23
	v_add_f32_e32 v25, 0x40400000, v23
	v_add_f32_e32 v26, 4.0, v23
	v_add_f32_e32 v27, 0x40a00000, v23
	v_cndmask_b32_e64 v24, 1.0, v24, s4
	v_cmp_lt_i32_e64 s4, 3, v21
	v_cndmask_b32_e64 v25, 1.0, v25, s4
	v_cmp_lt_i32_e64 s4, 4, v21
	v_mul_f32_e32 v24, v24, v25
	v_cndmask_b32_e64 v26, 1.0, v26, s4
	v_cmp_lt_i32_e64 s4, 5, v21
	v_add_f32_e32 v25, 0x40c00000, v23
	v_mul_f32_e32 v24, v26, v24
	v_cndmask_b32_e64 v27, 1.0, v27, s4
	v_cmp_lt_i32_e64 s4, 6, v21
	v_fmaak_f32 v26, s5, v23, 0x3af135b4
	v_mul_f32_e32 v24, v27, v24
	v_cndmask_b32_e64 v21, 1.0, v25, s4
	s_mov_b32 s4, 0x36f5d7bd
	v_mul_f32_e32 v21, v21, v24
	v_fmaak_f32 v24, s4, v23, 0x3a4beed6
	v_cmp_gt_f32_e64 s4, 0x800000, v21
	v_fmaak_f32 v24, v23, v24, 0x3c98bf54
	v_cndmask_b32_e64 v25, 0, 32, s4
	v_fmaak_f32 v24, v23, v24, 0x3e300f6e
	v_ldexp_f32 v21, v21, v25
	v_fmaak_f32 v25, v23, v26, 0x3cda40e4
	v_fmaak_f32 v24, v23, v24, 0x3f38d0c5
	v_log_f32_e32 v21, v21
	v_fmaak_f32 v25, v23, v25, 0x3e15dce6
	v_fmaak_f32 v24, v23, v24, 0x3fb22d3b
	;; [unrolled: 1-line block ×3, first 2 shown]
	v_fma_f32 v24, v23, v24, 1.0
	v_mul_f32_e32 v26, 0x3f317217, v21
	v_fmaak_f32 v25, v23, v25, 0x3e5c245a
	v_rcp_f32_e32 v24, v24
	v_cmp_gt_f32_e64 s5, 0x7f800000, |v21|
	v_fma_f32 v27, 0x3f317217, v21, -v26
	v_fmaak_f32 v25, v23, v25, 0xbd9e233f
	v_fmamk_f32 v27, v21, 0x3377d1cf, v27
	v_mul_f32_e32 v25, v23, v25
	v_add_f32_e32 v26, v26, v27
	v_mul_f32_e32 v24, v25, v24
	v_cndmask_b32_e64 v25, 0, 0x41b17218, s4
	v_cndmask_b32_e64 v21, v21, v26, s5
	v_fmac_f32_e32 v24, 0.5, v23
	v_sub_f32_e32 v21, v21, v25
	v_add_f32_e32 v21, v21, v24
.LBB162_328:
	s_or_b32 exec_lo, exec_lo, s8
.LBB162_329:
	s_andn2_saveexec_b32 s7, s7
	s_cbranch_execz .LBB162_347
; %bb.330:
                                        ; implicit-def: $vgpr21
                                        ; implicit-def: $vgpr24
                                        ; implicit-def: $vgpr23
	s_mov_b32 s5, exec_lo
	v_cmpx_ge_f32_e64 0x3f666666, |v13|
	s_xor_b32 s8, exec_lo, s5
	s_cbranch_execz .LBB162_332
; %bb.331:
	v_cmp_gt_f32_e64 s5, 0x800000, |v13|
	v_sub_f32_e64 v25, 1.0, |v13|
	v_cmp_gt_f32_e64 s4, 0x3f3b4a23, |v13|
	v_cndmask_b32_e64 v21, 0, 32, s5
	v_cndmask_b32_e64 v26, 0, 0x41b17218, s5
	v_ldexp_f32 v21, |v13|, v21
	v_log_f32_e32 v21, v21
	v_mul_f32_e32 v23, 0x3f317217, v21
	v_cmp_gt_f32_e64 s5, 0x7f800000, |v21|
	v_fma_f32 v24, 0x3f317217, v21, -v23
	v_fmamk_f32 v24, v21, 0x3377d1cf, v24
	v_add_f32_e32 v23, v23, v24
	v_add_f32_e64 v24, 0xbeec5b0c, |v13|
	v_cndmask_b32_e64 v21, v21, v23, s5
	v_cndmask_b32_e64 v23, v25, v24, s4
	;; [unrolled: 1-line block ×3, first 2 shown]
	v_cmp_gt_f32_e64 s4, 0x3e6d3309, |v13|
	v_sub_f32_e32 v21, v21, v26
	v_cndmask_b32_e64 v23, v23, |v13|, s4
	v_cndmask_b32_e64 v24, v24, 2, s4
	v_xor_b32_e32 v21, 0x80000000, v21
.LBB162_332:
	s_andn2_saveexec_b32 s5, s8
	s_cbranch_execz .LBB162_334
; %bb.333:
	v_sub_f32_e64 v21, 2.0, |v13|
	v_add_f32_e64 v23, 0xbfbb16c3, |v13|
	v_cmp_gt_f32_e64 s4, 0x3fdda512, |v13|
	v_add_f32_e64 v24, |v13|, -1.0
	v_cndmask_b32_e64 v23, v21, v23, s4
	v_cndmask_b32_e64 v21, v21, 1.0, s4
	v_cmp_gt_f32_e64 s4, 0x3f9d70a4, |v13|
	v_cvt_i32_f32_e32 v21, v21
	v_cndmask_b32_e64 v23, v23, v24, s4
	v_cndmask_b32_e64 v24, v21, 2, s4
	v_mov_b32_e32 v21, 0
.LBB162_334:
	s_or_b32 exec_lo, exec_lo, s5
	s_mov_b32 s5, exec_lo
	v_cmpx_lt_i32_e32 0, v24
	s_xor_b32 s5, exec_lo, s5
	s_cbranch_execz .LBB162_342
; %bb.335:
	s_mov_b32 s8, exec_lo
	v_cmpx_lt_i32_e32 1, v24
	s_xor_b32 s8, exec_lo, s8
	s_cbranch_execz .LBB162_339
; %bb.336:
	s_mov_b32 s9, exec_lo
	v_cmpx_eq_u32_e32 2, v24
	s_cbranch_execz .LBB162_338
; %bb.337:
	s_mov_b32 s4, 0x3b52d5db
	v_fmaak_f32 v24, s4, v23, 0x3dd572af
	s_mov_b32 s4, 0x3c5b3c5e
	v_fmaak_f32 v25, s4, v23, 0x3e6a7578
	v_fmaak_f32 v24, v23, v24, 0x3f44efdf
	;; [unrolled: 1-line block ×7, first 2 shown]
	v_fma_f32 v24, v23, v24, 1.0
	v_fmaak_f32 v25, v23, v25, 0xbd9e233f
	v_rcp_f32_e32 v24, v24
	v_mul_f32_e32 v25, v23, v25
	v_mul_f32_e32 v24, v25, v24
	v_fmac_f32_e32 v24, -0.5, v23
	v_add_f32_e32 v21, v21, v24
.LBB162_338:
	s_or_b32 exec_lo, exec_lo, s9
                                        ; implicit-def: $vgpr23
.LBB162_339:
	s_andn2_saveexec_b32 s4, s8
	s_cbranch_execz .LBB162_341
; %bb.340:
	v_mul_f32_e32 v24, v23, v23
	s_mov_b32 s8, 0xb9a3f927
	s_mov_b32 s9, 0x39afe9f7
	v_mul_f32_e32 v25, v23, v24
	v_fmaak_f32 v26, s8, v25, 0x3a66f867
	v_fmaak_f32 v27, s9, v25, 0xba0d3085
	s_mov_b32 s8, 0x39a57b6b
	v_fmaak_f32 v28, s8, v25, 0xbab7f476
	v_fmaak_f32 v26, v25, v26, 0xbb7177fe
	;; [unrolled: 1-line block ×9, first 2 shown]
	v_fmac_f32_e32 v26, v23, v27
	v_fmaak_f32 v23, v25, v28, 0x3ef7b95e
	v_fma_f32 v25, v25, -v26, 0xa2863e55
	v_fma_f32 v23, v24, v23, -v25
	v_add_f32_e32 v23, 0xbdf8cdce, v23
	v_add_f32_e32 v21, v21, v23
.LBB162_341:
	s_or_b32 exec_lo, exec_lo, s4
                                        ; implicit-def: $vgpr24
                                        ; implicit-def: $vgpr23
.LBB162_342:
	s_andn2_saveexec_b32 s5, s5
	s_cbranch_execz .LBB162_346
; %bb.343:
	s_mov_b32 s8, exec_lo
	v_cmpx_eq_u32_e32 0, v24
	s_cbranch_execz .LBB162_345
; %bb.344:
	v_mul_f32_e32 v24, v23, v23
	s_mov_b32 s4, 0x383c2c75
	v_fmaak_f32 v25, s4, v24, 0x38e28445
	s_mov_b32 s4, 0x37d383a2
	v_fmaak_f32 v26, s4, v24, 0x39679767
	v_fmaak_f32 v25, v24, v25, 0x3a05b634
	;; [unrolled: 1-line block ×9, first 2 shown]
	v_mul_f32_e32 v24, v24, v25
	v_fmac_f32_e32 v24, v23, v26
	v_fmac_f32_e32 v24, -0.5, v23
	v_add_f32_e32 v21, v21, v24
.LBB162_345:
	s_or_b32 exec_lo, exec_lo, s8
.LBB162_346:
	s_or_b32 exec_lo, exec_lo, s5
.LBB162_347:
	s_or_b32 exec_lo, exec_lo, s7
.LBB162_348:
	s_andn2_saveexec_b32 s5, s6
	s_cbranch_execz .LBB162_350
; %bb.349:
	v_cmp_gt_f32_e64 s6, 0x800000, |v13|
	s_mov_b32 s4, 0x3e8a8991
	v_fma_f32 v25, |v13|, s4, 0xbecd26ab
	v_cndmask_b32_e64 v21, 0, 32, s6
	v_ldexp_f32 v21, |v13|, v21
	v_log_f32_e32 v21, v21
	v_mul_f32_e32 v23, 0x3f317217, v21
	v_cmp_gt_f32_e64 s4, 0x7f800000, |v21|
	v_fma_f32 v24, 0x3f317217, v21, -v23
	v_fmamk_f32 v24, v21, 0x3377d1cf, v24
	v_add_f32_e32 v23, v23, v24
	v_fma_f32 v24, |v13|, v25, 0x3f528d33
	v_cndmask_b32_e64 v21, v21, v23, s4
	v_cndmask_b32_e64 v23, 0, 0x41b17218, s6
	v_fma_f32 v24, |v13|, v24, 0xbf13c468
	v_sub_f32_e32 v21, v21, v23
	v_fma_f32 v21, |v13|, v24, -v21
.LBB162_350:
	s_or_b32 exec_lo, exec_lo, s5
	v_cmp_le_f32_e64 s4, 0, v13
	s_mov_b32 s6, exec_lo
	v_cmpx_nle_f32_e32 0, v13
	s_xor_b32 s7, exec_lo, s6
	s_cbranch_execz .LBB162_354
; %bb.351:
	v_cmp_gt_f32_e64 s5, 0x4b000000, |v13|
	v_cmp_lt_f32_e64 s6, 0x35000000, |v13|
	s_and_b32 s5, s5, s6
	s_and_saveexec_b32 s8, s5
	s_cbranch_execz .LBB162_353
; %bb.352:
	v_mul_f32_e64 v23, |v13|, 0.5
	s_mov_b32 s6, 0x3d4be544
	v_floor_f32_e32 v24, v23
	v_cmp_neq_f32_e64 s5, 0x7f800000, v23
	v_sub_f32_e32 v24, v23, v24
	v_min_f32_e32 v24, 0x3f7fffff, v24
	v_add_f32_e32 v24, v24, v24
	v_cndmask_b32_e64 v23, 0, v24, s5
	v_cmp_gt_f32_e64 s5, |v13|, 1.0
	v_cndmask_b32_e64 v23, |v13|, v23, s5
	s_mov_b32 s5, 0x3e75aa41
	v_add_f32_e32 v24, v23, v23
	v_rndne_f32_e32 v24, v24
	v_fmac_f32_e32 v23, -0.5, v24
	v_cvt_i32_f32_e32 v24, v24
	v_mul_f32_e32 v25, v23, v23
	v_fmaak_f32 v26, s5, v25, 0xbf1f24be
	v_fmaak_f32 v27, s6, v25, 0x3e642e9d
	v_mul_f32_e32 v28, v23, v25
	v_fmaak_f32 v26, v25, v26, 0x40234736
	v_fmaak_f32 v27, v25, v27, 0xbfaad1da
	;; [unrolled: 1-line block ×4, first 2 shown]
	v_mul_f32_e32 v26, v28, v26
	v_fmaak_f32 v27, v25, v27, 0xc09de9e6
	v_and_b32_e32 v28, 1, v24
	v_lshlrev_b32_e32 v24, 30, v24
	v_fmamk_f32 v23, v23, 0x40490fdb, v26
	v_fma_f32 v25, v25, v27, 1.0
	v_cmp_eq_u32_e64 s5, 0, v28
	v_and_or_b32 v22, 0x80000000, v24, v22
	v_cndmask_b32_e64 v23, v25, v23, s5
	v_xor3_b32 v22, v22, v23, v13
	v_mul_f32_e32 v22, v13, v22
	v_frexp_mant_f32_e64 v23, |v22|
	v_frexp_exp_i32_f32_e32 v22, v22
	v_rcp_f32_e32 v23, v23
	v_sub_nc_u32_e32 v22, 2, v22
	v_mul_f32_e32 v23, 0x3f490fdb, v23
	v_ldexp_f32 v22, v23, v22
	v_cmp_gt_f32_e64 s5, 0x800000, v22
	v_cndmask_b32_e64 v23, 0, 32, s5
	v_ldexp_f32 v22, v22, v23
	v_log_f32_e32 v22, v22
	v_mul_f32_e32 v23, 0x3f317217, v22
	v_cmp_gt_f32_e64 s6, 0x7f800000, |v22|
	v_fma_f32 v24, 0x3f317217, v22, -v23
	v_fmamk_f32 v24, v22, 0x3377d1cf, v24
	v_add_f32_e32 v23, v23, v24
	v_floor_f32_e32 v24, v13
	v_cndmask_b32_e64 v22, v22, v23, s6
	v_cndmask_b32_e64 v23, 0, 0x41b17218, s5
	v_sub_f32_e32 v24, v13, v24
	v_sub_f32_e32 v22, v22, v23
	v_min_f32_e32 v23, 0x3f7fffff, v24
	v_sub_f32_e32 v21, v22, v21
	v_cmp_neq_f32_e64 s5, 0, v23
	v_cndmask_b32_e64 v21, 0x7f800000, v21, s5
.LBB162_353:
	s_or_b32 exec_lo, exec_lo, s8
.LBB162_354:
	s_andn2_saveexec_b32 s7, s7
; %bb.355:
	v_cmp_eq_f32_e64 s5, 1.0, v13
	v_cmp_eq_f32_e64 s6, 2.0, v13
	s_or_b32 s5, s5, s6
	v_cndmask_b32_e64 v21, v21, 0, s5
; %bb.356:
	s_or_b32 exec_lo, exec_lo, s7
	global_load_ushort v11, v11, s[14:15]
                                        ; implicit-def: $vgpr22
	s_mov_b32 s6, exec_lo
	s_waitcnt vmcnt(0)
	v_lshlrev_b32_e32 v11, 16, v11
	v_and_b32_e32 v23, 0x7fffffff, v11
	v_cmpx_ngt_f32_e64 0x3c800000, |v11|
	s_xor_b32 s7, exec_lo, s6
	s_cbranch_execz .LBB162_386
; %bb.357:
                                        ; implicit-def: $vgpr22
	s_mov_b32 s6, exec_lo
	v_cmpx_nlt_f32_e64 |v11|, 2.0
	s_xor_b32 s8, exec_lo, s6
	s_cbranch_execz .LBB162_367
; %bb.358:
	s_mov_b32 s6, exec_lo
                                        ; implicit-def: $vgpr22
	v_cmpx_ngt_f32_e64 0x41000000, |v11|
	s_xor_b32 s6, exec_lo, s6
	s_cbranch_execz .LBB162_364
; %bb.359:
	s_mov_b32 s9, exec_lo
                                        ; implicit-def: $vgpr22
	v_cmpx_ngt_f32_e64 0x5c800000, |v11|
	s_xor_b32 s9, exec_lo, s9
	s_cbranch_execz .LBB162_361
; %bb.360:
	v_cmp_gt_f32_e64 s10, 0x800000, |v11|
	v_cndmask_b32_e64 v22, 0, 32, s10
	v_ldexp_f32 v22, |v11|, v22
	v_log_f32_e32 v22, v22
	v_mul_f32_e32 v24, 0x3f317217, v22
	v_cmp_gt_f32_e64 s5, 0x7f800000, |v22|
	v_fma_f32 v25, 0x3f317217, v22, -v24
	v_fmamk_f32 v25, v22, 0x3377d1cf, v25
	v_add_f32_e32 v24, v24, v25
	v_cndmask_b32_e64 v22, v22, v24, s5
	v_cndmask_b32_e64 v24, 0, 0x41b17218, s10
	v_sub_f32_e32 v22, v22, v24
	v_fma_f32 v22, |v11|, v22, -|v11|
.LBB162_361:
	s_andn2_saveexec_b32 s9, s9
	s_cbranch_execz .LBB162_363
; %bb.362:
	v_cmp_gt_f32_e64 s10, 0x800000, |v11|
	v_rcp_f32_e64 v24, |v11|
	s_mov_b32 s5, 0xbad5c4e8
	v_cndmask_b32_e64 v22, 0, 32, s10
	v_ldexp_f32 v22, |v11|, v22
	v_mul_f32_e32 v25, v24, v24
	v_log_f32_e32 v22, v22
	v_fmaak_f32 v27, s5, v25, 0x3a5b3dd2
	v_fmaak_f32 v27, v25, v27, 0xba1c065c
	v_mul_f32_e32 v26, 0x3f317217, v22
	v_fmaak_f32 v27, v25, v27, 0x3a500cfd
	v_cmp_gt_f32_e64 s5, 0x7f800000, |v22|
	v_fma_f32 v28, 0x3f317217, v22, -v26
	v_fmaak_f32 v27, v25, v27, 0xbb360b61
	v_fmamk_f32 v28, v22, 0x3377d1cf, v28
	v_fmaak_f32 v25, v25, v27, 0x3daaaaab
	v_add_f32_e32 v26, v26, v28
	v_cndmask_b32_e64 v22, v22, v26, s5
	v_cndmask_b32_e64 v26, 0, 0x41b17218, s10
	v_sub_f32_e32 v26, v22, v26
	v_fmaak_f32 v22, v24, v25, 0x3ed67f1d
	v_add_f32_e64 v24, |v11|, -0.5
	v_add_f32_e32 v25, -1.0, v26
	v_fmac_f32_e32 v22, v24, v25
.LBB162_363:
	s_or_b32 exec_lo, exec_lo, s9
.LBB162_364:
	s_andn2_saveexec_b32 s9, s6
	s_cbranch_execz .LBB162_366
; %bb.365:
	v_cvt_i32_f32_e32 v22, v23
	s_mov_b32 s6, 0x3805ff67
	v_cvt_f32_i32_e32 v24, v22
	v_cmp_lt_i32_e64 s5, 2, v22
	v_sub_f32_e64 v24, |v11|, v24
	v_add_f32_e32 v25, 2.0, v24
	v_add_f32_e32 v26, 0x40400000, v24
	v_add_f32_e32 v27, 4.0, v24
	v_add_f32_e32 v28, 0x40a00000, v24
	v_cndmask_b32_e64 v25, 1.0, v25, s5
	v_cmp_lt_i32_e64 s5, 3, v22
	v_cndmask_b32_e64 v26, 1.0, v26, s5
	v_cmp_lt_i32_e64 s5, 4, v22
	v_mul_f32_e32 v25, v25, v26
	v_cndmask_b32_e64 v27, 1.0, v27, s5
	v_cmp_lt_i32_e64 s5, 5, v22
	v_add_f32_e32 v26, 0x40c00000, v24
	v_mul_f32_e32 v25, v27, v25
	v_cndmask_b32_e64 v28, 1.0, v28, s5
	v_cmp_lt_i32_e64 s5, 6, v22
	v_fmaak_f32 v27, s6, v24, 0x3af135b4
	v_mul_f32_e32 v25, v28, v25
	v_cndmask_b32_e64 v22, 1.0, v26, s5
	s_mov_b32 s5, 0x36f5d7bd
	v_mul_f32_e32 v22, v22, v25
	v_fmaak_f32 v25, s5, v24, 0x3a4beed6
	v_cmp_gt_f32_e64 s5, 0x800000, v22
	v_fmaak_f32 v25, v24, v25, 0x3c98bf54
	v_cndmask_b32_e64 v26, 0, 32, s5
	v_fmaak_f32 v25, v24, v25, 0x3e300f6e
	v_ldexp_f32 v22, v22, v26
	v_fmaak_f32 v26, v24, v27, 0x3cda40e4
	v_fmaak_f32 v25, v24, v25, 0x3f38d0c5
	v_log_f32_e32 v22, v22
	v_fmaak_f32 v26, v24, v26, 0x3e15dce6
	v_fmaak_f32 v25, v24, v25, 0x3fb22d3b
	v_fmaak_f32 v26, v24, v26, 0x3ea6cc7a
	v_fma_f32 v25, v24, v25, 1.0
	v_mul_f32_e32 v27, 0x3f317217, v22
	v_fmaak_f32 v26, v24, v26, 0x3e5c245a
	v_rcp_f32_e32 v25, v25
	v_cmp_gt_f32_e64 s6, 0x7f800000, |v22|
	v_fma_f32 v28, 0x3f317217, v22, -v27
	v_fmaak_f32 v26, v24, v26, 0xbd9e233f
	v_fmamk_f32 v28, v22, 0x3377d1cf, v28
	v_mul_f32_e32 v26, v24, v26
	v_add_f32_e32 v27, v27, v28
	v_mul_f32_e32 v25, v26, v25
	v_cndmask_b32_e64 v26, 0, 0x41b17218, s5
	v_cndmask_b32_e64 v22, v22, v27, s6
	v_fmac_f32_e32 v25, 0.5, v24
	v_sub_f32_e32 v22, v22, v26
	v_add_f32_e32 v22, v22, v25
.LBB162_366:
	s_or_b32 exec_lo, exec_lo, s9
.LBB162_367:
	s_andn2_saveexec_b32 s8, s8
	s_cbranch_execz .LBB162_385
; %bb.368:
                                        ; implicit-def: $vgpr22
                                        ; implicit-def: $vgpr25
                                        ; implicit-def: $vgpr24
	s_mov_b32 s6, exec_lo
	v_cmpx_ge_f32_e64 0x3f666666, |v11|
	s_xor_b32 s9, exec_lo, s6
	s_cbranch_execz .LBB162_370
; %bb.369:
	v_cmp_gt_f32_e64 s6, 0x800000, |v11|
	v_sub_f32_e64 v26, 1.0, |v11|
	v_cmp_gt_f32_e64 s5, 0x3f3b4a23, |v11|
	v_cndmask_b32_e64 v22, 0, 32, s6
	v_cndmask_b32_e64 v27, 0, 0x41b17218, s6
	v_ldexp_f32 v22, |v11|, v22
	v_log_f32_e32 v22, v22
	v_mul_f32_e32 v24, 0x3f317217, v22
	v_cmp_gt_f32_e64 s6, 0x7f800000, |v22|
	v_fma_f32 v25, 0x3f317217, v22, -v24
	v_fmamk_f32 v25, v22, 0x3377d1cf, v25
	v_add_f32_e32 v24, v24, v25
	v_add_f32_e64 v25, 0xbeec5b0c, |v11|
	v_cndmask_b32_e64 v22, v22, v24, s6
	v_cndmask_b32_e64 v24, v26, v25, s5
	;; [unrolled: 1-line block ×3, first 2 shown]
	v_cmp_gt_f32_e64 s5, 0x3e6d3309, |v11|
	v_sub_f32_e32 v22, v22, v27
	v_cndmask_b32_e64 v24, v24, |v11|, s5
	v_cndmask_b32_e64 v25, v25, 2, s5
	v_xor_b32_e32 v22, 0x80000000, v22
.LBB162_370:
	s_andn2_saveexec_b32 s6, s9
	s_cbranch_execz .LBB162_372
; %bb.371:
	v_sub_f32_e64 v22, 2.0, |v11|
	v_add_f32_e64 v24, 0xbfbb16c3, |v11|
	v_cmp_gt_f32_e64 s5, 0x3fdda512, |v11|
	v_add_f32_e64 v25, |v11|, -1.0
	v_cndmask_b32_e64 v24, v22, v24, s5
	v_cndmask_b32_e64 v22, v22, 1.0, s5
	v_cmp_gt_f32_e64 s5, 0x3f9d70a4, |v11|
	v_cvt_i32_f32_e32 v22, v22
	v_cndmask_b32_e64 v24, v24, v25, s5
	v_cndmask_b32_e64 v25, v22, 2, s5
	v_mov_b32_e32 v22, 0
.LBB162_372:
	s_or_b32 exec_lo, exec_lo, s6
	s_mov_b32 s6, exec_lo
	v_cmpx_lt_i32_e32 0, v25
	s_xor_b32 s6, exec_lo, s6
	s_cbranch_execz .LBB162_380
; %bb.373:
	s_mov_b32 s9, exec_lo
	v_cmpx_lt_i32_e32 1, v25
	s_xor_b32 s9, exec_lo, s9
	s_cbranch_execz .LBB162_377
; %bb.374:
	s_mov_b32 s10, exec_lo
	v_cmpx_eq_u32_e32 2, v25
	s_cbranch_execz .LBB162_376
; %bb.375:
	s_mov_b32 s5, 0x3b52d5db
	v_fmaak_f32 v25, s5, v24, 0x3dd572af
	s_mov_b32 s5, 0x3c5b3c5e
	v_fmaak_f32 v26, s5, v24, 0x3e6a7578
	v_fmaak_f32 v25, v24, v25, 0x3f44efdf
	;; [unrolled: 1-line block ×7, first 2 shown]
	v_fma_f32 v25, v24, v25, 1.0
	v_fmaak_f32 v26, v24, v26, 0xbd9e233f
	v_rcp_f32_e32 v25, v25
	v_mul_f32_e32 v26, v24, v26
	v_mul_f32_e32 v25, v26, v25
	v_fmac_f32_e32 v25, -0.5, v24
	v_add_f32_e32 v22, v22, v25
.LBB162_376:
	s_or_b32 exec_lo, exec_lo, s10
                                        ; implicit-def: $vgpr24
.LBB162_377:
	s_andn2_saveexec_b32 s5, s9
	s_cbranch_execz .LBB162_379
; %bb.378:
	v_mul_f32_e32 v25, v24, v24
	s_mov_b32 s9, 0xb9a3f927
	s_mov_b32 s10, 0x39afe9f7
	v_mul_f32_e32 v26, v24, v25
	v_fmaak_f32 v27, s9, v26, 0x3a66f867
	v_fmaak_f32 v28, s10, v26, 0xba0d3085
	s_mov_b32 s9, 0x39a57b6b
	v_fmaak_f32 v29, s9, v26, 0xbab7f476
	v_fmaak_f32 v27, v26, v27, 0xbb7177fe
	;; [unrolled: 1-line block ×9, first 2 shown]
	v_fmac_f32_e32 v27, v24, v28
	v_fmaak_f32 v24, v26, v29, 0x3ef7b95e
	v_fma_f32 v26, v26, -v27, 0xa2863e55
	v_fma_f32 v24, v25, v24, -v26
	v_add_f32_e32 v24, 0xbdf8cdce, v24
	v_add_f32_e32 v22, v22, v24
.LBB162_379:
	s_or_b32 exec_lo, exec_lo, s5
                                        ; implicit-def: $vgpr25
                                        ; implicit-def: $vgpr24
.LBB162_380:
	s_andn2_saveexec_b32 s6, s6
	s_cbranch_execz .LBB162_384
; %bb.381:
	s_mov_b32 s9, exec_lo
	v_cmpx_eq_u32_e32 0, v25
	s_cbranch_execz .LBB162_383
; %bb.382:
	v_mul_f32_e32 v25, v24, v24
	s_mov_b32 s5, 0x383c2c75
	v_fmaak_f32 v26, s5, v25, 0x38e28445
	s_mov_b32 s5, 0x37d383a2
	v_fmaak_f32 v27, s5, v25, 0x39679767
	v_fmaak_f32 v26, v25, v26, 0x3a05b634
	;; [unrolled: 1-line block ×9, first 2 shown]
	v_mul_f32_e32 v25, v25, v26
	v_fmac_f32_e32 v25, v24, v27
	v_fmac_f32_e32 v25, -0.5, v24
	v_add_f32_e32 v22, v22, v25
.LBB162_383:
	s_or_b32 exec_lo, exec_lo, s9
.LBB162_384:
	s_or_b32 exec_lo, exec_lo, s6
.LBB162_385:
	s_or_b32 exec_lo, exec_lo, s8
.LBB162_386:
	s_andn2_saveexec_b32 s6, s7
	s_cbranch_execz .LBB162_388
; %bb.387:
	v_cmp_gt_f32_e64 s7, 0x800000, |v11|
	s_mov_b32 s5, 0x3e8a8991
	v_fma_f32 v26, |v11|, s5, 0xbecd26ab
	v_cndmask_b32_e64 v22, 0, 32, s7
	v_ldexp_f32 v22, |v11|, v22
	v_log_f32_e32 v22, v22
	v_mul_f32_e32 v24, 0x3f317217, v22
	v_cmp_gt_f32_e64 s5, 0x7f800000, |v22|
	v_fma_f32 v25, 0x3f317217, v22, -v24
	v_fmamk_f32 v25, v22, 0x3377d1cf, v25
	v_add_f32_e32 v24, v24, v25
	v_fma_f32 v25, |v11|, v26, 0x3f528d33
	v_cndmask_b32_e64 v22, v22, v24, s5
	v_cndmask_b32_e64 v24, 0, 0x41b17218, s7
	v_fma_f32 v25, |v11|, v25, 0xbf13c468
	v_sub_f32_e32 v22, v22, v24
	v_fma_f32 v22, |v11|, v25, -v22
.LBB162_388:
	s_or_b32 exec_lo, exec_lo, s6
	v_cmp_le_f32_e64 s5, 0, v11
	s_mov_b32 s7, exec_lo
	v_cmpx_nle_f32_e32 0, v11
	s_xor_b32 s8, exec_lo, s7
	s_cbranch_execz .LBB162_392
; %bb.389:
	v_cmp_gt_f32_e64 s6, 0x4b000000, |v11|
	v_cmp_lt_f32_e64 s7, 0x35000000, |v11|
	s_and_b32 s6, s6, s7
	s_and_saveexec_b32 s9, s6
	s_cbranch_execz .LBB162_391
; %bb.390:
	v_mul_f32_e64 v24, |v11|, 0.5
	s_mov_b32 s7, 0x3d4be544
	v_floor_f32_e32 v25, v24
	v_cmp_neq_f32_e64 s6, 0x7f800000, v24
	v_sub_f32_e32 v25, v24, v25
	v_min_f32_e32 v25, 0x3f7fffff, v25
	v_add_f32_e32 v25, v25, v25
	v_cndmask_b32_e64 v24, 0, v25, s6
	v_cmp_gt_f32_e64 s6, |v11|, 1.0
	v_cndmask_b32_e64 v24, |v11|, v24, s6
	s_mov_b32 s6, 0x3e75aa41
	v_add_f32_e32 v25, v24, v24
	v_rndne_f32_e32 v25, v25
	v_fmac_f32_e32 v24, -0.5, v25
	v_cvt_i32_f32_e32 v25, v25
	v_mul_f32_e32 v26, v24, v24
	v_fmaak_f32 v27, s6, v26, 0xbf1f24be
	v_fmaak_f32 v28, s7, v26, 0x3e642e9d
	v_mul_f32_e32 v29, v24, v26
	v_fmaak_f32 v27, v26, v27, 0x40234736
	v_fmaak_f32 v28, v26, v28, 0xbfaad1da
	;; [unrolled: 1-line block ×4, first 2 shown]
	v_mul_f32_e32 v27, v29, v27
	v_fmaak_f32 v28, v26, v28, 0xc09de9e6
	v_and_b32_e32 v29, 1, v25
	v_lshlrev_b32_e32 v25, 30, v25
	v_fmamk_f32 v24, v24, 0x40490fdb, v27
	v_fma_f32 v26, v26, v28, 1.0
	v_cmp_eq_u32_e64 s6, 0, v29
	v_and_or_b32 v23, 0x80000000, v25, v23
	v_cndmask_b32_e64 v24, v26, v24, s6
	v_xor3_b32 v23, v23, v24, v11
	v_mul_f32_e32 v23, v11, v23
	v_frexp_mant_f32_e64 v24, |v23|
	v_frexp_exp_i32_f32_e32 v23, v23
	v_rcp_f32_e32 v24, v24
	v_sub_nc_u32_e32 v23, 2, v23
	v_mul_f32_e32 v24, 0x3f490fdb, v24
	v_ldexp_f32 v23, v24, v23
	v_cmp_gt_f32_e64 s6, 0x800000, v23
	v_cndmask_b32_e64 v24, 0, 32, s6
	v_ldexp_f32 v23, v23, v24
	v_log_f32_e32 v23, v23
	v_mul_f32_e32 v24, 0x3f317217, v23
	v_cmp_gt_f32_e64 s7, 0x7f800000, |v23|
	v_fma_f32 v25, 0x3f317217, v23, -v24
	v_fmamk_f32 v25, v23, 0x3377d1cf, v25
	v_add_f32_e32 v24, v24, v25
	v_floor_f32_e32 v25, v11
	v_cndmask_b32_e64 v23, v23, v24, s7
	v_cndmask_b32_e64 v24, 0, 0x41b17218, s6
	v_sub_f32_e32 v25, v11, v25
	v_sub_f32_e32 v23, v23, v24
	v_min_f32_e32 v24, 0x3f7fffff, v25
	v_sub_f32_e32 v22, v23, v22
	v_cmp_neq_f32_e64 s6, 0, v24
	v_cndmask_b32_e64 v22, 0x7f800000, v22, s6
.LBB162_391:
	s_or_b32 exec_lo, exec_lo, s9
.LBB162_392:
	s_andn2_saveexec_b32 s8, s8
; %bb.393:
	v_cmp_eq_f32_e64 s6, 1.0, v11
	v_cmp_eq_f32_e64 s7, 2.0, v11
	s_or_b32 s6, s6, s7
	v_cndmask_b32_e64 v22, v22, 0, s6
; %bb.394:
	s_or_b32 exec_lo, exec_lo, s8
	global_load_ushort v9, v9, s[14:15]
                                        ; implicit-def: $vgpr23
	s_mov_b32 s7, exec_lo
	s_waitcnt vmcnt(0)
	v_lshlrev_b32_e32 v9, 16, v9
	v_and_b32_e32 v24, 0x7fffffff, v9
	v_cmpx_ngt_f32_e64 0x3c800000, |v9|
	s_xor_b32 s8, exec_lo, s7
	s_cbranch_execz .LBB162_424
; %bb.395:
                                        ; implicit-def: $vgpr23
	s_mov_b32 s7, exec_lo
	v_cmpx_nlt_f32_e64 |v9|, 2.0
	s_xor_b32 s9, exec_lo, s7
	s_cbranch_execz .LBB162_405
; %bb.396:
	s_mov_b32 s7, exec_lo
                                        ; implicit-def: $vgpr23
	v_cmpx_ngt_f32_e64 0x41000000, |v9|
	s_xor_b32 s7, exec_lo, s7
	s_cbranch_execz .LBB162_402
; %bb.397:
	s_mov_b32 s10, exec_lo
                                        ; implicit-def: $vgpr23
	v_cmpx_ngt_f32_e64 0x5c800000, |v9|
	s_xor_b32 s10, exec_lo, s10
	s_cbranch_execz .LBB162_399
; %bb.398:
	v_cmp_gt_f32_e64 s11, 0x800000, |v9|
	v_cndmask_b32_e64 v23, 0, 32, s11
	v_ldexp_f32 v23, |v9|, v23
	v_log_f32_e32 v23, v23
	v_mul_f32_e32 v25, 0x3f317217, v23
	v_cmp_gt_f32_e64 s6, 0x7f800000, |v23|
	v_fma_f32 v26, 0x3f317217, v23, -v25
	v_fmamk_f32 v26, v23, 0x3377d1cf, v26
	v_add_f32_e32 v25, v25, v26
	v_cndmask_b32_e64 v23, v23, v25, s6
	v_cndmask_b32_e64 v25, 0, 0x41b17218, s11
	v_sub_f32_e32 v23, v23, v25
	v_fma_f32 v23, |v9|, v23, -|v9|
.LBB162_399:
	s_andn2_saveexec_b32 s10, s10
	s_cbranch_execz .LBB162_401
; %bb.400:
	v_cmp_gt_f32_e64 s11, 0x800000, |v9|
	v_rcp_f32_e64 v25, |v9|
	s_mov_b32 s6, 0xbad5c4e8
	v_cndmask_b32_e64 v23, 0, 32, s11
	v_ldexp_f32 v23, |v9|, v23
	v_mul_f32_e32 v26, v25, v25
	v_log_f32_e32 v23, v23
	v_fmaak_f32 v28, s6, v26, 0x3a5b3dd2
	v_fmaak_f32 v28, v26, v28, 0xba1c065c
	v_mul_f32_e32 v27, 0x3f317217, v23
	v_fmaak_f32 v28, v26, v28, 0x3a500cfd
	v_cmp_gt_f32_e64 s6, 0x7f800000, |v23|
	v_fma_f32 v29, 0x3f317217, v23, -v27
	v_fmaak_f32 v28, v26, v28, 0xbb360b61
	v_fmamk_f32 v29, v23, 0x3377d1cf, v29
	v_fmaak_f32 v26, v26, v28, 0x3daaaaab
	v_add_f32_e32 v27, v27, v29
	v_cndmask_b32_e64 v23, v23, v27, s6
	v_cndmask_b32_e64 v27, 0, 0x41b17218, s11
	v_sub_f32_e32 v27, v23, v27
	v_fmaak_f32 v23, v25, v26, 0x3ed67f1d
	v_add_f32_e64 v25, |v9|, -0.5
	v_add_f32_e32 v26, -1.0, v27
	v_fmac_f32_e32 v23, v25, v26
.LBB162_401:
	s_or_b32 exec_lo, exec_lo, s10
.LBB162_402:
	s_andn2_saveexec_b32 s10, s7
	s_cbranch_execz .LBB162_404
; %bb.403:
	v_cvt_i32_f32_e32 v23, v24
	s_mov_b32 s7, 0x3805ff67
	v_cvt_f32_i32_e32 v25, v23
	v_cmp_lt_i32_e64 s6, 2, v23
	v_sub_f32_e64 v25, |v9|, v25
	v_add_f32_e32 v26, 2.0, v25
	v_add_f32_e32 v27, 0x40400000, v25
	v_add_f32_e32 v28, 4.0, v25
	v_add_f32_e32 v29, 0x40a00000, v25
	v_cndmask_b32_e64 v26, 1.0, v26, s6
	v_cmp_lt_i32_e64 s6, 3, v23
	v_cndmask_b32_e64 v27, 1.0, v27, s6
	v_cmp_lt_i32_e64 s6, 4, v23
	v_mul_f32_e32 v26, v26, v27
	v_cndmask_b32_e64 v28, 1.0, v28, s6
	v_cmp_lt_i32_e64 s6, 5, v23
	v_add_f32_e32 v27, 0x40c00000, v25
	v_mul_f32_e32 v26, v28, v26
	v_cndmask_b32_e64 v29, 1.0, v29, s6
	v_cmp_lt_i32_e64 s6, 6, v23
	v_fmaak_f32 v28, s7, v25, 0x3af135b4
	v_mul_f32_e32 v26, v29, v26
	v_cndmask_b32_e64 v23, 1.0, v27, s6
	s_mov_b32 s6, 0x36f5d7bd
	v_mul_f32_e32 v23, v23, v26
	v_fmaak_f32 v26, s6, v25, 0x3a4beed6
	v_cmp_gt_f32_e64 s6, 0x800000, v23
	v_fmaak_f32 v26, v25, v26, 0x3c98bf54
	v_cndmask_b32_e64 v27, 0, 32, s6
	v_fmaak_f32 v26, v25, v26, 0x3e300f6e
	v_ldexp_f32 v23, v23, v27
	v_fmaak_f32 v27, v25, v28, 0x3cda40e4
	v_fmaak_f32 v26, v25, v26, 0x3f38d0c5
	v_log_f32_e32 v23, v23
	v_fmaak_f32 v27, v25, v27, 0x3e15dce6
	v_fmaak_f32 v26, v25, v26, 0x3fb22d3b
	;; [unrolled: 1-line block ×3, first 2 shown]
	v_fma_f32 v26, v25, v26, 1.0
	v_mul_f32_e32 v28, 0x3f317217, v23
	v_fmaak_f32 v27, v25, v27, 0x3e5c245a
	v_rcp_f32_e32 v26, v26
	v_cmp_gt_f32_e64 s7, 0x7f800000, |v23|
	v_fma_f32 v29, 0x3f317217, v23, -v28
	v_fmaak_f32 v27, v25, v27, 0xbd9e233f
	v_fmamk_f32 v29, v23, 0x3377d1cf, v29
	v_mul_f32_e32 v27, v25, v27
	v_add_f32_e32 v28, v28, v29
	v_mul_f32_e32 v26, v27, v26
	v_cndmask_b32_e64 v27, 0, 0x41b17218, s6
	v_cndmask_b32_e64 v23, v23, v28, s7
	v_fmac_f32_e32 v26, 0.5, v25
	v_sub_f32_e32 v23, v23, v27
	v_add_f32_e32 v23, v23, v26
.LBB162_404:
	s_or_b32 exec_lo, exec_lo, s10
.LBB162_405:
	s_andn2_saveexec_b32 s9, s9
	s_cbranch_execz .LBB162_423
; %bb.406:
                                        ; implicit-def: $vgpr23
                                        ; implicit-def: $vgpr26
                                        ; implicit-def: $vgpr25
	s_mov_b32 s7, exec_lo
	v_cmpx_ge_f32_e64 0x3f666666, |v9|
	s_xor_b32 s10, exec_lo, s7
	s_cbranch_execz .LBB162_408
; %bb.407:
	v_cmp_gt_f32_e64 s7, 0x800000, |v9|
	v_sub_f32_e64 v27, 1.0, |v9|
	v_cmp_gt_f32_e64 s6, 0x3f3b4a23, |v9|
	v_cndmask_b32_e64 v23, 0, 32, s7
	v_cndmask_b32_e64 v28, 0, 0x41b17218, s7
	v_ldexp_f32 v23, |v9|, v23
	v_log_f32_e32 v23, v23
	v_mul_f32_e32 v25, 0x3f317217, v23
	v_cmp_gt_f32_e64 s7, 0x7f800000, |v23|
	v_fma_f32 v26, 0x3f317217, v23, -v25
	v_fmamk_f32 v26, v23, 0x3377d1cf, v26
	v_add_f32_e32 v25, v25, v26
	v_add_f32_e64 v26, 0xbeec5b0c, |v9|
	v_cndmask_b32_e64 v23, v23, v25, s7
	v_cndmask_b32_e64 v25, v27, v26, s6
	;; [unrolled: 1-line block ×3, first 2 shown]
	v_cmp_gt_f32_e64 s6, 0x3e6d3309, |v9|
	v_sub_f32_e32 v23, v23, v28
	v_cndmask_b32_e64 v25, v25, |v9|, s6
	v_cndmask_b32_e64 v26, v26, 2, s6
	v_xor_b32_e32 v23, 0x80000000, v23
.LBB162_408:
	s_andn2_saveexec_b32 s7, s10
	s_cbranch_execz .LBB162_410
; %bb.409:
	v_sub_f32_e64 v23, 2.0, |v9|
	v_add_f32_e64 v25, 0xbfbb16c3, |v9|
	v_cmp_gt_f32_e64 s6, 0x3fdda512, |v9|
	v_add_f32_e64 v26, |v9|, -1.0
	v_cndmask_b32_e64 v25, v23, v25, s6
	v_cndmask_b32_e64 v23, v23, 1.0, s6
	v_cmp_gt_f32_e64 s6, 0x3f9d70a4, |v9|
	v_cvt_i32_f32_e32 v23, v23
	v_cndmask_b32_e64 v25, v25, v26, s6
	v_cndmask_b32_e64 v26, v23, 2, s6
	v_mov_b32_e32 v23, 0
.LBB162_410:
	s_or_b32 exec_lo, exec_lo, s7
	s_mov_b32 s7, exec_lo
	v_cmpx_lt_i32_e32 0, v26
	s_xor_b32 s7, exec_lo, s7
	s_cbranch_execz .LBB162_418
; %bb.411:
	s_mov_b32 s10, exec_lo
	v_cmpx_lt_i32_e32 1, v26
	s_xor_b32 s10, exec_lo, s10
	s_cbranch_execz .LBB162_415
; %bb.412:
	s_mov_b32 s11, exec_lo
	v_cmpx_eq_u32_e32 2, v26
	s_cbranch_execz .LBB162_414
; %bb.413:
	s_mov_b32 s6, 0x3b52d5db
	v_fmaak_f32 v26, s6, v25, 0x3dd572af
	s_mov_b32 s6, 0x3c5b3c5e
	v_fmaak_f32 v27, s6, v25, 0x3e6a7578
	v_fmaak_f32 v26, v25, v26, 0x3f44efdf
	;; [unrolled: 1-line block ×7, first 2 shown]
	v_fma_f32 v26, v25, v26, 1.0
	v_fmaak_f32 v27, v25, v27, 0xbd9e233f
	v_rcp_f32_e32 v26, v26
	v_mul_f32_e32 v27, v25, v27
	v_mul_f32_e32 v26, v27, v26
	v_fmac_f32_e32 v26, -0.5, v25
	v_add_f32_e32 v23, v23, v26
.LBB162_414:
	s_or_b32 exec_lo, exec_lo, s11
                                        ; implicit-def: $vgpr25
.LBB162_415:
	s_andn2_saveexec_b32 s6, s10
	s_cbranch_execz .LBB162_417
; %bb.416:
	v_mul_f32_e32 v26, v25, v25
	s_mov_b32 s10, 0xb9a3f927
	s_mov_b32 s11, 0x39afe9f7
	v_mul_f32_e32 v27, v25, v26
	v_fmaak_f32 v28, s10, v27, 0x3a66f867
	v_fmaak_f32 v29, s11, v27, 0xba0d3085
	s_mov_b32 s10, 0x39a57b6b
	v_fmaak_f32 v30, s10, v27, 0xbab7f476
	v_fmaak_f32 v28, v27, v28, 0xbb7177fe
	;; [unrolled: 1-line block ×9, first 2 shown]
	v_fmac_f32_e32 v28, v25, v29
	v_fmaak_f32 v25, v27, v30, 0x3ef7b95e
	v_fma_f32 v27, v27, -v28, 0xa2863e55
	v_fma_f32 v25, v26, v25, -v27
	v_add_f32_e32 v25, 0xbdf8cdce, v25
	v_add_f32_e32 v23, v23, v25
.LBB162_417:
	s_or_b32 exec_lo, exec_lo, s6
                                        ; implicit-def: $vgpr26
                                        ; implicit-def: $vgpr25
.LBB162_418:
	s_andn2_saveexec_b32 s7, s7
	s_cbranch_execz .LBB162_422
; %bb.419:
	s_mov_b32 s10, exec_lo
	v_cmpx_eq_u32_e32 0, v26
	s_cbranch_execz .LBB162_421
; %bb.420:
	v_mul_f32_e32 v26, v25, v25
	s_mov_b32 s6, 0x383c2c75
	v_fmaak_f32 v27, s6, v26, 0x38e28445
	s_mov_b32 s6, 0x37d383a2
	v_fmaak_f32 v28, s6, v26, 0x39679767
	v_fmaak_f32 v27, v26, v27, 0x3a05b634
	v_fmaak_f32 v28, v26, v28, 0x3a9c54a1
	v_fmaak_f32 v27, v26, v27, 0x3b3d6ec6
	v_fmaak_f32 v28, v26, v28, 0x3bf2027e
	v_fmaak_f32 v27, v26, v27, 0x3ca89915
	v_fmaak_f32 v28, v26, v28, 0x3d89f001
	v_fmaak_f32 v27, v26, v27, 0x3ea51a66
	v_fmaak_f32 v28, v26, v28, 0x3d9e233f
	v_mul_f32_e32 v26, v26, v27
	v_fmac_f32_e32 v26, v25, v28
	v_fmac_f32_e32 v26, -0.5, v25
	v_add_f32_e32 v23, v23, v26
.LBB162_421:
	s_or_b32 exec_lo, exec_lo, s10
.LBB162_422:
	s_or_b32 exec_lo, exec_lo, s7
.LBB162_423:
	s_or_b32 exec_lo, exec_lo, s9
.LBB162_424:
	s_andn2_saveexec_b32 s7, s8
	s_cbranch_execz .LBB162_426
; %bb.425:
	v_cmp_gt_f32_e64 s8, 0x800000, |v9|
	s_mov_b32 s6, 0x3e8a8991
	v_fma_f32 v27, |v9|, s6, 0xbecd26ab
	v_cndmask_b32_e64 v23, 0, 32, s8
	v_ldexp_f32 v23, |v9|, v23
	v_log_f32_e32 v23, v23
	v_mul_f32_e32 v25, 0x3f317217, v23
	v_cmp_gt_f32_e64 s6, 0x7f800000, |v23|
	v_fma_f32 v26, 0x3f317217, v23, -v25
	v_fmamk_f32 v26, v23, 0x3377d1cf, v26
	v_add_f32_e32 v25, v25, v26
	v_fma_f32 v26, |v9|, v27, 0x3f528d33
	v_cndmask_b32_e64 v23, v23, v25, s6
	v_cndmask_b32_e64 v25, 0, 0x41b17218, s8
	v_fma_f32 v26, |v9|, v26, 0xbf13c468
	v_sub_f32_e32 v23, v23, v25
	v_fma_f32 v23, |v9|, v26, -v23
.LBB162_426:
	s_or_b32 exec_lo, exec_lo, s7
	v_cmp_le_f32_e64 s6, 0, v9
	s_mov_b32 s8, exec_lo
	v_cmpx_nle_f32_e32 0, v9
	s_xor_b32 s9, exec_lo, s8
	s_cbranch_execz .LBB162_430
; %bb.427:
	v_cmp_gt_f32_e64 s7, 0x4b000000, |v9|
	v_cmp_lt_f32_e64 s8, 0x35000000, |v9|
	s_and_b32 s7, s7, s8
	s_and_saveexec_b32 s10, s7
	s_cbranch_execz .LBB162_429
; %bb.428:
	v_mul_f32_e64 v25, |v9|, 0.5
	s_mov_b32 s8, 0x3d4be544
	v_floor_f32_e32 v26, v25
	v_cmp_neq_f32_e64 s7, 0x7f800000, v25
	v_sub_f32_e32 v26, v25, v26
	v_min_f32_e32 v26, 0x3f7fffff, v26
	v_add_f32_e32 v26, v26, v26
	v_cndmask_b32_e64 v25, 0, v26, s7
	v_cmp_gt_f32_e64 s7, |v9|, 1.0
	v_cndmask_b32_e64 v25, |v9|, v25, s7
	s_mov_b32 s7, 0x3e75aa41
	v_add_f32_e32 v26, v25, v25
	v_rndne_f32_e32 v26, v26
	v_fmac_f32_e32 v25, -0.5, v26
	v_cvt_i32_f32_e32 v26, v26
	v_mul_f32_e32 v27, v25, v25
	v_fmaak_f32 v28, s7, v27, 0xbf1f24be
	v_fmaak_f32 v29, s8, v27, 0x3e642e9d
	v_mul_f32_e32 v30, v25, v27
	v_fmaak_f32 v28, v27, v28, 0x40234736
	v_fmaak_f32 v29, v27, v29, 0xbfaad1da
	;; [unrolled: 1-line block ×4, first 2 shown]
	v_mul_f32_e32 v28, v30, v28
	v_fmaak_f32 v29, v27, v29, 0xc09de9e6
	v_and_b32_e32 v30, 1, v26
	v_lshlrev_b32_e32 v26, 30, v26
	v_fmamk_f32 v25, v25, 0x40490fdb, v28
	v_fma_f32 v27, v27, v29, 1.0
	v_cmp_eq_u32_e64 s7, 0, v30
	v_and_or_b32 v24, 0x80000000, v26, v24
	v_cndmask_b32_e64 v25, v27, v25, s7
	v_xor3_b32 v24, v24, v25, v9
	v_mul_f32_e32 v24, v9, v24
	v_frexp_mant_f32_e64 v25, |v24|
	v_frexp_exp_i32_f32_e32 v24, v24
	v_rcp_f32_e32 v25, v25
	v_sub_nc_u32_e32 v24, 2, v24
	v_mul_f32_e32 v25, 0x3f490fdb, v25
	v_ldexp_f32 v24, v25, v24
	v_cmp_gt_f32_e64 s7, 0x800000, v24
	v_cndmask_b32_e64 v25, 0, 32, s7
	v_ldexp_f32 v24, v24, v25
	v_log_f32_e32 v24, v24
	v_mul_f32_e32 v25, 0x3f317217, v24
	v_cmp_gt_f32_e64 s8, 0x7f800000, |v24|
	v_fma_f32 v26, 0x3f317217, v24, -v25
	v_fmamk_f32 v26, v24, 0x3377d1cf, v26
	v_add_f32_e32 v25, v25, v26
	v_floor_f32_e32 v26, v9
	v_cndmask_b32_e64 v24, v24, v25, s8
	v_cndmask_b32_e64 v25, 0, 0x41b17218, s7
	v_sub_f32_e32 v26, v9, v26
	v_sub_f32_e32 v24, v24, v25
	v_min_f32_e32 v25, 0x3f7fffff, v26
	v_sub_f32_e32 v23, v24, v23
	v_cmp_neq_f32_e64 s7, 0, v25
	v_cndmask_b32_e64 v23, 0x7f800000, v23, s7
.LBB162_429:
	s_or_b32 exec_lo, exec_lo, s10
.LBB162_430:
	s_andn2_saveexec_b32 s9, s9
; %bb.431:
	v_cmp_eq_f32_e64 s7, 1.0, v9
	v_cmp_eq_f32_e64 s8, 2.0, v9
	s_or_b32 s7, s7, s8
	v_cndmask_b32_e64 v23, v23, 0, s7
; %bb.432:
	s_or_b32 exec_lo, exec_lo, s9
	v_cmp_gt_f32_e64 s7, 0x4b000000, |v11|
	v_cmp_gt_f32_e64 s8, 0x4b000000, |v13|
	s_or_b32 s5, s5, s7
	s_or_b32 s4, s4, s8
	v_cndmask_b32_e64 v22, 0x7f800000, v22, s5
	v_cndmask_b32_e64 v21, 0x7f800000, v21, s4
	v_cmp_class_f32_e64 s4, v11, 0x264
	v_cmp_gt_f32_e64 s5, 0x4b000000, |v15|
	v_cmp_gt_f32_e64 s7, 0x4b000000, |v17|
	v_cndmask_b32_e64 v22, v22, 0x7f800000, s4
	v_cmp_class_f32_e64 s4, v13, 0x264
	s_or_b32 s3, s3, s5
	s_or_b32 s2, s2, s7
	v_cndmask_b32_e64 v20, 0x7f800000, v20, s3
	v_cmp_u_f32_e64 s3, v13, v13
	v_cndmask_b32_e64 v21, v21, 0x7f800000, s4
	v_cmp_u_f32_e64 s4, v11, v11
	;; [unrolled: 2-line block ×3, first 2 shown]
	v_cndmask_b32_e64 v13, v21, v13, s3
	v_cmp_class_f32_e64 s3, v15, 0x264
	v_cndmask_b32_e64 v11, v22, v11, s4
	v_bfe_u32 v22, v13, 16, 1
	v_cndmask_b32_e64 v20, v20, 0x7f800000, s3
	v_cmp_gt_f32_e64 s3, 0x4b000000, |v16|
	v_bfe_u32 v21, v11, 16, 1
	v_cndmask_b32_e64 v15, v20, v15, s2
	v_cmp_class_f32_e64 s2, v17, 0x264
	v_add3_u32 v20, v13, v22, 0x7fff
	s_or_b32 s1, s1, s3
	v_add3_u32 v21, v11, v21, 0x7fff
	v_bfe_u32 v22, v15, 16, 1
	v_cndmask_b32_e64 v19, v19, 0x7f800000, s2
	v_cmp_u_f32_e64 s2, v17, v17
	v_cndmask_b32_e64 v18, 0x7f800000, v18, s1
	v_cmp_o_f32_e64 s1, v13, v13
	v_lshrrev_b32_e32 v21, 16, v21
	v_cmp_gt_f32_e64 s3, 0x4b000000, |v12|
	v_cndmask_b32_e64 v17, v19, v17, s2
	v_lshrrev_b32_e32 v19, 16, v20
	v_cmp_o_f32_e64 s2, v11, v11
	v_add3_u32 v20, v15, v22, 0x7fff
	v_cndmask_b32_e64 v13, 0x7fc0, v19, s1
	v_cmp_class_f32_e64 s1, v16, 0x264
	v_cndmask_b32_e64 v11, 0x7fc0, v21, s2
	v_bfe_u32 v21, v17, 16, 1
	v_lshrrev_b32_e32 v19, 16, v20
	v_cmp_gt_f32_e64 s2, 0x4b000000, |v8|
	v_cndmask_b32_e64 v18, v18, 0x7f800000, s1
	v_cmp_o_f32_e64 s1, v15, v15
	v_add3_u32 v20, v17, v21, 0x7fff
	s_or_b32 vcc_lo, vcc_lo, s2
	v_cndmask_b32_e64 v15, 0x7fc0, v19, s1
	v_cmp_u_f32_e64 s1, v16, v16
	v_cndmask_b32_e32 v10, 0x7f800000, v10, vcc_lo
	s_or_b32 vcc_lo, s0, s3
	v_cmp_class_f32_e64 s0, v8, 0x264
	v_lshrrev_b32_e32 v19, 16, v20
	v_cndmask_b32_e64 v16, v18, v16, s1
	v_cmp_o_f32_e64 s1, v17, v17
	v_cndmask_b32_e32 v14, 0x7f800000, v14, vcc_lo
	v_cndmask_b32_e64 v10, v10, 0x7f800000, s0
	v_cmp_gt_f32_e64 s0, 0x4b000000, |v9|
	v_cmp_u_f32_e32 vcc_lo, v8, v8
	v_cndmask_b32_e64 v17, 0x7fc0, v19, s1
	v_cmp_class_f32_e64 s1, v12, 0x264
	v_bfe_u32 v18, v16, 16, 1
	v_cndmask_b32_e32 v8, v10, v8, vcc_lo
	s_or_b32 vcc_lo, s6, s0
	v_cndmask_b32_e64 v14, v14, 0x7f800000, s1
	v_cndmask_b32_e32 v10, 0x7f800000, v23, vcc_lo
	v_cmp_u_f32_e32 vcc_lo, v12, v12
	v_cmp_class_f32_e64 s0, v9, 0x264
	v_add3_u32 v18, v16, v18, 0x7fff
	v_cndmask_b32_e32 v12, v14, v12, vcc_lo
	v_bfe_u32 v14, v8, 16, 1
	v_cndmask_b32_e64 v10, v10, 0x7f800000, s0
	v_cmp_u_f32_e32 vcc_lo, v9, v9
	v_lshrrev_b32_e32 v18, 16, v18
	v_bfe_u32 v19, v12, 16, 1
	v_add3_u32 v14, v8, v14, 0x7fff
	v_cmp_o_f32_e64 s0, v12, v12
	v_cndmask_b32_e32 v9, v10, v9, vcc_lo
	v_cmp_o_f32_e32 vcc_lo, v16, v16
	v_add3_u32 v10, v12, v19, 0x7fff
	v_lshrrev_b32_e32 v14, 16, v14
	v_cndmask_b32_e32 v16, 0x7fc0, v18, vcc_lo
	v_bfe_u32 v18, v9, 16, 1
	v_cmp_o_f32_e32 vcc_lo, v8, v8
	v_lshrrev_b32_e32 v10, 16, v10
	v_cndmask_b32_e32 v8, 0x7fc0, v14, vcc_lo
	v_cmp_o_f32_e32 vcc_lo, v9, v9
	v_add3_u32 v9, v9, v18, 0x7fff
	v_mov_b32_e32 v14, 0x7fc0
	v_cndmask_b32_e64 v10, 0x7fc0, v10, s0
	v_cndmask_b32_sdwa v9, v14, v9, vcc_lo dst_sel:DWORD dst_unused:UNUSED_PAD src0_sel:DWORD src1_sel:WORD_1
	global_store_short v0, v8, s[12:13]
	global_store_short v1, v10, s[12:13]
	;; [unrolled: 1-line block ×8, first 2 shown]
	s_endpgm
.LBB162_433:
	v_mov_b32_e32 v0, 0
	v_mov_b32_e32 v2, 0
	s_branch .LBB162_439
.LBB162_434:
	v_mov_b32_e32 v0, 0
	v_mov_b32_e32 v2, 0
	s_branch .LBB162_493
.LBB162_435:
	v_mov_b32_e32 v0, 0
	v_mov_b32_e32 v2, 0
	;; [unrolled: 1-line block ×3, first 2 shown]
	s_mov_b32 s31, 0
.LBB162_436:
	s_and_b32 s33, s33, 3
	s_cmp_eq_u32 s33, 0
	s_cbranch_scc1 .LBB162_439
; %bb.437:
	s_lshl_b32 s0, s31, 3
	s_mul_i32 s20, s31, 12
	s_add_u32 s0, s2, s0
	s_addc_u32 s1, s3, 0
	s_add_u32 s0, s0, 0xc4
	s_addc_u32 s1, s1, 0
	;; [unrolled: 2-line block ×3, first 2 shown]
	.p2align	6
.LBB162_438:                            ; =>This Inner Loop Header: Depth=1
	s_clause 0x1
	s_load_dwordx2 s[34:35], s[20:21], 0x4
	s_load_dword s31, s[20:21], 0xc
	s_load_dwordx2 s[36:37], s[0:1], 0x0
	s_add_u32 s20, s20, 12
	s_addc_u32 s21, s21, 0
	s_add_u32 s0, s0, 8
	s_addc_u32 s1, s1, 0
	s_add_i32 s33, s33, -1
	s_cmp_lg_u32 s33, 0
	s_waitcnt lgkmcnt(0)
	v_mul_hi_u32 v3, s35, v1
	v_add_nc_u32_e32 v3, v1, v3
	v_lshrrev_b32_e32 v4, s31, v3
	v_mul_lo_u32 v3, v4, s34
	v_sub_nc_u32_e32 v3, v1, v3
	v_mad_u64_u32 v[0:1], null, v3, s36, v[0:1]
	v_mad_u64_u32 v[2:3], null, v3, s37, v[2:3]
	v_mov_b32_e32 v1, v4
	s_cbranch_scc1 .LBB162_438
.LBB162_439:
	s_cbranch_execnz .LBB162_442
.LBB162_440:
	s_waitcnt lgkmcnt(0)
	v_mul_hi_u32 v0, s13, v7
	s_andn2_b32 vcc_lo, exec_lo, s26
	v_add_nc_u32_e32 v0, v7, v0
	v_lshrrev_b32_e32 v1, s14, v0
	v_mul_lo_u32 v0, v1, s12
	v_sub_nc_u32_e32 v2, v7, v0
	v_mul_lo_u32 v0, v2, s8
	v_mul_lo_u32 v2, v2, s9
	s_cbranch_vccnz .LBB162_442
; %bb.441:
	v_mul_hi_u32 v3, s16, v1
	v_add_nc_u32_e32 v3, v1, v3
	v_lshrrev_b32_e32 v3, s17, v3
	v_mul_lo_u32 v3, v3, s15
	v_sub_nc_u32_e32 v3, v1, v3
	v_mad_u64_u32 v[0:1], null, v3, s10, v[0:1]
	v_mad_u64_u32 v[2:3], null, v3, s11, v[2:3]
.LBB162_442:
	s_waitcnt lgkmcnt(0)
	global_load_ushort v1, v2, s[6:7]
	s_mov_b32 s1, exec_lo
                                        ; implicit-def: $vgpr3
	s_waitcnt vmcnt(0)
	v_lshlrev_b32_e32 v1, 16, v1
	v_and_b32_e32 v2, 0x7fffffff, v1
	v_cmpx_ngt_f32_e64 0x3c800000, |v1|
	s_xor_b32 s1, exec_lo, s1
	s_cbranch_execz .LBB162_472
; %bb.443:
	s_mov_b32 s20, exec_lo
                                        ; implicit-def: $vgpr3
	v_cmpx_nlt_f32_e64 |v1|, 2.0
	s_xor_b32 s20, exec_lo, s20
	s_cbranch_execz .LBB162_453
; %bb.444:
	v_cmp_ngt_f32_e64 s0, 0x41000000, |v1|
                                        ; implicit-def: $vgpr3
	s_and_saveexec_b32 s21, s0
	s_xor_b32 s0, exec_lo, s21
	s_cbranch_execz .LBB162_450
; %bb.445:
	v_cmp_ngt_f32_e64 s21, 0x5c800000, |v1|
                                        ; implicit-def: $vgpr3
	s_and_saveexec_b32 s31, s21
	s_xor_b32 s21, exec_lo, s31
	s_cbranch_execz .LBB162_447
; %bb.446:
	v_cmp_gt_f32_e64 s31, 0x800000, |v1|
	v_cndmask_b32_e64 v3, 0, 32, s31
	v_ldexp_f32 v3, |v1|, v3
	v_log_f32_e32 v3, v3
	v_mul_f32_e32 v4, 0x3f317217, v3
	v_cmp_gt_f32_e64 vcc_lo, 0x7f800000, |v3|
	v_fma_f32 v5, 0x3f317217, v3, -v4
	v_fmamk_f32 v5, v3, 0x3377d1cf, v5
	v_add_f32_e32 v4, v4, v5
	v_cndmask_b32_e32 v3, v3, v4, vcc_lo
	v_cndmask_b32_e64 v4, 0, 0x41b17218, s31
	v_sub_f32_e32 v3, v3, v4
	v_fma_f32 v3, |v1|, v3, -|v1|
.LBB162_447:
	s_andn2_saveexec_b32 s21, s21
	s_cbranch_execz .LBB162_449
; %bb.448:
	v_cmp_gt_f32_e64 s31, 0x800000, |v1|
	v_rcp_f32_e64 v4, |v1|
	s_mov_b32 s33, 0xbad5c4e8
	v_cndmask_b32_e64 v3, 0, 32, s31
	v_ldexp_f32 v3, |v1|, v3
	v_mul_f32_e32 v5, v4, v4
	v_log_f32_e32 v3, v3
	v_fmaak_f32 v8, s33, v5, 0x3a5b3dd2
	v_fmaak_f32 v8, v5, v8, 0xba1c065c
	v_mul_f32_e32 v6, 0x3f317217, v3
	v_fmaak_f32 v8, v5, v8, 0x3a500cfd
	v_cmp_gt_f32_e64 vcc_lo, 0x7f800000, |v3|
	v_fma_f32 v9, 0x3f317217, v3, -v6
	v_fmaak_f32 v8, v5, v8, 0xbb360b61
	v_fmamk_f32 v9, v3, 0x3377d1cf, v9
	v_fmaak_f32 v5, v5, v8, 0x3daaaaab
	v_add_f32_e32 v6, v6, v9
	v_cndmask_b32_e32 v3, v3, v6, vcc_lo
	v_cndmask_b32_e64 v6, 0, 0x41b17218, s31
	v_sub_f32_e32 v6, v3, v6
	v_fmaak_f32 v3, v4, v5, 0x3ed67f1d
	v_add_f32_e64 v4, |v1|, -0.5
	v_add_f32_e32 v5, -1.0, v6
	v_fmac_f32_e32 v3, v4, v5
.LBB162_449:
	s_or_b32 exec_lo, exec_lo, s21
.LBB162_450:
	s_andn2_saveexec_b32 s21, s0
	s_cbranch_execz .LBB162_452
; %bb.451:
	v_cvt_i32_f32_e32 v3, v2
	s_mov_b32 s0, 0x36f5d7bd
	s_mov_b32 s31, 0x3805ff67
	v_cvt_f32_i32_e32 v4, v3
	v_cmp_lt_i32_e32 vcc_lo, 2, v3
	v_sub_f32_e64 v4, |v1|, v4
	v_add_f32_e32 v5, 2.0, v4
	v_add_f32_e32 v6, 0x40400000, v4
	v_add_f32_e32 v8, 4.0, v4
	v_add_f32_e32 v9, 0x40a00000, v4
	v_cndmask_b32_e32 v5, 1.0, v5, vcc_lo
	v_cmp_lt_i32_e32 vcc_lo, 3, v3
	v_cndmask_b32_e32 v6, 1.0, v6, vcc_lo
	v_cmp_lt_i32_e32 vcc_lo, 4, v3
	v_mul_f32_e32 v5, v5, v6
	v_cndmask_b32_e32 v8, 1.0, v8, vcc_lo
	v_cmp_lt_i32_e32 vcc_lo, 5, v3
	v_add_f32_e32 v6, 0x40c00000, v4
	v_mul_f32_e32 v5, v8, v5
	v_cndmask_b32_e32 v9, 1.0, v9, vcc_lo
	v_cmp_lt_i32_e32 vcc_lo, 6, v3
	v_fmaak_f32 v8, s31, v4, 0x3af135b4
	v_mul_f32_e32 v5, v9, v5
	v_cndmask_b32_e32 v3, 1.0, v6, vcc_lo
	v_mul_f32_e32 v3, v3, v5
	v_fmaak_f32 v5, s0, v4, 0x3a4beed6
	v_cmp_gt_f32_e32 vcc_lo, 0x800000, v3
	v_fmaak_f32 v5, v4, v5, 0x3c98bf54
	v_cndmask_b32_e64 v6, 0, 32, vcc_lo
	v_fmaak_f32 v5, v4, v5, 0x3e300f6e
	v_ldexp_f32 v3, v3, v6
	v_fmaak_f32 v6, v4, v8, 0x3cda40e4
	v_fmaak_f32 v5, v4, v5, 0x3f38d0c5
	v_log_f32_e32 v3, v3
	v_fmaak_f32 v6, v4, v6, 0x3e15dce6
	v_fmaak_f32 v5, v4, v5, 0x3fb22d3b
	;; [unrolled: 1-line block ×3, first 2 shown]
	v_fma_f32 v5, v4, v5, 1.0
	v_mul_f32_e32 v8, 0x3f317217, v3
	v_fmaak_f32 v6, v4, v6, 0x3e5c245a
	v_rcp_f32_e32 v5, v5
	v_cmp_gt_f32_e64 s0, 0x7f800000, |v3|
	v_fma_f32 v9, 0x3f317217, v3, -v8
	v_fmaak_f32 v6, v4, v6, 0xbd9e233f
	v_fmamk_f32 v9, v3, 0x3377d1cf, v9
	v_mul_f32_e32 v6, v4, v6
	v_add_f32_e32 v8, v8, v9
	v_mul_f32_e32 v5, v6, v5
	v_cndmask_b32_e64 v6, 0, 0x41b17218, vcc_lo
	v_cndmask_b32_e64 v3, v3, v8, s0
	v_fmac_f32_e32 v5, 0.5, v4
	v_sub_f32_e32 v3, v3, v6
	v_add_f32_e32 v3, v3, v5
.LBB162_452:
	s_or_b32 exec_lo, exec_lo, s21
.LBB162_453:
	s_andn2_saveexec_b32 s20, s20
	s_cbranch_execz .LBB162_471
; %bb.454:
	s_mov_b32 s21, exec_lo
                                        ; implicit-def: $vgpr3
                                        ; implicit-def: $vgpr5
                                        ; implicit-def: $vgpr4
	v_cmpx_ge_f32_e64 0x3f666666, |v1|
	s_xor_b32 s21, exec_lo, s21
	s_cbranch_execz .LBB162_456
; %bb.455:
	v_cmp_gt_f32_e64 s0, 0x800000, |v1|
	v_sub_f32_e64 v6, 1.0, |v1|
	v_cmp_gt_f32_e64 vcc_lo, 0x3f3b4a23, |v1|
	v_cndmask_b32_e64 v3, 0, 32, s0
	v_cndmask_b32_e64 v8, 0, 0x41b17218, s0
	v_ldexp_f32 v3, |v1|, v3
	v_log_f32_e32 v3, v3
	v_mul_f32_e32 v4, 0x3f317217, v3
	v_cmp_gt_f32_e64 s0, 0x7f800000, |v3|
	v_fma_f32 v5, 0x3f317217, v3, -v4
	v_fmamk_f32 v5, v3, 0x3377d1cf, v5
	v_add_f32_e32 v4, v4, v5
	v_add_f32_e64 v5, 0xbeec5b0c, |v1|
	v_cndmask_b32_e64 v3, v3, v4, s0
	v_cndmask_b32_e32 v4, v6, v5, vcc_lo
	v_cndmask_b32_e64 v5, 0, 1, vcc_lo
	v_cmp_gt_f32_e64 s0, 0x3e6d3309, |v1|
	v_sub_f32_e32 v3, v3, v8
	v_cndmask_b32_e64 v4, v4, |v1|, s0
	v_cndmask_b32_e64 v5, v5, 2, s0
	v_xor_b32_e32 v3, 0x80000000, v3
.LBB162_456:
	s_andn2_saveexec_b32 s0, s21
	s_cbranch_execz .LBB162_458
; %bb.457:
	v_sub_f32_e64 v3, 2.0, |v1|
	v_add_f32_e64 v4, 0xbfbb16c3, |v1|
	v_cmp_gt_f32_e64 vcc_lo, 0x3fdda512, |v1|
	v_add_f32_e64 v5, |v1|, -1.0
	v_cndmask_b32_e32 v4, v3, v4, vcc_lo
	v_cndmask_b32_e64 v3, v3, 1.0, vcc_lo
	v_cmp_gt_f32_e64 vcc_lo, 0x3f9d70a4, |v1|
	v_cvt_i32_f32_e32 v3, v3
	v_cndmask_b32_e32 v4, v4, v5, vcc_lo
	v_cndmask_b32_e64 v5, v3, 2, vcc_lo
	v_mov_b32_e32 v3, 0
.LBB162_458:
	s_or_b32 exec_lo, exec_lo, s0
	s_mov_b32 s0, exec_lo
	v_cmpx_lt_i32_e32 0, v5
	s_xor_b32 s0, exec_lo, s0
	s_cbranch_execz .LBB162_466
; %bb.459:
	s_mov_b32 s21, exec_lo
	v_cmpx_lt_i32_e32 1, v5
	s_xor_b32 s21, exec_lo, s21
	s_cbranch_execz .LBB162_463
; %bb.460:
	s_mov_b32 s31, exec_lo
	v_cmpx_eq_u32_e32 2, v5
	s_cbranch_execz .LBB162_462
; %bb.461:
	s_mov_b32 s33, 0x3b52d5db
	v_fmaak_f32 v5, s33, v4, 0x3dd572af
	s_mov_b32 s33, 0x3c5b3c5e
	v_fmaak_f32 v6, s33, v4, 0x3e6a7578
	v_fmaak_f32 v5, v4, v5, 0x3f44efdf
	;; [unrolled: 1-line block ×7, first 2 shown]
	v_fma_f32 v5, v4, v5, 1.0
	v_fmaak_f32 v6, v4, v6, 0xbd9e233f
	v_rcp_f32_e32 v5, v5
	v_mul_f32_e32 v6, v4, v6
	v_mul_f32_e32 v5, v6, v5
	v_fmac_f32_e32 v5, -0.5, v4
	v_add_f32_e32 v3, v3, v5
.LBB162_462:
	s_or_b32 exec_lo, exec_lo, s31
                                        ; implicit-def: $vgpr4
.LBB162_463:
	s_andn2_saveexec_b32 s21, s21
	s_cbranch_execz .LBB162_465
; %bb.464:
	v_mul_f32_e32 v5, v4, v4
	s_mov_b32 s31, 0xb9a3f927
	s_mov_b32 s33, 0x39afe9f7
	v_mul_f32_e32 v6, v4, v5
	v_fmaak_f32 v8, s31, v6, 0x3a66f867
	v_fmaak_f32 v9, s33, v6, 0xba0d3085
	s_mov_b32 s31, 0x39a57b6b
	v_fmaak_f32 v10, s31, v6, 0xbab7f476
	v_fmaak_f32 v8, v6, v8, 0xbb7177fe
	;; [unrolled: 1-line block ×9, first 2 shown]
	v_fmac_f32_e32 v8, v4, v9
	v_fmaak_f32 v4, v6, v10, 0x3ef7b95e
	v_fma_f32 v6, v6, -v8, 0xa2863e55
	v_fma_f32 v4, v5, v4, -v6
	v_add_f32_e32 v4, 0xbdf8cdce, v4
	v_add_f32_e32 v3, v3, v4
.LBB162_465:
	s_or_b32 exec_lo, exec_lo, s21
                                        ; implicit-def: $vgpr5
                                        ; implicit-def: $vgpr4
.LBB162_466:
	s_andn2_saveexec_b32 s0, s0
	s_cbranch_execz .LBB162_470
; %bb.467:
	s_mov_b32 s21, exec_lo
	v_cmpx_eq_u32_e32 0, v5
	s_cbranch_execz .LBB162_469
; %bb.468:
	v_mul_f32_e32 v5, v4, v4
	s_mov_b32 s31, 0x383c2c75
	v_fmaak_f32 v6, s31, v5, 0x38e28445
	s_mov_b32 s31, 0x37d383a2
	v_fmaak_f32 v8, s31, v5, 0x39679767
	v_fmaak_f32 v6, v5, v6, 0x3a05b634
	;; [unrolled: 1-line block ×9, first 2 shown]
	v_mul_f32_e32 v5, v5, v6
	v_fmac_f32_e32 v5, v4, v8
	v_fmac_f32_e32 v5, -0.5, v4
	v_add_f32_e32 v3, v3, v5
.LBB162_469:
	s_or_b32 exec_lo, exec_lo, s21
.LBB162_470:
	s_or_b32 exec_lo, exec_lo, s0
.LBB162_471:
	s_or_b32 exec_lo, exec_lo, s20
.LBB162_472:
	s_andn2_saveexec_b32 s0, s1
	s_cbranch_execz .LBB162_474
; %bb.473:
	v_cmp_gt_f32_e64 s1, 0x800000, |v1|
	s_mov_b32 s20, 0x3e8a8991
	v_fma_f32 v6, |v1|, s20, 0xbecd26ab
	v_cndmask_b32_e64 v3, 0, 32, s1
	v_ldexp_f32 v3, |v1|, v3
	v_log_f32_e32 v3, v3
	v_mul_f32_e32 v4, 0x3f317217, v3
	v_cmp_gt_f32_e64 vcc_lo, 0x7f800000, |v3|
	v_fma_f32 v5, 0x3f317217, v3, -v4
	v_fmamk_f32 v5, v3, 0x3377d1cf, v5
	v_add_f32_e32 v4, v4, v5
	v_fma_f32 v5, |v1|, v6, 0x3f528d33
	v_cndmask_b32_e32 v3, v3, v4, vcc_lo
	v_cndmask_b32_e64 v4, 0, 0x41b17218, s1
	v_fma_f32 v5, |v1|, v5, 0xbf13c468
	v_sub_f32_e32 v3, v3, v4
	v_fma_f32 v3, |v1|, v5, -v3
.LBB162_474:
	s_or_b32 exec_lo, exec_lo, s0
	v_cmp_le_f32_e32 vcc_lo, 0, v1
	s_mov_b32 s1, exec_lo
	v_cmpx_nle_f32_e32 0, v1
	s_xor_b32 s20, exec_lo, s1
	s_cbranch_execz .LBB162_478
; %bb.475:
	v_cmp_gt_f32_e64 s0, 0x4b000000, |v1|
	v_cmp_lt_f32_e64 s1, 0x35000000, |v1|
	s_and_b32 s0, s0, s1
	s_and_saveexec_b32 s21, s0
	s_cbranch_execz .LBB162_477
; %bb.476:
	v_mul_f32_e64 v4, |v1|, 0.5
	s_mov_b32 s1, 0x3d4be544
	v_floor_f32_e32 v5, v4
	v_cmp_neq_f32_e64 s0, 0x7f800000, v4
	v_sub_f32_e32 v5, v4, v5
	v_min_f32_e32 v5, 0x3f7fffff, v5
	v_add_f32_e32 v5, v5, v5
	v_cndmask_b32_e64 v4, 0, v5, s0
	v_cmp_gt_f32_e64 s0, |v1|, 1.0
	v_cndmask_b32_e64 v4, |v1|, v4, s0
	s_mov_b32 s0, 0x3e75aa41
	v_add_f32_e32 v5, v4, v4
	v_rndne_f32_e32 v5, v5
	v_fmac_f32_e32 v4, -0.5, v5
	v_cvt_i32_f32_e32 v5, v5
	v_mul_f32_e32 v6, v4, v4
	v_fmaak_f32 v8, s0, v6, 0xbf1f24be
	v_fmaak_f32 v9, s1, v6, 0x3e642e9d
	v_mul_f32_e32 v10, v4, v6
	v_fmaak_f32 v8, v6, v8, 0x40234736
	v_fmaak_f32 v9, v6, v9, 0xbfaad1da
	;; [unrolled: 1-line block ×4, first 2 shown]
	v_mul_f32_e32 v8, v10, v8
	v_fmaak_f32 v9, v6, v9, 0xc09de9e6
	v_and_b32_e32 v10, 1, v5
	v_lshlrev_b32_e32 v5, 30, v5
	v_fmamk_f32 v4, v4, 0x40490fdb, v8
	v_fma_f32 v6, v6, v9, 1.0
	v_cmp_eq_u32_e64 s0, 0, v10
	v_and_or_b32 v2, 0x80000000, v5, v2
	v_cndmask_b32_e64 v4, v6, v4, s0
	v_xor3_b32 v2, v2, v4, v1
	v_mul_f32_e32 v2, v1, v2
	v_frexp_mant_f32_e64 v4, |v2|
	v_frexp_exp_i32_f32_e32 v2, v2
	v_rcp_f32_e32 v4, v4
	v_sub_nc_u32_e32 v2, 2, v2
	v_mul_f32_e32 v4, 0x3f490fdb, v4
	v_ldexp_f32 v2, v4, v2
	v_cmp_gt_f32_e64 s0, 0x800000, v2
	v_cndmask_b32_e64 v4, 0, 32, s0
	v_ldexp_f32 v2, v2, v4
	v_log_f32_e32 v2, v2
	v_mul_f32_e32 v4, 0x3f317217, v2
	v_cmp_gt_f32_e64 s1, 0x7f800000, |v2|
	v_fma_f32 v5, 0x3f317217, v2, -v4
	v_fmamk_f32 v5, v2, 0x3377d1cf, v5
	v_add_f32_e32 v4, v4, v5
	v_floor_f32_e32 v5, v1
	v_cndmask_b32_e64 v2, v2, v4, s1
	v_cndmask_b32_e64 v4, 0, 0x41b17218, s0
	v_sub_f32_e32 v5, v1, v5
	v_sub_f32_e32 v2, v2, v4
	v_min_f32_e32 v4, 0x3f7fffff, v5
	v_sub_f32_e32 v2, v2, v3
	v_cmp_neq_f32_e64 s0, 0, v4
	v_cndmask_b32_e64 v3, 0x7f800000, v2, s0
.LBB162_477:
	s_or_b32 exec_lo, exec_lo, s21
.LBB162_478:
	s_andn2_saveexec_b32 s20, s20
; %bb.479:
	v_cmp_eq_f32_e64 s0, 1.0, v1
	v_cmp_eq_f32_e64 s1, 2.0, v1
	s_or_b32 s0, s0, s1
	v_cndmask_b32_e64 v3, v3, 0, s0
; %bb.480:
	s_or_b32 exec_lo, exec_lo, s20
	v_cmp_gt_f32_e64 s0, 0x4b000000, |v1|
	v_add_nc_u32_e32 v7, 0x80, v7
	s_or_b32 vcc_lo, vcc_lo, s0
	v_cmp_class_f32_e64 s0, v1, 0x264
	v_cndmask_b32_e32 v2, 0x7f800000, v3, vcc_lo
	v_cmp_u_f32_e32 vcc_lo, v1, v1
	v_cndmask_b32_e64 v2, v2, 0x7f800000, s0
	v_cndmask_b32_e32 v1, v2, v1, vcc_lo
	v_bfe_u32 v2, v1, 16, 1
	v_cmp_o_f32_e32 vcc_lo, v1, v1
	v_add3_u32 v1, v1, v2, 0x7fff
	v_mov_b32_e32 v2, 0x7fc0
	v_cndmask_b32_sdwa v1, v2, v1, vcc_lo dst_sel:DWORD dst_unused:UNUSED_PAD src0_sel:DWORD src1_sel:WORD_1
	global_store_short v0, v1, s[4:5]
	s_or_b32 exec_lo, exec_lo, s30
	s_mov_b32 s30, exec_lo
	v_cmpx_gt_i32_e64 s27, v7
	s_cbranch_execnz .LBB162_15
.LBB162_481:
	s_or_b32 exec_lo, exec_lo, s30
	s_mov_b32 s30, exec_lo
	v_cmpx_gt_i32_e64 s27, v7
	s_cbranch_execz .LBB162_535
.LBB162_482:
	s_andn2_b32 vcc_lo, exec_lo, s24
	s_cbranch_vccnz .LBB162_487
; %bb.483:
	s_andn2_b32 vcc_lo, exec_lo, s29
	s_cbranch_vccnz .LBB162_488
; %bb.484:
	s_add_i32 s33, s28, 1
	s_cmp_eq_u32 s23, 2
	s_cbranch_scc1 .LBB162_543
; %bb.485:
	v_mov_b32_e32 v2, 0
	v_mov_b32_e32 v0, 0
	;; [unrolled: 1-line block ×3, first 2 shown]
	s_and_b32 s31, s33, 28
	s_mov_b32 s34, 0
	s_mov_b64 s[0:1], s[2:3]
	s_mov_b64 s[20:21], s[18:19]
.LBB162_486:                            ; =>This Inner Loop Header: Depth=1
	s_clause 0x1
	s_load_dwordx8 s[36:43], s[0:1], 0x4
	s_load_dwordx4 s[52:55], s[0:1], 0x24
	s_load_dwordx8 s[44:51], s[20:21], 0x0
	s_add_u32 s0, s0, 48
	s_addc_u32 s1, s1, 0
	s_add_i32 s34, s34, 4
	s_add_u32 s20, s20, 32
	s_addc_u32 s21, s21, 0
	s_cmp_eq_u32 s31, s34
	s_waitcnt lgkmcnt(0)
	v_mul_hi_u32 v3, s37, v1
	v_add_nc_u32_e32 v3, v1, v3
	v_lshrrev_b32_e32 v3, s38, v3
	v_mul_hi_u32 v4, s40, v3
	v_mul_lo_u32 v6, v3, s36
	v_add_nc_u32_e32 v4, v3, v4
	v_sub_nc_u32_e32 v1, v1, v6
	v_lshrrev_b32_e32 v4, s41, v4
	v_mul_lo_u32 v6, v1, s44
	v_mul_lo_u32 v9, v1, s45
	v_mul_hi_u32 v5, s43, v4
	v_add_nc_u32_e32 v5, v4, v5
	v_lshrrev_b32_e32 v5, s52, v5
	v_mul_hi_u32 v8, s54, v5
	v_mul_lo_u32 v10, v5, s42
	v_add_nc_u32_e32 v1, v5, v8
	v_mul_lo_u32 v8, v4, s39
	v_sub_nc_u32_e32 v4, v4, v10
	v_lshrrev_b32_e32 v1, s55, v1
	v_mul_lo_u32 v10, v4, s48
	v_mul_lo_u32 v4, v4, s49
	v_sub_nc_u32_e32 v3, v3, v8
	v_mul_lo_u32 v11, v1, s53
	v_mul_lo_u32 v8, v3, s46
	;; [unrolled: 1-line block ×3, first 2 shown]
	v_sub_nc_u32_e32 v5, v5, v11
	v_add3_u32 v0, v6, v0, v8
	v_mul_lo_u32 v11, v5, s50
	v_mul_lo_u32 v5, v5, s51
	v_add3_u32 v2, v9, v2, v3
	v_add3_u32 v0, v10, v0, v11
	;; [unrolled: 1-line block ×3, first 2 shown]
	s_cbranch_scc0 .LBB162_486
	s_branch .LBB162_544
.LBB162_487:
                                        ; implicit-def: $vgpr0
                                        ; implicit-def: $vgpr2
	s_branch .LBB162_548
.LBB162_488:
	v_mov_b32_e32 v0, 0
	v_mov_b32_e32 v2, 0
	s_branch .LBB162_547
.LBB162_489:
	v_mov_b32_e32 v0, 0
	v_mov_b32_e32 v2, 0
	v_mov_b32_e32 v1, v7
	s_mov_b32 s31, 0
.LBB162_490:
	s_and_b32 s33, s33, 3
	s_cmp_eq_u32 s33, 0
	s_cbranch_scc1 .LBB162_493
; %bb.491:
	s_lshl_b32 s0, s31, 3
	s_mul_i32 s20, s31, 12
	s_add_u32 s0, s2, s0
	s_addc_u32 s1, s3, 0
	s_add_u32 s0, s0, 0xc4
	s_addc_u32 s1, s1, 0
	;; [unrolled: 2-line block ×3, first 2 shown]
	.p2align	6
.LBB162_492:                            ; =>This Inner Loop Header: Depth=1
	s_clause 0x1
	s_load_dwordx2 s[34:35], s[20:21], 0x4
	s_load_dword s31, s[20:21], 0xc
	s_load_dwordx2 s[36:37], s[0:1], 0x0
	s_add_u32 s20, s20, 12
	s_addc_u32 s21, s21, 0
	s_add_u32 s0, s0, 8
	s_addc_u32 s1, s1, 0
	s_add_i32 s33, s33, -1
	s_cmp_lg_u32 s33, 0
	s_waitcnt lgkmcnt(0)
	v_mul_hi_u32 v3, s35, v1
	v_add_nc_u32_e32 v3, v1, v3
	v_lshrrev_b32_e32 v4, s31, v3
	v_mul_lo_u32 v3, v4, s34
	v_sub_nc_u32_e32 v3, v1, v3
	v_mad_u64_u32 v[0:1], null, v3, s36, v[0:1]
	v_mad_u64_u32 v[2:3], null, v3, s37, v[2:3]
	v_mov_b32_e32 v1, v4
	s_cbranch_scc1 .LBB162_492
.LBB162_493:
	s_cbranch_execnz .LBB162_496
.LBB162_494:
	s_waitcnt lgkmcnt(0)
	v_mul_hi_u32 v0, s13, v7
	s_andn2_b32 vcc_lo, exec_lo, s26
	v_add_nc_u32_e32 v0, v7, v0
	v_lshrrev_b32_e32 v1, s14, v0
	v_mul_lo_u32 v0, v1, s12
	v_sub_nc_u32_e32 v2, v7, v0
	v_mul_lo_u32 v0, v2, s8
	v_mul_lo_u32 v2, v2, s9
	s_cbranch_vccnz .LBB162_496
; %bb.495:
	v_mul_hi_u32 v3, s16, v1
	v_add_nc_u32_e32 v3, v1, v3
	v_lshrrev_b32_e32 v3, s17, v3
	v_mul_lo_u32 v3, v3, s15
	v_sub_nc_u32_e32 v3, v1, v3
	v_mad_u64_u32 v[0:1], null, v3, s10, v[0:1]
	v_mad_u64_u32 v[2:3], null, v3, s11, v[2:3]
.LBB162_496:
	s_waitcnt lgkmcnt(0)
	global_load_ushort v1, v2, s[6:7]
	s_mov_b32 s1, exec_lo
                                        ; implicit-def: $vgpr3
	s_waitcnt vmcnt(0)
	v_lshlrev_b32_e32 v1, 16, v1
	v_and_b32_e32 v2, 0x7fffffff, v1
	v_cmpx_ngt_f32_e64 0x3c800000, |v1|
	s_xor_b32 s1, exec_lo, s1
	s_cbranch_execz .LBB162_526
; %bb.497:
	s_mov_b32 s20, exec_lo
                                        ; implicit-def: $vgpr3
	v_cmpx_nlt_f32_e64 |v1|, 2.0
	s_xor_b32 s20, exec_lo, s20
	s_cbranch_execz .LBB162_507
; %bb.498:
	v_cmp_ngt_f32_e64 s0, 0x41000000, |v1|
                                        ; implicit-def: $vgpr3
	s_and_saveexec_b32 s21, s0
	s_xor_b32 s0, exec_lo, s21
	s_cbranch_execz .LBB162_504
; %bb.499:
	v_cmp_ngt_f32_e64 s21, 0x5c800000, |v1|
                                        ; implicit-def: $vgpr3
	s_and_saveexec_b32 s31, s21
	s_xor_b32 s21, exec_lo, s31
	s_cbranch_execz .LBB162_501
; %bb.500:
	v_cmp_gt_f32_e64 s31, 0x800000, |v1|
	v_cndmask_b32_e64 v3, 0, 32, s31
	v_ldexp_f32 v3, |v1|, v3
	v_log_f32_e32 v3, v3
	v_mul_f32_e32 v4, 0x3f317217, v3
	v_cmp_gt_f32_e64 vcc_lo, 0x7f800000, |v3|
	v_fma_f32 v5, 0x3f317217, v3, -v4
	v_fmamk_f32 v5, v3, 0x3377d1cf, v5
	v_add_f32_e32 v4, v4, v5
	v_cndmask_b32_e32 v3, v3, v4, vcc_lo
	v_cndmask_b32_e64 v4, 0, 0x41b17218, s31
	v_sub_f32_e32 v3, v3, v4
	v_fma_f32 v3, |v1|, v3, -|v1|
.LBB162_501:
	s_andn2_saveexec_b32 s21, s21
	s_cbranch_execz .LBB162_503
; %bb.502:
	v_cmp_gt_f32_e64 s31, 0x800000, |v1|
	v_rcp_f32_e64 v4, |v1|
	s_mov_b32 s33, 0xbad5c4e8
	v_cndmask_b32_e64 v3, 0, 32, s31
	v_ldexp_f32 v3, |v1|, v3
	v_mul_f32_e32 v5, v4, v4
	v_log_f32_e32 v3, v3
	v_fmaak_f32 v8, s33, v5, 0x3a5b3dd2
	v_fmaak_f32 v8, v5, v8, 0xba1c065c
	v_mul_f32_e32 v6, 0x3f317217, v3
	v_fmaak_f32 v8, v5, v8, 0x3a500cfd
	v_cmp_gt_f32_e64 vcc_lo, 0x7f800000, |v3|
	v_fma_f32 v9, 0x3f317217, v3, -v6
	v_fmaak_f32 v8, v5, v8, 0xbb360b61
	v_fmamk_f32 v9, v3, 0x3377d1cf, v9
	v_fmaak_f32 v5, v5, v8, 0x3daaaaab
	v_add_f32_e32 v6, v6, v9
	v_cndmask_b32_e32 v3, v3, v6, vcc_lo
	v_cndmask_b32_e64 v6, 0, 0x41b17218, s31
	v_sub_f32_e32 v6, v3, v6
	v_fmaak_f32 v3, v4, v5, 0x3ed67f1d
	v_add_f32_e64 v4, |v1|, -0.5
	v_add_f32_e32 v5, -1.0, v6
	v_fmac_f32_e32 v3, v4, v5
.LBB162_503:
	s_or_b32 exec_lo, exec_lo, s21
.LBB162_504:
	s_andn2_saveexec_b32 s21, s0
	s_cbranch_execz .LBB162_506
; %bb.505:
	v_cvt_i32_f32_e32 v3, v2
	s_mov_b32 s0, 0x36f5d7bd
	s_mov_b32 s31, 0x3805ff67
	v_cvt_f32_i32_e32 v4, v3
	v_cmp_lt_i32_e32 vcc_lo, 2, v3
	v_sub_f32_e64 v4, |v1|, v4
	v_add_f32_e32 v5, 2.0, v4
	v_add_f32_e32 v6, 0x40400000, v4
	v_add_f32_e32 v8, 4.0, v4
	v_add_f32_e32 v9, 0x40a00000, v4
	v_cndmask_b32_e32 v5, 1.0, v5, vcc_lo
	v_cmp_lt_i32_e32 vcc_lo, 3, v3
	v_cndmask_b32_e32 v6, 1.0, v6, vcc_lo
	v_cmp_lt_i32_e32 vcc_lo, 4, v3
	v_mul_f32_e32 v5, v5, v6
	v_cndmask_b32_e32 v8, 1.0, v8, vcc_lo
	v_cmp_lt_i32_e32 vcc_lo, 5, v3
	v_add_f32_e32 v6, 0x40c00000, v4
	v_mul_f32_e32 v5, v8, v5
	v_cndmask_b32_e32 v9, 1.0, v9, vcc_lo
	v_cmp_lt_i32_e32 vcc_lo, 6, v3
	v_fmaak_f32 v8, s31, v4, 0x3af135b4
	v_mul_f32_e32 v5, v9, v5
	v_cndmask_b32_e32 v3, 1.0, v6, vcc_lo
	v_mul_f32_e32 v3, v3, v5
	v_fmaak_f32 v5, s0, v4, 0x3a4beed6
	v_cmp_gt_f32_e32 vcc_lo, 0x800000, v3
	v_fmaak_f32 v5, v4, v5, 0x3c98bf54
	v_cndmask_b32_e64 v6, 0, 32, vcc_lo
	v_fmaak_f32 v5, v4, v5, 0x3e300f6e
	v_ldexp_f32 v3, v3, v6
	v_fmaak_f32 v6, v4, v8, 0x3cda40e4
	v_fmaak_f32 v5, v4, v5, 0x3f38d0c5
	v_log_f32_e32 v3, v3
	v_fmaak_f32 v6, v4, v6, 0x3e15dce6
	v_fmaak_f32 v5, v4, v5, 0x3fb22d3b
	;; [unrolled: 1-line block ×3, first 2 shown]
	v_fma_f32 v5, v4, v5, 1.0
	v_mul_f32_e32 v8, 0x3f317217, v3
	v_fmaak_f32 v6, v4, v6, 0x3e5c245a
	v_rcp_f32_e32 v5, v5
	v_cmp_gt_f32_e64 s0, 0x7f800000, |v3|
	v_fma_f32 v9, 0x3f317217, v3, -v8
	v_fmaak_f32 v6, v4, v6, 0xbd9e233f
	v_fmamk_f32 v9, v3, 0x3377d1cf, v9
	v_mul_f32_e32 v6, v4, v6
	v_add_f32_e32 v8, v8, v9
	v_mul_f32_e32 v5, v6, v5
	v_cndmask_b32_e64 v6, 0, 0x41b17218, vcc_lo
	v_cndmask_b32_e64 v3, v3, v8, s0
	v_fmac_f32_e32 v5, 0.5, v4
	v_sub_f32_e32 v3, v3, v6
	v_add_f32_e32 v3, v3, v5
.LBB162_506:
	s_or_b32 exec_lo, exec_lo, s21
.LBB162_507:
	s_andn2_saveexec_b32 s20, s20
	s_cbranch_execz .LBB162_525
; %bb.508:
	s_mov_b32 s21, exec_lo
                                        ; implicit-def: $vgpr3
                                        ; implicit-def: $vgpr5
                                        ; implicit-def: $vgpr4
	v_cmpx_ge_f32_e64 0x3f666666, |v1|
	s_xor_b32 s21, exec_lo, s21
	s_cbranch_execz .LBB162_510
; %bb.509:
	v_cmp_gt_f32_e64 s0, 0x800000, |v1|
	v_sub_f32_e64 v6, 1.0, |v1|
	v_cmp_gt_f32_e64 vcc_lo, 0x3f3b4a23, |v1|
	v_cndmask_b32_e64 v3, 0, 32, s0
	v_cndmask_b32_e64 v8, 0, 0x41b17218, s0
	v_ldexp_f32 v3, |v1|, v3
	v_log_f32_e32 v3, v3
	v_mul_f32_e32 v4, 0x3f317217, v3
	v_cmp_gt_f32_e64 s0, 0x7f800000, |v3|
	v_fma_f32 v5, 0x3f317217, v3, -v4
	v_fmamk_f32 v5, v3, 0x3377d1cf, v5
	v_add_f32_e32 v4, v4, v5
	v_add_f32_e64 v5, 0xbeec5b0c, |v1|
	v_cndmask_b32_e64 v3, v3, v4, s0
	v_cndmask_b32_e32 v4, v6, v5, vcc_lo
	v_cndmask_b32_e64 v5, 0, 1, vcc_lo
	v_cmp_gt_f32_e64 s0, 0x3e6d3309, |v1|
	v_sub_f32_e32 v3, v3, v8
	v_cndmask_b32_e64 v4, v4, |v1|, s0
	v_cndmask_b32_e64 v5, v5, 2, s0
	v_xor_b32_e32 v3, 0x80000000, v3
.LBB162_510:
	s_andn2_saveexec_b32 s0, s21
	s_cbranch_execz .LBB162_512
; %bb.511:
	v_sub_f32_e64 v3, 2.0, |v1|
	v_add_f32_e64 v4, 0xbfbb16c3, |v1|
	v_cmp_gt_f32_e64 vcc_lo, 0x3fdda512, |v1|
	v_add_f32_e64 v5, |v1|, -1.0
	v_cndmask_b32_e32 v4, v3, v4, vcc_lo
	v_cndmask_b32_e64 v3, v3, 1.0, vcc_lo
	v_cmp_gt_f32_e64 vcc_lo, 0x3f9d70a4, |v1|
	v_cvt_i32_f32_e32 v3, v3
	v_cndmask_b32_e32 v4, v4, v5, vcc_lo
	v_cndmask_b32_e64 v5, v3, 2, vcc_lo
	v_mov_b32_e32 v3, 0
.LBB162_512:
	s_or_b32 exec_lo, exec_lo, s0
	s_mov_b32 s0, exec_lo
	v_cmpx_lt_i32_e32 0, v5
	s_xor_b32 s0, exec_lo, s0
	s_cbranch_execz .LBB162_520
; %bb.513:
	s_mov_b32 s21, exec_lo
	v_cmpx_lt_i32_e32 1, v5
	s_xor_b32 s21, exec_lo, s21
	s_cbranch_execz .LBB162_517
; %bb.514:
	s_mov_b32 s31, exec_lo
	v_cmpx_eq_u32_e32 2, v5
	s_cbranch_execz .LBB162_516
; %bb.515:
	s_mov_b32 s33, 0x3b52d5db
	v_fmaak_f32 v5, s33, v4, 0x3dd572af
	s_mov_b32 s33, 0x3c5b3c5e
	v_fmaak_f32 v6, s33, v4, 0x3e6a7578
	v_fmaak_f32 v5, v4, v5, 0x3f44efdf
	;; [unrolled: 1-line block ×7, first 2 shown]
	v_fma_f32 v5, v4, v5, 1.0
	v_fmaak_f32 v6, v4, v6, 0xbd9e233f
	v_rcp_f32_e32 v5, v5
	v_mul_f32_e32 v6, v4, v6
	v_mul_f32_e32 v5, v6, v5
	v_fmac_f32_e32 v5, -0.5, v4
	v_add_f32_e32 v3, v3, v5
.LBB162_516:
	s_or_b32 exec_lo, exec_lo, s31
                                        ; implicit-def: $vgpr4
.LBB162_517:
	s_andn2_saveexec_b32 s21, s21
	s_cbranch_execz .LBB162_519
; %bb.518:
	v_mul_f32_e32 v5, v4, v4
	s_mov_b32 s31, 0xb9a3f927
	s_mov_b32 s33, 0x39afe9f7
	v_mul_f32_e32 v6, v4, v5
	v_fmaak_f32 v8, s31, v6, 0x3a66f867
	v_fmaak_f32 v9, s33, v6, 0xba0d3085
	s_mov_b32 s31, 0x39a57b6b
	v_fmaak_f32 v10, s31, v6, 0xbab7f476
	v_fmaak_f32 v8, v6, v8, 0xbb7177fe
	;; [unrolled: 1-line block ×9, first 2 shown]
	v_fmac_f32_e32 v8, v4, v9
	v_fmaak_f32 v4, v6, v10, 0x3ef7b95e
	v_fma_f32 v6, v6, -v8, 0xa2863e55
	v_fma_f32 v4, v5, v4, -v6
	v_add_f32_e32 v4, 0xbdf8cdce, v4
	v_add_f32_e32 v3, v3, v4
.LBB162_519:
	s_or_b32 exec_lo, exec_lo, s21
                                        ; implicit-def: $vgpr5
                                        ; implicit-def: $vgpr4
.LBB162_520:
	s_andn2_saveexec_b32 s0, s0
	s_cbranch_execz .LBB162_524
; %bb.521:
	s_mov_b32 s21, exec_lo
	v_cmpx_eq_u32_e32 0, v5
	s_cbranch_execz .LBB162_523
; %bb.522:
	v_mul_f32_e32 v5, v4, v4
	s_mov_b32 s31, 0x383c2c75
	v_fmaak_f32 v6, s31, v5, 0x38e28445
	s_mov_b32 s31, 0x37d383a2
	v_fmaak_f32 v8, s31, v5, 0x39679767
	v_fmaak_f32 v6, v5, v6, 0x3a05b634
	;; [unrolled: 1-line block ×9, first 2 shown]
	v_mul_f32_e32 v5, v5, v6
	v_fmac_f32_e32 v5, v4, v8
	v_fmac_f32_e32 v5, -0.5, v4
	v_add_f32_e32 v3, v3, v5
.LBB162_523:
	s_or_b32 exec_lo, exec_lo, s21
.LBB162_524:
	s_or_b32 exec_lo, exec_lo, s0
.LBB162_525:
	s_or_b32 exec_lo, exec_lo, s20
.LBB162_526:
	s_andn2_saveexec_b32 s0, s1
	s_cbranch_execz .LBB162_528
; %bb.527:
	v_cmp_gt_f32_e64 s1, 0x800000, |v1|
	s_mov_b32 s20, 0x3e8a8991
	v_fma_f32 v6, |v1|, s20, 0xbecd26ab
	v_cndmask_b32_e64 v3, 0, 32, s1
	v_ldexp_f32 v3, |v1|, v3
	v_log_f32_e32 v3, v3
	v_mul_f32_e32 v4, 0x3f317217, v3
	v_cmp_gt_f32_e64 vcc_lo, 0x7f800000, |v3|
	v_fma_f32 v5, 0x3f317217, v3, -v4
	v_fmamk_f32 v5, v3, 0x3377d1cf, v5
	v_add_f32_e32 v4, v4, v5
	v_fma_f32 v5, |v1|, v6, 0x3f528d33
	v_cndmask_b32_e32 v3, v3, v4, vcc_lo
	v_cndmask_b32_e64 v4, 0, 0x41b17218, s1
	v_fma_f32 v5, |v1|, v5, 0xbf13c468
	v_sub_f32_e32 v3, v3, v4
	v_fma_f32 v3, |v1|, v5, -v3
.LBB162_528:
	s_or_b32 exec_lo, exec_lo, s0
	v_cmp_le_f32_e32 vcc_lo, 0, v1
	s_mov_b32 s1, exec_lo
	v_cmpx_nle_f32_e32 0, v1
	s_xor_b32 s20, exec_lo, s1
	s_cbranch_execz .LBB162_532
; %bb.529:
	v_cmp_gt_f32_e64 s0, 0x4b000000, |v1|
	v_cmp_lt_f32_e64 s1, 0x35000000, |v1|
	s_and_b32 s0, s0, s1
	s_and_saveexec_b32 s21, s0
	s_cbranch_execz .LBB162_531
; %bb.530:
	v_mul_f32_e64 v4, |v1|, 0.5
	s_mov_b32 s1, 0x3d4be544
	v_floor_f32_e32 v5, v4
	v_cmp_neq_f32_e64 s0, 0x7f800000, v4
	v_sub_f32_e32 v5, v4, v5
	v_min_f32_e32 v5, 0x3f7fffff, v5
	v_add_f32_e32 v5, v5, v5
	v_cndmask_b32_e64 v4, 0, v5, s0
	v_cmp_gt_f32_e64 s0, |v1|, 1.0
	v_cndmask_b32_e64 v4, |v1|, v4, s0
	s_mov_b32 s0, 0x3e75aa41
	v_add_f32_e32 v5, v4, v4
	v_rndne_f32_e32 v5, v5
	v_fmac_f32_e32 v4, -0.5, v5
	v_cvt_i32_f32_e32 v5, v5
	v_mul_f32_e32 v6, v4, v4
	v_fmaak_f32 v8, s0, v6, 0xbf1f24be
	v_fmaak_f32 v9, s1, v6, 0x3e642e9d
	v_mul_f32_e32 v10, v4, v6
	v_fmaak_f32 v8, v6, v8, 0x40234736
	v_fmaak_f32 v9, v6, v9, 0xbfaad1da
	;; [unrolled: 1-line block ×4, first 2 shown]
	v_mul_f32_e32 v8, v10, v8
	v_fmaak_f32 v9, v6, v9, 0xc09de9e6
	v_and_b32_e32 v10, 1, v5
	v_lshlrev_b32_e32 v5, 30, v5
	v_fmamk_f32 v4, v4, 0x40490fdb, v8
	v_fma_f32 v6, v6, v9, 1.0
	v_cmp_eq_u32_e64 s0, 0, v10
	v_and_or_b32 v2, 0x80000000, v5, v2
	v_cndmask_b32_e64 v4, v6, v4, s0
	v_xor3_b32 v2, v2, v4, v1
	v_mul_f32_e32 v2, v1, v2
	v_frexp_mant_f32_e64 v4, |v2|
	v_frexp_exp_i32_f32_e32 v2, v2
	v_rcp_f32_e32 v4, v4
	v_sub_nc_u32_e32 v2, 2, v2
	v_mul_f32_e32 v4, 0x3f490fdb, v4
	v_ldexp_f32 v2, v4, v2
	v_cmp_gt_f32_e64 s0, 0x800000, v2
	v_cndmask_b32_e64 v4, 0, 32, s0
	v_ldexp_f32 v2, v2, v4
	v_log_f32_e32 v2, v2
	v_mul_f32_e32 v4, 0x3f317217, v2
	v_cmp_gt_f32_e64 s1, 0x7f800000, |v2|
	v_fma_f32 v5, 0x3f317217, v2, -v4
	v_fmamk_f32 v5, v2, 0x3377d1cf, v5
	v_add_f32_e32 v4, v4, v5
	v_floor_f32_e32 v5, v1
	v_cndmask_b32_e64 v2, v2, v4, s1
	v_cndmask_b32_e64 v4, 0, 0x41b17218, s0
	v_sub_f32_e32 v5, v1, v5
	v_sub_f32_e32 v2, v2, v4
	v_min_f32_e32 v4, 0x3f7fffff, v5
	v_sub_f32_e32 v2, v2, v3
	v_cmp_neq_f32_e64 s0, 0, v4
	v_cndmask_b32_e64 v3, 0x7f800000, v2, s0
.LBB162_531:
	s_or_b32 exec_lo, exec_lo, s21
.LBB162_532:
	s_andn2_saveexec_b32 s20, s20
; %bb.533:
	v_cmp_eq_f32_e64 s0, 1.0, v1
	v_cmp_eq_f32_e64 s1, 2.0, v1
	s_or_b32 s0, s0, s1
	v_cndmask_b32_e64 v3, v3, 0, s0
; %bb.534:
	s_or_b32 exec_lo, exec_lo, s20
	v_cmp_gt_f32_e64 s0, 0x4b000000, |v1|
	v_add_nc_u32_e32 v7, 0x80, v7
	s_or_b32 vcc_lo, vcc_lo, s0
	v_cmp_class_f32_e64 s0, v1, 0x264
	v_cndmask_b32_e32 v2, 0x7f800000, v3, vcc_lo
	v_cmp_u_f32_e32 vcc_lo, v1, v1
	v_cndmask_b32_e64 v2, v2, 0x7f800000, s0
	v_cndmask_b32_e32 v1, v2, v1, vcc_lo
	v_bfe_u32 v2, v1, 16, 1
	v_cmp_o_f32_e32 vcc_lo, v1, v1
	v_add3_u32 v1, v1, v2, 0x7fff
	v_mov_b32_e32 v2, 0x7fc0
	v_cndmask_b32_sdwa v1, v2, v1, vcc_lo dst_sel:DWORD dst_unused:UNUSED_PAD src0_sel:DWORD src1_sel:WORD_1
	global_store_short v0, v1, s[4:5]
	s_or_b32 exec_lo, exec_lo, s30
	s_mov_b32 s30, exec_lo
	v_cmpx_gt_i32_e64 s27, v7
	s_cbranch_execnz .LBB162_482
.LBB162_535:
	s_or_b32 exec_lo, exec_lo, s30
	s_mov_b32 s30, exec_lo
	v_cmpx_gt_i32_e64 s27, v7
	s_cbranch_execz .LBB162_589
.LBB162_536:
	s_andn2_b32 vcc_lo, exec_lo, s24
	s_cbranch_vccnz .LBB162_541
; %bb.537:
	s_andn2_b32 vcc_lo, exec_lo, s29
	s_cbranch_vccnz .LBB162_542
; %bb.538:
	s_add_i32 s33, s28, 1
	s_cmp_eq_u32 s23, 2
	s_cbranch_scc1 .LBB162_597
; %bb.539:
	v_mov_b32_e32 v2, 0
	v_mov_b32_e32 v0, 0
	;; [unrolled: 1-line block ×3, first 2 shown]
	s_and_b32 s31, s33, 28
	s_mov_b32 s34, 0
	s_mov_b64 s[0:1], s[2:3]
	s_mov_b64 s[20:21], s[18:19]
.LBB162_540:                            ; =>This Inner Loop Header: Depth=1
	s_clause 0x1
	s_load_dwordx8 s[36:43], s[0:1], 0x4
	s_load_dwordx4 s[52:55], s[0:1], 0x24
	s_load_dwordx8 s[44:51], s[20:21], 0x0
	s_add_u32 s0, s0, 48
	s_addc_u32 s1, s1, 0
	s_add_i32 s34, s34, 4
	s_add_u32 s20, s20, 32
	s_addc_u32 s21, s21, 0
	s_cmp_eq_u32 s31, s34
	s_waitcnt lgkmcnt(0)
	v_mul_hi_u32 v3, s37, v1
	v_add_nc_u32_e32 v3, v1, v3
	v_lshrrev_b32_e32 v3, s38, v3
	v_mul_hi_u32 v4, s40, v3
	v_mul_lo_u32 v6, v3, s36
	v_add_nc_u32_e32 v4, v3, v4
	v_sub_nc_u32_e32 v1, v1, v6
	v_lshrrev_b32_e32 v4, s41, v4
	v_mul_lo_u32 v6, v1, s44
	v_mul_lo_u32 v9, v1, s45
	v_mul_hi_u32 v5, s43, v4
	v_add_nc_u32_e32 v5, v4, v5
	v_lshrrev_b32_e32 v5, s52, v5
	v_mul_hi_u32 v8, s54, v5
	v_mul_lo_u32 v10, v5, s42
	v_add_nc_u32_e32 v1, v5, v8
	v_mul_lo_u32 v8, v4, s39
	v_sub_nc_u32_e32 v4, v4, v10
	v_lshrrev_b32_e32 v1, s55, v1
	v_mul_lo_u32 v10, v4, s48
	v_mul_lo_u32 v4, v4, s49
	v_sub_nc_u32_e32 v3, v3, v8
	v_mul_lo_u32 v11, v1, s53
	v_mul_lo_u32 v8, v3, s46
	;; [unrolled: 1-line block ×3, first 2 shown]
	v_sub_nc_u32_e32 v5, v5, v11
	v_add3_u32 v0, v6, v0, v8
	v_mul_lo_u32 v11, v5, s50
	v_mul_lo_u32 v5, v5, s51
	v_add3_u32 v2, v9, v2, v3
	v_add3_u32 v0, v10, v0, v11
	;; [unrolled: 1-line block ×3, first 2 shown]
	s_cbranch_scc0 .LBB162_540
	s_branch .LBB162_598
.LBB162_541:
                                        ; implicit-def: $vgpr0
                                        ; implicit-def: $vgpr2
	s_branch .LBB162_602
.LBB162_542:
	v_mov_b32_e32 v0, 0
	v_mov_b32_e32 v2, 0
	s_branch .LBB162_601
.LBB162_543:
	v_mov_b32_e32 v0, 0
	v_mov_b32_e32 v2, 0
	;; [unrolled: 1-line block ×3, first 2 shown]
	s_mov_b32 s31, 0
.LBB162_544:
	s_and_b32 s33, s33, 3
	s_cmp_eq_u32 s33, 0
	s_cbranch_scc1 .LBB162_547
; %bb.545:
	s_lshl_b32 s0, s31, 3
	s_mul_i32 s20, s31, 12
	s_add_u32 s0, s2, s0
	s_addc_u32 s1, s3, 0
	s_add_u32 s0, s0, 0xc4
	s_addc_u32 s1, s1, 0
	;; [unrolled: 2-line block ×3, first 2 shown]
	.p2align	6
.LBB162_546:                            ; =>This Inner Loop Header: Depth=1
	s_clause 0x1
	s_load_dwordx2 s[34:35], s[20:21], 0x4
	s_load_dword s31, s[20:21], 0xc
	s_load_dwordx2 s[36:37], s[0:1], 0x0
	s_add_u32 s20, s20, 12
	s_addc_u32 s21, s21, 0
	s_add_u32 s0, s0, 8
	s_addc_u32 s1, s1, 0
	s_add_i32 s33, s33, -1
	s_cmp_lg_u32 s33, 0
	s_waitcnt lgkmcnt(0)
	v_mul_hi_u32 v3, s35, v1
	v_add_nc_u32_e32 v3, v1, v3
	v_lshrrev_b32_e32 v4, s31, v3
	v_mul_lo_u32 v3, v4, s34
	v_sub_nc_u32_e32 v3, v1, v3
	v_mad_u64_u32 v[0:1], null, v3, s36, v[0:1]
	v_mad_u64_u32 v[2:3], null, v3, s37, v[2:3]
	v_mov_b32_e32 v1, v4
	s_cbranch_scc1 .LBB162_546
.LBB162_547:
	s_cbranch_execnz .LBB162_550
.LBB162_548:
	s_waitcnt lgkmcnt(0)
	v_mul_hi_u32 v0, s13, v7
	s_andn2_b32 vcc_lo, exec_lo, s26
	v_add_nc_u32_e32 v0, v7, v0
	v_lshrrev_b32_e32 v1, s14, v0
	v_mul_lo_u32 v0, v1, s12
	v_sub_nc_u32_e32 v2, v7, v0
	v_mul_lo_u32 v0, v2, s8
	v_mul_lo_u32 v2, v2, s9
	s_cbranch_vccnz .LBB162_550
; %bb.549:
	v_mul_hi_u32 v3, s16, v1
	v_add_nc_u32_e32 v3, v1, v3
	v_lshrrev_b32_e32 v3, s17, v3
	v_mul_lo_u32 v3, v3, s15
	v_sub_nc_u32_e32 v3, v1, v3
	v_mad_u64_u32 v[0:1], null, v3, s10, v[0:1]
	v_mad_u64_u32 v[2:3], null, v3, s11, v[2:3]
.LBB162_550:
	s_waitcnt lgkmcnt(0)
	global_load_ushort v1, v2, s[6:7]
	s_mov_b32 s1, exec_lo
                                        ; implicit-def: $vgpr3
	s_waitcnt vmcnt(0)
	v_lshlrev_b32_e32 v1, 16, v1
	v_and_b32_e32 v2, 0x7fffffff, v1
	v_cmpx_ngt_f32_e64 0x3c800000, |v1|
	s_xor_b32 s1, exec_lo, s1
	s_cbranch_execz .LBB162_580
; %bb.551:
	s_mov_b32 s20, exec_lo
                                        ; implicit-def: $vgpr3
	v_cmpx_nlt_f32_e64 |v1|, 2.0
	s_xor_b32 s20, exec_lo, s20
	s_cbranch_execz .LBB162_561
; %bb.552:
	v_cmp_ngt_f32_e64 s0, 0x41000000, |v1|
                                        ; implicit-def: $vgpr3
	s_and_saveexec_b32 s21, s0
	s_xor_b32 s0, exec_lo, s21
	s_cbranch_execz .LBB162_558
; %bb.553:
	v_cmp_ngt_f32_e64 s21, 0x5c800000, |v1|
                                        ; implicit-def: $vgpr3
	s_and_saveexec_b32 s31, s21
	s_xor_b32 s21, exec_lo, s31
	s_cbranch_execz .LBB162_555
; %bb.554:
	v_cmp_gt_f32_e64 s31, 0x800000, |v1|
	v_cndmask_b32_e64 v3, 0, 32, s31
	v_ldexp_f32 v3, |v1|, v3
	v_log_f32_e32 v3, v3
	v_mul_f32_e32 v4, 0x3f317217, v3
	v_cmp_gt_f32_e64 vcc_lo, 0x7f800000, |v3|
	v_fma_f32 v5, 0x3f317217, v3, -v4
	v_fmamk_f32 v5, v3, 0x3377d1cf, v5
	v_add_f32_e32 v4, v4, v5
	v_cndmask_b32_e32 v3, v3, v4, vcc_lo
	v_cndmask_b32_e64 v4, 0, 0x41b17218, s31
	v_sub_f32_e32 v3, v3, v4
	v_fma_f32 v3, |v1|, v3, -|v1|
.LBB162_555:
	s_andn2_saveexec_b32 s21, s21
	s_cbranch_execz .LBB162_557
; %bb.556:
	v_cmp_gt_f32_e64 s31, 0x800000, |v1|
	v_rcp_f32_e64 v4, |v1|
	s_mov_b32 s33, 0xbad5c4e8
	v_cndmask_b32_e64 v3, 0, 32, s31
	v_ldexp_f32 v3, |v1|, v3
	v_mul_f32_e32 v5, v4, v4
	v_log_f32_e32 v3, v3
	v_fmaak_f32 v8, s33, v5, 0x3a5b3dd2
	v_fmaak_f32 v8, v5, v8, 0xba1c065c
	v_mul_f32_e32 v6, 0x3f317217, v3
	v_fmaak_f32 v8, v5, v8, 0x3a500cfd
	v_cmp_gt_f32_e64 vcc_lo, 0x7f800000, |v3|
	v_fma_f32 v9, 0x3f317217, v3, -v6
	v_fmaak_f32 v8, v5, v8, 0xbb360b61
	v_fmamk_f32 v9, v3, 0x3377d1cf, v9
	v_fmaak_f32 v5, v5, v8, 0x3daaaaab
	v_add_f32_e32 v6, v6, v9
	v_cndmask_b32_e32 v3, v3, v6, vcc_lo
	v_cndmask_b32_e64 v6, 0, 0x41b17218, s31
	v_sub_f32_e32 v6, v3, v6
	v_fmaak_f32 v3, v4, v5, 0x3ed67f1d
	v_add_f32_e64 v4, |v1|, -0.5
	v_add_f32_e32 v5, -1.0, v6
	v_fmac_f32_e32 v3, v4, v5
.LBB162_557:
	s_or_b32 exec_lo, exec_lo, s21
.LBB162_558:
	s_andn2_saveexec_b32 s21, s0
	s_cbranch_execz .LBB162_560
; %bb.559:
	v_cvt_i32_f32_e32 v3, v2
	s_mov_b32 s0, 0x36f5d7bd
	s_mov_b32 s31, 0x3805ff67
	v_cvt_f32_i32_e32 v4, v3
	v_cmp_lt_i32_e32 vcc_lo, 2, v3
	v_sub_f32_e64 v4, |v1|, v4
	v_add_f32_e32 v5, 2.0, v4
	v_add_f32_e32 v6, 0x40400000, v4
	v_add_f32_e32 v8, 4.0, v4
	v_add_f32_e32 v9, 0x40a00000, v4
	v_cndmask_b32_e32 v5, 1.0, v5, vcc_lo
	v_cmp_lt_i32_e32 vcc_lo, 3, v3
	v_cndmask_b32_e32 v6, 1.0, v6, vcc_lo
	v_cmp_lt_i32_e32 vcc_lo, 4, v3
	v_mul_f32_e32 v5, v5, v6
	v_cndmask_b32_e32 v8, 1.0, v8, vcc_lo
	v_cmp_lt_i32_e32 vcc_lo, 5, v3
	v_add_f32_e32 v6, 0x40c00000, v4
	v_mul_f32_e32 v5, v8, v5
	v_cndmask_b32_e32 v9, 1.0, v9, vcc_lo
	v_cmp_lt_i32_e32 vcc_lo, 6, v3
	v_fmaak_f32 v8, s31, v4, 0x3af135b4
	v_mul_f32_e32 v5, v9, v5
	v_cndmask_b32_e32 v3, 1.0, v6, vcc_lo
	v_mul_f32_e32 v3, v3, v5
	v_fmaak_f32 v5, s0, v4, 0x3a4beed6
	v_cmp_gt_f32_e32 vcc_lo, 0x800000, v3
	v_fmaak_f32 v5, v4, v5, 0x3c98bf54
	v_cndmask_b32_e64 v6, 0, 32, vcc_lo
	v_fmaak_f32 v5, v4, v5, 0x3e300f6e
	v_ldexp_f32 v3, v3, v6
	v_fmaak_f32 v6, v4, v8, 0x3cda40e4
	v_fmaak_f32 v5, v4, v5, 0x3f38d0c5
	v_log_f32_e32 v3, v3
	v_fmaak_f32 v6, v4, v6, 0x3e15dce6
	v_fmaak_f32 v5, v4, v5, 0x3fb22d3b
	;; [unrolled: 1-line block ×3, first 2 shown]
	v_fma_f32 v5, v4, v5, 1.0
	v_mul_f32_e32 v8, 0x3f317217, v3
	v_fmaak_f32 v6, v4, v6, 0x3e5c245a
	v_rcp_f32_e32 v5, v5
	v_cmp_gt_f32_e64 s0, 0x7f800000, |v3|
	v_fma_f32 v9, 0x3f317217, v3, -v8
	v_fmaak_f32 v6, v4, v6, 0xbd9e233f
	v_fmamk_f32 v9, v3, 0x3377d1cf, v9
	v_mul_f32_e32 v6, v4, v6
	v_add_f32_e32 v8, v8, v9
	v_mul_f32_e32 v5, v6, v5
	v_cndmask_b32_e64 v6, 0, 0x41b17218, vcc_lo
	v_cndmask_b32_e64 v3, v3, v8, s0
	v_fmac_f32_e32 v5, 0.5, v4
	v_sub_f32_e32 v3, v3, v6
	v_add_f32_e32 v3, v3, v5
.LBB162_560:
	s_or_b32 exec_lo, exec_lo, s21
.LBB162_561:
	s_andn2_saveexec_b32 s20, s20
	s_cbranch_execz .LBB162_579
; %bb.562:
	s_mov_b32 s21, exec_lo
                                        ; implicit-def: $vgpr3
                                        ; implicit-def: $vgpr5
                                        ; implicit-def: $vgpr4
	v_cmpx_ge_f32_e64 0x3f666666, |v1|
	s_xor_b32 s21, exec_lo, s21
	s_cbranch_execz .LBB162_564
; %bb.563:
	v_cmp_gt_f32_e64 s0, 0x800000, |v1|
	v_sub_f32_e64 v6, 1.0, |v1|
	v_cmp_gt_f32_e64 vcc_lo, 0x3f3b4a23, |v1|
	v_cndmask_b32_e64 v3, 0, 32, s0
	v_cndmask_b32_e64 v8, 0, 0x41b17218, s0
	v_ldexp_f32 v3, |v1|, v3
	v_log_f32_e32 v3, v3
	v_mul_f32_e32 v4, 0x3f317217, v3
	v_cmp_gt_f32_e64 s0, 0x7f800000, |v3|
	v_fma_f32 v5, 0x3f317217, v3, -v4
	v_fmamk_f32 v5, v3, 0x3377d1cf, v5
	v_add_f32_e32 v4, v4, v5
	v_add_f32_e64 v5, 0xbeec5b0c, |v1|
	v_cndmask_b32_e64 v3, v3, v4, s0
	v_cndmask_b32_e32 v4, v6, v5, vcc_lo
	v_cndmask_b32_e64 v5, 0, 1, vcc_lo
	v_cmp_gt_f32_e64 s0, 0x3e6d3309, |v1|
	v_sub_f32_e32 v3, v3, v8
	v_cndmask_b32_e64 v4, v4, |v1|, s0
	v_cndmask_b32_e64 v5, v5, 2, s0
	v_xor_b32_e32 v3, 0x80000000, v3
.LBB162_564:
	s_andn2_saveexec_b32 s0, s21
	s_cbranch_execz .LBB162_566
; %bb.565:
	v_sub_f32_e64 v3, 2.0, |v1|
	v_add_f32_e64 v4, 0xbfbb16c3, |v1|
	v_cmp_gt_f32_e64 vcc_lo, 0x3fdda512, |v1|
	v_add_f32_e64 v5, |v1|, -1.0
	v_cndmask_b32_e32 v4, v3, v4, vcc_lo
	v_cndmask_b32_e64 v3, v3, 1.0, vcc_lo
	v_cmp_gt_f32_e64 vcc_lo, 0x3f9d70a4, |v1|
	v_cvt_i32_f32_e32 v3, v3
	v_cndmask_b32_e32 v4, v4, v5, vcc_lo
	v_cndmask_b32_e64 v5, v3, 2, vcc_lo
	v_mov_b32_e32 v3, 0
.LBB162_566:
	s_or_b32 exec_lo, exec_lo, s0
	s_mov_b32 s0, exec_lo
	v_cmpx_lt_i32_e32 0, v5
	s_xor_b32 s0, exec_lo, s0
	s_cbranch_execz .LBB162_574
; %bb.567:
	s_mov_b32 s21, exec_lo
	v_cmpx_lt_i32_e32 1, v5
	s_xor_b32 s21, exec_lo, s21
	s_cbranch_execz .LBB162_571
; %bb.568:
	s_mov_b32 s31, exec_lo
	v_cmpx_eq_u32_e32 2, v5
	s_cbranch_execz .LBB162_570
; %bb.569:
	s_mov_b32 s33, 0x3b52d5db
	v_fmaak_f32 v5, s33, v4, 0x3dd572af
	s_mov_b32 s33, 0x3c5b3c5e
	v_fmaak_f32 v6, s33, v4, 0x3e6a7578
	v_fmaak_f32 v5, v4, v5, 0x3f44efdf
	;; [unrolled: 1-line block ×7, first 2 shown]
	v_fma_f32 v5, v4, v5, 1.0
	v_fmaak_f32 v6, v4, v6, 0xbd9e233f
	v_rcp_f32_e32 v5, v5
	v_mul_f32_e32 v6, v4, v6
	v_mul_f32_e32 v5, v6, v5
	v_fmac_f32_e32 v5, -0.5, v4
	v_add_f32_e32 v3, v3, v5
.LBB162_570:
	s_or_b32 exec_lo, exec_lo, s31
                                        ; implicit-def: $vgpr4
.LBB162_571:
	s_andn2_saveexec_b32 s21, s21
	s_cbranch_execz .LBB162_573
; %bb.572:
	v_mul_f32_e32 v5, v4, v4
	s_mov_b32 s31, 0xb9a3f927
	s_mov_b32 s33, 0x39afe9f7
	v_mul_f32_e32 v6, v4, v5
	v_fmaak_f32 v8, s31, v6, 0x3a66f867
	v_fmaak_f32 v9, s33, v6, 0xba0d3085
	s_mov_b32 s31, 0x39a57b6b
	v_fmaak_f32 v10, s31, v6, 0xbab7f476
	v_fmaak_f32 v8, v6, v8, 0xbb7177fe
	v_fmaak_f32 v9, v6, v9, 0x3b141699
	v_fmaak_f32 v10, v6, v10, 0x3bc7e707
	v_fmaak_f32 v8, v6, v8, 0x3c93373d
	v_fmaak_f32 v9, v6, v9, 0xbc28fcfe
	v_fmaak_f32 v10, v6, v10, 0xbd064d47
	v_fmaak_f32 v8, v6, v8, 0xbe17213c
	v_fmaak_f32 v9, v6, v9, 0x3d845a15
	v_fmac_f32_e32 v8, v4, v9
	v_fmaak_f32 v4, v6, v10, 0x3ef7b95e
	v_fma_f32 v6, v6, -v8, 0xa2863e55
	v_fma_f32 v4, v5, v4, -v6
	v_add_f32_e32 v4, 0xbdf8cdce, v4
	v_add_f32_e32 v3, v3, v4
.LBB162_573:
	s_or_b32 exec_lo, exec_lo, s21
                                        ; implicit-def: $vgpr5
                                        ; implicit-def: $vgpr4
.LBB162_574:
	s_andn2_saveexec_b32 s0, s0
	s_cbranch_execz .LBB162_578
; %bb.575:
	s_mov_b32 s21, exec_lo
	v_cmpx_eq_u32_e32 0, v5
	s_cbranch_execz .LBB162_577
; %bb.576:
	v_mul_f32_e32 v5, v4, v4
	s_mov_b32 s31, 0x383c2c75
	v_fmaak_f32 v6, s31, v5, 0x38e28445
	s_mov_b32 s31, 0x37d383a2
	v_fmaak_f32 v8, s31, v5, 0x39679767
	v_fmaak_f32 v6, v5, v6, 0x3a05b634
	;; [unrolled: 1-line block ×9, first 2 shown]
	v_mul_f32_e32 v5, v5, v6
	v_fmac_f32_e32 v5, v4, v8
	v_fmac_f32_e32 v5, -0.5, v4
	v_add_f32_e32 v3, v3, v5
.LBB162_577:
	s_or_b32 exec_lo, exec_lo, s21
.LBB162_578:
	s_or_b32 exec_lo, exec_lo, s0
.LBB162_579:
	s_or_b32 exec_lo, exec_lo, s20
.LBB162_580:
	s_andn2_saveexec_b32 s0, s1
	s_cbranch_execz .LBB162_582
; %bb.581:
	v_cmp_gt_f32_e64 s1, 0x800000, |v1|
	s_mov_b32 s20, 0x3e8a8991
	v_fma_f32 v6, |v1|, s20, 0xbecd26ab
	v_cndmask_b32_e64 v3, 0, 32, s1
	v_ldexp_f32 v3, |v1|, v3
	v_log_f32_e32 v3, v3
	v_mul_f32_e32 v4, 0x3f317217, v3
	v_cmp_gt_f32_e64 vcc_lo, 0x7f800000, |v3|
	v_fma_f32 v5, 0x3f317217, v3, -v4
	v_fmamk_f32 v5, v3, 0x3377d1cf, v5
	v_add_f32_e32 v4, v4, v5
	v_fma_f32 v5, |v1|, v6, 0x3f528d33
	v_cndmask_b32_e32 v3, v3, v4, vcc_lo
	v_cndmask_b32_e64 v4, 0, 0x41b17218, s1
	v_fma_f32 v5, |v1|, v5, 0xbf13c468
	v_sub_f32_e32 v3, v3, v4
	v_fma_f32 v3, |v1|, v5, -v3
.LBB162_582:
	s_or_b32 exec_lo, exec_lo, s0
	v_cmp_le_f32_e32 vcc_lo, 0, v1
	s_mov_b32 s1, exec_lo
	v_cmpx_nle_f32_e32 0, v1
	s_xor_b32 s20, exec_lo, s1
	s_cbranch_execz .LBB162_586
; %bb.583:
	v_cmp_gt_f32_e64 s0, 0x4b000000, |v1|
	v_cmp_lt_f32_e64 s1, 0x35000000, |v1|
	s_and_b32 s0, s0, s1
	s_and_saveexec_b32 s21, s0
	s_cbranch_execz .LBB162_585
; %bb.584:
	v_mul_f32_e64 v4, |v1|, 0.5
	s_mov_b32 s1, 0x3d4be544
	v_floor_f32_e32 v5, v4
	v_cmp_neq_f32_e64 s0, 0x7f800000, v4
	v_sub_f32_e32 v5, v4, v5
	v_min_f32_e32 v5, 0x3f7fffff, v5
	v_add_f32_e32 v5, v5, v5
	v_cndmask_b32_e64 v4, 0, v5, s0
	v_cmp_gt_f32_e64 s0, |v1|, 1.0
	v_cndmask_b32_e64 v4, |v1|, v4, s0
	s_mov_b32 s0, 0x3e75aa41
	v_add_f32_e32 v5, v4, v4
	v_rndne_f32_e32 v5, v5
	v_fmac_f32_e32 v4, -0.5, v5
	v_cvt_i32_f32_e32 v5, v5
	v_mul_f32_e32 v6, v4, v4
	v_fmaak_f32 v8, s0, v6, 0xbf1f24be
	v_fmaak_f32 v9, s1, v6, 0x3e642e9d
	v_mul_f32_e32 v10, v4, v6
	v_fmaak_f32 v8, v6, v8, 0x40234736
	v_fmaak_f32 v9, v6, v9, 0xbfaad1da
	;; [unrolled: 1-line block ×4, first 2 shown]
	v_mul_f32_e32 v8, v10, v8
	v_fmaak_f32 v9, v6, v9, 0xc09de9e6
	v_and_b32_e32 v10, 1, v5
	v_lshlrev_b32_e32 v5, 30, v5
	v_fmamk_f32 v4, v4, 0x40490fdb, v8
	v_fma_f32 v6, v6, v9, 1.0
	v_cmp_eq_u32_e64 s0, 0, v10
	v_and_or_b32 v2, 0x80000000, v5, v2
	v_cndmask_b32_e64 v4, v6, v4, s0
	v_xor3_b32 v2, v2, v4, v1
	v_mul_f32_e32 v2, v1, v2
	v_frexp_mant_f32_e64 v4, |v2|
	v_frexp_exp_i32_f32_e32 v2, v2
	v_rcp_f32_e32 v4, v4
	v_sub_nc_u32_e32 v2, 2, v2
	v_mul_f32_e32 v4, 0x3f490fdb, v4
	v_ldexp_f32 v2, v4, v2
	v_cmp_gt_f32_e64 s0, 0x800000, v2
	v_cndmask_b32_e64 v4, 0, 32, s0
	v_ldexp_f32 v2, v2, v4
	v_log_f32_e32 v2, v2
	v_mul_f32_e32 v4, 0x3f317217, v2
	v_cmp_gt_f32_e64 s1, 0x7f800000, |v2|
	v_fma_f32 v5, 0x3f317217, v2, -v4
	v_fmamk_f32 v5, v2, 0x3377d1cf, v5
	v_add_f32_e32 v4, v4, v5
	v_floor_f32_e32 v5, v1
	v_cndmask_b32_e64 v2, v2, v4, s1
	v_cndmask_b32_e64 v4, 0, 0x41b17218, s0
	v_sub_f32_e32 v5, v1, v5
	v_sub_f32_e32 v2, v2, v4
	v_min_f32_e32 v4, 0x3f7fffff, v5
	v_sub_f32_e32 v2, v2, v3
	v_cmp_neq_f32_e64 s0, 0, v4
	v_cndmask_b32_e64 v3, 0x7f800000, v2, s0
.LBB162_585:
	s_or_b32 exec_lo, exec_lo, s21
.LBB162_586:
	s_andn2_saveexec_b32 s20, s20
; %bb.587:
	v_cmp_eq_f32_e64 s0, 1.0, v1
	v_cmp_eq_f32_e64 s1, 2.0, v1
	s_or_b32 s0, s0, s1
	v_cndmask_b32_e64 v3, v3, 0, s0
; %bb.588:
	s_or_b32 exec_lo, exec_lo, s20
	v_cmp_gt_f32_e64 s0, 0x4b000000, |v1|
	v_add_nc_u32_e32 v7, 0x80, v7
	s_or_b32 vcc_lo, vcc_lo, s0
	v_cmp_class_f32_e64 s0, v1, 0x264
	v_cndmask_b32_e32 v2, 0x7f800000, v3, vcc_lo
	v_cmp_u_f32_e32 vcc_lo, v1, v1
	v_cndmask_b32_e64 v2, v2, 0x7f800000, s0
	v_cndmask_b32_e32 v1, v2, v1, vcc_lo
	v_bfe_u32 v2, v1, 16, 1
	v_cmp_o_f32_e32 vcc_lo, v1, v1
	v_add3_u32 v1, v1, v2, 0x7fff
	v_mov_b32_e32 v2, 0x7fc0
	v_cndmask_b32_sdwa v1, v2, v1, vcc_lo dst_sel:DWORD dst_unused:UNUSED_PAD src0_sel:DWORD src1_sel:WORD_1
	global_store_short v0, v1, s[4:5]
	s_or_b32 exec_lo, exec_lo, s30
	s_mov_b32 s30, exec_lo
	v_cmpx_gt_i32_e64 s27, v7
	s_cbranch_execnz .LBB162_536
.LBB162_589:
	s_or_b32 exec_lo, exec_lo, s30
	s_mov_b32 s30, exec_lo
	v_cmpx_gt_i32_e64 s27, v7
	s_cbranch_execz .LBB162_643
.LBB162_590:
	s_andn2_b32 vcc_lo, exec_lo, s24
	s_cbranch_vccnz .LBB162_595
; %bb.591:
	s_andn2_b32 vcc_lo, exec_lo, s29
	s_cbranch_vccnz .LBB162_596
; %bb.592:
	s_add_i32 s33, s28, 1
	s_cmp_eq_u32 s23, 2
	s_cbranch_scc1 .LBB162_651
; %bb.593:
	v_mov_b32_e32 v2, 0
	v_mov_b32_e32 v0, 0
	;; [unrolled: 1-line block ×3, first 2 shown]
	s_and_b32 s31, s33, 28
	s_mov_b32 s34, 0
	s_mov_b64 s[0:1], s[2:3]
	s_mov_b64 s[20:21], s[18:19]
.LBB162_594:                            ; =>This Inner Loop Header: Depth=1
	s_clause 0x1
	s_load_dwordx8 s[36:43], s[0:1], 0x4
	s_load_dwordx4 s[52:55], s[0:1], 0x24
	s_load_dwordx8 s[44:51], s[20:21], 0x0
	s_add_u32 s0, s0, 48
	s_addc_u32 s1, s1, 0
	s_add_i32 s34, s34, 4
	s_add_u32 s20, s20, 32
	s_addc_u32 s21, s21, 0
	s_cmp_eq_u32 s31, s34
	s_waitcnt lgkmcnt(0)
	v_mul_hi_u32 v3, s37, v1
	v_add_nc_u32_e32 v3, v1, v3
	v_lshrrev_b32_e32 v3, s38, v3
	v_mul_hi_u32 v4, s40, v3
	v_mul_lo_u32 v6, v3, s36
	v_add_nc_u32_e32 v4, v3, v4
	v_sub_nc_u32_e32 v1, v1, v6
	v_lshrrev_b32_e32 v4, s41, v4
	v_mul_lo_u32 v6, v1, s44
	v_mul_lo_u32 v9, v1, s45
	v_mul_hi_u32 v5, s43, v4
	v_add_nc_u32_e32 v5, v4, v5
	v_lshrrev_b32_e32 v5, s52, v5
	v_mul_hi_u32 v8, s54, v5
	v_mul_lo_u32 v10, v5, s42
	v_add_nc_u32_e32 v1, v5, v8
	v_mul_lo_u32 v8, v4, s39
	v_sub_nc_u32_e32 v4, v4, v10
	v_lshrrev_b32_e32 v1, s55, v1
	v_mul_lo_u32 v10, v4, s48
	v_mul_lo_u32 v4, v4, s49
	v_sub_nc_u32_e32 v3, v3, v8
	v_mul_lo_u32 v11, v1, s53
	v_mul_lo_u32 v8, v3, s46
	;; [unrolled: 1-line block ×3, first 2 shown]
	v_sub_nc_u32_e32 v5, v5, v11
	v_add3_u32 v0, v6, v0, v8
	v_mul_lo_u32 v11, v5, s50
	v_mul_lo_u32 v5, v5, s51
	v_add3_u32 v2, v9, v2, v3
	v_add3_u32 v0, v10, v0, v11
	;; [unrolled: 1-line block ×3, first 2 shown]
	s_cbranch_scc0 .LBB162_594
	s_branch .LBB162_652
.LBB162_595:
                                        ; implicit-def: $vgpr0
                                        ; implicit-def: $vgpr2
	s_branch .LBB162_656
.LBB162_596:
	v_mov_b32_e32 v0, 0
	v_mov_b32_e32 v2, 0
	s_branch .LBB162_655
.LBB162_597:
	v_mov_b32_e32 v0, 0
	v_mov_b32_e32 v2, 0
	;; [unrolled: 1-line block ×3, first 2 shown]
	s_mov_b32 s31, 0
.LBB162_598:
	s_and_b32 s33, s33, 3
	s_cmp_eq_u32 s33, 0
	s_cbranch_scc1 .LBB162_601
; %bb.599:
	s_lshl_b32 s0, s31, 3
	s_mul_i32 s20, s31, 12
	s_add_u32 s0, s2, s0
	s_addc_u32 s1, s3, 0
	s_add_u32 s0, s0, 0xc4
	s_addc_u32 s1, s1, 0
	;; [unrolled: 2-line block ×3, first 2 shown]
	.p2align	6
.LBB162_600:                            ; =>This Inner Loop Header: Depth=1
	s_clause 0x1
	s_load_dwordx2 s[34:35], s[20:21], 0x4
	s_load_dword s31, s[20:21], 0xc
	s_load_dwordx2 s[36:37], s[0:1], 0x0
	s_add_u32 s20, s20, 12
	s_addc_u32 s21, s21, 0
	s_add_u32 s0, s0, 8
	s_addc_u32 s1, s1, 0
	s_add_i32 s33, s33, -1
	s_cmp_lg_u32 s33, 0
	s_waitcnt lgkmcnt(0)
	v_mul_hi_u32 v3, s35, v1
	v_add_nc_u32_e32 v3, v1, v3
	v_lshrrev_b32_e32 v4, s31, v3
	v_mul_lo_u32 v3, v4, s34
	v_sub_nc_u32_e32 v3, v1, v3
	v_mad_u64_u32 v[0:1], null, v3, s36, v[0:1]
	v_mad_u64_u32 v[2:3], null, v3, s37, v[2:3]
	v_mov_b32_e32 v1, v4
	s_cbranch_scc1 .LBB162_600
.LBB162_601:
	s_cbranch_execnz .LBB162_604
.LBB162_602:
	s_waitcnt lgkmcnt(0)
	v_mul_hi_u32 v0, s13, v7
	s_andn2_b32 vcc_lo, exec_lo, s26
	v_add_nc_u32_e32 v0, v7, v0
	v_lshrrev_b32_e32 v1, s14, v0
	v_mul_lo_u32 v0, v1, s12
	v_sub_nc_u32_e32 v2, v7, v0
	v_mul_lo_u32 v0, v2, s8
	v_mul_lo_u32 v2, v2, s9
	s_cbranch_vccnz .LBB162_604
; %bb.603:
	v_mul_hi_u32 v3, s16, v1
	v_add_nc_u32_e32 v3, v1, v3
	v_lshrrev_b32_e32 v3, s17, v3
	v_mul_lo_u32 v3, v3, s15
	v_sub_nc_u32_e32 v3, v1, v3
	v_mad_u64_u32 v[0:1], null, v3, s10, v[0:1]
	v_mad_u64_u32 v[2:3], null, v3, s11, v[2:3]
.LBB162_604:
	s_waitcnt lgkmcnt(0)
	global_load_ushort v1, v2, s[6:7]
	s_mov_b32 s1, exec_lo
                                        ; implicit-def: $vgpr3
	s_waitcnt vmcnt(0)
	v_lshlrev_b32_e32 v1, 16, v1
	v_and_b32_e32 v2, 0x7fffffff, v1
	v_cmpx_ngt_f32_e64 0x3c800000, |v1|
	s_xor_b32 s1, exec_lo, s1
	s_cbranch_execz .LBB162_634
; %bb.605:
	s_mov_b32 s20, exec_lo
                                        ; implicit-def: $vgpr3
	v_cmpx_nlt_f32_e64 |v1|, 2.0
	s_xor_b32 s20, exec_lo, s20
	s_cbranch_execz .LBB162_615
; %bb.606:
	v_cmp_ngt_f32_e64 s0, 0x41000000, |v1|
                                        ; implicit-def: $vgpr3
	s_and_saveexec_b32 s21, s0
	s_xor_b32 s0, exec_lo, s21
	s_cbranch_execz .LBB162_612
; %bb.607:
	v_cmp_ngt_f32_e64 s21, 0x5c800000, |v1|
                                        ; implicit-def: $vgpr3
	s_and_saveexec_b32 s31, s21
	s_xor_b32 s21, exec_lo, s31
	s_cbranch_execz .LBB162_609
; %bb.608:
	v_cmp_gt_f32_e64 s31, 0x800000, |v1|
	v_cndmask_b32_e64 v3, 0, 32, s31
	v_ldexp_f32 v3, |v1|, v3
	v_log_f32_e32 v3, v3
	v_mul_f32_e32 v4, 0x3f317217, v3
	v_cmp_gt_f32_e64 vcc_lo, 0x7f800000, |v3|
	v_fma_f32 v5, 0x3f317217, v3, -v4
	v_fmamk_f32 v5, v3, 0x3377d1cf, v5
	v_add_f32_e32 v4, v4, v5
	v_cndmask_b32_e32 v3, v3, v4, vcc_lo
	v_cndmask_b32_e64 v4, 0, 0x41b17218, s31
	v_sub_f32_e32 v3, v3, v4
	v_fma_f32 v3, |v1|, v3, -|v1|
.LBB162_609:
	s_andn2_saveexec_b32 s21, s21
	s_cbranch_execz .LBB162_611
; %bb.610:
	v_cmp_gt_f32_e64 s31, 0x800000, |v1|
	v_rcp_f32_e64 v4, |v1|
	s_mov_b32 s33, 0xbad5c4e8
	v_cndmask_b32_e64 v3, 0, 32, s31
	v_ldexp_f32 v3, |v1|, v3
	v_mul_f32_e32 v5, v4, v4
	v_log_f32_e32 v3, v3
	v_fmaak_f32 v8, s33, v5, 0x3a5b3dd2
	v_fmaak_f32 v8, v5, v8, 0xba1c065c
	v_mul_f32_e32 v6, 0x3f317217, v3
	v_fmaak_f32 v8, v5, v8, 0x3a500cfd
	v_cmp_gt_f32_e64 vcc_lo, 0x7f800000, |v3|
	v_fma_f32 v9, 0x3f317217, v3, -v6
	v_fmaak_f32 v8, v5, v8, 0xbb360b61
	v_fmamk_f32 v9, v3, 0x3377d1cf, v9
	v_fmaak_f32 v5, v5, v8, 0x3daaaaab
	v_add_f32_e32 v6, v6, v9
	v_cndmask_b32_e32 v3, v3, v6, vcc_lo
	v_cndmask_b32_e64 v6, 0, 0x41b17218, s31
	v_sub_f32_e32 v6, v3, v6
	v_fmaak_f32 v3, v4, v5, 0x3ed67f1d
	v_add_f32_e64 v4, |v1|, -0.5
	v_add_f32_e32 v5, -1.0, v6
	v_fmac_f32_e32 v3, v4, v5
.LBB162_611:
	s_or_b32 exec_lo, exec_lo, s21
.LBB162_612:
	s_andn2_saveexec_b32 s21, s0
	s_cbranch_execz .LBB162_614
; %bb.613:
	v_cvt_i32_f32_e32 v3, v2
	s_mov_b32 s0, 0x36f5d7bd
	s_mov_b32 s31, 0x3805ff67
	v_cvt_f32_i32_e32 v4, v3
	v_cmp_lt_i32_e32 vcc_lo, 2, v3
	v_sub_f32_e64 v4, |v1|, v4
	v_add_f32_e32 v5, 2.0, v4
	v_add_f32_e32 v6, 0x40400000, v4
	v_add_f32_e32 v8, 4.0, v4
	v_add_f32_e32 v9, 0x40a00000, v4
	v_cndmask_b32_e32 v5, 1.0, v5, vcc_lo
	v_cmp_lt_i32_e32 vcc_lo, 3, v3
	v_cndmask_b32_e32 v6, 1.0, v6, vcc_lo
	v_cmp_lt_i32_e32 vcc_lo, 4, v3
	v_mul_f32_e32 v5, v5, v6
	v_cndmask_b32_e32 v8, 1.0, v8, vcc_lo
	v_cmp_lt_i32_e32 vcc_lo, 5, v3
	v_add_f32_e32 v6, 0x40c00000, v4
	v_mul_f32_e32 v5, v8, v5
	v_cndmask_b32_e32 v9, 1.0, v9, vcc_lo
	v_cmp_lt_i32_e32 vcc_lo, 6, v3
	v_fmaak_f32 v8, s31, v4, 0x3af135b4
	v_mul_f32_e32 v5, v9, v5
	v_cndmask_b32_e32 v3, 1.0, v6, vcc_lo
	v_mul_f32_e32 v3, v3, v5
	v_fmaak_f32 v5, s0, v4, 0x3a4beed6
	v_cmp_gt_f32_e32 vcc_lo, 0x800000, v3
	v_fmaak_f32 v5, v4, v5, 0x3c98bf54
	v_cndmask_b32_e64 v6, 0, 32, vcc_lo
	v_fmaak_f32 v5, v4, v5, 0x3e300f6e
	v_ldexp_f32 v3, v3, v6
	v_fmaak_f32 v6, v4, v8, 0x3cda40e4
	v_fmaak_f32 v5, v4, v5, 0x3f38d0c5
	v_log_f32_e32 v3, v3
	v_fmaak_f32 v6, v4, v6, 0x3e15dce6
	v_fmaak_f32 v5, v4, v5, 0x3fb22d3b
	;; [unrolled: 1-line block ×3, first 2 shown]
	v_fma_f32 v5, v4, v5, 1.0
	v_mul_f32_e32 v8, 0x3f317217, v3
	v_fmaak_f32 v6, v4, v6, 0x3e5c245a
	v_rcp_f32_e32 v5, v5
	v_cmp_gt_f32_e64 s0, 0x7f800000, |v3|
	v_fma_f32 v9, 0x3f317217, v3, -v8
	v_fmaak_f32 v6, v4, v6, 0xbd9e233f
	v_fmamk_f32 v9, v3, 0x3377d1cf, v9
	v_mul_f32_e32 v6, v4, v6
	v_add_f32_e32 v8, v8, v9
	v_mul_f32_e32 v5, v6, v5
	v_cndmask_b32_e64 v6, 0, 0x41b17218, vcc_lo
	v_cndmask_b32_e64 v3, v3, v8, s0
	v_fmac_f32_e32 v5, 0.5, v4
	v_sub_f32_e32 v3, v3, v6
	v_add_f32_e32 v3, v3, v5
.LBB162_614:
	s_or_b32 exec_lo, exec_lo, s21
.LBB162_615:
	s_andn2_saveexec_b32 s20, s20
	s_cbranch_execz .LBB162_633
; %bb.616:
	s_mov_b32 s21, exec_lo
                                        ; implicit-def: $vgpr3
                                        ; implicit-def: $vgpr5
                                        ; implicit-def: $vgpr4
	v_cmpx_ge_f32_e64 0x3f666666, |v1|
	s_xor_b32 s21, exec_lo, s21
	s_cbranch_execz .LBB162_618
; %bb.617:
	v_cmp_gt_f32_e64 s0, 0x800000, |v1|
	v_sub_f32_e64 v6, 1.0, |v1|
	v_cmp_gt_f32_e64 vcc_lo, 0x3f3b4a23, |v1|
	v_cndmask_b32_e64 v3, 0, 32, s0
	v_cndmask_b32_e64 v8, 0, 0x41b17218, s0
	v_ldexp_f32 v3, |v1|, v3
	v_log_f32_e32 v3, v3
	v_mul_f32_e32 v4, 0x3f317217, v3
	v_cmp_gt_f32_e64 s0, 0x7f800000, |v3|
	v_fma_f32 v5, 0x3f317217, v3, -v4
	v_fmamk_f32 v5, v3, 0x3377d1cf, v5
	v_add_f32_e32 v4, v4, v5
	v_add_f32_e64 v5, 0xbeec5b0c, |v1|
	v_cndmask_b32_e64 v3, v3, v4, s0
	v_cndmask_b32_e32 v4, v6, v5, vcc_lo
	v_cndmask_b32_e64 v5, 0, 1, vcc_lo
	v_cmp_gt_f32_e64 s0, 0x3e6d3309, |v1|
	v_sub_f32_e32 v3, v3, v8
	v_cndmask_b32_e64 v4, v4, |v1|, s0
	v_cndmask_b32_e64 v5, v5, 2, s0
	v_xor_b32_e32 v3, 0x80000000, v3
.LBB162_618:
	s_andn2_saveexec_b32 s0, s21
	s_cbranch_execz .LBB162_620
; %bb.619:
	v_sub_f32_e64 v3, 2.0, |v1|
	v_add_f32_e64 v4, 0xbfbb16c3, |v1|
	v_cmp_gt_f32_e64 vcc_lo, 0x3fdda512, |v1|
	v_add_f32_e64 v5, |v1|, -1.0
	v_cndmask_b32_e32 v4, v3, v4, vcc_lo
	v_cndmask_b32_e64 v3, v3, 1.0, vcc_lo
	v_cmp_gt_f32_e64 vcc_lo, 0x3f9d70a4, |v1|
	v_cvt_i32_f32_e32 v3, v3
	v_cndmask_b32_e32 v4, v4, v5, vcc_lo
	v_cndmask_b32_e64 v5, v3, 2, vcc_lo
	v_mov_b32_e32 v3, 0
.LBB162_620:
	s_or_b32 exec_lo, exec_lo, s0
	s_mov_b32 s0, exec_lo
	v_cmpx_lt_i32_e32 0, v5
	s_xor_b32 s0, exec_lo, s0
	s_cbranch_execz .LBB162_628
; %bb.621:
	s_mov_b32 s21, exec_lo
	v_cmpx_lt_i32_e32 1, v5
	s_xor_b32 s21, exec_lo, s21
	s_cbranch_execz .LBB162_625
; %bb.622:
	s_mov_b32 s31, exec_lo
	v_cmpx_eq_u32_e32 2, v5
	s_cbranch_execz .LBB162_624
; %bb.623:
	s_mov_b32 s33, 0x3b52d5db
	v_fmaak_f32 v5, s33, v4, 0x3dd572af
	s_mov_b32 s33, 0x3c5b3c5e
	v_fmaak_f32 v6, s33, v4, 0x3e6a7578
	v_fmaak_f32 v5, v4, v5, 0x3f44efdf
	;; [unrolled: 1-line block ×7, first 2 shown]
	v_fma_f32 v5, v4, v5, 1.0
	v_fmaak_f32 v6, v4, v6, 0xbd9e233f
	v_rcp_f32_e32 v5, v5
	v_mul_f32_e32 v6, v4, v6
	v_mul_f32_e32 v5, v6, v5
	v_fmac_f32_e32 v5, -0.5, v4
	v_add_f32_e32 v3, v3, v5
.LBB162_624:
	s_or_b32 exec_lo, exec_lo, s31
                                        ; implicit-def: $vgpr4
.LBB162_625:
	s_andn2_saveexec_b32 s21, s21
	s_cbranch_execz .LBB162_627
; %bb.626:
	v_mul_f32_e32 v5, v4, v4
	s_mov_b32 s31, 0xb9a3f927
	s_mov_b32 s33, 0x39afe9f7
	v_mul_f32_e32 v6, v4, v5
	v_fmaak_f32 v8, s31, v6, 0x3a66f867
	v_fmaak_f32 v9, s33, v6, 0xba0d3085
	s_mov_b32 s31, 0x39a57b6b
	v_fmaak_f32 v10, s31, v6, 0xbab7f476
	v_fmaak_f32 v8, v6, v8, 0xbb7177fe
	;; [unrolled: 1-line block ×9, first 2 shown]
	v_fmac_f32_e32 v8, v4, v9
	v_fmaak_f32 v4, v6, v10, 0x3ef7b95e
	v_fma_f32 v6, v6, -v8, 0xa2863e55
	v_fma_f32 v4, v5, v4, -v6
	v_add_f32_e32 v4, 0xbdf8cdce, v4
	v_add_f32_e32 v3, v3, v4
.LBB162_627:
	s_or_b32 exec_lo, exec_lo, s21
                                        ; implicit-def: $vgpr5
                                        ; implicit-def: $vgpr4
.LBB162_628:
	s_andn2_saveexec_b32 s0, s0
	s_cbranch_execz .LBB162_632
; %bb.629:
	s_mov_b32 s21, exec_lo
	v_cmpx_eq_u32_e32 0, v5
	s_cbranch_execz .LBB162_631
; %bb.630:
	v_mul_f32_e32 v5, v4, v4
	s_mov_b32 s31, 0x383c2c75
	v_fmaak_f32 v6, s31, v5, 0x38e28445
	s_mov_b32 s31, 0x37d383a2
	v_fmaak_f32 v8, s31, v5, 0x39679767
	v_fmaak_f32 v6, v5, v6, 0x3a05b634
	v_fmaak_f32 v8, v5, v8, 0x3a9c54a1
	v_fmaak_f32 v6, v5, v6, 0x3b3d6ec6
	v_fmaak_f32 v8, v5, v8, 0x3bf2027e
	v_fmaak_f32 v6, v5, v6, 0x3ca89915
	v_fmaak_f32 v8, v5, v8, 0x3d89f001
	v_fmaak_f32 v6, v5, v6, 0x3ea51a66
	v_fmaak_f32 v8, v5, v8, 0x3d9e233f
	v_mul_f32_e32 v5, v5, v6
	v_fmac_f32_e32 v5, v4, v8
	v_fmac_f32_e32 v5, -0.5, v4
	v_add_f32_e32 v3, v3, v5
.LBB162_631:
	s_or_b32 exec_lo, exec_lo, s21
.LBB162_632:
	s_or_b32 exec_lo, exec_lo, s0
.LBB162_633:
	s_or_b32 exec_lo, exec_lo, s20
.LBB162_634:
	s_andn2_saveexec_b32 s0, s1
	s_cbranch_execz .LBB162_636
; %bb.635:
	v_cmp_gt_f32_e64 s1, 0x800000, |v1|
	s_mov_b32 s20, 0x3e8a8991
	v_fma_f32 v6, |v1|, s20, 0xbecd26ab
	v_cndmask_b32_e64 v3, 0, 32, s1
	v_ldexp_f32 v3, |v1|, v3
	v_log_f32_e32 v3, v3
	v_mul_f32_e32 v4, 0x3f317217, v3
	v_cmp_gt_f32_e64 vcc_lo, 0x7f800000, |v3|
	v_fma_f32 v5, 0x3f317217, v3, -v4
	v_fmamk_f32 v5, v3, 0x3377d1cf, v5
	v_add_f32_e32 v4, v4, v5
	v_fma_f32 v5, |v1|, v6, 0x3f528d33
	v_cndmask_b32_e32 v3, v3, v4, vcc_lo
	v_cndmask_b32_e64 v4, 0, 0x41b17218, s1
	v_fma_f32 v5, |v1|, v5, 0xbf13c468
	v_sub_f32_e32 v3, v3, v4
	v_fma_f32 v3, |v1|, v5, -v3
.LBB162_636:
	s_or_b32 exec_lo, exec_lo, s0
	v_cmp_le_f32_e32 vcc_lo, 0, v1
	s_mov_b32 s1, exec_lo
	v_cmpx_nle_f32_e32 0, v1
	s_xor_b32 s20, exec_lo, s1
	s_cbranch_execz .LBB162_640
; %bb.637:
	v_cmp_gt_f32_e64 s0, 0x4b000000, |v1|
	v_cmp_lt_f32_e64 s1, 0x35000000, |v1|
	s_and_b32 s0, s0, s1
	s_and_saveexec_b32 s21, s0
	s_cbranch_execz .LBB162_639
; %bb.638:
	v_mul_f32_e64 v4, |v1|, 0.5
	s_mov_b32 s1, 0x3d4be544
	v_floor_f32_e32 v5, v4
	v_cmp_neq_f32_e64 s0, 0x7f800000, v4
	v_sub_f32_e32 v5, v4, v5
	v_min_f32_e32 v5, 0x3f7fffff, v5
	v_add_f32_e32 v5, v5, v5
	v_cndmask_b32_e64 v4, 0, v5, s0
	v_cmp_gt_f32_e64 s0, |v1|, 1.0
	v_cndmask_b32_e64 v4, |v1|, v4, s0
	s_mov_b32 s0, 0x3e75aa41
	v_add_f32_e32 v5, v4, v4
	v_rndne_f32_e32 v5, v5
	v_fmac_f32_e32 v4, -0.5, v5
	v_cvt_i32_f32_e32 v5, v5
	v_mul_f32_e32 v6, v4, v4
	v_fmaak_f32 v8, s0, v6, 0xbf1f24be
	v_fmaak_f32 v9, s1, v6, 0x3e642e9d
	v_mul_f32_e32 v10, v4, v6
	v_fmaak_f32 v8, v6, v8, 0x40234736
	v_fmaak_f32 v9, v6, v9, 0xbfaad1da
	;; [unrolled: 1-line block ×4, first 2 shown]
	v_mul_f32_e32 v8, v10, v8
	v_fmaak_f32 v9, v6, v9, 0xc09de9e6
	v_and_b32_e32 v10, 1, v5
	v_lshlrev_b32_e32 v5, 30, v5
	v_fmamk_f32 v4, v4, 0x40490fdb, v8
	v_fma_f32 v6, v6, v9, 1.0
	v_cmp_eq_u32_e64 s0, 0, v10
	v_and_or_b32 v2, 0x80000000, v5, v2
	v_cndmask_b32_e64 v4, v6, v4, s0
	v_xor3_b32 v2, v2, v4, v1
	v_mul_f32_e32 v2, v1, v2
	v_frexp_mant_f32_e64 v4, |v2|
	v_frexp_exp_i32_f32_e32 v2, v2
	v_rcp_f32_e32 v4, v4
	v_sub_nc_u32_e32 v2, 2, v2
	v_mul_f32_e32 v4, 0x3f490fdb, v4
	v_ldexp_f32 v2, v4, v2
	v_cmp_gt_f32_e64 s0, 0x800000, v2
	v_cndmask_b32_e64 v4, 0, 32, s0
	v_ldexp_f32 v2, v2, v4
	v_log_f32_e32 v2, v2
	v_mul_f32_e32 v4, 0x3f317217, v2
	v_cmp_gt_f32_e64 s1, 0x7f800000, |v2|
	v_fma_f32 v5, 0x3f317217, v2, -v4
	v_fmamk_f32 v5, v2, 0x3377d1cf, v5
	v_add_f32_e32 v4, v4, v5
	v_floor_f32_e32 v5, v1
	v_cndmask_b32_e64 v2, v2, v4, s1
	v_cndmask_b32_e64 v4, 0, 0x41b17218, s0
	v_sub_f32_e32 v5, v1, v5
	v_sub_f32_e32 v2, v2, v4
	v_min_f32_e32 v4, 0x3f7fffff, v5
	v_sub_f32_e32 v2, v2, v3
	v_cmp_neq_f32_e64 s0, 0, v4
	v_cndmask_b32_e64 v3, 0x7f800000, v2, s0
.LBB162_639:
	s_or_b32 exec_lo, exec_lo, s21
.LBB162_640:
	s_andn2_saveexec_b32 s20, s20
; %bb.641:
	v_cmp_eq_f32_e64 s0, 1.0, v1
	v_cmp_eq_f32_e64 s1, 2.0, v1
	s_or_b32 s0, s0, s1
	v_cndmask_b32_e64 v3, v3, 0, s0
; %bb.642:
	s_or_b32 exec_lo, exec_lo, s20
	v_cmp_gt_f32_e64 s0, 0x4b000000, |v1|
	v_add_nc_u32_e32 v7, 0x80, v7
	s_or_b32 vcc_lo, vcc_lo, s0
	v_cmp_class_f32_e64 s0, v1, 0x264
	v_cndmask_b32_e32 v2, 0x7f800000, v3, vcc_lo
	v_cmp_u_f32_e32 vcc_lo, v1, v1
	v_cndmask_b32_e64 v2, v2, 0x7f800000, s0
	v_cndmask_b32_e32 v1, v2, v1, vcc_lo
	v_bfe_u32 v2, v1, 16, 1
	v_cmp_o_f32_e32 vcc_lo, v1, v1
	v_add3_u32 v1, v1, v2, 0x7fff
	v_mov_b32_e32 v2, 0x7fc0
	v_cndmask_b32_sdwa v1, v2, v1, vcc_lo dst_sel:DWORD dst_unused:UNUSED_PAD src0_sel:DWORD src1_sel:WORD_1
	global_store_short v0, v1, s[4:5]
	s_or_b32 exec_lo, exec_lo, s30
	s_mov_b32 s30, exec_lo
	v_cmpx_gt_i32_e64 s27, v7
	s_cbranch_execnz .LBB162_590
.LBB162_643:
	s_or_b32 exec_lo, exec_lo, s30
	s_mov_b32 s30, exec_lo
	v_cmpx_gt_i32_e64 s27, v7
	s_cbranch_execz .LBB162_697
.LBB162_644:
	s_andn2_b32 vcc_lo, exec_lo, s24
	s_cbranch_vccnz .LBB162_649
; %bb.645:
	s_andn2_b32 vcc_lo, exec_lo, s29
	s_cbranch_vccnz .LBB162_650
; %bb.646:
	s_add_i32 s33, s28, 1
	s_cmp_eq_u32 s23, 2
	s_cbranch_scc1 .LBB162_705
; %bb.647:
	v_mov_b32_e32 v2, 0
	v_mov_b32_e32 v0, 0
	;; [unrolled: 1-line block ×3, first 2 shown]
	s_and_b32 s31, s33, 28
	s_mov_b32 s34, 0
	s_mov_b64 s[0:1], s[2:3]
	s_mov_b64 s[20:21], s[18:19]
.LBB162_648:                            ; =>This Inner Loop Header: Depth=1
	s_clause 0x1
	s_load_dwordx8 s[36:43], s[0:1], 0x4
	s_load_dwordx4 s[52:55], s[0:1], 0x24
	s_load_dwordx8 s[44:51], s[20:21], 0x0
	s_add_u32 s0, s0, 48
	s_addc_u32 s1, s1, 0
	s_add_i32 s34, s34, 4
	s_add_u32 s20, s20, 32
	s_addc_u32 s21, s21, 0
	s_cmp_eq_u32 s31, s34
	s_waitcnt lgkmcnt(0)
	v_mul_hi_u32 v3, s37, v1
	v_add_nc_u32_e32 v3, v1, v3
	v_lshrrev_b32_e32 v3, s38, v3
	v_mul_hi_u32 v4, s40, v3
	v_mul_lo_u32 v6, v3, s36
	v_add_nc_u32_e32 v4, v3, v4
	v_sub_nc_u32_e32 v1, v1, v6
	v_lshrrev_b32_e32 v4, s41, v4
	v_mul_lo_u32 v6, v1, s44
	v_mul_lo_u32 v9, v1, s45
	v_mul_hi_u32 v5, s43, v4
	v_add_nc_u32_e32 v5, v4, v5
	v_lshrrev_b32_e32 v5, s52, v5
	v_mul_hi_u32 v8, s54, v5
	v_mul_lo_u32 v10, v5, s42
	v_add_nc_u32_e32 v1, v5, v8
	v_mul_lo_u32 v8, v4, s39
	v_sub_nc_u32_e32 v4, v4, v10
	v_lshrrev_b32_e32 v1, s55, v1
	v_mul_lo_u32 v10, v4, s48
	v_mul_lo_u32 v4, v4, s49
	v_sub_nc_u32_e32 v3, v3, v8
	v_mul_lo_u32 v11, v1, s53
	v_mul_lo_u32 v8, v3, s46
	;; [unrolled: 1-line block ×3, first 2 shown]
	v_sub_nc_u32_e32 v5, v5, v11
	v_add3_u32 v0, v6, v0, v8
	v_mul_lo_u32 v11, v5, s50
	v_mul_lo_u32 v5, v5, s51
	v_add3_u32 v2, v9, v2, v3
	v_add3_u32 v0, v10, v0, v11
	;; [unrolled: 1-line block ×3, first 2 shown]
	s_cbranch_scc0 .LBB162_648
	s_branch .LBB162_706
.LBB162_649:
                                        ; implicit-def: $vgpr0
                                        ; implicit-def: $vgpr2
	s_branch .LBB162_710
.LBB162_650:
	v_mov_b32_e32 v0, 0
	v_mov_b32_e32 v2, 0
	s_branch .LBB162_709
.LBB162_651:
	v_mov_b32_e32 v0, 0
	v_mov_b32_e32 v2, 0
	;; [unrolled: 1-line block ×3, first 2 shown]
	s_mov_b32 s31, 0
.LBB162_652:
	s_and_b32 s33, s33, 3
	s_cmp_eq_u32 s33, 0
	s_cbranch_scc1 .LBB162_655
; %bb.653:
	s_lshl_b32 s0, s31, 3
	s_mul_i32 s20, s31, 12
	s_add_u32 s0, s2, s0
	s_addc_u32 s1, s3, 0
	s_add_u32 s0, s0, 0xc4
	s_addc_u32 s1, s1, 0
	;; [unrolled: 2-line block ×3, first 2 shown]
	.p2align	6
.LBB162_654:                            ; =>This Inner Loop Header: Depth=1
	s_clause 0x1
	s_load_dwordx2 s[34:35], s[20:21], 0x4
	s_load_dword s31, s[20:21], 0xc
	s_load_dwordx2 s[36:37], s[0:1], 0x0
	s_add_u32 s20, s20, 12
	s_addc_u32 s21, s21, 0
	s_add_u32 s0, s0, 8
	s_addc_u32 s1, s1, 0
	s_add_i32 s33, s33, -1
	s_cmp_lg_u32 s33, 0
	s_waitcnt lgkmcnt(0)
	v_mul_hi_u32 v3, s35, v1
	v_add_nc_u32_e32 v3, v1, v3
	v_lshrrev_b32_e32 v4, s31, v3
	v_mul_lo_u32 v3, v4, s34
	v_sub_nc_u32_e32 v3, v1, v3
	v_mad_u64_u32 v[0:1], null, v3, s36, v[0:1]
	v_mad_u64_u32 v[2:3], null, v3, s37, v[2:3]
	v_mov_b32_e32 v1, v4
	s_cbranch_scc1 .LBB162_654
.LBB162_655:
	s_cbranch_execnz .LBB162_658
.LBB162_656:
	s_waitcnt lgkmcnt(0)
	v_mul_hi_u32 v0, s13, v7
	s_andn2_b32 vcc_lo, exec_lo, s26
	v_add_nc_u32_e32 v0, v7, v0
	v_lshrrev_b32_e32 v1, s14, v0
	v_mul_lo_u32 v0, v1, s12
	v_sub_nc_u32_e32 v2, v7, v0
	v_mul_lo_u32 v0, v2, s8
	v_mul_lo_u32 v2, v2, s9
	s_cbranch_vccnz .LBB162_658
; %bb.657:
	v_mul_hi_u32 v3, s16, v1
	v_add_nc_u32_e32 v3, v1, v3
	v_lshrrev_b32_e32 v3, s17, v3
	v_mul_lo_u32 v3, v3, s15
	v_sub_nc_u32_e32 v3, v1, v3
	v_mad_u64_u32 v[0:1], null, v3, s10, v[0:1]
	v_mad_u64_u32 v[2:3], null, v3, s11, v[2:3]
.LBB162_658:
	s_waitcnt lgkmcnt(0)
	global_load_ushort v1, v2, s[6:7]
	s_mov_b32 s1, exec_lo
                                        ; implicit-def: $vgpr3
	s_waitcnt vmcnt(0)
	v_lshlrev_b32_e32 v1, 16, v1
	v_and_b32_e32 v2, 0x7fffffff, v1
	v_cmpx_ngt_f32_e64 0x3c800000, |v1|
	s_xor_b32 s1, exec_lo, s1
	s_cbranch_execz .LBB162_688
; %bb.659:
	s_mov_b32 s20, exec_lo
                                        ; implicit-def: $vgpr3
	v_cmpx_nlt_f32_e64 |v1|, 2.0
	s_xor_b32 s20, exec_lo, s20
	s_cbranch_execz .LBB162_669
; %bb.660:
	v_cmp_ngt_f32_e64 s0, 0x41000000, |v1|
                                        ; implicit-def: $vgpr3
	s_and_saveexec_b32 s21, s0
	s_xor_b32 s0, exec_lo, s21
	s_cbranch_execz .LBB162_666
; %bb.661:
	v_cmp_ngt_f32_e64 s21, 0x5c800000, |v1|
                                        ; implicit-def: $vgpr3
	s_and_saveexec_b32 s31, s21
	s_xor_b32 s21, exec_lo, s31
	s_cbranch_execz .LBB162_663
; %bb.662:
	v_cmp_gt_f32_e64 s31, 0x800000, |v1|
	v_cndmask_b32_e64 v3, 0, 32, s31
	v_ldexp_f32 v3, |v1|, v3
	v_log_f32_e32 v3, v3
	v_mul_f32_e32 v4, 0x3f317217, v3
	v_cmp_gt_f32_e64 vcc_lo, 0x7f800000, |v3|
	v_fma_f32 v5, 0x3f317217, v3, -v4
	v_fmamk_f32 v5, v3, 0x3377d1cf, v5
	v_add_f32_e32 v4, v4, v5
	v_cndmask_b32_e32 v3, v3, v4, vcc_lo
	v_cndmask_b32_e64 v4, 0, 0x41b17218, s31
	v_sub_f32_e32 v3, v3, v4
	v_fma_f32 v3, |v1|, v3, -|v1|
.LBB162_663:
	s_andn2_saveexec_b32 s21, s21
	s_cbranch_execz .LBB162_665
; %bb.664:
	v_cmp_gt_f32_e64 s31, 0x800000, |v1|
	v_rcp_f32_e64 v4, |v1|
	s_mov_b32 s33, 0xbad5c4e8
	v_cndmask_b32_e64 v3, 0, 32, s31
	v_ldexp_f32 v3, |v1|, v3
	v_mul_f32_e32 v5, v4, v4
	v_log_f32_e32 v3, v3
	v_fmaak_f32 v8, s33, v5, 0x3a5b3dd2
	v_fmaak_f32 v8, v5, v8, 0xba1c065c
	v_mul_f32_e32 v6, 0x3f317217, v3
	v_fmaak_f32 v8, v5, v8, 0x3a500cfd
	v_cmp_gt_f32_e64 vcc_lo, 0x7f800000, |v3|
	v_fma_f32 v9, 0x3f317217, v3, -v6
	v_fmaak_f32 v8, v5, v8, 0xbb360b61
	v_fmamk_f32 v9, v3, 0x3377d1cf, v9
	v_fmaak_f32 v5, v5, v8, 0x3daaaaab
	v_add_f32_e32 v6, v6, v9
	v_cndmask_b32_e32 v3, v3, v6, vcc_lo
	v_cndmask_b32_e64 v6, 0, 0x41b17218, s31
	v_sub_f32_e32 v6, v3, v6
	v_fmaak_f32 v3, v4, v5, 0x3ed67f1d
	v_add_f32_e64 v4, |v1|, -0.5
	v_add_f32_e32 v5, -1.0, v6
	v_fmac_f32_e32 v3, v4, v5
.LBB162_665:
	s_or_b32 exec_lo, exec_lo, s21
.LBB162_666:
	s_andn2_saveexec_b32 s21, s0
	s_cbranch_execz .LBB162_668
; %bb.667:
	v_cvt_i32_f32_e32 v3, v2
	s_mov_b32 s0, 0x36f5d7bd
	s_mov_b32 s31, 0x3805ff67
	v_cvt_f32_i32_e32 v4, v3
	v_cmp_lt_i32_e32 vcc_lo, 2, v3
	v_sub_f32_e64 v4, |v1|, v4
	v_add_f32_e32 v5, 2.0, v4
	v_add_f32_e32 v6, 0x40400000, v4
	v_add_f32_e32 v8, 4.0, v4
	v_add_f32_e32 v9, 0x40a00000, v4
	v_cndmask_b32_e32 v5, 1.0, v5, vcc_lo
	v_cmp_lt_i32_e32 vcc_lo, 3, v3
	v_cndmask_b32_e32 v6, 1.0, v6, vcc_lo
	v_cmp_lt_i32_e32 vcc_lo, 4, v3
	v_mul_f32_e32 v5, v5, v6
	v_cndmask_b32_e32 v8, 1.0, v8, vcc_lo
	v_cmp_lt_i32_e32 vcc_lo, 5, v3
	v_add_f32_e32 v6, 0x40c00000, v4
	v_mul_f32_e32 v5, v8, v5
	v_cndmask_b32_e32 v9, 1.0, v9, vcc_lo
	v_cmp_lt_i32_e32 vcc_lo, 6, v3
	v_fmaak_f32 v8, s31, v4, 0x3af135b4
	v_mul_f32_e32 v5, v9, v5
	v_cndmask_b32_e32 v3, 1.0, v6, vcc_lo
	v_mul_f32_e32 v3, v3, v5
	v_fmaak_f32 v5, s0, v4, 0x3a4beed6
	v_cmp_gt_f32_e32 vcc_lo, 0x800000, v3
	v_fmaak_f32 v5, v4, v5, 0x3c98bf54
	v_cndmask_b32_e64 v6, 0, 32, vcc_lo
	v_fmaak_f32 v5, v4, v5, 0x3e300f6e
	v_ldexp_f32 v3, v3, v6
	v_fmaak_f32 v6, v4, v8, 0x3cda40e4
	v_fmaak_f32 v5, v4, v5, 0x3f38d0c5
	v_log_f32_e32 v3, v3
	v_fmaak_f32 v6, v4, v6, 0x3e15dce6
	v_fmaak_f32 v5, v4, v5, 0x3fb22d3b
	;; [unrolled: 1-line block ×3, first 2 shown]
	v_fma_f32 v5, v4, v5, 1.0
	v_mul_f32_e32 v8, 0x3f317217, v3
	v_fmaak_f32 v6, v4, v6, 0x3e5c245a
	v_rcp_f32_e32 v5, v5
	v_cmp_gt_f32_e64 s0, 0x7f800000, |v3|
	v_fma_f32 v9, 0x3f317217, v3, -v8
	v_fmaak_f32 v6, v4, v6, 0xbd9e233f
	v_fmamk_f32 v9, v3, 0x3377d1cf, v9
	v_mul_f32_e32 v6, v4, v6
	v_add_f32_e32 v8, v8, v9
	v_mul_f32_e32 v5, v6, v5
	v_cndmask_b32_e64 v6, 0, 0x41b17218, vcc_lo
	v_cndmask_b32_e64 v3, v3, v8, s0
	v_fmac_f32_e32 v5, 0.5, v4
	v_sub_f32_e32 v3, v3, v6
	v_add_f32_e32 v3, v3, v5
.LBB162_668:
	s_or_b32 exec_lo, exec_lo, s21
.LBB162_669:
	s_andn2_saveexec_b32 s20, s20
	s_cbranch_execz .LBB162_687
; %bb.670:
	s_mov_b32 s21, exec_lo
                                        ; implicit-def: $vgpr3
                                        ; implicit-def: $vgpr5
                                        ; implicit-def: $vgpr4
	v_cmpx_ge_f32_e64 0x3f666666, |v1|
	s_xor_b32 s21, exec_lo, s21
	s_cbranch_execz .LBB162_672
; %bb.671:
	v_cmp_gt_f32_e64 s0, 0x800000, |v1|
	v_sub_f32_e64 v6, 1.0, |v1|
	v_cmp_gt_f32_e64 vcc_lo, 0x3f3b4a23, |v1|
	v_cndmask_b32_e64 v3, 0, 32, s0
	v_cndmask_b32_e64 v8, 0, 0x41b17218, s0
	v_ldexp_f32 v3, |v1|, v3
	v_log_f32_e32 v3, v3
	v_mul_f32_e32 v4, 0x3f317217, v3
	v_cmp_gt_f32_e64 s0, 0x7f800000, |v3|
	v_fma_f32 v5, 0x3f317217, v3, -v4
	v_fmamk_f32 v5, v3, 0x3377d1cf, v5
	v_add_f32_e32 v4, v4, v5
	v_add_f32_e64 v5, 0xbeec5b0c, |v1|
	v_cndmask_b32_e64 v3, v3, v4, s0
	v_cndmask_b32_e32 v4, v6, v5, vcc_lo
	v_cndmask_b32_e64 v5, 0, 1, vcc_lo
	v_cmp_gt_f32_e64 s0, 0x3e6d3309, |v1|
	v_sub_f32_e32 v3, v3, v8
	v_cndmask_b32_e64 v4, v4, |v1|, s0
	v_cndmask_b32_e64 v5, v5, 2, s0
	v_xor_b32_e32 v3, 0x80000000, v3
.LBB162_672:
	s_andn2_saveexec_b32 s0, s21
	s_cbranch_execz .LBB162_674
; %bb.673:
	v_sub_f32_e64 v3, 2.0, |v1|
	v_add_f32_e64 v4, 0xbfbb16c3, |v1|
	v_cmp_gt_f32_e64 vcc_lo, 0x3fdda512, |v1|
	v_add_f32_e64 v5, |v1|, -1.0
	v_cndmask_b32_e32 v4, v3, v4, vcc_lo
	v_cndmask_b32_e64 v3, v3, 1.0, vcc_lo
	v_cmp_gt_f32_e64 vcc_lo, 0x3f9d70a4, |v1|
	v_cvt_i32_f32_e32 v3, v3
	v_cndmask_b32_e32 v4, v4, v5, vcc_lo
	v_cndmask_b32_e64 v5, v3, 2, vcc_lo
	v_mov_b32_e32 v3, 0
.LBB162_674:
	s_or_b32 exec_lo, exec_lo, s0
	s_mov_b32 s0, exec_lo
	v_cmpx_lt_i32_e32 0, v5
	s_xor_b32 s0, exec_lo, s0
	s_cbranch_execz .LBB162_682
; %bb.675:
	s_mov_b32 s21, exec_lo
	v_cmpx_lt_i32_e32 1, v5
	s_xor_b32 s21, exec_lo, s21
	s_cbranch_execz .LBB162_679
; %bb.676:
	s_mov_b32 s31, exec_lo
	v_cmpx_eq_u32_e32 2, v5
	s_cbranch_execz .LBB162_678
; %bb.677:
	s_mov_b32 s33, 0x3b52d5db
	v_fmaak_f32 v5, s33, v4, 0x3dd572af
	s_mov_b32 s33, 0x3c5b3c5e
	v_fmaak_f32 v6, s33, v4, 0x3e6a7578
	v_fmaak_f32 v5, v4, v5, 0x3f44efdf
	v_fmaak_f32 v6, v4, v6, 0x3f7a4bb2
	v_fmaak_f32 v5, v4, v5, 0x4008392d
	v_fmaak_f32 v6, v4, v6, 0x3fba3ae7
	v_fmaak_f32 v5, v4, v5, 0x401d2ebe
	v_fmaak_f32 v6, v4, v6, 0x3f2200f4
	v_fma_f32 v5, v4, v5, 1.0
	v_fmaak_f32 v6, v4, v6, 0xbd9e233f
	v_rcp_f32_e32 v5, v5
	v_mul_f32_e32 v6, v4, v6
	v_mul_f32_e32 v5, v6, v5
	v_fmac_f32_e32 v5, -0.5, v4
	v_add_f32_e32 v3, v3, v5
.LBB162_678:
	s_or_b32 exec_lo, exec_lo, s31
                                        ; implicit-def: $vgpr4
.LBB162_679:
	s_andn2_saveexec_b32 s21, s21
	s_cbranch_execz .LBB162_681
; %bb.680:
	v_mul_f32_e32 v5, v4, v4
	s_mov_b32 s31, 0xb9a3f927
	s_mov_b32 s33, 0x39afe9f7
	v_mul_f32_e32 v6, v4, v5
	v_fmaak_f32 v8, s31, v6, 0x3a66f867
	v_fmaak_f32 v9, s33, v6, 0xba0d3085
	s_mov_b32 s31, 0x39a57b6b
	v_fmaak_f32 v10, s31, v6, 0xbab7f476
	v_fmaak_f32 v8, v6, v8, 0xbb7177fe
	;; [unrolled: 1-line block ×9, first 2 shown]
	v_fmac_f32_e32 v8, v4, v9
	v_fmaak_f32 v4, v6, v10, 0x3ef7b95e
	v_fma_f32 v6, v6, -v8, 0xa2863e55
	v_fma_f32 v4, v5, v4, -v6
	v_add_f32_e32 v4, 0xbdf8cdce, v4
	v_add_f32_e32 v3, v3, v4
.LBB162_681:
	s_or_b32 exec_lo, exec_lo, s21
                                        ; implicit-def: $vgpr5
                                        ; implicit-def: $vgpr4
.LBB162_682:
	s_andn2_saveexec_b32 s0, s0
	s_cbranch_execz .LBB162_686
; %bb.683:
	s_mov_b32 s21, exec_lo
	v_cmpx_eq_u32_e32 0, v5
	s_cbranch_execz .LBB162_685
; %bb.684:
	v_mul_f32_e32 v5, v4, v4
	s_mov_b32 s31, 0x383c2c75
	v_fmaak_f32 v6, s31, v5, 0x38e28445
	s_mov_b32 s31, 0x37d383a2
	v_fmaak_f32 v8, s31, v5, 0x39679767
	v_fmaak_f32 v6, v5, v6, 0x3a05b634
	;; [unrolled: 1-line block ×9, first 2 shown]
	v_mul_f32_e32 v5, v5, v6
	v_fmac_f32_e32 v5, v4, v8
	v_fmac_f32_e32 v5, -0.5, v4
	v_add_f32_e32 v3, v3, v5
.LBB162_685:
	s_or_b32 exec_lo, exec_lo, s21
.LBB162_686:
	s_or_b32 exec_lo, exec_lo, s0
.LBB162_687:
	s_or_b32 exec_lo, exec_lo, s20
.LBB162_688:
	s_andn2_saveexec_b32 s0, s1
	s_cbranch_execz .LBB162_690
; %bb.689:
	v_cmp_gt_f32_e64 s1, 0x800000, |v1|
	s_mov_b32 s20, 0x3e8a8991
	v_fma_f32 v6, |v1|, s20, 0xbecd26ab
	v_cndmask_b32_e64 v3, 0, 32, s1
	v_ldexp_f32 v3, |v1|, v3
	v_log_f32_e32 v3, v3
	v_mul_f32_e32 v4, 0x3f317217, v3
	v_cmp_gt_f32_e64 vcc_lo, 0x7f800000, |v3|
	v_fma_f32 v5, 0x3f317217, v3, -v4
	v_fmamk_f32 v5, v3, 0x3377d1cf, v5
	v_add_f32_e32 v4, v4, v5
	v_fma_f32 v5, |v1|, v6, 0x3f528d33
	v_cndmask_b32_e32 v3, v3, v4, vcc_lo
	v_cndmask_b32_e64 v4, 0, 0x41b17218, s1
	v_fma_f32 v5, |v1|, v5, 0xbf13c468
	v_sub_f32_e32 v3, v3, v4
	v_fma_f32 v3, |v1|, v5, -v3
.LBB162_690:
	s_or_b32 exec_lo, exec_lo, s0
	v_cmp_le_f32_e32 vcc_lo, 0, v1
	s_mov_b32 s1, exec_lo
	v_cmpx_nle_f32_e32 0, v1
	s_xor_b32 s20, exec_lo, s1
	s_cbranch_execz .LBB162_694
; %bb.691:
	v_cmp_gt_f32_e64 s0, 0x4b000000, |v1|
	v_cmp_lt_f32_e64 s1, 0x35000000, |v1|
	s_and_b32 s0, s0, s1
	s_and_saveexec_b32 s21, s0
	s_cbranch_execz .LBB162_693
; %bb.692:
	v_mul_f32_e64 v4, |v1|, 0.5
	s_mov_b32 s1, 0x3d4be544
	v_floor_f32_e32 v5, v4
	v_cmp_neq_f32_e64 s0, 0x7f800000, v4
	v_sub_f32_e32 v5, v4, v5
	v_min_f32_e32 v5, 0x3f7fffff, v5
	v_add_f32_e32 v5, v5, v5
	v_cndmask_b32_e64 v4, 0, v5, s0
	v_cmp_gt_f32_e64 s0, |v1|, 1.0
	v_cndmask_b32_e64 v4, |v1|, v4, s0
	s_mov_b32 s0, 0x3e75aa41
	v_add_f32_e32 v5, v4, v4
	v_rndne_f32_e32 v5, v5
	v_fmac_f32_e32 v4, -0.5, v5
	v_cvt_i32_f32_e32 v5, v5
	v_mul_f32_e32 v6, v4, v4
	v_fmaak_f32 v8, s0, v6, 0xbf1f24be
	v_fmaak_f32 v9, s1, v6, 0x3e642e9d
	v_mul_f32_e32 v10, v4, v6
	v_fmaak_f32 v8, v6, v8, 0x40234736
	v_fmaak_f32 v9, v6, v9, 0xbfaad1da
	;; [unrolled: 1-line block ×4, first 2 shown]
	v_mul_f32_e32 v8, v10, v8
	v_fmaak_f32 v9, v6, v9, 0xc09de9e6
	v_and_b32_e32 v10, 1, v5
	v_lshlrev_b32_e32 v5, 30, v5
	v_fmamk_f32 v4, v4, 0x40490fdb, v8
	v_fma_f32 v6, v6, v9, 1.0
	v_cmp_eq_u32_e64 s0, 0, v10
	v_and_or_b32 v2, 0x80000000, v5, v2
	v_cndmask_b32_e64 v4, v6, v4, s0
	v_xor3_b32 v2, v2, v4, v1
	v_mul_f32_e32 v2, v1, v2
	v_frexp_mant_f32_e64 v4, |v2|
	v_frexp_exp_i32_f32_e32 v2, v2
	v_rcp_f32_e32 v4, v4
	v_sub_nc_u32_e32 v2, 2, v2
	v_mul_f32_e32 v4, 0x3f490fdb, v4
	v_ldexp_f32 v2, v4, v2
	v_cmp_gt_f32_e64 s0, 0x800000, v2
	v_cndmask_b32_e64 v4, 0, 32, s0
	v_ldexp_f32 v2, v2, v4
	v_log_f32_e32 v2, v2
	v_mul_f32_e32 v4, 0x3f317217, v2
	v_cmp_gt_f32_e64 s1, 0x7f800000, |v2|
	v_fma_f32 v5, 0x3f317217, v2, -v4
	v_fmamk_f32 v5, v2, 0x3377d1cf, v5
	v_add_f32_e32 v4, v4, v5
	v_floor_f32_e32 v5, v1
	v_cndmask_b32_e64 v2, v2, v4, s1
	v_cndmask_b32_e64 v4, 0, 0x41b17218, s0
	v_sub_f32_e32 v5, v1, v5
	v_sub_f32_e32 v2, v2, v4
	v_min_f32_e32 v4, 0x3f7fffff, v5
	v_sub_f32_e32 v2, v2, v3
	v_cmp_neq_f32_e64 s0, 0, v4
	v_cndmask_b32_e64 v3, 0x7f800000, v2, s0
.LBB162_693:
	s_or_b32 exec_lo, exec_lo, s21
.LBB162_694:
	s_andn2_saveexec_b32 s20, s20
; %bb.695:
	v_cmp_eq_f32_e64 s0, 1.0, v1
	v_cmp_eq_f32_e64 s1, 2.0, v1
	s_or_b32 s0, s0, s1
	v_cndmask_b32_e64 v3, v3, 0, s0
; %bb.696:
	s_or_b32 exec_lo, exec_lo, s20
	v_cmp_gt_f32_e64 s0, 0x4b000000, |v1|
	v_add_nc_u32_e32 v7, 0x80, v7
	s_or_b32 vcc_lo, vcc_lo, s0
	v_cmp_class_f32_e64 s0, v1, 0x264
	v_cndmask_b32_e32 v2, 0x7f800000, v3, vcc_lo
	v_cmp_u_f32_e32 vcc_lo, v1, v1
	v_cndmask_b32_e64 v2, v2, 0x7f800000, s0
	v_cndmask_b32_e32 v1, v2, v1, vcc_lo
	v_bfe_u32 v2, v1, 16, 1
	v_cmp_o_f32_e32 vcc_lo, v1, v1
	v_add3_u32 v1, v1, v2, 0x7fff
	v_mov_b32_e32 v2, 0x7fc0
	v_cndmask_b32_sdwa v1, v2, v1, vcc_lo dst_sel:DWORD dst_unused:UNUSED_PAD src0_sel:DWORD src1_sel:WORD_1
	global_store_short v0, v1, s[4:5]
	s_or_b32 exec_lo, exec_lo, s30
	s_mov_b32 s30, exec_lo
	v_cmpx_gt_i32_e64 s27, v7
	s_cbranch_execnz .LBB162_644
.LBB162_697:
	s_or_b32 exec_lo, exec_lo, s30
	s_mov_b32 s30, exec_lo
	v_cmpx_gt_i32_e64 s27, v7
	s_cbranch_execz .LBB162_751
.LBB162_698:
	s_andn2_b32 vcc_lo, exec_lo, s24
	s_cbranch_vccnz .LBB162_703
; %bb.699:
	s_andn2_b32 vcc_lo, exec_lo, s29
	s_cbranch_vccnz .LBB162_704
; %bb.700:
	s_add_i32 s33, s28, 1
	s_cmp_eq_u32 s23, 2
	s_cbranch_scc1 .LBB162_754
; %bb.701:
	v_mov_b32_e32 v2, 0
	v_mov_b32_e32 v0, 0
	;; [unrolled: 1-line block ×3, first 2 shown]
	s_and_b32 s31, s33, 28
	s_mov_b32 s34, 0
	s_mov_b64 s[0:1], s[2:3]
	s_mov_b64 s[20:21], s[18:19]
.LBB162_702:                            ; =>This Inner Loop Header: Depth=1
	s_clause 0x1
	s_load_dwordx8 s[36:43], s[0:1], 0x4
	s_load_dwordx4 s[52:55], s[0:1], 0x24
	s_load_dwordx8 s[44:51], s[20:21], 0x0
	s_add_u32 s0, s0, 48
	s_addc_u32 s1, s1, 0
	s_add_i32 s34, s34, 4
	s_add_u32 s20, s20, 32
	s_addc_u32 s21, s21, 0
	s_cmp_eq_u32 s31, s34
	s_waitcnt lgkmcnt(0)
	v_mul_hi_u32 v3, s37, v1
	v_add_nc_u32_e32 v3, v1, v3
	v_lshrrev_b32_e32 v3, s38, v3
	v_mul_hi_u32 v4, s40, v3
	v_mul_lo_u32 v6, v3, s36
	v_add_nc_u32_e32 v4, v3, v4
	v_sub_nc_u32_e32 v1, v1, v6
	v_lshrrev_b32_e32 v4, s41, v4
	v_mul_lo_u32 v6, v1, s44
	v_mul_lo_u32 v9, v1, s45
	v_mul_hi_u32 v5, s43, v4
	v_add_nc_u32_e32 v5, v4, v5
	v_lshrrev_b32_e32 v5, s52, v5
	v_mul_hi_u32 v8, s54, v5
	v_mul_lo_u32 v10, v5, s42
	v_add_nc_u32_e32 v1, v5, v8
	v_mul_lo_u32 v8, v4, s39
	v_sub_nc_u32_e32 v4, v4, v10
	v_lshrrev_b32_e32 v1, s55, v1
	v_mul_lo_u32 v10, v4, s48
	v_mul_lo_u32 v4, v4, s49
	v_sub_nc_u32_e32 v3, v3, v8
	v_mul_lo_u32 v11, v1, s53
	v_mul_lo_u32 v8, v3, s46
	;; [unrolled: 1-line block ×3, first 2 shown]
	v_sub_nc_u32_e32 v5, v5, v11
	v_add3_u32 v0, v6, v0, v8
	v_mul_lo_u32 v11, v5, s50
	v_mul_lo_u32 v5, v5, s51
	v_add3_u32 v2, v9, v2, v3
	v_add3_u32 v0, v10, v0, v11
	v_add3_u32 v2, v4, v2, v5
	s_cbranch_scc0 .LBB162_702
	s_branch .LBB162_755
.LBB162_703:
                                        ; implicit-def: $vgpr0
                                        ; implicit-def: $vgpr2
	s_branch .LBB162_759
.LBB162_704:
	v_mov_b32_e32 v0, 0
	v_mov_b32_e32 v2, 0
	s_branch .LBB162_758
.LBB162_705:
	v_mov_b32_e32 v0, 0
	v_mov_b32_e32 v2, 0
	;; [unrolled: 1-line block ×3, first 2 shown]
	s_mov_b32 s31, 0
.LBB162_706:
	s_and_b32 s33, s33, 3
	s_cmp_eq_u32 s33, 0
	s_cbranch_scc1 .LBB162_709
; %bb.707:
	s_lshl_b32 s0, s31, 3
	s_mul_i32 s20, s31, 12
	s_add_u32 s0, s2, s0
	s_addc_u32 s1, s3, 0
	s_add_u32 s0, s0, 0xc4
	s_addc_u32 s1, s1, 0
	;; [unrolled: 2-line block ×3, first 2 shown]
	.p2align	6
.LBB162_708:                            ; =>This Inner Loop Header: Depth=1
	s_clause 0x1
	s_load_dwordx2 s[34:35], s[20:21], 0x4
	s_load_dword s31, s[20:21], 0xc
	s_load_dwordx2 s[36:37], s[0:1], 0x0
	s_add_u32 s20, s20, 12
	s_addc_u32 s21, s21, 0
	s_add_u32 s0, s0, 8
	s_addc_u32 s1, s1, 0
	s_add_i32 s33, s33, -1
	s_cmp_lg_u32 s33, 0
	s_waitcnt lgkmcnt(0)
	v_mul_hi_u32 v3, s35, v1
	v_add_nc_u32_e32 v3, v1, v3
	v_lshrrev_b32_e32 v4, s31, v3
	v_mul_lo_u32 v3, v4, s34
	v_sub_nc_u32_e32 v3, v1, v3
	v_mad_u64_u32 v[0:1], null, v3, s36, v[0:1]
	v_mad_u64_u32 v[2:3], null, v3, s37, v[2:3]
	v_mov_b32_e32 v1, v4
	s_cbranch_scc1 .LBB162_708
.LBB162_709:
	s_cbranch_execnz .LBB162_712
.LBB162_710:
	s_waitcnt lgkmcnt(0)
	v_mul_hi_u32 v0, s13, v7
	s_andn2_b32 vcc_lo, exec_lo, s26
	v_add_nc_u32_e32 v0, v7, v0
	v_lshrrev_b32_e32 v1, s14, v0
	v_mul_lo_u32 v0, v1, s12
	v_sub_nc_u32_e32 v2, v7, v0
	v_mul_lo_u32 v0, v2, s8
	v_mul_lo_u32 v2, v2, s9
	s_cbranch_vccnz .LBB162_712
; %bb.711:
	v_mul_hi_u32 v3, s16, v1
	v_add_nc_u32_e32 v3, v1, v3
	v_lshrrev_b32_e32 v3, s17, v3
	v_mul_lo_u32 v3, v3, s15
	v_sub_nc_u32_e32 v3, v1, v3
	v_mad_u64_u32 v[0:1], null, v3, s10, v[0:1]
	v_mad_u64_u32 v[2:3], null, v3, s11, v[2:3]
.LBB162_712:
	s_waitcnt lgkmcnt(0)
	global_load_ushort v1, v2, s[6:7]
	s_mov_b32 s1, exec_lo
                                        ; implicit-def: $vgpr3
	s_waitcnt vmcnt(0)
	v_lshlrev_b32_e32 v1, 16, v1
	v_and_b32_e32 v2, 0x7fffffff, v1
	v_cmpx_ngt_f32_e64 0x3c800000, |v1|
	s_xor_b32 s1, exec_lo, s1
	s_cbranch_execz .LBB162_742
; %bb.713:
	s_mov_b32 s20, exec_lo
                                        ; implicit-def: $vgpr3
	v_cmpx_nlt_f32_e64 |v1|, 2.0
	s_xor_b32 s20, exec_lo, s20
	s_cbranch_execz .LBB162_723
; %bb.714:
	v_cmp_ngt_f32_e64 s0, 0x41000000, |v1|
                                        ; implicit-def: $vgpr3
	s_and_saveexec_b32 s21, s0
	s_xor_b32 s0, exec_lo, s21
	s_cbranch_execz .LBB162_720
; %bb.715:
	v_cmp_ngt_f32_e64 s21, 0x5c800000, |v1|
                                        ; implicit-def: $vgpr3
	s_and_saveexec_b32 s31, s21
	s_xor_b32 s21, exec_lo, s31
	s_cbranch_execz .LBB162_717
; %bb.716:
	v_cmp_gt_f32_e64 s31, 0x800000, |v1|
	v_cndmask_b32_e64 v3, 0, 32, s31
	v_ldexp_f32 v3, |v1|, v3
	v_log_f32_e32 v3, v3
	v_mul_f32_e32 v4, 0x3f317217, v3
	v_cmp_gt_f32_e64 vcc_lo, 0x7f800000, |v3|
	v_fma_f32 v5, 0x3f317217, v3, -v4
	v_fmamk_f32 v5, v3, 0x3377d1cf, v5
	v_add_f32_e32 v4, v4, v5
	v_cndmask_b32_e32 v3, v3, v4, vcc_lo
	v_cndmask_b32_e64 v4, 0, 0x41b17218, s31
	v_sub_f32_e32 v3, v3, v4
	v_fma_f32 v3, |v1|, v3, -|v1|
.LBB162_717:
	s_andn2_saveexec_b32 s21, s21
	s_cbranch_execz .LBB162_719
; %bb.718:
	v_cmp_gt_f32_e64 s31, 0x800000, |v1|
	v_rcp_f32_e64 v4, |v1|
	s_mov_b32 s33, 0xbad5c4e8
	v_cndmask_b32_e64 v3, 0, 32, s31
	v_ldexp_f32 v3, |v1|, v3
	v_mul_f32_e32 v5, v4, v4
	v_log_f32_e32 v3, v3
	v_fmaak_f32 v8, s33, v5, 0x3a5b3dd2
	v_fmaak_f32 v8, v5, v8, 0xba1c065c
	v_mul_f32_e32 v6, 0x3f317217, v3
	v_fmaak_f32 v8, v5, v8, 0x3a500cfd
	v_cmp_gt_f32_e64 vcc_lo, 0x7f800000, |v3|
	v_fma_f32 v9, 0x3f317217, v3, -v6
	v_fmaak_f32 v8, v5, v8, 0xbb360b61
	v_fmamk_f32 v9, v3, 0x3377d1cf, v9
	v_fmaak_f32 v5, v5, v8, 0x3daaaaab
	v_add_f32_e32 v6, v6, v9
	v_cndmask_b32_e32 v3, v3, v6, vcc_lo
	v_cndmask_b32_e64 v6, 0, 0x41b17218, s31
	v_sub_f32_e32 v6, v3, v6
	v_fmaak_f32 v3, v4, v5, 0x3ed67f1d
	v_add_f32_e64 v4, |v1|, -0.5
	v_add_f32_e32 v5, -1.0, v6
	v_fmac_f32_e32 v3, v4, v5
.LBB162_719:
	s_or_b32 exec_lo, exec_lo, s21
.LBB162_720:
	s_andn2_saveexec_b32 s21, s0
	s_cbranch_execz .LBB162_722
; %bb.721:
	v_cvt_i32_f32_e32 v3, v2
	s_mov_b32 s0, 0x36f5d7bd
	s_mov_b32 s31, 0x3805ff67
	v_cvt_f32_i32_e32 v4, v3
	v_cmp_lt_i32_e32 vcc_lo, 2, v3
	v_sub_f32_e64 v4, |v1|, v4
	v_add_f32_e32 v5, 2.0, v4
	v_add_f32_e32 v6, 0x40400000, v4
	v_add_f32_e32 v8, 4.0, v4
	v_add_f32_e32 v9, 0x40a00000, v4
	v_cndmask_b32_e32 v5, 1.0, v5, vcc_lo
	v_cmp_lt_i32_e32 vcc_lo, 3, v3
	v_cndmask_b32_e32 v6, 1.0, v6, vcc_lo
	v_cmp_lt_i32_e32 vcc_lo, 4, v3
	v_mul_f32_e32 v5, v5, v6
	v_cndmask_b32_e32 v8, 1.0, v8, vcc_lo
	v_cmp_lt_i32_e32 vcc_lo, 5, v3
	v_add_f32_e32 v6, 0x40c00000, v4
	v_mul_f32_e32 v5, v8, v5
	v_cndmask_b32_e32 v9, 1.0, v9, vcc_lo
	v_cmp_lt_i32_e32 vcc_lo, 6, v3
	v_fmaak_f32 v8, s31, v4, 0x3af135b4
	v_mul_f32_e32 v5, v9, v5
	v_cndmask_b32_e32 v3, 1.0, v6, vcc_lo
	v_mul_f32_e32 v3, v3, v5
	v_fmaak_f32 v5, s0, v4, 0x3a4beed6
	v_cmp_gt_f32_e32 vcc_lo, 0x800000, v3
	v_fmaak_f32 v5, v4, v5, 0x3c98bf54
	v_cndmask_b32_e64 v6, 0, 32, vcc_lo
	v_fmaak_f32 v5, v4, v5, 0x3e300f6e
	v_ldexp_f32 v3, v3, v6
	v_fmaak_f32 v6, v4, v8, 0x3cda40e4
	v_fmaak_f32 v5, v4, v5, 0x3f38d0c5
	v_log_f32_e32 v3, v3
	v_fmaak_f32 v6, v4, v6, 0x3e15dce6
	v_fmaak_f32 v5, v4, v5, 0x3fb22d3b
	;; [unrolled: 1-line block ×3, first 2 shown]
	v_fma_f32 v5, v4, v5, 1.0
	v_mul_f32_e32 v8, 0x3f317217, v3
	v_fmaak_f32 v6, v4, v6, 0x3e5c245a
	v_rcp_f32_e32 v5, v5
	v_cmp_gt_f32_e64 s0, 0x7f800000, |v3|
	v_fma_f32 v9, 0x3f317217, v3, -v8
	v_fmaak_f32 v6, v4, v6, 0xbd9e233f
	v_fmamk_f32 v9, v3, 0x3377d1cf, v9
	v_mul_f32_e32 v6, v4, v6
	v_add_f32_e32 v8, v8, v9
	v_mul_f32_e32 v5, v6, v5
	v_cndmask_b32_e64 v6, 0, 0x41b17218, vcc_lo
	v_cndmask_b32_e64 v3, v3, v8, s0
	v_fmac_f32_e32 v5, 0.5, v4
	v_sub_f32_e32 v3, v3, v6
	v_add_f32_e32 v3, v3, v5
.LBB162_722:
	s_or_b32 exec_lo, exec_lo, s21
.LBB162_723:
	s_andn2_saveexec_b32 s20, s20
	s_cbranch_execz .LBB162_741
; %bb.724:
	s_mov_b32 s21, exec_lo
                                        ; implicit-def: $vgpr3
                                        ; implicit-def: $vgpr5
                                        ; implicit-def: $vgpr4
	v_cmpx_ge_f32_e64 0x3f666666, |v1|
	s_xor_b32 s21, exec_lo, s21
	s_cbranch_execz .LBB162_726
; %bb.725:
	v_cmp_gt_f32_e64 s0, 0x800000, |v1|
	v_sub_f32_e64 v6, 1.0, |v1|
	v_cmp_gt_f32_e64 vcc_lo, 0x3f3b4a23, |v1|
	v_cndmask_b32_e64 v3, 0, 32, s0
	v_cndmask_b32_e64 v8, 0, 0x41b17218, s0
	v_ldexp_f32 v3, |v1|, v3
	v_log_f32_e32 v3, v3
	v_mul_f32_e32 v4, 0x3f317217, v3
	v_cmp_gt_f32_e64 s0, 0x7f800000, |v3|
	v_fma_f32 v5, 0x3f317217, v3, -v4
	v_fmamk_f32 v5, v3, 0x3377d1cf, v5
	v_add_f32_e32 v4, v4, v5
	v_add_f32_e64 v5, 0xbeec5b0c, |v1|
	v_cndmask_b32_e64 v3, v3, v4, s0
	v_cndmask_b32_e32 v4, v6, v5, vcc_lo
	v_cndmask_b32_e64 v5, 0, 1, vcc_lo
	v_cmp_gt_f32_e64 s0, 0x3e6d3309, |v1|
	v_sub_f32_e32 v3, v3, v8
	v_cndmask_b32_e64 v4, v4, |v1|, s0
	v_cndmask_b32_e64 v5, v5, 2, s0
	v_xor_b32_e32 v3, 0x80000000, v3
.LBB162_726:
	s_andn2_saveexec_b32 s0, s21
	s_cbranch_execz .LBB162_728
; %bb.727:
	v_sub_f32_e64 v3, 2.0, |v1|
	v_add_f32_e64 v4, 0xbfbb16c3, |v1|
	v_cmp_gt_f32_e64 vcc_lo, 0x3fdda512, |v1|
	v_add_f32_e64 v5, |v1|, -1.0
	v_cndmask_b32_e32 v4, v3, v4, vcc_lo
	v_cndmask_b32_e64 v3, v3, 1.0, vcc_lo
	v_cmp_gt_f32_e64 vcc_lo, 0x3f9d70a4, |v1|
	v_cvt_i32_f32_e32 v3, v3
	v_cndmask_b32_e32 v4, v4, v5, vcc_lo
	v_cndmask_b32_e64 v5, v3, 2, vcc_lo
	v_mov_b32_e32 v3, 0
.LBB162_728:
	s_or_b32 exec_lo, exec_lo, s0
	s_mov_b32 s0, exec_lo
	v_cmpx_lt_i32_e32 0, v5
	s_xor_b32 s0, exec_lo, s0
	s_cbranch_execz .LBB162_736
; %bb.729:
	s_mov_b32 s21, exec_lo
	v_cmpx_lt_i32_e32 1, v5
	s_xor_b32 s21, exec_lo, s21
	s_cbranch_execz .LBB162_733
; %bb.730:
	s_mov_b32 s31, exec_lo
	v_cmpx_eq_u32_e32 2, v5
	s_cbranch_execz .LBB162_732
; %bb.731:
	s_mov_b32 s33, 0x3b52d5db
	v_fmaak_f32 v5, s33, v4, 0x3dd572af
	s_mov_b32 s33, 0x3c5b3c5e
	v_fmaak_f32 v6, s33, v4, 0x3e6a7578
	v_fmaak_f32 v5, v4, v5, 0x3f44efdf
	;; [unrolled: 1-line block ×7, first 2 shown]
	v_fma_f32 v5, v4, v5, 1.0
	v_fmaak_f32 v6, v4, v6, 0xbd9e233f
	v_rcp_f32_e32 v5, v5
	v_mul_f32_e32 v6, v4, v6
	v_mul_f32_e32 v5, v6, v5
	v_fmac_f32_e32 v5, -0.5, v4
	v_add_f32_e32 v3, v3, v5
.LBB162_732:
	s_or_b32 exec_lo, exec_lo, s31
                                        ; implicit-def: $vgpr4
.LBB162_733:
	s_andn2_saveexec_b32 s21, s21
	s_cbranch_execz .LBB162_735
; %bb.734:
	v_mul_f32_e32 v5, v4, v4
	s_mov_b32 s31, 0xb9a3f927
	s_mov_b32 s33, 0x39afe9f7
	v_mul_f32_e32 v6, v4, v5
	v_fmaak_f32 v8, s31, v6, 0x3a66f867
	v_fmaak_f32 v9, s33, v6, 0xba0d3085
	s_mov_b32 s31, 0x39a57b6b
	v_fmaak_f32 v10, s31, v6, 0xbab7f476
	v_fmaak_f32 v8, v6, v8, 0xbb7177fe
	;; [unrolled: 1-line block ×9, first 2 shown]
	v_fmac_f32_e32 v8, v4, v9
	v_fmaak_f32 v4, v6, v10, 0x3ef7b95e
	v_fma_f32 v6, v6, -v8, 0xa2863e55
	v_fma_f32 v4, v5, v4, -v6
	v_add_f32_e32 v4, 0xbdf8cdce, v4
	v_add_f32_e32 v3, v3, v4
.LBB162_735:
	s_or_b32 exec_lo, exec_lo, s21
                                        ; implicit-def: $vgpr5
                                        ; implicit-def: $vgpr4
.LBB162_736:
	s_andn2_saveexec_b32 s0, s0
	s_cbranch_execz .LBB162_740
; %bb.737:
	s_mov_b32 s21, exec_lo
	v_cmpx_eq_u32_e32 0, v5
	s_cbranch_execz .LBB162_739
; %bb.738:
	v_mul_f32_e32 v5, v4, v4
	s_mov_b32 s31, 0x383c2c75
	v_fmaak_f32 v6, s31, v5, 0x38e28445
	s_mov_b32 s31, 0x37d383a2
	v_fmaak_f32 v8, s31, v5, 0x39679767
	v_fmaak_f32 v6, v5, v6, 0x3a05b634
	;; [unrolled: 1-line block ×9, first 2 shown]
	v_mul_f32_e32 v5, v5, v6
	v_fmac_f32_e32 v5, v4, v8
	v_fmac_f32_e32 v5, -0.5, v4
	v_add_f32_e32 v3, v3, v5
.LBB162_739:
	s_or_b32 exec_lo, exec_lo, s21
.LBB162_740:
	s_or_b32 exec_lo, exec_lo, s0
.LBB162_741:
	s_or_b32 exec_lo, exec_lo, s20
.LBB162_742:
	s_andn2_saveexec_b32 s0, s1
	s_cbranch_execz .LBB162_744
; %bb.743:
	v_cmp_gt_f32_e64 s1, 0x800000, |v1|
	s_mov_b32 s20, 0x3e8a8991
	v_fma_f32 v6, |v1|, s20, 0xbecd26ab
	v_cndmask_b32_e64 v3, 0, 32, s1
	v_ldexp_f32 v3, |v1|, v3
	v_log_f32_e32 v3, v3
	v_mul_f32_e32 v4, 0x3f317217, v3
	v_cmp_gt_f32_e64 vcc_lo, 0x7f800000, |v3|
	v_fma_f32 v5, 0x3f317217, v3, -v4
	v_fmamk_f32 v5, v3, 0x3377d1cf, v5
	v_add_f32_e32 v4, v4, v5
	v_fma_f32 v5, |v1|, v6, 0x3f528d33
	v_cndmask_b32_e32 v3, v3, v4, vcc_lo
	v_cndmask_b32_e64 v4, 0, 0x41b17218, s1
	v_fma_f32 v5, |v1|, v5, 0xbf13c468
	v_sub_f32_e32 v3, v3, v4
	v_fma_f32 v3, |v1|, v5, -v3
.LBB162_744:
	s_or_b32 exec_lo, exec_lo, s0
	v_cmp_le_f32_e32 vcc_lo, 0, v1
	s_mov_b32 s1, exec_lo
	v_cmpx_nle_f32_e32 0, v1
	s_xor_b32 s20, exec_lo, s1
	s_cbranch_execz .LBB162_748
; %bb.745:
	v_cmp_gt_f32_e64 s0, 0x4b000000, |v1|
	v_cmp_lt_f32_e64 s1, 0x35000000, |v1|
	s_and_b32 s0, s0, s1
	s_and_saveexec_b32 s21, s0
	s_cbranch_execz .LBB162_747
; %bb.746:
	v_mul_f32_e64 v4, |v1|, 0.5
	s_mov_b32 s1, 0x3d4be544
	v_floor_f32_e32 v5, v4
	v_cmp_neq_f32_e64 s0, 0x7f800000, v4
	v_sub_f32_e32 v5, v4, v5
	v_min_f32_e32 v5, 0x3f7fffff, v5
	v_add_f32_e32 v5, v5, v5
	v_cndmask_b32_e64 v4, 0, v5, s0
	v_cmp_gt_f32_e64 s0, |v1|, 1.0
	v_cndmask_b32_e64 v4, |v1|, v4, s0
	s_mov_b32 s0, 0x3e75aa41
	v_add_f32_e32 v5, v4, v4
	v_rndne_f32_e32 v5, v5
	v_fmac_f32_e32 v4, -0.5, v5
	v_cvt_i32_f32_e32 v5, v5
	v_mul_f32_e32 v6, v4, v4
	v_fmaak_f32 v8, s0, v6, 0xbf1f24be
	v_fmaak_f32 v9, s1, v6, 0x3e642e9d
	v_mul_f32_e32 v10, v4, v6
	v_fmaak_f32 v8, v6, v8, 0x40234736
	v_fmaak_f32 v9, v6, v9, 0xbfaad1da
	;; [unrolled: 1-line block ×4, first 2 shown]
	v_mul_f32_e32 v8, v10, v8
	v_fmaak_f32 v9, v6, v9, 0xc09de9e6
	v_and_b32_e32 v10, 1, v5
	v_lshlrev_b32_e32 v5, 30, v5
	v_fmamk_f32 v4, v4, 0x40490fdb, v8
	v_fma_f32 v6, v6, v9, 1.0
	v_cmp_eq_u32_e64 s0, 0, v10
	v_and_or_b32 v2, 0x80000000, v5, v2
	v_cndmask_b32_e64 v4, v6, v4, s0
	v_xor3_b32 v2, v2, v4, v1
	v_mul_f32_e32 v2, v1, v2
	v_frexp_mant_f32_e64 v4, |v2|
	v_frexp_exp_i32_f32_e32 v2, v2
	v_rcp_f32_e32 v4, v4
	v_sub_nc_u32_e32 v2, 2, v2
	v_mul_f32_e32 v4, 0x3f490fdb, v4
	v_ldexp_f32 v2, v4, v2
	v_cmp_gt_f32_e64 s0, 0x800000, v2
	v_cndmask_b32_e64 v4, 0, 32, s0
	v_ldexp_f32 v2, v2, v4
	v_log_f32_e32 v2, v2
	v_mul_f32_e32 v4, 0x3f317217, v2
	v_cmp_gt_f32_e64 s1, 0x7f800000, |v2|
	v_fma_f32 v5, 0x3f317217, v2, -v4
	v_fmamk_f32 v5, v2, 0x3377d1cf, v5
	v_add_f32_e32 v4, v4, v5
	v_floor_f32_e32 v5, v1
	v_cndmask_b32_e64 v2, v2, v4, s1
	v_cndmask_b32_e64 v4, 0, 0x41b17218, s0
	v_sub_f32_e32 v5, v1, v5
	v_sub_f32_e32 v2, v2, v4
	v_min_f32_e32 v4, 0x3f7fffff, v5
	v_sub_f32_e32 v2, v2, v3
	v_cmp_neq_f32_e64 s0, 0, v4
	v_cndmask_b32_e64 v3, 0x7f800000, v2, s0
.LBB162_747:
	s_or_b32 exec_lo, exec_lo, s21
.LBB162_748:
	s_andn2_saveexec_b32 s20, s20
; %bb.749:
	v_cmp_eq_f32_e64 s0, 1.0, v1
	v_cmp_eq_f32_e64 s1, 2.0, v1
	s_or_b32 s0, s0, s1
	v_cndmask_b32_e64 v3, v3, 0, s0
; %bb.750:
	s_or_b32 exec_lo, exec_lo, s20
	v_cmp_gt_f32_e64 s0, 0x4b000000, |v1|
	v_add_nc_u32_e32 v7, 0x80, v7
	s_or_b32 vcc_lo, vcc_lo, s0
	v_cmp_class_f32_e64 s0, v1, 0x264
	v_cndmask_b32_e32 v2, 0x7f800000, v3, vcc_lo
	v_cmp_u_f32_e32 vcc_lo, v1, v1
	v_cndmask_b32_e64 v2, v2, 0x7f800000, s0
	v_cndmask_b32_e32 v1, v2, v1, vcc_lo
	v_bfe_u32 v2, v1, 16, 1
	v_cmp_o_f32_e32 vcc_lo, v1, v1
	v_add3_u32 v1, v1, v2, 0x7fff
	v_mov_b32_e32 v2, 0x7fc0
	v_cndmask_b32_sdwa v1, v2, v1, vcc_lo dst_sel:DWORD dst_unused:UNUSED_PAD src0_sel:DWORD src1_sel:WORD_1
	global_store_short v0, v1, s[4:5]
	s_or_b32 exec_lo, exec_lo, s30
	s_mov_b32 s30, exec_lo
	v_cmpx_gt_i32_e64 s27, v7
	s_cbranch_execnz .LBB162_698
.LBB162_751:
	s_or_b32 exec_lo, exec_lo, s30
	s_mov_b32 s20, exec_lo
	v_cmpx_gt_i32_e64 s27, v7
	s_cbranch_execnz .LBB162_800
.LBB162_752:
	s_or_b32 exec_lo, exec_lo, s20
                                        ; implicit-def: $vgpr25
                                        ; implicit-def: $vgpr7
	s_andn2_saveexec_b32 s0, s25
	s_cbranch_execnz .LBB162_8
.LBB162_753:
	s_endpgm
.LBB162_754:
	v_mov_b32_e32 v0, 0
	v_mov_b32_e32 v2, 0
	;; [unrolled: 1-line block ×3, first 2 shown]
	s_mov_b32 s31, 0
.LBB162_755:
	s_and_b32 s33, s33, 3
	s_cmp_eq_u32 s33, 0
	s_cbranch_scc1 .LBB162_758
; %bb.756:
	s_lshl_b32 s0, s31, 3
	s_mul_i32 s20, s31, 12
	s_add_u32 s0, s2, s0
	s_addc_u32 s1, s3, 0
	s_add_u32 s0, s0, 0xc4
	s_addc_u32 s1, s1, 0
	;; [unrolled: 2-line block ×3, first 2 shown]
	.p2align	6
.LBB162_757:                            ; =>This Inner Loop Header: Depth=1
	s_clause 0x1
	s_load_dwordx2 s[34:35], s[20:21], 0x4
	s_load_dword s31, s[20:21], 0xc
	s_load_dwordx2 s[36:37], s[0:1], 0x0
	s_add_u32 s20, s20, 12
	s_addc_u32 s21, s21, 0
	s_add_u32 s0, s0, 8
	s_addc_u32 s1, s1, 0
	s_add_i32 s33, s33, -1
	s_cmp_lg_u32 s33, 0
	s_waitcnt lgkmcnt(0)
	v_mul_hi_u32 v3, s35, v1
	v_add_nc_u32_e32 v3, v1, v3
	v_lshrrev_b32_e32 v4, s31, v3
	v_mul_lo_u32 v3, v4, s34
	v_sub_nc_u32_e32 v3, v1, v3
	v_mad_u64_u32 v[0:1], null, v3, s36, v[0:1]
	v_mad_u64_u32 v[2:3], null, v3, s37, v[2:3]
	v_mov_b32_e32 v1, v4
	s_cbranch_scc1 .LBB162_757
.LBB162_758:
	s_cbranch_execnz .LBB162_761
.LBB162_759:
	s_waitcnt lgkmcnt(0)
	v_mul_hi_u32 v0, s13, v7
	s_andn2_b32 vcc_lo, exec_lo, s26
	v_add_nc_u32_e32 v0, v7, v0
	v_lshrrev_b32_e32 v1, s14, v0
	v_mul_lo_u32 v0, v1, s12
	v_sub_nc_u32_e32 v2, v7, v0
	v_mul_lo_u32 v0, v2, s8
	v_mul_lo_u32 v2, v2, s9
	s_cbranch_vccnz .LBB162_761
; %bb.760:
	v_mul_hi_u32 v3, s16, v1
	v_add_nc_u32_e32 v3, v1, v3
	v_lshrrev_b32_e32 v3, s17, v3
	v_mul_lo_u32 v3, v3, s15
	v_sub_nc_u32_e32 v3, v1, v3
	v_mad_u64_u32 v[0:1], null, v3, s10, v[0:1]
	v_mad_u64_u32 v[2:3], null, v3, s11, v[2:3]
.LBB162_761:
	s_waitcnt lgkmcnt(0)
	global_load_ushort v1, v2, s[6:7]
	s_mov_b32 s1, exec_lo
                                        ; implicit-def: $vgpr3
	s_waitcnt vmcnt(0)
	v_lshlrev_b32_e32 v1, 16, v1
	v_and_b32_e32 v2, 0x7fffffff, v1
	v_cmpx_ngt_f32_e64 0x3c800000, |v1|
	s_xor_b32 s1, exec_lo, s1
	s_cbranch_execz .LBB162_791
; %bb.762:
	s_mov_b32 s20, exec_lo
                                        ; implicit-def: $vgpr3
	v_cmpx_nlt_f32_e64 |v1|, 2.0
	s_xor_b32 s20, exec_lo, s20
	s_cbranch_execz .LBB162_772
; %bb.763:
	v_cmp_ngt_f32_e64 s0, 0x41000000, |v1|
                                        ; implicit-def: $vgpr3
	s_and_saveexec_b32 s21, s0
	s_xor_b32 s0, exec_lo, s21
	s_cbranch_execz .LBB162_769
; %bb.764:
	v_cmp_ngt_f32_e64 s21, 0x5c800000, |v1|
                                        ; implicit-def: $vgpr3
	s_and_saveexec_b32 s31, s21
	s_xor_b32 s21, exec_lo, s31
	s_cbranch_execz .LBB162_766
; %bb.765:
	v_cmp_gt_f32_e64 s31, 0x800000, |v1|
	v_cndmask_b32_e64 v3, 0, 32, s31
	v_ldexp_f32 v3, |v1|, v3
	v_log_f32_e32 v3, v3
	v_mul_f32_e32 v4, 0x3f317217, v3
	v_cmp_gt_f32_e64 vcc_lo, 0x7f800000, |v3|
	v_fma_f32 v5, 0x3f317217, v3, -v4
	v_fmamk_f32 v5, v3, 0x3377d1cf, v5
	v_add_f32_e32 v4, v4, v5
	v_cndmask_b32_e32 v3, v3, v4, vcc_lo
	v_cndmask_b32_e64 v4, 0, 0x41b17218, s31
	v_sub_f32_e32 v3, v3, v4
	v_fma_f32 v3, |v1|, v3, -|v1|
.LBB162_766:
	s_andn2_saveexec_b32 s21, s21
	s_cbranch_execz .LBB162_768
; %bb.767:
	v_cmp_gt_f32_e64 s31, 0x800000, |v1|
	v_rcp_f32_e64 v4, |v1|
	s_mov_b32 s33, 0xbad5c4e8
	v_cndmask_b32_e64 v3, 0, 32, s31
	v_ldexp_f32 v3, |v1|, v3
	v_mul_f32_e32 v5, v4, v4
	v_log_f32_e32 v3, v3
	v_fmaak_f32 v8, s33, v5, 0x3a5b3dd2
	v_fmaak_f32 v8, v5, v8, 0xba1c065c
	v_mul_f32_e32 v6, 0x3f317217, v3
	v_fmaak_f32 v8, v5, v8, 0x3a500cfd
	v_cmp_gt_f32_e64 vcc_lo, 0x7f800000, |v3|
	v_fma_f32 v9, 0x3f317217, v3, -v6
	v_fmaak_f32 v8, v5, v8, 0xbb360b61
	v_fmamk_f32 v9, v3, 0x3377d1cf, v9
	v_fmaak_f32 v5, v5, v8, 0x3daaaaab
	v_add_f32_e32 v6, v6, v9
	v_cndmask_b32_e32 v3, v3, v6, vcc_lo
	v_cndmask_b32_e64 v6, 0, 0x41b17218, s31
	v_sub_f32_e32 v6, v3, v6
	v_fmaak_f32 v3, v4, v5, 0x3ed67f1d
	v_add_f32_e64 v4, |v1|, -0.5
	v_add_f32_e32 v5, -1.0, v6
	v_fmac_f32_e32 v3, v4, v5
.LBB162_768:
	s_or_b32 exec_lo, exec_lo, s21
.LBB162_769:
	s_andn2_saveexec_b32 s21, s0
	s_cbranch_execz .LBB162_771
; %bb.770:
	v_cvt_i32_f32_e32 v3, v2
	s_mov_b32 s0, 0x36f5d7bd
	s_mov_b32 s31, 0x3805ff67
	v_cvt_f32_i32_e32 v4, v3
	v_cmp_lt_i32_e32 vcc_lo, 2, v3
	v_sub_f32_e64 v4, |v1|, v4
	v_add_f32_e32 v5, 2.0, v4
	v_add_f32_e32 v6, 0x40400000, v4
	v_add_f32_e32 v8, 4.0, v4
	v_add_f32_e32 v9, 0x40a00000, v4
	v_cndmask_b32_e32 v5, 1.0, v5, vcc_lo
	v_cmp_lt_i32_e32 vcc_lo, 3, v3
	v_cndmask_b32_e32 v6, 1.0, v6, vcc_lo
	v_cmp_lt_i32_e32 vcc_lo, 4, v3
	v_mul_f32_e32 v5, v5, v6
	v_cndmask_b32_e32 v8, 1.0, v8, vcc_lo
	v_cmp_lt_i32_e32 vcc_lo, 5, v3
	v_add_f32_e32 v6, 0x40c00000, v4
	v_mul_f32_e32 v5, v8, v5
	v_cndmask_b32_e32 v9, 1.0, v9, vcc_lo
	v_cmp_lt_i32_e32 vcc_lo, 6, v3
	v_fmaak_f32 v8, s31, v4, 0x3af135b4
	v_mul_f32_e32 v5, v9, v5
	v_cndmask_b32_e32 v3, 1.0, v6, vcc_lo
	v_mul_f32_e32 v3, v3, v5
	v_fmaak_f32 v5, s0, v4, 0x3a4beed6
	v_cmp_gt_f32_e32 vcc_lo, 0x800000, v3
	v_fmaak_f32 v5, v4, v5, 0x3c98bf54
	v_cndmask_b32_e64 v6, 0, 32, vcc_lo
	v_fmaak_f32 v5, v4, v5, 0x3e300f6e
	v_ldexp_f32 v3, v3, v6
	v_fmaak_f32 v6, v4, v8, 0x3cda40e4
	v_fmaak_f32 v5, v4, v5, 0x3f38d0c5
	v_log_f32_e32 v3, v3
	v_fmaak_f32 v6, v4, v6, 0x3e15dce6
	v_fmaak_f32 v5, v4, v5, 0x3fb22d3b
	;; [unrolled: 1-line block ×3, first 2 shown]
	v_fma_f32 v5, v4, v5, 1.0
	v_mul_f32_e32 v8, 0x3f317217, v3
	v_fmaak_f32 v6, v4, v6, 0x3e5c245a
	v_rcp_f32_e32 v5, v5
	v_cmp_gt_f32_e64 s0, 0x7f800000, |v3|
	v_fma_f32 v9, 0x3f317217, v3, -v8
	v_fmaak_f32 v6, v4, v6, 0xbd9e233f
	v_fmamk_f32 v9, v3, 0x3377d1cf, v9
	v_mul_f32_e32 v6, v4, v6
	v_add_f32_e32 v8, v8, v9
	v_mul_f32_e32 v5, v6, v5
	v_cndmask_b32_e64 v6, 0, 0x41b17218, vcc_lo
	v_cndmask_b32_e64 v3, v3, v8, s0
	v_fmac_f32_e32 v5, 0.5, v4
	v_sub_f32_e32 v3, v3, v6
	v_add_f32_e32 v3, v3, v5
.LBB162_771:
	s_or_b32 exec_lo, exec_lo, s21
.LBB162_772:
	s_andn2_saveexec_b32 s20, s20
	s_cbranch_execz .LBB162_790
; %bb.773:
	s_mov_b32 s21, exec_lo
                                        ; implicit-def: $vgpr3
                                        ; implicit-def: $vgpr5
                                        ; implicit-def: $vgpr4
	v_cmpx_ge_f32_e64 0x3f666666, |v1|
	s_xor_b32 s21, exec_lo, s21
	s_cbranch_execz .LBB162_775
; %bb.774:
	v_cmp_gt_f32_e64 s0, 0x800000, |v1|
	v_sub_f32_e64 v6, 1.0, |v1|
	v_cmp_gt_f32_e64 vcc_lo, 0x3f3b4a23, |v1|
	v_cndmask_b32_e64 v3, 0, 32, s0
	v_cndmask_b32_e64 v8, 0, 0x41b17218, s0
	v_ldexp_f32 v3, |v1|, v3
	v_log_f32_e32 v3, v3
	v_mul_f32_e32 v4, 0x3f317217, v3
	v_cmp_gt_f32_e64 s0, 0x7f800000, |v3|
	v_fma_f32 v5, 0x3f317217, v3, -v4
	v_fmamk_f32 v5, v3, 0x3377d1cf, v5
	v_add_f32_e32 v4, v4, v5
	v_add_f32_e64 v5, 0xbeec5b0c, |v1|
	v_cndmask_b32_e64 v3, v3, v4, s0
	v_cndmask_b32_e32 v4, v6, v5, vcc_lo
	v_cndmask_b32_e64 v5, 0, 1, vcc_lo
	v_cmp_gt_f32_e64 s0, 0x3e6d3309, |v1|
	v_sub_f32_e32 v3, v3, v8
	v_cndmask_b32_e64 v4, v4, |v1|, s0
	v_cndmask_b32_e64 v5, v5, 2, s0
	v_xor_b32_e32 v3, 0x80000000, v3
.LBB162_775:
	s_andn2_saveexec_b32 s0, s21
	s_cbranch_execz .LBB162_777
; %bb.776:
	v_sub_f32_e64 v3, 2.0, |v1|
	v_add_f32_e64 v4, 0xbfbb16c3, |v1|
	v_cmp_gt_f32_e64 vcc_lo, 0x3fdda512, |v1|
	v_add_f32_e64 v5, |v1|, -1.0
	v_cndmask_b32_e32 v4, v3, v4, vcc_lo
	v_cndmask_b32_e64 v3, v3, 1.0, vcc_lo
	v_cmp_gt_f32_e64 vcc_lo, 0x3f9d70a4, |v1|
	v_cvt_i32_f32_e32 v3, v3
	v_cndmask_b32_e32 v4, v4, v5, vcc_lo
	v_cndmask_b32_e64 v5, v3, 2, vcc_lo
	v_mov_b32_e32 v3, 0
.LBB162_777:
	s_or_b32 exec_lo, exec_lo, s0
	s_mov_b32 s0, exec_lo
	v_cmpx_lt_i32_e32 0, v5
	s_xor_b32 s0, exec_lo, s0
	s_cbranch_execz .LBB162_785
; %bb.778:
	s_mov_b32 s21, exec_lo
	v_cmpx_lt_i32_e32 1, v5
	s_xor_b32 s21, exec_lo, s21
	s_cbranch_execz .LBB162_782
; %bb.779:
	s_mov_b32 s31, exec_lo
	v_cmpx_eq_u32_e32 2, v5
	s_cbranch_execz .LBB162_781
; %bb.780:
	s_mov_b32 s33, 0x3b52d5db
	v_fmaak_f32 v5, s33, v4, 0x3dd572af
	s_mov_b32 s33, 0x3c5b3c5e
	v_fmaak_f32 v6, s33, v4, 0x3e6a7578
	v_fmaak_f32 v5, v4, v5, 0x3f44efdf
	;; [unrolled: 1-line block ×7, first 2 shown]
	v_fma_f32 v5, v4, v5, 1.0
	v_fmaak_f32 v6, v4, v6, 0xbd9e233f
	v_rcp_f32_e32 v5, v5
	v_mul_f32_e32 v6, v4, v6
	v_mul_f32_e32 v5, v6, v5
	v_fmac_f32_e32 v5, -0.5, v4
	v_add_f32_e32 v3, v3, v5
.LBB162_781:
	s_or_b32 exec_lo, exec_lo, s31
                                        ; implicit-def: $vgpr4
.LBB162_782:
	s_andn2_saveexec_b32 s21, s21
	s_cbranch_execz .LBB162_784
; %bb.783:
	v_mul_f32_e32 v5, v4, v4
	s_mov_b32 s31, 0xb9a3f927
	s_mov_b32 s33, 0x39afe9f7
	v_mul_f32_e32 v6, v4, v5
	v_fmaak_f32 v8, s31, v6, 0x3a66f867
	v_fmaak_f32 v9, s33, v6, 0xba0d3085
	s_mov_b32 s31, 0x39a57b6b
	v_fmaak_f32 v10, s31, v6, 0xbab7f476
	v_fmaak_f32 v8, v6, v8, 0xbb7177fe
	;; [unrolled: 1-line block ×9, first 2 shown]
	v_fmac_f32_e32 v8, v4, v9
	v_fmaak_f32 v4, v6, v10, 0x3ef7b95e
	v_fma_f32 v6, v6, -v8, 0xa2863e55
	v_fma_f32 v4, v5, v4, -v6
	v_add_f32_e32 v4, 0xbdf8cdce, v4
	v_add_f32_e32 v3, v3, v4
.LBB162_784:
	s_or_b32 exec_lo, exec_lo, s21
                                        ; implicit-def: $vgpr5
                                        ; implicit-def: $vgpr4
.LBB162_785:
	s_andn2_saveexec_b32 s0, s0
	s_cbranch_execz .LBB162_789
; %bb.786:
	s_mov_b32 s21, exec_lo
	v_cmpx_eq_u32_e32 0, v5
	s_cbranch_execz .LBB162_788
; %bb.787:
	v_mul_f32_e32 v5, v4, v4
	s_mov_b32 s31, 0x383c2c75
	v_fmaak_f32 v6, s31, v5, 0x38e28445
	s_mov_b32 s31, 0x37d383a2
	v_fmaak_f32 v8, s31, v5, 0x39679767
	v_fmaak_f32 v6, v5, v6, 0x3a05b634
	;; [unrolled: 1-line block ×9, first 2 shown]
	v_mul_f32_e32 v5, v5, v6
	v_fmac_f32_e32 v5, v4, v8
	v_fmac_f32_e32 v5, -0.5, v4
	v_add_f32_e32 v3, v3, v5
.LBB162_788:
	s_or_b32 exec_lo, exec_lo, s21
.LBB162_789:
	s_or_b32 exec_lo, exec_lo, s0
.LBB162_790:
	s_or_b32 exec_lo, exec_lo, s20
.LBB162_791:
	s_andn2_saveexec_b32 s0, s1
	s_cbranch_execz .LBB162_793
; %bb.792:
	v_cmp_gt_f32_e64 s1, 0x800000, |v1|
	s_mov_b32 s20, 0x3e8a8991
	v_fma_f32 v6, |v1|, s20, 0xbecd26ab
	v_cndmask_b32_e64 v3, 0, 32, s1
	v_ldexp_f32 v3, |v1|, v3
	v_log_f32_e32 v3, v3
	v_mul_f32_e32 v4, 0x3f317217, v3
	v_cmp_gt_f32_e64 vcc_lo, 0x7f800000, |v3|
	v_fma_f32 v5, 0x3f317217, v3, -v4
	v_fmamk_f32 v5, v3, 0x3377d1cf, v5
	v_add_f32_e32 v4, v4, v5
	v_fma_f32 v5, |v1|, v6, 0x3f528d33
	v_cndmask_b32_e32 v3, v3, v4, vcc_lo
	v_cndmask_b32_e64 v4, 0, 0x41b17218, s1
	v_fma_f32 v5, |v1|, v5, 0xbf13c468
	v_sub_f32_e32 v3, v3, v4
	v_fma_f32 v3, |v1|, v5, -v3
.LBB162_793:
	s_or_b32 exec_lo, exec_lo, s0
	v_cmp_le_f32_e32 vcc_lo, 0, v1
	s_mov_b32 s1, exec_lo
	v_cmpx_nle_f32_e32 0, v1
	s_xor_b32 s20, exec_lo, s1
	s_cbranch_execz .LBB162_797
; %bb.794:
	v_cmp_gt_f32_e64 s0, 0x4b000000, |v1|
	v_cmp_lt_f32_e64 s1, 0x35000000, |v1|
	s_and_b32 s0, s0, s1
	s_and_saveexec_b32 s21, s0
	s_cbranch_execz .LBB162_796
; %bb.795:
	v_mul_f32_e64 v4, |v1|, 0.5
	s_mov_b32 s1, 0x3d4be544
	v_floor_f32_e32 v5, v4
	v_cmp_neq_f32_e64 s0, 0x7f800000, v4
	v_sub_f32_e32 v5, v4, v5
	v_min_f32_e32 v5, 0x3f7fffff, v5
	v_add_f32_e32 v5, v5, v5
	v_cndmask_b32_e64 v4, 0, v5, s0
	v_cmp_gt_f32_e64 s0, |v1|, 1.0
	v_cndmask_b32_e64 v4, |v1|, v4, s0
	s_mov_b32 s0, 0x3e75aa41
	v_add_f32_e32 v5, v4, v4
	v_rndne_f32_e32 v5, v5
	v_fmac_f32_e32 v4, -0.5, v5
	v_cvt_i32_f32_e32 v5, v5
	v_mul_f32_e32 v6, v4, v4
	v_fmaak_f32 v8, s0, v6, 0xbf1f24be
	v_fmaak_f32 v9, s1, v6, 0x3e642e9d
	v_mul_f32_e32 v10, v4, v6
	v_fmaak_f32 v8, v6, v8, 0x40234736
	v_fmaak_f32 v9, v6, v9, 0xbfaad1da
	;; [unrolled: 1-line block ×4, first 2 shown]
	v_mul_f32_e32 v8, v10, v8
	v_fmaak_f32 v9, v6, v9, 0xc09de9e6
	v_and_b32_e32 v10, 1, v5
	v_lshlrev_b32_e32 v5, 30, v5
	v_fmamk_f32 v4, v4, 0x40490fdb, v8
	v_fma_f32 v6, v6, v9, 1.0
	v_cmp_eq_u32_e64 s0, 0, v10
	v_and_or_b32 v2, 0x80000000, v5, v2
	v_cndmask_b32_e64 v4, v6, v4, s0
	v_xor3_b32 v2, v2, v4, v1
	v_mul_f32_e32 v2, v1, v2
	v_frexp_mant_f32_e64 v4, |v2|
	v_frexp_exp_i32_f32_e32 v2, v2
	v_rcp_f32_e32 v4, v4
	v_sub_nc_u32_e32 v2, 2, v2
	v_mul_f32_e32 v4, 0x3f490fdb, v4
	v_ldexp_f32 v2, v4, v2
	v_cmp_gt_f32_e64 s0, 0x800000, v2
	v_cndmask_b32_e64 v4, 0, 32, s0
	v_ldexp_f32 v2, v2, v4
	v_log_f32_e32 v2, v2
	v_mul_f32_e32 v4, 0x3f317217, v2
	v_cmp_gt_f32_e64 s1, 0x7f800000, |v2|
	v_fma_f32 v5, 0x3f317217, v2, -v4
	v_fmamk_f32 v5, v2, 0x3377d1cf, v5
	v_add_f32_e32 v4, v4, v5
	v_floor_f32_e32 v5, v1
	v_cndmask_b32_e64 v2, v2, v4, s1
	v_cndmask_b32_e64 v4, 0, 0x41b17218, s0
	v_sub_f32_e32 v5, v1, v5
	v_sub_f32_e32 v2, v2, v4
	v_min_f32_e32 v4, 0x3f7fffff, v5
	v_sub_f32_e32 v2, v2, v3
	v_cmp_neq_f32_e64 s0, 0, v4
	v_cndmask_b32_e64 v3, 0x7f800000, v2, s0
.LBB162_796:
	s_or_b32 exec_lo, exec_lo, s21
.LBB162_797:
	s_andn2_saveexec_b32 s20, s20
; %bb.798:
	v_cmp_eq_f32_e64 s0, 1.0, v1
	v_cmp_eq_f32_e64 s1, 2.0, v1
	s_or_b32 s0, s0, s1
	v_cndmask_b32_e64 v3, v3, 0, s0
; %bb.799:
	s_or_b32 exec_lo, exec_lo, s20
	v_cmp_gt_f32_e64 s0, 0x4b000000, |v1|
	v_add_nc_u32_e32 v7, 0x80, v7
	s_or_b32 vcc_lo, vcc_lo, s0
	v_cmp_class_f32_e64 s0, v1, 0x264
	v_cndmask_b32_e32 v2, 0x7f800000, v3, vcc_lo
	v_cmp_u_f32_e32 vcc_lo, v1, v1
	v_cndmask_b32_e64 v2, v2, 0x7f800000, s0
	v_cndmask_b32_e32 v1, v2, v1, vcc_lo
	v_bfe_u32 v2, v1, 16, 1
	v_cmp_o_f32_e32 vcc_lo, v1, v1
	v_add3_u32 v1, v1, v2, 0x7fff
	v_mov_b32_e32 v2, 0x7fc0
	v_cndmask_b32_sdwa v1, v2, v1, vcc_lo dst_sel:DWORD dst_unused:UNUSED_PAD src0_sel:DWORD src1_sel:WORD_1
	global_store_short v0, v1, s[4:5]
	s_or_b32 exec_lo, exec_lo, s30
	s_mov_b32 s20, exec_lo
	v_cmpx_gt_i32_e64 s27, v7
	s_cbranch_execz .LBB162_752
.LBB162_800:
	s_andn2_b32 vcc_lo, exec_lo, s24
	s_cbranch_vccnz .LBB162_805
; %bb.801:
	s_andn2_b32 vcc_lo, exec_lo, s29
	s_cbranch_vccnz .LBB162_806
; %bb.802:
	s_add_i32 s28, s28, 1
	s_cmp_eq_u32 s23, 2
	s_cbranch_scc1 .LBB162_807
; %bb.803:
	v_mov_b32_e32 v2, 0
	v_mov_b32_e32 v0, 0
	;; [unrolled: 1-line block ×3, first 2 shown]
	s_and_b32 s21, s28, 28
	s_mov_b32 s27, 0
	s_mov_b64 s[0:1], s[2:3]
.LBB162_804:                            ; =>This Inner Loop Header: Depth=1
	s_clause 0x1
	s_load_dwordx8 s[36:43], s[0:1], 0x4
	s_load_dwordx4 s[52:55], s[0:1], 0x24
	s_load_dwordx8 s[44:51], s[18:19], 0x0
	s_add_u32 s0, s0, 48
	s_addc_u32 s1, s1, 0
	s_add_i32 s27, s27, 4
	s_add_u32 s18, s18, 32
	s_addc_u32 s19, s19, 0
	s_cmp_eq_u32 s21, s27
	s_waitcnt lgkmcnt(0)
	v_mul_hi_u32 v3, s37, v1
	v_add_nc_u32_e32 v3, v1, v3
	v_lshrrev_b32_e32 v3, s38, v3
	v_mul_hi_u32 v4, s40, v3
	v_mul_lo_u32 v6, v3, s36
	v_add_nc_u32_e32 v4, v3, v4
	v_sub_nc_u32_e32 v1, v1, v6
	v_lshrrev_b32_e32 v4, s41, v4
	v_mul_lo_u32 v6, v1, s44
	v_mul_lo_u32 v9, v1, s45
	v_mul_hi_u32 v5, s43, v4
	v_add_nc_u32_e32 v5, v4, v5
	v_lshrrev_b32_e32 v5, s52, v5
	v_mul_hi_u32 v8, s54, v5
	v_mul_lo_u32 v10, v5, s42
	v_add_nc_u32_e32 v1, v5, v8
	v_mul_lo_u32 v8, v4, s39
	v_sub_nc_u32_e32 v4, v4, v10
	v_lshrrev_b32_e32 v1, s55, v1
	v_mul_lo_u32 v10, v4, s48
	v_mul_lo_u32 v4, v4, s49
	v_sub_nc_u32_e32 v3, v3, v8
	v_mul_lo_u32 v11, v1, s53
	v_mul_lo_u32 v8, v3, s46
	;; [unrolled: 1-line block ×3, first 2 shown]
	v_sub_nc_u32_e32 v5, v5, v11
	v_add3_u32 v0, v6, v0, v8
	v_mul_lo_u32 v11, v5, s50
	v_mul_lo_u32 v5, v5, s51
	v_add3_u32 v2, v9, v2, v3
	v_add3_u32 v0, v10, v0, v11
	;; [unrolled: 1-line block ×3, first 2 shown]
	s_cbranch_scc0 .LBB162_804
	s_branch .LBB162_808
.LBB162_805:
                                        ; implicit-def: $vgpr0
                                        ; implicit-def: $vgpr2
	s_branch .LBB162_812
.LBB162_806:
	v_mov_b32_e32 v0, 0
	v_mov_b32_e32 v2, 0
	s_branch .LBB162_811
.LBB162_807:
	v_mov_b32_e32 v0, 0
	v_mov_b32_e32 v2, 0
	;; [unrolled: 1-line block ×3, first 2 shown]
	s_mov_b32 s21, 0
.LBB162_808:
	s_and_b32 s27, s28, 3
	s_cmp_eq_u32 s27, 0
	s_cbranch_scc1 .LBB162_811
; %bb.809:
	s_lshl_b32 s0, s21, 3
	s_mul_i32 s18, s21, 12
	s_add_u32 s0, s2, s0
	s_addc_u32 s1, s3, 0
	s_add_u32 s0, s0, 0xc4
	s_addc_u32 s1, s1, 0
	;; [unrolled: 2-line block ×3, first 2 shown]
	.p2align	6
.LBB162_810:                            ; =>This Inner Loop Header: Depth=1
	s_clause 0x1
	s_load_dwordx2 s[28:29], s[18:19], 0x4
	s_load_dword s21, s[18:19], 0xc
	s_load_dwordx2 s[30:31], s[0:1], 0x0
	s_add_u32 s18, s18, 12
	s_addc_u32 s19, s19, 0
	s_add_u32 s0, s0, 8
	s_addc_u32 s1, s1, 0
	s_add_i32 s27, s27, -1
	s_cmp_lg_u32 s27, 0
	s_waitcnt lgkmcnt(0)
	v_mul_hi_u32 v3, s29, v1
	v_add_nc_u32_e32 v3, v1, v3
	v_lshrrev_b32_e32 v4, s21, v3
	v_mul_lo_u32 v3, v4, s28
	v_sub_nc_u32_e32 v3, v1, v3
	v_mad_u64_u32 v[0:1], null, v3, s30, v[0:1]
	v_mad_u64_u32 v[2:3], null, v3, s31, v[2:3]
	v_mov_b32_e32 v1, v4
	s_cbranch_scc1 .LBB162_810
.LBB162_811:
	s_cbranch_execnz .LBB162_814
.LBB162_812:
	s_waitcnt lgkmcnt(0)
	v_mul_hi_u32 v0, s13, v7
	s_andn2_b32 vcc_lo, exec_lo, s26
	v_add_nc_u32_e32 v0, v7, v0
	v_lshrrev_b32_e32 v1, s14, v0
	v_mul_lo_u32 v0, v1, s12
	v_sub_nc_u32_e32 v2, v7, v0
	v_mul_lo_u32 v0, v2, s8
	v_mul_lo_u32 v2, v2, s9
	s_cbranch_vccnz .LBB162_814
; %bb.813:
	v_mul_hi_u32 v3, s16, v1
	v_add_nc_u32_e32 v3, v1, v3
	v_lshrrev_b32_e32 v3, s17, v3
	v_mul_lo_u32 v3, v3, s15
	v_sub_nc_u32_e32 v3, v1, v3
	v_mad_u64_u32 v[0:1], null, v3, s10, v[0:1]
	v_mad_u64_u32 v[2:3], null, v3, s11, v[2:3]
.LBB162_814:
	s_waitcnt lgkmcnt(0)
	global_load_ushort v1, v2, s[6:7]
	s_mov_b32 s1, exec_lo
                                        ; implicit-def: $vgpr3
	s_waitcnt vmcnt(0)
	v_lshlrev_b32_e32 v1, 16, v1
	v_and_b32_e32 v2, 0x7fffffff, v1
	v_cmpx_ngt_f32_e64 0x3c800000, |v1|
	s_xor_b32 s1, exec_lo, s1
	s_cbranch_execz .LBB162_844
; %bb.815:
	s_mov_b32 s6, exec_lo
                                        ; implicit-def: $vgpr3
	v_cmpx_nlt_f32_e64 |v1|, 2.0
	s_xor_b32 s6, exec_lo, s6
	s_cbranch_execz .LBB162_825
; %bb.816:
	v_cmp_ngt_f32_e64 s0, 0x41000000, |v1|
                                        ; implicit-def: $vgpr3
	s_and_saveexec_b32 s7, s0
	s_xor_b32 s0, exec_lo, s7
	s_cbranch_execz .LBB162_822
; %bb.817:
	v_cmp_ngt_f32_e64 s7, 0x5c800000, |v1|
                                        ; implicit-def: $vgpr3
	s_and_saveexec_b32 s8, s7
	s_xor_b32 s7, exec_lo, s8
	s_cbranch_execz .LBB162_819
; %bb.818:
	v_cmp_gt_f32_e64 s8, 0x800000, |v1|
	v_cndmask_b32_e64 v3, 0, 32, s8
	v_ldexp_f32 v3, |v1|, v3
	v_log_f32_e32 v3, v3
	v_mul_f32_e32 v4, 0x3f317217, v3
	v_cmp_gt_f32_e64 vcc_lo, 0x7f800000, |v3|
	v_fma_f32 v5, 0x3f317217, v3, -v4
	v_fmamk_f32 v5, v3, 0x3377d1cf, v5
	v_add_f32_e32 v4, v4, v5
	v_cndmask_b32_e32 v3, v3, v4, vcc_lo
	v_cndmask_b32_e64 v4, 0, 0x41b17218, s8
	v_sub_f32_e32 v3, v3, v4
	v_fma_f32 v3, |v1|, v3, -|v1|
.LBB162_819:
	s_andn2_saveexec_b32 s7, s7
	s_cbranch_execz .LBB162_821
; %bb.820:
	v_cmp_gt_f32_e64 s8, 0x800000, |v1|
	v_rcp_f32_e64 v4, |v1|
	s_mov_b32 s9, 0xbad5c4e8
	v_cndmask_b32_e64 v3, 0, 32, s8
	v_ldexp_f32 v3, |v1|, v3
	v_mul_f32_e32 v5, v4, v4
	v_log_f32_e32 v3, v3
	v_fmaak_f32 v7, s9, v5, 0x3a5b3dd2
	v_fmaak_f32 v7, v5, v7, 0xba1c065c
	v_mul_f32_e32 v6, 0x3f317217, v3
	v_fmaak_f32 v7, v5, v7, 0x3a500cfd
	v_cmp_gt_f32_e64 vcc_lo, 0x7f800000, |v3|
	v_fma_f32 v8, 0x3f317217, v3, -v6
	v_fmaak_f32 v7, v5, v7, 0xbb360b61
	v_fmamk_f32 v8, v3, 0x3377d1cf, v8
	v_fmaak_f32 v5, v5, v7, 0x3daaaaab
	v_add_f32_e32 v6, v6, v8
	v_cndmask_b32_e32 v3, v3, v6, vcc_lo
	v_cndmask_b32_e64 v6, 0, 0x41b17218, s8
	v_sub_f32_e32 v6, v3, v6
	v_fmaak_f32 v3, v4, v5, 0x3ed67f1d
	v_add_f32_e64 v4, |v1|, -0.5
	v_add_f32_e32 v5, -1.0, v6
	v_fmac_f32_e32 v3, v4, v5
.LBB162_821:
	s_or_b32 exec_lo, exec_lo, s7
.LBB162_822:
	s_andn2_saveexec_b32 s7, s0
	s_cbranch_execz .LBB162_824
; %bb.823:
	v_cvt_i32_f32_e32 v3, v2
	s_mov_b32 s0, 0x36f5d7bd
	s_mov_b32 s8, 0x3805ff67
	v_cvt_f32_i32_e32 v4, v3
	v_cmp_lt_i32_e32 vcc_lo, 2, v3
	v_sub_f32_e64 v4, |v1|, v4
	v_add_f32_e32 v5, 2.0, v4
	v_add_f32_e32 v6, 0x40400000, v4
	v_add_f32_e32 v7, 4.0, v4
	v_add_f32_e32 v8, 0x40a00000, v4
	v_cndmask_b32_e32 v5, 1.0, v5, vcc_lo
	v_cmp_lt_i32_e32 vcc_lo, 3, v3
	v_cndmask_b32_e32 v6, 1.0, v6, vcc_lo
	v_cmp_lt_i32_e32 vcc_lo, 4, v3
	v_mul_f32_e32 v5, v5, v6
	v_cndmask_b32_e32 v7, 1.0, v7, vcc_lo
	v_cmp_lt_i32_e32 vcc_lo, 5, v3
	v_add_f32_e32 v6, 0x40c00000, v4
	v_mul_f32_e32 v5, v7, v5
	v_cndmask_b32_e32 v8, 1.0, v8, vcc_lo
	v_cmp_lt_i32_e32 vcc_lo, 6, v3
	v_fmaak_f32 v7, s8, v4, 0x3af135b4
	v_mul_f32_e32 v5, v8, v5
	v_cndmask_b32_e32 v3, 1.0, v6, vcc_lo
	v_mul_f32_e32 v3, v3, v5
	v_fmaak_f32 v5, s0, v4, 0x3a4beed6
	v_cmp_gt_f32_e32 vcc_lo, 0x800000, v3
	v_fmaak_f32 v5, v4, v5, 0x3c98bf54
	v_cndmask_b32_e64 v6, 0, 32, vcc_lo
	v_fmaak_f32 v5, v4, v5, 0x3e300f6e
	v_ldexp_f32 v3, v3, v6
	v_fmaak_f32 v6, v4, v7, 0x3cda40e4
	v_fmaak_f32 v5, v4, v5, 0x3f38d0c5
	v_log_f32_e32 v3, v3
	v_fmaak_f32 v6, v4, v6, 0x3e15dce6
	v_fmaak_f32 v5, v4, v5, 0x3fb22d3b
	;; [unrolled: 1-line block ×3, first 2 shown]
	v_fma_f32 v5, v4, v5, 1.0
	v_mul_f32_e32 v7, 0x3f317217, v3
	v_fmaak_f32 v6, v4, v6, 0x3e5c245a
	v_rcp_f32_e32 v5, v5
	v_cmp_gt_f32_e64 s0, 0x7f800000, |v3|
	v_fma_f32 v8, 0x3f317217, v3, -v7
	v_fmaak_f32 v6, v4, v6, 0xbd9e233f
	v_fmamk_f32 v8, v3, 0x3377d1cf, v8
	v_mul_f32_e32 v6, v4, v6
	v_add_f32_e32 v7, v7, v8
	v_mul_f32_e32 v5, v6, v5
	v_cndmask_b32_e64 v6, 0, 0x41b17218, vcc_lo
	v_cndmask_b32_e64 v3, v3, v7, s0
	v_fmac_f32_e32 v5, 0.5, v4
	v_sub_f32_e32 v3, v3, v6
	v_add_f32_e32 v3, v3, v5
.LBB162_824:
	s_or_b32 exec_lo, exec_lo, s7
.LBB162_825:
	s_andn2_saveexec_b32 s6, s6
	s_cbranch_execz .LBB162_843
; %bb.826:
	s_mov_b32 s7, exec_lo
                                        ; implicit-def: $vgpr3
                                        ; implicit-def: $vgpr5
                                        ; implicit-def: $vgpr4
	v_cmpx_ge_f32_e64 0x3f666666, |v1|
	s_xor_b32 s7, exec_lo, s7
	s_cbranch_execz .LBB162_828
; %bb.827:
	v_cmp_gt_f32_e64 s0, 0x800000, |v1|
	v_sub_f32_e64 v6, 1.0, |v1|
	v_cmp_gt_f32_e64 vcc_lo, 0x3f3b4a23, |v1|
	v_cndmask_b32_e64 v3, 0, 32, s0
	v_cndmask_b32_e64 v7, 0, 0x41b17218, s0
	v_ldexp_f32 v3, |v1|, v3
	v_log_f32_e32 v3, v3
	v_mul_f32_e32 v4, 0x3f317217, v3
	v_cmp_gt_f32_e64 s0, 0x7f800000, |v3|
	v_fma_f32 v5, 0x3f317217, v3, -v4
	v_fmamk_f32 v5, v3, 0x3377d1cf, v5
	v_add_f32_e32 v4, v4, v5
	v_add_f32_e64 v5, 0xbeec5b0c, |v1|
	v_cndmask_b32_e64 v3, v3, v4, s0
	v_cndmask_b32_e32 v4, v6, v5, vcc_lo
	v_cndmask_b32_e64 v5, 0, 1, vcc_lo
	v_cmp_gt_f32_e64 s0, 0x3e6d3309, |v1|
	v_sub_f32_e32 v3, v3, v7
	v_cndmask_b32_e64 v4, v4, |v1|, s0
	v_cndmask_b32_e64 v5, v5, 2, s0
	v_xor_b32_e32 v3, 0x80000000, v3
.LBB162_828:
	s_andn2_saveexec_b32 s0, s7
	s_cbranch_execz .LBB162_830
; %bb.829:
	v_sub_f32_e64 v3, 2.0, |v1|
	v_add_f32_e64 v4, 0xbfbb16c3, |v1|
	v_cmp_gt_f32_e64 vcc_lo, 0x3fdda512, |v1|
	v_add_f32_e64 v5, |v1|, -1.0
	v_cndmask_b32_e32 v4, v3, v4, vcc_lo
	v_cndmask_b32_e64 v3, v3, 1.0, vcc_lo
	v_cmp_gt_f32_e64 vcc_lo, 0x3f9d70a4, |v1|
	v_cvt_i32_f32_e32 v3, v3
	v_cndmask_b32_e32 v4, v4, v5, vcc_lo
	v_cndmask_b32_e64 v5, v3, 2, vcc_lo
	v_mov_b32_e32 v3, 0
.LBB162_830:
	s_or_b32 exec_lo, exec_lo, s0
	s_mov_b32 s0, exec_lo
	v_cmpx_lt_i32_e32 0, v5
	s_xor_b32 s0, exec_lo, s0
	s_cbranch_execz .LBB162_838
; %bb.831:
	s_mov_b32 s7, exec_lo
	v_cmpx_lt_i32_e32 1, v5
	s_xor_b32 s7, exec_lo, s7
	s_cbranch_execz .LBB162_835
; %bb.832:
	s_mov_b32 s8, exec_lo
	v_cmpx_eq_u32_e32 2, v5
	s_cbranch_execz .LBB162_834
; %bb.833:
	s_mov_b32 s9, 0x3b52d5db
	v_fmaak_f32 v5, s9, v4, 0x3dd572af
	s_mov_b32 s9, 0x3c5b3c5e
	v_fmaak_f32 v6, s9, v4, 0x3e6a7578
	v_fmaak_f32 v5, v4, v5, 0x3f44efdf
	;; [unrolled: 1-line block ×7, first 2 shown]
	v_fma_f32 v5, v4, v5, 1.0
	v_fmaak_f32 v6, v4, v6, 0xbd9e233f
	v_rcp_f32_e32 v5, v5
	v_mul_f32_e32 v6, v4, v6
	v_mul_f32_e32 v5, v6, v5
	v_fmac_f32_e32 v5, -0.5, v4
	v_add_f32_e32 v3, v3, v5
.LBB162_834:
	s_or_b32 exec_lo, exec_lo, s8
                                        ; implicit-def: $vgpr4
.LBB162_835:
	s_andn2_saveexec_b32 s7, s7
	s_cbranch_execz .LBB162_837
; %bb.836:
	v_mul_f32_e32 v5, v4, v4
	s_mov_b32 s8, 0xb9a3f927
	s_mov_b32 s9, 0x39afe9f7
	v_mul_f32_e32 v6, v4, v5
	v_fmaak_f32 v7, s8, v6, 0x3a66f867
	v_fmaak_f32 v8, s9, v6, 0xba0d3085
	s_mov_b32 s8, 0x39a57b6b
	v_fmaak_f32 v9, s8, v6, 0xbab7f476
	v_fmaak_f32 v7, v6, v7, 0xbb7177fe
	;; [unrolled: 1-line block ×9, first 2 shown]
	v_fmac_f32_e32 v7, v4, v8
	v_fmaak_f32 v4, v6, v9, 0x3ef7b95e
	v_fma_f32 v6, v6, -v7, 0xa2863e55
	v_fma_f32 v4, v5, v4, -v6
	v_add_f32_e32 v4, 0xbdf8cdce, v4
	v_add_f32_e32 v3, v3, v4
.LBB162_837:
	s_or_b32 exec_lo, exec_lo, s7
                                        ; implicit-def: $vgpr5
                                        ; implicit-def: $vgpr4
.LBB162_838:
	s_andn2_saveexec_b32 s0, s0
	s_cbranch_execz .LBB162_842
; %bb.839:
	s_mov_b32 s7, exec_lo
	v_cmpx_eq_u32_e32 0, v5
	s_cbranch_execz .LBB162_841
; %bb.840:
	v_mul_f32_e32 v5, v4, v4
	s_mov_b32 s8, 0x383c2c75
	v_fmaak_f32 v6, s8, v5, 0x38e28445
	s_mov_b32 s8, 0x37d383a2
	v_fmaak_f32 v7, s8, v5, 0x39679767
	v_fmaak_f32 v6, v5, v6, 0x3a05b634
	;; [unrolled: 1-line block ×9, first 2 shown]
	v_mul_f32_e32 v5, v5, v6
	v_fmac_f32_e32 v5, v4, v7
	v_fmac_f32_e32 v5, -0.5, v4
	v_add_f32_e32 v3, v3, v5
.LBB162_841:
	s_or_b32 exec_lo, exec_lo, s7
.LBB162_842:
	s_or_b32 exec_lo, exec_lo, s0
.LBB162_843:
	s_or_b32 exec_lo, exec_lo, s6
.LBB162_844:
	s_andn2_saveexec_b32 s0, s1
	s_cbranch_execz .LBB162_846
; %bb.845:
	v_cmp_gt_f32_e64 s1, 0x800000, |v1|
	s_mov_b32 s6, 0x3e8a8991
	v_fma_f32 v6, |v1|, s6, 0xbecd26ab
	v_cndmask_b32_e64 v3, 0, 32, s1
	v_ldexp_f32 v3, |v1|, v3
	v_log_f32_e32 v3, v3
	v_mul_f32_e32 v4, 0x3f317217, v3
	v_cmp_gt_f32_e64 vcc_lo, 0x7f800000, |v3|
	v_fma_f32 v5, 0x3f317217, v3, -v4
	v_fmamk_f32 v5, v3, 0x3377d1cf, v5
	v_add_f32_e32 v4, v4, v5
	v_fma_f32 v5, |v1|, v6, 0x3f528d33
	v_cndmask_b32_e32 v3, v3, v4, vcc_lo
	v_cndmask_b32_e64 v4, 0, 0x41b17218, s1
	v_fma_f32 v5, |v1|, v5, 0xbf13c468
	v_sub_f32_e32 v3, v3, v4
	v_fma_f32 v3, |v1|, v5, -v3
.LBB162_846:
	s_or_b32 exec_lo, exec_lo, s0
	v_cmp_le_f32_e32 vcc_lo, 0, v1
	s_mov_b32 s1, exec_lo
	v_cmpx_nle_f32_e32 0, v1
	s_xor_b32 s6, exec_lo, s1
	s_cbranch_execz .LBB162_850
; %bb.847:
	v_cmp_gt_f32_e64 s0, 0x4b000000, |v1|
	v_cmp_lt_f32_e64 s1, 0x35000000, |v1|
	s_and_b32 s0, s0, s1
	s_and_saveexec_b32 s7, s0
	s_cbranch_execz .LBB162_849
; %bb.848:
	v_mul_f32_e64 v4, |v1|, 0.5
	s_mov_b32 s1, 0x3d4be544
	v_floor_f32_e32 v5, v4
	v_cmp_neq_f32_e64 s0, 0x7f800000, v4
	v_sub_f32_e32 v5, v4, v5
	v_min_f32_e32 v5, 0x3f7fffff, v5
	v_add_f32_e32 v5, v5, v5
	v_cndmask_b32_e64 v4, 0, v5, s0
	v_cmp_gt_f32_e64 s0, |v1|, 1.0
	v_cndmask_b32_e64 v4, |v1|, v4, s0
	s_mov_b32 s0, 0x3e75aa41
	v_add_f32_e32 v5, v4, v4
	v_rndne_f32_e32 v5, v5
	v_fmac_f32_e32 v4, -0.5, v5
	v_cvt_i32_f32_e32 v5, v5
	v_mul_f32_e32 v6, v4, v4
	v_fmaak_f32 v7, s0, v6, 0xbf1f24be
	v_fmaak_f32 v8, s1, v6, 0x3e642e9d
	v_mul_f32_e32 v9, v4, v6
	v_fmaak_f32 v7, v6, v7, 0x40234736
	v_fmaak_f32 v8, v6, v8, 0xbfaad1da
	;; [unrolled: 1-line block ×4, first 2 shown]
	v_mul_f32_e32 v7, v9, v7
	v_fmaak_f32 v8, v6, v8, 0xc09de9e6
	v_and_b32_e32 v9, 1, v5
	v_lshlrev_b32_e32 v5, 30, v5
	v_fmamk_f32 v4, v4, 0x40490fdb, v7
	v_fma_f32 v6, v6, v8, 1.0
	v_cmp_eq_u32_e64 s0, 0, v9
	v_and_or_b32 v2, 0x80000000, v5, v2
	v_cndmask_b32_e64 v4, v6, v4, s0
	v_xor3_b32 v2, v2, v4, v1
	v_mul_f32_e32 v2, v1, v2
	v_frexp_mant_f32_e64 v4, |v2|
	v_frexp_exp_i32_f32_e32 v2, v2
	v_rcp_f32_e32 v4, v4
	v_sub_nc_u32_e32 v2, 2, v2
	v_mul_f32_e32 v4, 0x3f490fdb, v4
	v_ldexp_f32 v2, v4, v2
	v_cmp_gt_f32_e64 s0, 0x800000, v2
	v_cndmask_b32_e64 v4, 0, 32, s0
	v_ldexp_f32 v2, v2, v4
	v_log_f32_e32 v2, v2
	v_mul_f32_e32 v4, 0x3f317217, v2
	v_cmp_gt_f32_e64 s1, 0x7f800000, |v2|
	v_fma_f32 v5, 0x3f317217, v2, -v4
	v_fmamk_f32 v5, v2, 0x3377d1cf, v5
	v_add_f32_e32 v4, v4, v5
	v_floor_f32_e32 v5, v1
	v_cndmask_b32_e64 v2, v2, v4, s1
	v_cndmask_b32_e64 v4, 0, 0x41b17218, s0
	v_sub_f32_e32 v5, v1, v5
	v_sub_f32_e32 v2, v2, v4
	v_min_f32_e32 v4, 0x3f7fffff, v5
	v_sub_f32_e32 v2, v2, v3
	v_cmp_neq_f32_e64 s0, 0, v4
	v_cndmask_b32_e64 v3, 0x7f800000, v2, s0
.LBB162_849:
	s_or_b32 exec_lo, exec_lo, s7
.LBB162_850:
	s_andn2_saveexec_b32 s6, s6
; %bb.851:
	v_cmp_eq_f32_e64 s0, 1.0, v1
	v_cmp_eq_f32_e64 s1, 2.0, v1
	s_or_b32 s0, s0, s1
	v_cndmask_b32_e64 v3, v3, 0, s0
; %bb.852:
	s_or_b32 exec_lo, exec_lo, s6
	v_cmp_gt_f32_e64 s0, 0x4b000000, |v1|
	s_or_b32 vcc_lo, vcc_lo, s0
	v_cmp_class_f32_e64 s0, v1, 0x264
	v_cndmask_b32_e32 v2, 0x7f800000, v3, vcc_lo
	v_cmp_u_f32_e32 vcc_lo, v1, v1
	v_cndmask_b32_e64 v2, v2, 0x7f800000, s0
	v_cndmask_b32_e32 v1, v2, v1, vcc_lo
	v_bfe_u32 v2, v1, 16, 1
	v_cmp_o_f32_e32 vcc_lo, v1, v1
	v_add3_u32 v1, v1, v2, 0x7fff
	v_mov_b32_e32 v2, 0x7fc0
	v_cndmask_b32_sdwa v1, v2, v1, vcc_lo dst_sel:DWORD dst_unused:UNUSED_PAD src0_sel:DWORD src1_sel:WORD_1
	global_store_short v0, v1, s[4:5]
	s_or_b32 exec_lo, exec_lo, s20
                                        ; implicit-def: $vgpr25
                                        ; implicit-def: $vgpr7
	s_andn2_saveexec_b32 s0, s25
	s_cbranch_execz .LBB162_753
	s_branch .LBB162_8
	.section	.rodata,"a",@progbits
	.p2align	6, 0x0
	.amdhsa_kernel _ZN2at6native32elementwise_kernel_manual_unrollILi128ELi8EZNS0_22gpu_kernel_impl_nocastIZZZNS0_18lgamma_kernel_cudaERNS_18TensorIteratorBaseEENKUlvE_clEvENKUlvE2_clEvEUlN3c108BFloat16EE_EEvS4_RKT_EUlibE_EEviT1_
		.amdhsa_group_segment_fixed_size 0
		.amdhsa_private_segment_fixed_size 0
		.amdhsa_kernarg_size 360
		.amdhsa_user_sgpr_count 6
		.amdhsa_user_sgpr_private_segment_buffer 1
		.amdhsa_user_sgpr_dispatch_ptr 0
		.amdhsa_user_sgpr_queue_ptr 0
		.amdhsa_user_sgpr_kernarg_segment_ptr 1
		.amdhsa_user_sgpr_dispatch_id 0
		.amdhsa_user_sgpr_flat_scratch_init 0
		.amdhsa_user_sgpr_private_segment_size 0
		.amdhsa_wavefront_size32 1
		.amdhsa_uses_dynamic_stack 0
		.amdhsa_system_sgpr_private_segment_wavefront_offset 0
		.amdhsa_system_sgpr_workgroup_id_x 1
		.amdhsa_system_sgpr_workgroup_id_y 0
		.amdhsa_system_sgpr_workgroup_id_z 0
		.amdhsa_system_sgpr_workgroup_info 0
		.amdhsa_system_vgpr_workitem_id 0
		.amdhsa_next_free_vgpr 31
		.amdhsa_next_free_sgpr 56
		.amdhsa_reserve_vcc 1
		.amdhsa_reserve_flat_scratch 0
		.amdhsa_float_round_mode_32 0
		.amdhsa_float_round_mode_16_64 0
		.amdhsa_float_denorm_mode_32 3
		.amdhsa_float_denorm_mode_16_64 3
		.amdhsa_dx10_clamp 1
		.amdhsa_ieee_mode 1
		.amdhsa_fp16_overflow 0
		.amdhsa_workgroup_processor_mode 1
		.amdhsa_memory_ordered 1
		.amdhsa_forward_progress 1
		.amdhsa_shared_vgpr_count 0
		.amdhsa_exception_fp_ieee_invalid_op 0
		.amdhsa_exception_fp_denorm_src 0
		.amdhsa_exception_fp_ieee_div_zero 0
		.amdhsa_exception_fp_ieee_overflow 0
		.amdhsa_exception_fp_ieee_underflow 0
		.amdhsa_exception_fp_ieee_inexact 0
		.amdhsa_exception_int_div_zero 0
	.end_amdhsa_kernel
	.section	.text._ZN2at6native32elementwise_kernel_manual_unrollILi128ELi8EZNS0_22gpu_kernel_impl_nocastIZZZNS0_18lgamma_kernel_cudaERNS_18TensorIteratorBaseEENKUlvE_clEvENKUlvE2_clEvEUlN3c108BFloat16EE_EEvS4_RKT_EUlibE_EEviT1_,"axG",@progbits,_ZN2at6native32elementwise_kernel_manual_unrollILi128ELi8EZNS0_22gpu_kernel_impl_nocastIZZZNS0_18lgamma_kernel_cudaERNS_18TensorIteratorBaseEENKUlvE_clEvENKUlvE2_clEvEUlN3c108BFloat16EE_EEvS4_RKT_EUlibE_EEviT1_,comdat
.Lfunc_end162:
	.size	_ZN2at6native32elementwise_kernel_manual_unrollILi128ELi8EZNS0_22gpu_kernel_impl_nocastIZZZNS0_18lgamma_kernel_cudaERNS_18TensorIteratorBaseEENKUlvE_clEvENKUlvE2_clEvEUlN3c108BFloat16EE_EEvS4_RKT_EUlibE_EEviT1_, .Lfunc_end162-_ZN2at6native32elementwise_kernel_manual_unrollILi128ELi8EZNS0_22gpu_kernel_impl_nocastIZZZNS0_18lgamma_kernel_cudaERNS_18TensorIteratorBaseEENKUlvE_clEvENKUlvE2_clEvEUlN3c108BFloat16EE_EEvS4_RKT_EUlibE_EEviT1_
                                        ; -- End function
	.set _ZN2at6native32elementwise_kernel_manual_unrollILi128ELi8EZNS0_22gpu_kernel_impl_nocastIZZZNS0_18lgamma_kernel_cudaERNS_18TensorIteratorBaseEENKUlvE_clEvENKUlvE2_clEvEUlN3c108BFloat16EE_EEvS4_RKT_EUlibE_EEviT1_.num_vgpr, 31
	.set _ZN2at6native32elementwise_kernel_manual_unrollILi128ELi8EZNS0_22gpu_kernel_impl_nocastIZZZNS0_18lgamma_kernel_cudaERNS_18TensorIteratorBaseEENKUlvE_clEvENKUlvE2_clEvEUlN3c108BFloat16EE_EEvS4_RKT_EUlibE_EEviT1_.num_agpr, 0
	.set _ZN2at6native32elementwise_kernel_manual_unrollILi128ELi8EZNS0_22gpu_kernel_impl_nocastIZZZNS0_18lgamma_kernel_cudaERNS_18TensorIteratorBaseEENKUlvE_clEvENKUlvE2_clEvEUlN3c108BFloat16EE_EEvS4_RKT_EUlibE_EEviT1_.numbered_sgpr, 56
	.set _ZN2at6native32elementwise_kernel_manual_unrollILi128ELi8EZNS0_22gpu_kernel_impl_nocastIZZZNS0_18lgamma_kernel_cudaERNS_18TensorIteratorBaseEENKUlvE_clEvENKUlvE2_clEvEUlN3c108BFloat16EE_EEvS4_RKT_EUlibE_EEviT1_.num_named_barrier, 0
	.set _ZN2at6native32elementwise_kernel_manual_unrollILi128ELi8EZNS0_22gpu_kernel_impl_nocastIZZZNS0_18lgamma_kernel_cudaERNS_18TensorIteratorBaseEENKUlvE_clEvENKUlvE2_clEvEUlN3c108BFloat16EE_EEvS4_RKT_EUlibE_EEviT1_.private_seg_size, 0
	.set _ZN2at6native32elementwise_kernel_manual_unrollILi128ELi8EZNS0_22gpu_kernel_impl_nocastIZZZNS0_18lgamma_kernel_cudaERNS_18TensorIteratorBaseEENKUlvE_clEvENKUlvE2_clEvEUlN3c108BFloat16EE_EEvS4_RKT_EUlibE_EEviT1_.uses_vcc, 1
	.set _ZN2at6native32elementwise_kernel_manual_unrollILi128ELi8EZNS0_22gpu_kernel_impl_nocastIZZZNS0_18lgamma_kernel_cudaERNS_18TensorIteratorBaseEENKUlvE_clEvENKUlvE2_clEvEUlN3c108BFloat16EE_EEvS4_RKT_EUlibE_EEviT1_.uses_flat_scratch, 0
	.set _ZN2at6native32elementwise_kernel_manual_unrollILi128ELi8EZNS0_22gpu_kernel_impl_nocastIZZZNS0_18lgamma_kernel_cudaERNS_18TensorIteratorBaseEENKUlvE_clEvENKUlvE2_clEvEUlN3c108BFloat16EE_EEvS4_RKT_EUlibE_EEviT1_.has_dyn_sized_stack, 0
	.set _ZN2at6native32elementwise_kernel_manual_unrollILi128ELi8EZNS0_22gpu_kernel_impl_nocastIZZZNS0_18lgamma_kernel_cudaERNS_18TensorIteratorBaseEENKUlvE_clEvENKUlvE2_clEvEUlN3c108BFloat16EE_EEvS4_RKT_EUlibE_EEviT1_.has_recursion, 0
	.set _ZN2at6native32elementwise_kernel_manual_unrollILi128ELi8EZNS0_22gpu_kernel_impl_nocastIZZZNS0_18lgamma_kernel_cudaERNS_18TensorIteratorBaseEENKUlvE_clEvENKUlvE2_clEvEUlN3c108BFloat16EE_EEvS4_RKT_EUlibE_EEviT1_.has_indirect_call, 0
	.section	.AMDGPU.csdata,"",@progbits
; Kernel info:
; codeLenInByte = 49460
; TotalNumSgprs: 58
; NumVgprs: 31
; ScratchSize: 0
; MemoryBound: 0
; FloatMode: 240
; IeeeMode: 1
; LDSByteSize: 0 bytes/workgroup (compile time only)
; SGPRBlocks: 0
; VGPRBlocks: 3
; NumSGPRsForWavesPerEU: 58
; NumVGPRsForWavesPerEU: 31
; Occupancy: 16
; WaveLimiterHint : 1
; COMPUTE_PGM_RSRC2:SCRATCH_EN: 0
; COMPUTE_PGM_RSRC2:USER_SGPR: 6
; COMPUTE_PGM_RSRC2:TRAP_HANDLER: 0
; COMPUTE_PGM_RSRC2:TGID_X_EN: 1
; COMPUTE_PGM_RSRC2:TGID_Y_EN: 0
; COMPUTE_PGM_RSRC2:TGID_Z_EN: 0
; COMPUTE_PGM_RSRC2:TIDIG_COMP_CNT: 0
	.section	.text._ZN2at6native32elementwise_kernel_manual_unrollILi128ELi4EZNS0_15gpu_kernel_implIZZZNS0_18lgamma_kernel_cudaERNS_18TensorIteratorBaseEENKUlvE_clEvENKUlvE2_clEvEUlN3c108BFloat16EE_EEvS4_RKT_EUlibE_EEviT1_,"axG",@progbits,_ZN2at6native32elementwise_kernel_manual_unrollILi128ELi4EZNS0_15gpu_kernel_implIZZZNS0_18lgamma_kernel_cudaERNS_18TensorIteratorBaseEENKUlvE_clEvENKUlvE2_clEvEUlN3c108BFloat16EE_EEvS4_RKT_EUlibE_EEviT1_,comdat
	.globl	_ZN2at6native32elementwise_kernel_manual_unrollILi128ELi4EZNS0_15gpu_kernel_implIZZZNS0_18lgamma_kernel_cudaERNS_18TensorIteratorBaseEENKUlvE_clEvENKUlvE2_clEvEUlN3c108BFloat16EE_EEvS4_RKT_EUlibE_EEviT1_ ; -- Begin function _ZN2at6native32elementwise_kernel_manual_unrollILi128ELi4EZNS0_15gpu_kernel_implIZZZNS0_18lgamma_kernel_cudaERNS_18TensorIteratorBaseEENKUlvE_clEvENKUlvE2_clEvEUlN3c108BFloat16EE_EEvS4_RKT_EUlibE_EEviT1_
	.p2align	8
	.type	_ZN2at6native32elementwise_kernel_manual_unrollILi128ELi4EZNS0_15gpu_kernel_implIZZZNS0_18lgamma_kernel_cudaERNS_18TensorIteratorBaseEENKUlvE_clEvENKUlvE2_clEvEUlN3c108BFloat16EE_EEvS4_RKT_EUlibE_EEviT1_,@function
_ZN2at6native32elementwise_kernel_manual_unrollILi128ELi4EZNS0_15gpu_kernel_implIZZZNS0_18lgamma_kernel_cudaERNS_18TensorIteratorBaseEENKUlvE_clEvENKUlvE2_clEvEUlN3c108BFloat16EE_EEvS4_RKT_EUlibE_EEviT1_: ; @_ZN2at6native32elementwise_kernel_manual_unrollILi128ELi4EZNS0_15gpu_kernel_implIZZZNS0_18lgamma_kernel_cudaERNS_18TensorIteratorBaseEENKUlvE_clEvENKUlvE2_clEvEUlN3c108BFloat16EE_EEvS4_RKT_EUlibE_EEviT1_
; %bb.0:
	v_mov_b32_e32 v1, 0
	s_clause 0x2
	s_load_dword s7, s[4:5], 0x0
	s_load_dwordx2 s[12:13], s[4:5], 0x18
	s_load_dwordx4 s[8:11], s[4:5], 0x8
	v_lshl_or_b32 v2, s6, 9, v0
	s_mov_b32 s2, 0
	s_mov_b32 s6, 0
	global_load_ushort v1, v1, s[4:5] offset:33
	v_or_b32_e32 v0, 0x180, v2
	s_waitcnt vmcnt(0)
	v_readfirstlane_b32 s5, v1
	s_and_b32 s0, 0xffff, s5
	s_lshr_b32 s3, s0, 8
	s_mov_b32 s0, exec_lo
	s_waitcnt lgkmcnt(0)
	v_cmpx_le_i32_e64 s7, v0
	s_xor_b32 s4, exec_lo, s0
	s_cbranch_execz .LBB163_1183
; %bb.1:
	s_mov_b32 s1, -1
	s_mov_b32 s16, 0
	s_mov_b32 s14, 0
	s_mov_b32 s15, exec_lo
	v_cmpx_gt_i32_e64 s7, v2
	s_cbranch_execz .LBB163_290
; %bb.2:
	v_mul_lo_u32 v0, v2, s13
	s_and_b32 s0, 0xffff, s3
	s_cmp_lt_i32 s0, 11
	v_ashrrev_i32_e32 v1, 31, v0
	v_add_co_u32 v0, vcc_lo, s10, v0
	v_add_co_ci_u32_e64 v1, null, s11, v1, vcc_lo
	s_cbranch_scc1 .LBB163_9
; %bb.3:
	s_cmp_gt_i32 s0, 25
	s_cbranch_scc0 .LBB163_56
; %bb.4:
	s_cmp_gt_i32 s0, 28
	s_cbranch_scc0 .LBB163_59
; %bb.5:
	s_cmp_gt_i32 s0, 43
	s_cbranch_scc0 .LBB163_61
; %bb.6:
	s_cmp_gt_i32 s0, 45
	s_cbranch_scc0 .LBB163_63
; %bb.7:
	s_cmp_eq_u32 s0, 46
	s_cbranch_scc0 .LBB163_65
; %bb.8:
	global_load_dword v3, v[0:1], off
	s_branch .LBB163_67
.LBB163_9:
	s_mov_b32 s1, 0
                                        ; implicit-def: $vgpr3
	s_cbranch_execnz .LBB163_240
.LBB163_10:
	s_andn2_b32 vcc_lo, exec_lo, s1
	s_cbranch_vccnz .LBB163_287
.LBB163_11:
	s_waitcnt vmcnt(0)
	v_lshlrev_b32_e32 v0, 16, v3
	s_mov_b32 s1, exec_lo
                                        ; implicit-def: $vgpr3
	v_and_b32_e32 v1, 0x7fffffff, v0
	v_cmpx_ngt_f32_e64 0x3c800000, |v0|
	s_xor_b32 s1, exec_lo, s1
	s_cbranch_execz .LBB163_41
; %bb.12:
	s_mov_b32 s6, exec_lo
                                        ; implicit-def: $vgpr3
	v_cmpx_nlt_f32_e64 |v0|, 2.0
	s_xor_b32 s6, exec_lo, s6
	s_cbranch_execz .LBB163_22
; %bb.13:
	v_cmp_ngt_f32_e64 s0, 0x41000000, |v0|
                                        ; implicit-def: $vgpr3
	s_and_saveexec_b32 s17, s0
	s_xor_b32 s0, exec_lo, s17
	s_cbranch_execz .LBB163_19
; %bb.14:
	v_cmp_ngt_f32_e64 s17, 0x5c800000, |v0|
                                        ; implicit-def: $vgpr3
	s_and_saveexec_b32 s18, s17
	s_xor_b32 s17, exec_lo, s18
	s_cbranch_execz .LBB163_16
; %bb.15:
	v_cmp_gt_f32_e64 s18, 0x800000, |v0|
	v_cndmask_b32_e64 v3, 0, 32, s18
	v_ldexp_f32 v3, |v0|, v3
	v_log_f32_e32 v3, v3
	v_mul_f32_e32 v4, 0x3f317217, v3
	v_cmp_gt_f32_e64 vcc_lo, 0x7f800000, |v3|
	v_fma_f32 v5, 0x3f317217, v3, -v4
	v_fmamk_f32 v5, v3, 0x3377d1cf, v5
	v_add_f32_e32 v4, v4, v5
	v_cndmask_b32_e32 v3, v3, v4, vcc_lo
	v_cndmask_b32_e64 v4, 0, 0x41b17218, s18
	v_sub_f32_e32 v3, v3, v4
	v_fma_f32 v3, |v0|, v3, -|v0|
.LBB163_16:
	s_andn2_saveexec_b32 s17, s17
	s_cbranch_execz .LBB163_18
; %bb.17:
	v_cmp_gt_f32_e64 s18, 0x800000, |v0|
	v_rcp_f32_e64 v4, |v0|
	s_mov_b32 s19, 0xbad5c4e8
	v_cndmask_b32_e64 v3, 0, 32, s18
	v_ldexp_f32 v3, |v0|, v3
	v_mul_f32_e32 v5, v4, v4
	v_log_f32_e32 v3, v3
	v_fmaak_f32 v7, s19, v5, 0x3a5b3dd2
	v_fmaak_f32 v7, v5, v7, 0xba1c065c
	v_mul_f32_e32 v6, 0x3f317217, v3
	v_fmaak_f32 v7, v5, v7, 0x3a500cfd
	v_cmp_gt_f32_e64 vcc_lo, 0x7f800000, |v3|
	v_fma_f32 v8, 0x3f317217, v3, -v6
	v_fmaak_f32 v7, v5, v7, 0xbb360b61
	v_fmamk_f32 v8, v3, 0x3377d1cf, v8
	v_fmaak_f32 v5, v5, v7, 0x3daaaaab
	v_add_f32_e32 v6, v6, v8
	v_cndmask_b32_e32 v3, v3, v6, vcc_lo
	v_cndmask_b32_e64 v6, 0, 0x41b17218, s18
	v_sub_f32_e32 v6, v3, v6
	v_fmaak_f32 v3, v4, v5, 0x3ed67f1d
	v_add_f32_e64 v4, |v0|, -0.5
	v_add_f32_e32 v5, -1.0, v6
	v_fmac_f32_e32 v3, v4, v5
.LBB163_18:
	s_or_b32 exec_lo, exec_lo, s17
.LBB163_19:
	s_andn2_saveexec_b32 s17, s0
	s_cbranch_execz .LBB163_21
; %bb.20:
	v_cvt_i32_f32_e32 v3, v1
	s_mov_b32 s0, 0x36f5d7bd
	s_mov_b32 s18, 0x3805ff67
	v_cvt_f32_i32_e32 v4, v3
	v_cmp_lt_i32_e32 vcc_lo, 2, v3
	v_sub_f32_e64 v4, |v0|, v4
	v_add_f32_e32 v5, 2.0, v4
	v_add_f32_e32 v6, 0x40400000, v4
	v_add_f32_e32 v7, 4.0, v4
	v_add_f32_e32 v8, 0x40a00000, v4
	v_cndmask_b32_e32 v5, 1.0, v5, vcc_lo
	v_cmp_lt_i32_e32 vcc_lo, 3, v3
	v_cndmask_b32_e32 v6, 1.0, v6, vcc_lo
	v_cmp_lt_i32_e32 vcc_lo, 4, v3
	v_mul_f32_e32 v5, v5, v6
	v_cndmask_b32_e32 v7, 1.0, v7, vcc_lo
	v_cmp_lt_i32_e32 vcc_lo, 5, v3
	v_add_f32_e32 v6, 0x40c00000, v4
	v_mul_f32_e32 v5, v7, v5
	v_cndmask_b32_e32 v8, 1.0, v8, vcc_lo
	v_cmp_lt_i32_e32 vcc_lo, 6, v3
	v_fmaak_f32 v7, s18, v4, 0x3af135b4
	v_mul_f32_e32 v5, v8, v5
	v_cndmask_b32_e32 v3, 1.0, v6, vcc_lo
	v_mul_f32_e32 v3, v3, v5
	v_fmaak_f32 v5, s0, v4, 0x3a4beed6
	v_cmp_gt_f32_e32 vcc_lo, 0x800000, v3
	v_fmaak_f32 v5, v4, v5, 0x3c98bf54
	v_cndmask_b32_e64 v6, 0, 32, vcc_lo
	v_fmaak_f32 v5, v4, v5, 0x3e300f6e
	v_ldexp_f32 v3, v3, v6
	v_fmaak_f32 v6, v4, v7, 0x3cda40e4
	v_fmaak_f32 v5, v4, v5, 0x3f38d0c5
	v_log_f32_e32 v3, v3
	v_fmaak_f32 v6, v4, v6, 0x3e15dce6
	v_fmaak_f32 v5, v4, v5, 0x3fb22d3b
	;; [unrolled: 1-line block ×3, first 2 shown]
	v_fma_f32 v5, v4, v5, 1.0
	v_mul_f32_e32 v7, 0x3f317217, v3
	v_fmaak_f32 v6, v4, v6, 0x3e5c245a
	v_rcp_f32_e32 v5, v5
	v_cmp_gt_f32_e64 s0, 0x7f800000, |v3|
	v_fma_f32 v8, 0x3f317217, v3, -v7
	v_fmaak_f32 v6, v4, v6, 0xbd9e233f
	v_fmamk_f32 v8, v3, 0x3377d1cf, v8
	v_mul_f32_e32 v6, v4, v6
	v_add_f32_e32 v7, v7, v8
	v_mul_f32_e32 v5, v6, v5
	v_cndmask_b32_e64 v6, 0, 0x41b17218, vcc_lo
	v_cndmask_b32_e64 v3, v3, v7, s0
	v_fmac_f32_e32 v5, 0.5, v4
	v_sub_f32_e32 v3, v3, v6
	v_add_f32_e32 v3, v3, v5
.LBB163_21:
	s_or_b32 exec_lo, exec_lo, s17
.LBB163_22:
	s_andn2_saveexec_b32 s6, s6
	s_cbranch_execz .LBB163_40
; %bb.23:
	s_mov_b32 s17, exec_lo
                                        ; implicit-def: $vgpr3
                                        ; implicit-def: $vgpr5
                                        ; implicit-def: $vgpr4
	v_cmpx_ge_f32_e64 0x3f666666, |v0|
	s_xor_b32 s17, exec_lo, s17
	s_cbranch_execz .LBB163_25
; %bb.24:
	v_cmp_gt_f32_e64 s0, 0x800000, |v0|
	v_sub_f32_e64 v6, 1.0, |v0|
	v_cmp_gt_f32_e64 vcc_lo, 0x3f3b4a23, |v0|
	v_cndmask_b32_e64 v3, 0, 32, s0
	v_cndmask_b32_e64 v7, 0, 0x41b17218, s0
	v_ldexp_f32 v3, |v0|, v3
	v_log_f32_e32 v3, v3
	v_mul_f32_e32 v4, 0x3f317217, v3
	v_cmp_gt_f32_e64 s0, 0x7f800000, |v3|
	v_fma_f32 v5, 0x3f317217, v3, -v4
	v_fmamk_f32 v5, v3, 0x3377d1cf, v5
	v_add_f32_e32 v4, v4, v5
	v_add_f32_e64 v5, 0xbeec5b0c, |v0|
	v_cndmask_b32_e64 v3, v3, v4, s0
	v_cndmask_b32_e32 v4, v6, v5, vcc_lo
	v_cndmask_b32_e64 v5, 0, 1, vcc_lo
	v_cmp_gt_f32_e64 s0, 0x3e6d3309, |v0|
	v_sub_f32_e32 v3, v3, v7
	v_cndmask_b32_e64 v4, v4, |v0|, s0
	v_cndmask_b32_e64 v5, v5, 2, s0
	v_xor_b32_e32 v3, 0x80000000, v3
.LBB163_25:
	s_andn2_saveexec_b32 s0, s17
	s_cbranch_execz .LBB163_27
; %bb.26:
	v_sub_f32_e64 v3, 2.0, |v0|
	v_add_f32_e64 v4, 0xbfbb16c3, |v0|
	v_cmp_gt_f32_e64 vcc_lo, 0x3fdda512, |v0|
	v_add_f32_e64 v5, |v0|, -1.0
	v_cndmask_b32_e32 v4, v3, v4, vcc_lo
	v_cndmask_b32_e64 v3, v3, 1.0, vcc_lo
	v_cmp_gt_f32_e64 vcc_lo, 0x3f9d70a4, |v0|
	v_cvt_i32_f32_e32 v3, v3
	v_cndmask_b32_e32 v4, v4, v5, vcc_lo
	v_cndmask_b32_e64 v5, v3, 2, vcc_lo
	v_mov_b32_e32 v3, 0
.LBB163_27:
	s_or_b32 exec_lo, exec_lo, s0
	s_mov_b32 s0, exec_lo
	v_cmpx_lt_i32_e32 0, v5
	s_xor_b32 s0, exec_lo, s0
	s_cbranch_execz .LBB163_35
; %bb.28:
	s_mov_b32 s17, exec_lo
	v_cmpx_lt_i32_e32 1, v5
	s_xor_b32 s17, exec_lo, s17
	s_cbranch_execz .LBB163_32
; %bb.29:
	s_mov_b32 s18, exec_lo
	v_cmpx_eq_u32_e32 2, v5
	s_cbranch_execz .LBB163_31
; %bb.30:
	s_mov_b32 s19, 0x3b52d5db
	v_fmaak_f32 v5, s19, v4, 0x3dd572af
	s_mov_b32 s19, 0x3c5b3c5e
	v_fmaak_f32 v6, s19, v4, 0x3e6a7578
	v_fmaak_f32 v5, v4, v5, 0x3f44efdf
	;; [unrolled: 1-line block ×7, first 2 shown]
	v_fma_f32 v5, v4, v5, 1.0
	v_fmaak_f32 v6, v4, v6, 0xbd9e233f
	v_rcp_f32_e32 v5, v5
	v_mul_f32_e32 v6, v4, v6
	v_mul_f32_e32 v5, v6, v5
	v_fmac_f32_e32 v5, -0.5, v4
	v_add_f32_e32 v3, v3, v5
.LBB163_31:
	s_or_b32 exec_lo, exec_lo, s18
                                        ; implicit-def: $vgpr4
.LBB163_32:
	s_andn2_saveexec_b32 s17, s17
	s_cbranch_execz .LBB163_34
; %bb.33:
	v_mul_f32_e32 v5, v4, v4
	s_mov_b32 s18, 0xb9a3f927
	s_mov_b32 s19, 0x39afe9f7
	v_mul_f32_e32 v6, v4, v5
	v_fmaak_f32 v7, s18, v6, 0x3a66f867
	v_fmaak_f32 v8, s19, v6, 0xba0d3085
	s_mov_b32 s18, 0x39a57b6b
	v_fmaak_f32 v9, s18, v6, 0xbab7f476
	v_fmaak_f32 v7, v6, v7, 0xbb7177fe
	;; [unrolled: 1-line block ×9, first 2 shown]
	v_fmac_f32_e32 v7, v4, v8
	v_fmaak_f32 v4, v6, v9, 0x3ef7b95e
	v_fma_f32 v6, v6, -v7, 0xa2863e55
	v_fma_f32 v4, v5, v4, -v6
	v_add_f32_e32 v4, 0xbdf8cdce, v4
	v_add_f32_e32 v3, v3, v4
.LBB163_34:
	s_or_b32 exec_lo, exec_lo, s17
                                        ; implicit-def: $vgpr5
                                        ; implicit-def: $vgpr4
.LBB163_35:
	s_andn2_saveexec_b32 s0, s0
	s_cbranch_execz .LBB163_39
; %bb.36:
	s_mov_b32 s17, exec_lo
	v_cmpx_eq_u32_e32 0, v5
	s_cbranch_execz .LBB163_38
; %bb.37:
	v_mul_f32_e32 v5, v4, v4
	s_mov_b32 s18, 0x383c2c75
	v_fmaak_f32 v6, s18, v5, 0x38e28445
	s_mov_b32 s18, 0x37d383a2
	v_fmaak_f32 v7, s18, v5, 0x39679767
	v_fmaak_f32 v6, v5, v6, 0x3a05b634
	;; [unrolled: 1-line block ×9, first 2 shown]
	v_mul_f32_e32 v5, v5, v6
	v_fmac_f32_e32 v5, v4, v7
	v_fmac_f32_e32 v5, -0.5, v4
	v_add_f32_e32 v3, v3, v5
.LBB163_38:
	s_or_b32 exec_lo, exec_lo, s17
.LBB163_39:
	s_or_b32 exec_lo, exec_lo, s0
.LBB163_40:
	s_or_b32 exec_lo, exec_lo, s6
.LBB163_41:
	s_andn2_saveexec_b32 s0, s1
	s_cbranch_execz .LBB163_43
; %bb.42:
	v_cmp_gt_f32_e64 s1, 0x800000, |v0|
	s_mov_b32 s6, 0x3e8a8991
	v_fma_f32 v6, |v0|, s6, 0xbecd26ab
	v_cndmask_b32_e64 v3, 0, 32, s1
	v_ldexp_f32 v3, |v0|, v3
	v_log_f32_e32 v3, v3
	v_mul_f32_e32 v4, 0x3f317217, v3
	v_cmp_gt_f32_e64 vcc_lo, 0x7f800000, |v3|
	v_fma_f32 v5, 0x3f317217, v3, -v4
	v_fmamk_f32 v5, v3, 0x3377d1cf, v5
	v_add_f32_e32 v4, v4, v5
	v_fma_f32 v5, |v0|, v6, 0x3f528d33
	v_cndmask_b32_e32 v3, v3, v4, vcc_lo
	v_cndmask_b32_e64 v4, 0, 0x41b17218, s1
	v_fma_f32 v5, |v0|, v5, 0xbf13c468
	v_sub_f32_e32 v3, v3, v4
	v_fma_f32 v3, |v0|, v5, -v3
.LBB163_43:
	s_or_b32 exec_lo, exec_lo, s0
	v_cmp_le_f32_e32 vcc_lo, 0, v0
	s_mov_b32 s1, exec_lo
	v_cmpx_nle_f32_e32 0, v0
	s_xor_b32 s6, exec_lo, s1
	s_cbranch_execz .LBB163_47
; %bb.44:
	v_cmp_gt_f32_e64 s0, 0x4b000000, |v0|
	v_cmp_lt_f32_e64 s1, 0x35000000, |v0|
	s_and_b32 s0, s0, s1
	s_and_saveexec_b32 s17, s0
	s_cbranch_execz .LBB163_46
; %bb.45:
	v_mul_f32_e64 v4, |v0|, 0.5
	s_mov_b32 s1, 0x3d4be544
	v_floor_f32_e32 v5, v4
	v_cmp_neq_f32_e64 s0, 0x7f800000, v4
	v_sub_f32_e32 v5, v4, v5
	v_min_f32_e32 v5, 0x3f7fffff, v5
	v_add_f32_e32 v5, v5, v5
	v_cndmask_b32_e64 v4, 0, v5, s0
	v_cmp_gt_f32_e64 s0, |v0|, 1.0
	v_cndmask_b32_e64 v4, |v0|, v4, s0
	s_mov_b32 s0, 0x3e75aa41
	v_add_f32_e32 v5, v4, v4
	v_rndne_f32_e32 v5, v5
	v_fmac_f32_e32 v4, -0.5, v5
	v_cvt_i32_f32_e32 v5, v5
	v_mul_f32_e32 v6, v4, v4
	v_fmaak_f32 v7, s0, v6, 0xbf1f24be
	v_fmaak_f32 v8, s1, v6, 0x3e642e9d
	v_mul_f32_e32 v9, v4, v6
	v_fmaak_f32 v7, v6, v7, 0x40234736
	v_fmaak_f32 v8, v6, v8, 0xbfaad1da
	;; [unrolled: 1-line block ×4, first 2 shown]
	v_mul_f32_e32 v7, v9, v7
	v_fmaak_f32 v8, v6, v8, 0xc09de9e6
	v_and_b32_e32 v9, 1, v5
	v_lshlrev_b32_e32 v5, 30, v5
	v_fmamk_f32 v4, v4, 0x40490fdb, v7
	v_fma_f32 v6, v6, v8, 1.0
	v_cmp_eq_u32_e64 s0, 0, v9
	v_and_or_b32 v1, 0x80000000, v5, v1
	v_cndmask_b32_e64 v4, v6, v4, s0
	v_xor3_b32 v1, v1, v4, v0
	v_mul_f32_e32 v1, v0, v1
	v_frexp_mant_f32_e64 v4, |v1|
	v_frexp_exp_i32_f32_e32 v1, v1
	v_rcp_f32_e32 v4, v4
	v_sub_nc_u32_e32 v1, 2, v1
	v_mul_f32_e32 v4, 0x3f490fdb, v4
	v_ldexp_f32 v1, v4, v1
	v_cmp_gt_f32_e64 s0, 0x800000, v1
	v_cndmask_b32_e64 v4, 0, 32, s0
	v_ldexp_f32 v1, v1, v4
	v_log_f32_e32 v1, v1
	v_mul_f32_e32 v4, 0x3f317217, v1
	v_cmp_gt_f32_e64 s1, 0x7f800000, |v1|
	v_fma_f32 v5, 0x3f317217, v1, -v4
	v_fmamk_f32 v5, v1, 0x3377d1cf, v5
	v_add_f32_e32 v4, v4, v5
	v_floor_f32_e32 v5, v0
	v_cndmask_b32_e64 v1, v1, v4, s1
	v_cndmask_b32_e64 v4, 0, 0x41b17218, s0
	v_sub_f32_e32 v5, v0, v5
	v_sub_f32_e32 v1, v1, v4
	v_min_f32_e32 v4, 0x3f7fffff, v5
	v_sub_f32_e32 v1, v1, v3
	v_cmp_neq_f32_e64 s0, 0, v4
	v_cndmask_b32_e64 v3, 0x7f800000, v1, s0
.LBB163_46:
	s_or_b32 exec_lo, exec_lo, s17
.LBB163_47:
	s_andn2_saveexec_b32 s6, s6
; %bb.48:
	v_cmp_eq_f32_e64 s0, 1.0, v0
	v_cmp_eq_f32_e64 s1, 2.0, v0
	s_or_b32 s0, s0, s1
	v_cndmask_b32_e64 v3, v3, 0, s0
; %bb.49:
	s_or_b32 exec_lo, exec_lo, s6
	v_cmp_gt_f32_e64 s0, 0x4b000000, |v0|
	v_mov_b32_e32 v4, 0x7fc0
	s_and_b32 s1, s5, 0xff
	s_or_b32 vcc_lo, vcc_lo, s0
	v_cmp_class_f32_e64 s0, v0, 0x264
	v_cndmask_b32_e32 v1, 0x7f800000, v3, vcc_lo
	v_cmp_u_f32_e32 vcc_lo, v0, v0
	s_cmp_lt_i32 s1, 11
	v_cndmask_b32_e64 v1, v1, 0x7f800000, s0
	v_cndmask_b32_e32 v0, v1, v0, vcc_lo
	v_mul_lo_u32 v1, v2, s12
	v_bfe_u32 v3, v0, 16, 1
	v_cmp_o_f32_e32 vcc_lo, v0, v0
	v_ashrrev_i32_e32 v5, 31, v1
	v_add3_u32 v3, v0, v3, 0x7fff
	v_add_co_u32 v0, s0, s8, v1
	v_add_co_ci_u32_e64 v1, null, s9, v5, s0
	v_cndmask_b32_sdwa v3, v4, v3, vcc_lo dst_sel:DWORD dst_unused:UNUSED_PAD src0_sel:DWORD src1_sel:WORD_1
	s_cbranch_scc1 .LBB163_57
; %bb.50:
	s_and_b32 s6, 0xffff, s1
	s_cmp_gt_i32 s6, 25
	s_cbranch_scc0 .LBB163_60
; %bb.51:
	s_cmp_gt_i32 s6, 28
	s_cbranch_scc0 .LBB163_62
; %bb.52:
	;; [unrolled: 3-line block ×4, first 2 shown]
	s_mov_b32 s18, 0
	s_mov_b32 s0, -1
	s_cmp_eq_u32 s6, 46
	s_mov_b32 s17, 0
	s_cbranch_scc0 .LBB163_71
; %bb.55:
	v_and_b32_e32 v4, 0xffff, v3
	s_mov_b32 s17, -1
	s_mov_b32 s0, 0
	global_store_dword v[0:1], v4, off
	s_branch .LBB163_71
.LBB163_56:
	s_mov_b32 s1, 0
                                        ; implicit-def: $vgpr3
	s_cbranch_execnz .LBB163_205
	s_branch .LBB163_239
.LBB163_57:
	s_mov_b32 s0, 0
	s_mov_b32 s17, 0
	s_cbranch_execnz .LBB163_140
.LBB163_58:
	s_andn2_b32 vcc_lo, exec_lo, s17
	s_cbranch_vccnz .LBB163_288
	s_branch .LBB163_178
.LBB163_59:
	s_mov_b32 s6, -1
	s_mov_b32 s1, 0
                                        ; implicit-def: $vgpr3
	s_branch .LBB163_186
.LBB163_60:
	s_mov_b32 s18, -1
	s_mov_b32 s0, 0
	s_mov_b32 s17, 0
	s_branch .LBB163_98
.LBB163_61:
	s_mov_b32 s6, -1
	s_mov_b32 s1, 0
                                        ; implicit-def: $vgpr3
	s_branch .LBB163_181
.LBB163_62:
	s_mov_b32 s18, -1
	s_mov_b32 s0, 0
	s_mov_b32 s17, 0
	s_branch .LBB163_81
.LBB163_63:
	s_mov_b32 s6, -1
	s_branch .LBB163_66
.LBB163_64:
	s_mov_b32 s18, -1
	s_mov_b32 s0, 0
	s_mov_b32 s17, 0
	s_branch .LBB163_77
.LBB163_65:
	s_mov_b32 s14, -1
.LBB163_66:
	s_mov_b32 s1, 0
                                        ; implicit-def: $vgpr3
.LBB163_67:
	s_and_b32 vcc_lo, exec_lo, s6
	s_cbranch_vccz .LBB163_180
; %bb.68:
	s_cmp_eq_u32 s0, 44
	s_cbranch_scc0 .LBB163_179
; %bb.69:
	global_load_ubyte v3, v[0:1], off
	s_mov_b32 s14, 0
	s_mov_b32 s1, -1
	s_waitcnt vmcnt(0)
	v_lshlrev_b32_e32 v4, 23, v3
	v_cmp_ne_u32_e32 vcc_lo, 0xff, v3
	v_cndmask_b32_e32 v4, 0x7f800001, v4, vcc_lo
	v_cmp_ne_u32_e32 vcc_lo, 0, v3
	v_cndmask_b32_e32 v3, 0x400000, v4, vcc_lo
	v_mov_b32_e32 v4, 0x7fc0
	v_cmp_o_f32_e32 vcc_lo, v3, v3
	v_add_nc_u32_e32 v3, 0x7fff, v3
	v_cndmask_b32_sdwa v3, v4, v3, vcc_lo dst_sel:DWORD dst_unused:UNUSED_PAD src0_sel:DWORD src1_sel:WORD_1
	s_branch .LBB163_180
.LBB163_70:
	s_mov_b32 s18, -1
	s_mov_b32 s0, 0
	s_mov_b32 s17, 0
.LBB163_71:
	s_and_b32 vcc_lo, exec_lo, s18
	s_cbranch_vccz .LBB163_76
; %bb.72:
	s_cmp_eq_u32 s6, 44
	s_mov_b32 s0, -1
	s_cbranch_scc0 .LBB163_76
; %bb.73:
	v_and_b32_e32 v4, 0xffff, v3
	v_mov_b32_e32 v5, 0xff
	s_mov_b32 s17, exec_lo
	v_bfe_u32 v6, v4, 7, 8
	v_cmpx_ne_u32_e32 0xff, v6
	s_cbranch_execz .LBB163_75
; %bb.74:
	v_lshlrev_b32_e32 v5, 16, v4
	v_and_b32_e32 v7, 64, v4
	v_lshrrev_b32_e32 v4, 7, v4
	v_and_or_b32 v5, 0x3f0000, v5, v6
	v_cmp_ne_u32_e32 vcc_lo, 0, v7
	v_cmp_ne_u32_e64 s0, 0, v5
	s_and_b32 s0, vcc_lo, s0
	v_cndmask_b32_e64 v5, 0, 1, s0
	v_add_nc_u32_e32 v5, v4, v5
.LBB163_75:
	s_or_b32 exec_lo, exec_lo, s17
	s_mov_b32 s17, -1
	s_mov_b32 s0, 0
	global_store_byte v[0:1], v5, off
.LBB163_76:
	s_mov_b32 s18, 0
.LBB163_77:
	s_and_b32 vcc_lo, exec_lo, s18
	s_cbranch_vccz .LBB163_80
; %bb.78:
	s_cmp_eq_u32 s6, 29
	s_mov_b32 s0, -1
	s_cbranch_scc0 .LBB163_80
; %bb.79:
	v_lshlrev_b32_e32 v4, 16, v3
	s_mov_b32 s17, -1
	s_mov_b32 s0, 0
	s_mov_b32 s18, 0
	v_trunc_f32_e32 v4, v4
	v_mul_f32_e32 v5, 0x2f800000, v4
	v_floor_f32_e32 v5, v5
	v_fmamk_f32 v4, v5, 0xcf800000, v4
	v_cvt_u32_f32_e32 v5, v5
	v_cvt_u32_f32_e32 v4, v4
	global_store_dwordx2 v[0:1], v[4:5], off
	s_branch .LBB163_81
.LBB163_80:
	s_mov_b32 s18, 0
.LBB163_81:
	s_and_b32 vcc_lo, exec_lo, s18
	s_cbranch_vccz .LBB163_97
; %bb.82:
	s_cmp_lt_i32 s6, 27
	s_mov_b32 s17, -1
	s_cbranch_scc1 .LBB163_88
; %bb.83:
	s_cmp_gt_i32 s6, 27
	s_cbranch_scc0 .LBB163_85
; %bb.84:
	v_lshlrev_b32_e32 v4, 16, v3
	s_mov_b32 s17, 0
	v_cvt_u32_f32_e32 v4, v4
	global_store_dword v[0:1], v4, off
.LBB163_85:
	s_andn2_b32 vcc_lo, exec_lo, s17
	s_cbranch_vccnz .LBB163_87
; %bb.86:
	v_lshlrev_b32_e32 v4, 16, v3
	v_cvt_u32_f32_e32 v4, v4
	global_store_short v[0:1], v4, off
.LBB163_87:
	s_mov_b32 s17, 0
.LBB163_88:
	s_andn2_b32 vcc_lo, exec_lo, s17
	s_cbranch_vccnz .LBB163_96
; %bb.89:
	v_lshlrev_b32_e32 v6, 16, v3
	v_mov_b32_e32 v7, 0x80
	s_mov_b32 s17, exec_lo
	v_and_b32_e32 v5, 0x7fffffff, v6
	v_cmpx_gt_u32_e32 0x43800000, v5
	s_cbranch_execz .LBB163_95
; %bb.90:
	v_and_b32_e32 v4, 0xffff, v3
	v_cmp_lt_u32_e32 vcc_lo, 0x3bffffff, v5
	s_mov_b32 s18, 0
                                        ; implicit-def: $vgpr5
	s_and_saveexec_b32 s19, vcc_lo
	s_xor_b32 s19, exec_lo, s19
	s_cbranch_execz .LBB163_355
; %bb.91:
	v_bfe_u32 v5, v4, 4, 1
	s_mov_b32 s18, exec_lo
	v_add3_u32 v5, v6, v5, 0x487ffff
                                        ; implicit-def: $vgpr6
	v_lshrrev_b32_e32 v5, 20, v5
	s_andn2_saveexec_b32 s19, s19
	s_cbranch_execnz .LBB163_356
.LBB163_92:
	s_or_b32 exec_lo, exec_lo, s19
	v_mov_b32_e32 v7, 0
	s_and_saveexec_b32 s19, s18
.LBB163_93:
	v_lshrrev_b32_e32 v4, 8, v4
	v_and_or_b32 v7, 0x80, v4, v5
.LBB163_94:
	s_or_b32 exec_lo, exec_lo, s19
.LBB163_95:
	s_or_b32 exec_lo, exec_lo, s17
	global_store_byte v[0:1], v7, off
.LBB163_96:
	s_mov_b32 s17, -1
.LBB163_97:
	s_mov_b32 s18, 0
.LBB163_98:
	s_and_b32 vcc_lo, exec_lo, s18
	s_cbranch_vccz .LBB163_139
; %bb.99:
	s_cmp_gt_i32 s6, 22
	s_mov_b32 s18, -1
	s_cbranch_scc0 .LBB163_131
; %bb.100:
	s_cmp_lt_i32 s6, 24
	s_mov_b32 s17, -1
	s_cbranch_scc1 .LBB163_120
; %bb.101:
	s_cmp_gt_i32 s6, 24
	s_cbranch_scc0 .LBB163_109
; %bb.102:
	v_lshlrev_b32_e32 v6, 16, v3
	v_mov_b32_e32 v7, 0x80
	s_mov_b32 s17, exec_lo
	v_and_b32_e32 v5, 0x7fffffff, v6
	v_cmpx_gt_u32_e32 0x47800000, v5
	s_cbranch_execz .LBB163_108
; %bb.103:
	v_and_b32_e32 v4, 0xffff, v3
	v_cmp_lt_u32_e32 vcc_lo, 0x37ffffff, v5
	s_mov_b32 s18, 0
                                        ; implicit-def: $vgpr5
	s_and_saveexec_b32 s19, vcc_lo
	s_xor_b32 s19, exec_lo, s19
	s_cbranch_execz .LBB163_359
; %bb.104:
	v_bfe_u32 v5, v4, 5, 1
	s_mov_b32 s18, exec_lo
	v_add3_u32 v5, v6, v5, 0x88fffff
                                        ; implicit-def: $vgpr6
	v_lshrrev_b32_e32 v5, 21, v5
	s_andn2_saveexec_b32 s19, s19
	s_cbranch_execnz .LBB163_360
.LBB163_105:
	s_or_b32 exec_lo, exec_lo, s19
	v_mov_b32_e32 v7, 0
	s_and_saveexec_b32 s19, s18
.LBB163_106:
	v_lshrrev_b32_e32 v4, 8, v4
	v_and_or_b32 v7, 0x80, v4, v5
.LBB163_107:
	s_or_b32 exec_lo, exec_lo, s19
.LBB163_108:
	s_or_b32 exec_lo, exec_lo, s17
	s_mov_b32 s17, 0
	global_store_byte v[0:1], v7, off
.LBB163_109:
	s_and_b32 vcc_lo, exec_lo, s17
	s_cbranch_vccz .LBB163_119
; %bb.110:
	v_lshlrev_b32_e32 v6, 16, v3
	v_and_b32_e32 v4, 0xffff, v3
	s_mov_b32 s17, exec_lo
                                        ; implicit-def: $vgpr5
	v_and_b32_e32 v7, 0x7fffffff, v6
	v_cmpx_gt_u32_e32 0x43f00000, v7
	s_xor_b32 s17, exec_lo, s17
	s_cbranch_execz .LBB163_116
; %bb.111:
	s_mov_b32 s18, exec_lo
                                        ; implicit-def: $vgpr5
	v_cmpx_lt_u32_e32 0x3c7fffff, v7
	s_xor_b32 s18, exec_lo, s18
; %bb.112:
	v_bfe_u32 v5, v4, 4, 1
	v_add3_u32 v5, v6, v5, 0x407ffff
	v_and_b32_e32 v6, 0xff00000, v5
	v_lshrrev_b32_e32 v5, 20, v5
	v_cmp_ne_u32_e32 vcc_lo, 0x7f00000, v6
                                        ; implicit-def: $vgpr6
	v_cndmask_b32_e32 v5, 0x7e, v5, vcc_lo
; %bb.113:
	s_andn2_saveexec_b32 s18, s18
; %bb.114:
	v_add_f32_e64 v5, 0x46800000, |v6|
; %bb.115:
	s_or_b32 exec_lo, exec_lo, s18
                                        ; implicit-def: $vgpr7
.LBB163_116:
	s_andn2_saveexec_b32 s17, s17
; %bb.117:
	v_mov_b32_e32 v5, 0x7f
	v_cmp_lt_u32_e32 vcc_lo, 0x7f800000, v7
	v_cndmask_b32_e32 v5, 0x7e, v5, vcc_lo
; %bb.118:
	s_or_b32 exec_lo, exec_lo, s17
	v_lshrrev_b32_e32 v4, 8, v4
	v_and_or_b32 v4, 0x80, v4, v5
	global_store_byte v[0:1], v4, off
.LBB163_119:
	s_mov_b32 s17, 0
.LBB163_120:
	s_andn2_b32 vcc_lo, exec_lo, s17
	s_cbranch_vccnz .LBB163_130
; %bb.121:
	v_lshlrev_b32_e32 v6, 16, v3
	v_and_b32_e32 v4, 0xffff, v3
	s_mov_b32 s17, exec_lo
                                        ; implicit-def: $vgpr5
	v_and_b32_e32 v7, 0x7fffffff, v6
	v_cmpx_gt_u32_e32 0x47800000, v7
	s_xor_b32 s17, exec_lo, s17
	s_cbranch_execz .LBB163_127
; %bb.122:
	s_mov_b32 s18, exec_lo
                                        ; implicit-def: $vgpr5
	v_cmpx_lt_u32_e32 0x387fffff, v7
	s_xor_b32 s18, exec_lo, s18
; %bb.123:
	v_bfe_u32 v5, v4, 5, 1
	v_add3_u32 v5, v6, v5, 0x80fffff
                                        ; implicit-def: $vgpr6
	v_lshrrev_b32_e32 v5, 21, v5
; %bb.124:
	s_andn2_saveexec_b32 s18, s18
; %bb.125:
	v_add_f32_e64 v5, 0x43000000, |v6|
; %bb.126:
	s_or_b32 exec_lo, exec_lo, s18
                                        ; implicit-def: $vgpr7
.LBB163_127:
	s_andn2_saveexec_b32 s17, s17
; %bb.128:
	v_mov_b32_e32 v5, 0x7f
	v_cmp_lt_u32_e32 vcc_lo, 0x7f800000, v7
	v_cndmask_b32_e32 v5, 0x7c, v5, vcc_lo
; %bb.129:
	s_or_b32 exec_lo, exec_lo, s17
	v_lshrrev_b32_e32 v4, 8, v4
	v_and_or_b32 v4, 0x80, v4, v5
	global_store_byte v[0:1], v4, off
.LBB163_130:
	s_mov_b32 s18, 0
	s_mov_b32 s17, -1
.LBB163_131:
	s_andn2_b32 vcc_lo, exec_lo, s18
	s_cbranch_vccnz .LBB163_139
; %bb.132:
	s_cmp_gt_i32 s6, 14
	s_mov_b32 s18, -1
	s_cbranch_scc0 .LBB163_136
; %bb.133:
	s_cmp_eq_u32 s6, 15
	s_mov_b32 s0, -1
	s_cbranch_scc0 .LBB163_135
; %bb.134:
	s_mov_b32 s17, -1
	s_mov_b32 s0, 0
	global_store_short v[0:1], v3, off
.LBB163_135:
	s_mov_b32 s18, 0
.LBB163_136:
	s_and_b32 vcc_lo, exec_lo, s18
	s_cbranch_vccz .LBB163_139
; %bb.137:
	s_cmp_eq_u32 s6, 11
	s_mov_b32 s0, -1
	s_cbranch_scc0 .LBB163_139
; %bb.138:
	v_and_b32_e32 v4, 0x7fff, v3
	s_mov_b32 s0, 0
	s_mov_b32 s17, -1
	v_cmp_ne_u16_e32 vcc_lo, 0, v4
	v_cndmask_b32_e64 v4, 0, 1, vcc_lo
	global_store_byte v[0:1], v4, off
.LBB163_139:
	s_branch .LBB163_58
.LBB163_140:
	s_and_b32 s1, 0xffff, s1
	s_mov_b32 s6, -1
	s_cmp_lt_i32 s1, 5
	s_cbranch_scc1 .LBB163_161
; %bb.141:
	s_cmp_lt_i32 s1, 8
	s_cbranch_scc1 .LBB163_151
; %bb.142:
	;; [unrolled: 3-line block ×3, first 2 shown]
	s_cmp_gt_i32 s1, 9
	s_cbranch_scc0 .LBB163_145
; %bb.144:
	v_lshlrev_b32_e32 v4, 16, v3
	v_mov_b32_e32 v6, 0
	s_mov_b32 s6, 0
	v_cvt_f64_f32_e32 v[4:5], v4
	v_mov_b32_e32 v7, v6
	global_store_dwordx4 v[0:1], v[4:7], off
.LBB163_145:
	s_andn2_b32 vcc_lo, exec_lo, s6
	s_cbranch_vccnz .LBB163_147
; %bb.146:
	v_lshlrev_b32_e32 v4, 16, v3
	v_mov_b32_e32 v5, 0
	global_store_dwordx2 v[0:1], v[4:5], off
.LBB163_147:
	s_mov_b32 s6, 0
.LBB163_148:
	s_andn2_b32 vcc_lo, exec_lo, s6
	s_cbranch_vccnz .LBB163_150
; %bb.149:
	v_lshlrev_b32_e32 v4, 16, v3
	v_cvt_f16_f32_e32 v4, v4
	v_and_b32_e32 v4, 0xffff, v4
	global_store_dword v[0:1], v4, off
.LBB163_150:
	s_mov_b32 s6, 0
.LBB163_151:
	s_andn2_b32 vcc_lo, exec_lo, s6
	s_cbranch_vccnz .LBB163_160
; %bb.152:
	s_cmp_lt_i32 s1, 6
	s_mov_b32 s6, -1
	s_cbranch_scc1 .LBB163_158
; %bb.153:
	s_cmp_gt_i32 s1, 6
	s_cbranch_scc0 .LBB163_155
; %bb.154:
	v_lshlrev_b32_e32 v4, 16, v3
	s_mov_b32 s6, 0
	v_cvt_f64_f32_e32 v[4:5], v4
	global_store_dwordx2 v[0:1], v[4:5], off
.LBB163_155:
	s_andn2_b32 vcc_lo, exec_lo, s6
	s_cbranch_vccnz .LBB163_157
; %bb.156:
	v_lshlrev_b32_e32 v4, 16, v3
	global_store_dword v[0:1], v4, off
.LBB163_157:
	s_mov_b32 s6, 0
.LBB163_158:
	s_andn2_b32 vcc_lo, exec_lo, s6
	s_cbranch_vccnz .LBB163_160
; %bb.159:
	v_lshlrev_b32_e32 v4, 16, v3
	v_cvt_f16_f32_e32 v4, v4
	global_store_short v[0:1], v4, off
.LBB163_160:
	s_mov_b32 s6, 0
.LBB163_161:
	s_andn2_b32 vcc_lo, exec_lo, s6
	s_cbranch_vccnz .LBB163_177
; %bb.162:
	s_cmp_lt_i32 s1, 2
	s_mov_b32 s6, -1
	s_cbranch_scc1 .LBB163_172
; %bb.163:
	s_cmp_lt_i32 s1, 3
	s_cbranch_scc1 .LBB163_169
; %bb.164:
	s_cmp_gt_i32 s1, 3
	s_cbranch_scc0 .LBB163_166
; %bb.165:
	v_lshlrev_b32_e32 v4, 16, v3
	s_mov_b32 s6, 0
	v_trunc_f32_e32 v4, v4
	v_mul_f32_e64 v5, 0x2f800000, |v4|
	v_ashrrev_i32_e32 v7, 31, v4
	v_floor_f32_e32 v5, v5
	v_fma_f32 v6, 0xcf800000, v5, |v4|
	v_cvt_u32_f32_e32 v5, v5
	v_cvt_u32_f32_e32 v4, v6
	v_xor_b32_e32 v5, v5, v7
	v_xor_b32_e32 v4, v4, v7
	v_sub_co_u32 v4, vcc_lo, v4, v7
	v_sub_co_ci_u32_e64 v5, null, v5, v7, vcc_lo
	global_store_dwordx2 v[0:1], v[4:5], off
.LBB163_166:
	s_andn2_b32 vcc_lo, exec_lo, s6
	s_cbranch_vccnz .LBB163_168
; %bb.167:
	v_lshlrev_b32_e32 v4, 16, v3
	v_cvt_i32_f32_e32 v4, v4
	global_store_dword v[0:1], v4, off
.LBB163_168:
	s_mov_b32 s6, 0
.LBB163_169:
	s_andn2_b32 vcc_lo, exec_lo, s6
	s_cbranch_vccnz .LBB163_171
; %bb.170:
	v_lshlrev_b32_e32 v4, 16, v3
	v_cvt_i32_f32_e32 v4, v4
	global_store_short v[0:1], v4, off
.LBB163_171:
	s_mov_b32 s6, 0
.LBB163_172:
	s_andn2_b32 vcc_lo, exec_lo, s6
	s_cbranch_vccnz .LBB163_177
; %bb.173:
	v_lshlrev_b32_e32 v3, 16, v3
	s_cmp_gt_i32 s1, 0
	s_mov_b32 s1, -1
	s_cbranch_scc0 .LBB163_175
; %bb.174:
	v_cvt_i32_f32_e32 v4, v3
	s_mov_b32 s1, 0
	global_store_byte v[0:1], v4, off
.LBB163_175:
	s_andn2_b32 vcc_lo, exec_lo, s1
	s_cbranch_vccnz .LBB163_177
; %bb.176:
	v_trunc_f32_e32 v3, v3
	v_mul_f32_e64 v4, 0x2f800000, |v3|
	v_floor_f32_e32 v4, v4
	v_fma_f32 v4, 0xcf800000, v4, |v3|
	v_ashrrev_i32_e32 v3, 31, v3
	v_cvt_u32_f32_e32 v4, v4
	v_xor_b32_e32 v4, v4, v3
	v_sub_nc_u32_e32 v3, v4, v3
	global_store_byte v[0:1], v3, off
.LBB163_177:
.LBB163_178:
	v_add_nc_u32_e32 v2, 0x80, v2
	s_mov_b32 s1, -1
	s_branch .LBB163_289
.LBB163_179:
	s_mov_b32 s14, -1
                                        ; implicit-def: $vgpr3
.LBB163_180:
	s_mov_b32 s6, 0
.LBB163_181:
	s_and_b32 vcc_lo, exec_lo, s6
	s_cbranch_vccz .LBB163_185
; %bb.182:
	s_cmp_eq_u32 s0, 29
	s_cbranch_scc0 .LBB163_184
; %bb.183:
	global_load_dwordx2 v[3:4], v[0:1], off
	s_mov_b32 s1, -1
	s_mov_b32 s14, 0
	s_mov_b32 s6, 0
	s_waitcnt vmcnt(0)
	v_ffbh_u32_e32 v5, v4
	v_min_u32_e32 v5, 32, v5
	v_lshlrev_b64 v[3:4], v5, v[3:4]
	v_min_u32_e32 v3, 1, v3
	v_or_b32_e32 v3, v4, v3
	v_sub_nc_u32_e32 v4, 32, v5
	v_cvt_f32_u32_e32 v3, v3
	v_ldexp_f32 v3, v3, v4
	v_bfe_u32 v4, v3, 16, 1
	v_add3_u32 v3, v3, v4, 0x7fff
	v_lshrrev_b32_e32 v3, 16, v3
	s_branch .LBB163_186
.LBB163_184:
	s_mov_b32 s14, -1
                                        ; implicit-def: $vgpr3
.LBB163_185:
	s_mov_b32 s6, 0
.LBB163_186:
	s_and_b32 vcc_lo, exec_lo, s6
	s_cbranch_vccz .LBB163_204
; %bb.187:
	s_cmp_lt_i32 s0, 27
	s_cbranch_scc1 .LBB163_190
; %bb.188:
	s_cmp_gt_i32 s0, 27
	s_cbranch_scc0 .LBB163_191
; %bb.189:
	global_load_dword v3, v[0:1], off
	s_mov_b32 s1, 0
	s_waitcnt vmcnt(0)
	v_cvt_f32_u32_e32 v3, v3
	v_bfe_u32 v4, v3, 16, 1
	v_add3_u32 v3, v3, v4, 0x7fff
	v_lshrrev_b32_e32 v3, 16, v3
	s_branch .LBB163_192
.LBB163_190:
	s_mov_b32 s1, -1
                                        ; implicit-def: $vgpr3
	s_branch .LBB163_195
.LBB163_191:
	s_mov_b32 s1, -1
                                        ; implicit-def: $vgpr3
.LBB163_192:
	s_andn2_b32 vcc_lo, exec_lo, s1
	s_cbranch_vccnz .LBB163_194
; %bb.193:
	global_load_ushort v3, v[0:1], off
	s_waitcnt vmcnt(0)
	v_cvt_f32_u32_e32 v3, v3
	v_bfe_u32 v4, v3, 16, 1
	v_add3_u32 v3, v3, v4, 0x7fff
	v_lshrrev_b32_e32 v3, 16, v3
.LBB163_194:
	s_mov_b32 s1, 0
.LBB163_195:
	s_andn2_b32 vcc_lo, exec_lo, s1
	s_cbranch_vccnz .LBB163_203
; %bb.196:
	global_load_ubyte v3, v[0:1], off
	s_mov_b32 s1, 0
	s_mov_b32 s6, exec_lo
	s_waitcnt vmcnt(0)
	v_cmpx_lt_i16_e32 0x7f, v3
	s_xor_b32 s6, exec_lo, s6
	s_cbranch_execz .LBB163_216
; %bb.197:
	s_mov_b32 s1, -1
	s_mov_b32 s17, exec_lo
	v_cmpx_eq_u16_e32 0x80, v3
; %bb.198:
	s_xor_b32 s1, exec_lo, -1
; %bb.199:
	s_or_b32 exec_lo, exec_lo, s17
	s_and_b32 s1, s1, exec_lo
	s_or_saveexec_b32 s6, s6
	v_mov_b32_e32 v4, 0x7f800001
	s_xor_b32 exec_lo, exec_lo, s6
	s_cbranch_execnz .LBB163_217
.LBB163_200:
	s_or_b32 exec_lo, exec_lo, s6
	s_and_saveexec_b32 s6, s1
	s_cbranch_execz .LBB163_202
.LBB163_201:
	v_and_b32_e32 v4, 0xffff, v3
	v_lshlrev_b32_e32 v3, 24, v3
	v_and_b32_e32 v5, 7, v4
	v_bfe_u32 v8, v4, 3, 4
	v_and_b32_e32 v3, 0x80000000, v3
	v_ffbh_u32_e32 v6, v5
	v_cmp_eq_u32_e32 vcc_lo, 0, v8
	v_min_u32_e32 v6, 32, v6
	v_subrev_nc_u32_e32 v7, 28, v6
	v_sub_nc_u32_e32 v6, 29, v6
	v_lshlrev_b32_e32 v4, v7, v4
	v_cndmask_b32_e32 v6, v8, v6, vcc_lo
	v_and_b32_e32 v4, 7, v4
	v_cndmask_b32_e32 v4, v5, v4, vcc_lo
	v_lshl_add_u32 v5, v6, 23, 0x3b800000
	v_lshlrev_b32_e32 v4, 20, v4
	v_or3_b32 v4, v3, v5, v4
.LBB163_202:
	s_or_b32 exec_lo, exec_lo, s6
	v_bfe_u32 v3, v4, 16, 1
	v_cmp_o_f32_e32 vcc_lo, v4, v4
	v_add3_u32 v3, v4, v3, 0x7fff
	v_mov_b32_e32 v4, 0x7fc0
	v_cndmask_b32_sdwa v3, v4, v3, vcc_lo dst_sel:DWORD dst_unused:UNUSED_PAD src0_sel:DWORD src1_sel:WORD_1
.LBB163_203:
	s_mov_b32 s1, -1
.LBB163_204:
	s_branch .LBB163_239
.LBB163_205:
	s_cmp_gt_i32 s0, 22
	s_cbranch_scc0 .LBB163_215
; %bb.206:
	s_cmp_lt_i32 s0, 24
	s_cbranch_scc1 .LBB163_218
; %bb.207:
	s_cmp_gt_i32 s0, 24
	s_cbranch_scc0 .LBB163_219
; %bb.208:
	global_load_ubyte v3, v[0:1], off
	s_mov_b32 s1, 0
	s_mov_b32 s6, exec_lo
	s_waitcnt vmcnt(0)
	v_cmpx_lt_i16_e32 0x7f, v3
	s_xor_b32 s6, exec_lo, s6
	s_cbranch_execz .LBB163_231
; %bb.209:
	s_mov_b32 s1, -1
	s_mov_b32 s17, exec_lo
	v_cmpx_eq_u16_e32 0x80, v3
; %bb.210:
	s_xor_b32 s1, exec_lo, -1
; %bb.211:
	s_or_b32 exec_lo, exec_lo, s17
	s_and_b32 s1, s1, exec_lo
	s_or_saveexec_b32 s6, s6
	v_mov_b32_e32 v4, 0x7f800001
	s_xor_b32 exec_lo, exec_lo, s6
	s_cbranch_execnz .LBB163_232
.LBB163_212:
	s_or_b32 exec_lo, exec_lo, s6
	s_and_saveexec_b32 s6, s1
	s_cbranch_execz .LBB163_214
.LBB163_213:
	v_and_b32_e32 v4, 0xffff, v3
	v_lshlrev_b32_e32 v3, 24, v3
	v_and_b32_e32 v5, 3, v4
	v_bfe_u32 v8, v4, 2, 5
	v_and_b32_e32 v3, 0x80000000, v3
	v_ffbh_u32_e32 v6, v5
	v_cmp_eq_u32_e32 vcc_lo, 0, v8
	v_min_u32_e32 v6, 32, v6
	v_subrev_nc_u32_e32 v7, 29, v6
	v_sub_nc_u32_e32 v6, 30, v6
	v_lshlrev_b32_e32 v4, v7, v4
	v_cndmask_b32_e32 v6, v8, v6, vcc_lo
	v_and_b32_e32 v4, 3, v4
	v_cndmask_b32_e32 v4, v5, v4, vcc_lo
	v_lshl_add_u32 v5, v6, 23, 0x37800000
	v_lshlrev_b32_e32 v4, 21, v4
	v_or3_b32 v4, v3, v5, v4
.LBB163_214:
	s_or_b32 exec_lo, exec_lo, s6
	v_bfe_u32 v3, v4, 16, 1
	v_cmp_o_f32_e32 vcc_lo, v4, v4
	s_mov_b32 s1, 0
	v_add3_u32 v3, v4, v3, 0x7fff
	v_mov_b32_e32 v4, 0x7fc0
	v_cndmask_b32_sdwa v3, v4, v3, vcc_lo dst_sel:DWORD dst_unused:UNUSED_PAD src0_sel:DWORD src1_sel:WORD_1
	s_branch .LBB163_220
.LBB163_215:
	s_mov_b32 s6, -1
                                        ; implicit-def: $vgpr3
	s_branch .LBB163_226
.LBB163_216:
	s_or_saveexec_b32 s6, s6
	v_mov_b32_e32 v4, 0x7f800001
	s_xor_b32 exec_lo, exec_lo, s6
	s_cbranch_execz .LBB163_200
.LBB163_217:
	v_cmp_ne_u16_e32 vcc_lo, 0, v3
	v_mov_b32_e32 v4, 0
	s_andn2_b32 s1, s1, exec_lo
	s_and_b32 s17, vcc_lo, exec_lo
	s_or_b32 s1, s1, s17
	s_or_b32 exec_lo, exec_lo, s6
	s_and_saveexec_b32 s6, s1
	s_cbranch_execnz .LBB163_201
	s_branch .LBB163_202
.LBB163_218:
	s_mov_b32 s1, -1
                                        ; implicit-def: $vgpr3
	s_branch .LBB163_223
.LBB163_219:
	s_mov_b32 s1, -1
                                        ; implicit-def: $vgpr3
.LBB163_220:
	s_and_b32 vcc_lo, exec_lo, s1
	s_cbranch_vccz .LBB163_222
; %bb.221:
	global_load_ubyte v3, v[0:1], off
	s_waitcnt vmcnt(0)
	v_lshlrev_b32_e32 v3, 24, v3
	v_and_b32_e32 v4, 0x7f000000, v3
	v_ffbh_u32_e32 v5, v4
	v_add_nc_u32_e32 v7, 0x1000000, v4
	v_cmp_ne_u32_e32 vcc_lo, 0, v4
	v_min_u32_e32 v5, 32, v5
	v_sub_nc_u32_e64 v5, v5, 4 clamp
	v_lshlrev_b32_e32 v6, v5, v4
	v_lshlrev_b32_e32 v5, 23, v5
	v_lshrrev_b32_e32 v6, 4, v6
	v_sub_nc_u32_e32 v5, v6, v5
	v_ashrrev_i32_e32 v6, 8, v7
	v_add_nc_u32_e32 v5, 0x3c000000, v5
	v_and_or_b32 v5, 0x7f800000, v6, v5
	v_cndmask_b32_e32 v4, 0, v5, vcc_lo
	v_and_or_b32 v3, 0x80000000, v3, v4
	v_bfe_u32 v4, v4, 16, 1
	v_cmp_o_f32_e32 vcc_lo, v3, v3
	v_add3_u32 v3, v3, v4, 0x7fff
	v_mov_b32_e32 v4, 0x7fc0
	v_cndmask_b32_sdwa v3, v4, v3, vcc_lo dst_sel:DWORD dst_unused:UNUSED_PAD src0_sel:DWORD src1_sel:WORD_1
.LBB163_222:
	s_mov_b32 s1, 0
.LBB163_223:
	s_andn2_b32 vcc_lo, exec_lo, s1
	s_cbranch_vccnz .LBB163_225
; %bb.224:
	global_load_ubyte v3, v[0:1], off
	s_waitcnt vmcnt(0)
	v_lshlrev_b32_e32 v4, 25, v3
	v_lshlrev_b16 v3, 8, v3
	v_lshrrev_b32_e32 v5, 4, v4
	v_and_or_b32 v6, 0x7f00, v3, 0.5
	v_cmp_gt_u32_e32 vcc_lo, 0x8000000, v4
	v_bfe_i32 v3, v3, 0, 16
	v_or_b32_e32 v5, 0x70000000, v5
	v_add_f32_e32 v6, -0.5, v6
	v_mul_f32_e32 v5, 0x7800000, v5
	v_cndmask_b32_e32 v4, v5, v6, vcc_lo
	v_and_or_b32 v3, 0x80000000, v3, v4
	v_bfe_u32 v4, v4, 16, 1
	v_cmp_o_f32_e32 vcc_lo, v3, v3
	v_add3_u32 v3, v3, v4, 0x7fff
	v_mov_b32_e32 v4, 0x7fc0
	v_cndmask_b32_sdwa v3, v4, v3, vcc_lo dst_sel:DWORD dst_unused:UNUSED_PAD src0_sel:DWORD src1_sel:WORD_1
.LBB163_225:
	s_mov_b32 s6, 0
	s_mov_b32 s1, -1
.LBB163_226:
	s_andn2_b32 vcc_lo, exec_lo, s6
	s_cbranch_vccnz .LBB163_239
; %bb.227:
	s_cmp_gt_i32 s0, 14
	s_cbranch_scc0 .LBB163_230
; %bb.228:
	s_cmp_eq_u32 s0, 15
	s_cbranch_scc0 .LBB163_233
; %bb.229:
	global_load_ushort v3, v[0:1], off
	s_mov_b32 s1, -1
	s_mov_b32 s14, 0
	s_branch .LBB163_234
.LBB163_230:
	s_mov_b32 s6, -1
                                        ; implicit-def: $vgpr3
	s_branch .LBB163_235
.LBB163_231:
	s_or_saveexec_b32 s6, s6
	v_mov_b32_e32 v4, 0x7f800001
	s_xor_b32 exec_lo, exec_lo, s6
	s_cbranch_execz .LBB163_212
.LBB163_232:
	v_cmp_ne_u16_e32 vcc_lo, 0, v3
	v_mov_b32_e32 v4, 0
	s_andn2_b32 s1, s1, exec_lo
	s_and_b32 s17, vcc_lo, exec_lo
	s_or_b32 s1, s1, s17
	s_or_b32 exec_lo, exec_lo, s6
	s_and_saveexec_b32 s6, s1
	s_cbranch_execnz .LBB163_213
	s_branch .LBB163_214
.LBB163_233:
	s_mov_b32 s14, -1
                                        ; implicit-def: $vgpr3
.LBB163_234:
	s_mov_b32 s6, 0
.LBB163_235:
	s_and_b32 vcc_lo, exec_lo, s6
	s_cbranch_vccz .LBB163_239
; %bb.236:
	s_cmp_eq_u32 s0, 11
	s_cbranch_scc0 .LBB163_238
; %bb.237:
	global_load_ubyte v3, v[0:1], off
	s_mov_b32 s14, 0
	s_mov_b32 s1, -1
	s_waitcnt vmcnt(0)
	v_cmp_ne_u16_e32 vcc_lo, 0, v3
	v_cndmask_b32_e64 v3, 0, 1.0, vcc_lo
	v_lshrrev_b32_e32 v3, 16, v3
	s_branch .LBB163_239
.LBB163_238:
	s_mov_b32 s14, -1
                                        ; implicit-def: $vgpr3
.LBB163_239:
	s_branch .LBB163_10
.LBB163_240:
	s_cmp_lt_i32 s0, 5
	s_cbranch_scc1 .LBB163_245
; %bb.241:
	s_cmp_lt_i32 s0, 8
	s_cbranch_scc1 .LBB163_246
; %bb.242:
	;; [unrolled: 3-line block ×3, first 2 shown]
	s_cmp_gt_i32 s0, 9
	s_cbranch_scc0 .LBB163_248
; %bb.244:
	global_load_dwordx2 v[3:4], v[0:1], off
	s_mov_b32 s1, 0
	s_waitcnt vmcnt(0)
	v_cvt_f32_f64_e32 v3, v[3:4]
	v_bfe_u32 v4, v3, 16, 1
	v_cmp_o_f32_e32 vcc_lo, v3, v3
	v_add3_u32 v3, v3, v4, 0x7fff
	v_mov_b32_e32 v4, 0x7fc0
	v_cndmask_b32_sdwa v3, v4, v3, vcc_lo dst_sel:DWORD dst_unused:UNUSED_PAD src0_sel:DWORD src1_sel:WORD_1
	s_branch .LBB163_249
.LBB163_245:
                                        ; implicit-def: $vgpr3
	s_branch .LBB163_267
.LBB163_246:
	s_mov_b32 s1, -1
                                        ; implicit-def: $vgpr3
	s_branch .LBB163_255
.LBB163_247:
	s_mov_b32 s1, -1
                                        ; implicit-def: $vgpr3
	s_branch .LBB163_252
.LBB163_248:
	s_mov_b32 s1, -1
                                        ; implicit-def: $vgpr3
.LBB163_249:
	s_andn2_b32 vcc_lo, exec_lo, s1
	s_cbranch_vccnz .LBB163_251
; %bb.250:
	global_load_dword v3, v[0:1], off
	s_waitcnt vmcnt(0)
	v_bfe_u32 v4, v3, 16, 1
	v_cmp_o_f32_e32 vcc_lo, v3, v3
	v_add3_u32 v3, v3, v4, 0x7fff
	v_mov_b32_e32 v4, 0x7fc0
	v_cndmask_b32_sdwa v3, v4, v3, vcc_lo dst_sel:DWORD dst_unused:UNUSED_PAD src0_sel:DWORD src1_sel:WORD_1
.LBB163_251:
	s_mov_b32 s1, 0
.LBB163_252:
	s_andn2_b32 vcc_lo, exec_lo, s1
	s_cbranch_vccnz .LBB163_254
; %bb.253:
	global_load_dword v3, v[0:1], off
	s_waitcnt vmcnt(0)
	v_cvt_f32_f16_e32 v4, v3
	v_cmp_o_f16_e32 vcc_lo, v3, v3
	v_bfe_u32 v5, v4, 16, 1
	v_add3_u32 v3, v4, v5, 0x7fff
	v_mov_b32_e32 v4, 0x7fc0
	v_cndmask_b32_sdwa v3, v4, v3, vcc_lo dst_sel:DWORD dst_unused:UNUSED_PAD src0_sel:DWORD src1_sel:WORD_1
.LBB163_254:
	s_mov_b32 s1, 0
.LBB163_255:
	s_andn2_b32 vcc_lo, exec_lo, s1
	s_cbranch_vccnz .LBB163_266
; %bb.256:
	s_cmp_lt_i32 s0, 6
	s_cbranch_scc1 .LBB163_259
; %bb.257:
	s_cmp_gt_i32 s0, 6
	s_cbranch_scc0 .LBB163_260
; %bb.258:
	global_load_dwordx2 v[3:4], v[0:1], off
	s_mov_b32 s1, 0
	s_waitcnt vmcnt(0)
	v_cvt_f32_f64_e32 v3, v[3:4]
	v_bfe_u32 v4, v3, 16, 1
	v_cmp_o_f32_e32 vcc_lo, v3, v3
	v_add3_u32 v3, v3, v4, 0x7fff
	v_mov_b32_e32 v4, 0x7fc0
	v_cndmask_b32_sdwa v3, v4, v3, vcc_lo dst_sel:DWORD dst_unused:UNUSED_PAD src0_sel:DWORD src1_sel:WORD_1
	s_branch .LBB163_261
.LBB163_259:
	s_mov_b32 s1, -1
                                        ; implicit-def: $vgpr3
	s_branch .LBB163_264
.LBB163_260:
	s_mov_b32 s1, -1
                                        ; implicit-def: $vgpr3
.LBB163_261:
	s_andn2_b32 vcc_lo, exec_lo, s1
	s_cbranch_vccnz .LBB163_263
; %bb.262:
	global_load_dword v3, v[0:1], off
	s_waitcnt vmcnt(0)
	v_bfe_u32 v4, v3, 16, 1
	v_cmp_o_f32_e32 vcc_lo, v3, v3
	v_add3_u32 v3, v3, v4, 0x7fff
	v_mov_b32_e32 v4, 0x7fc0
	v_cndmask_b32_sdwa v3, v4, v3, vcc_lo dst_sel:DWORD dst_unused:UNUSED_PAD src0_sel:DWORD src1_sel:WORD_1
.LBB163_263:
	s_mov_b32 s1, 0
.LBB163_264:
	s_andn2_b32 vcc_lo, exec_lo, s1
	s_cbranch_vccnz .LBB163_266
; %bb.265:
	global_load_ushort v3, v[0:1], off
	s_waitcnt vmcnt(0)
	v_cvt_f32_f16_e32 v4, v3
	v_cmp_o_f16_e32 vcc_lo, v3, v3
	v_bfe_u32 v5, v4, 16, 1
	v_add3_u32 v3, v4, v5, 0x7fff
	v_mov_b32_e32 v4, 0x7fc0
	v_cndmask_b32_sdwa v3, v4, v3, vcc_lo dst_sel:DWORD dst_unused:UNUSED_PAD src0_sel:DWORD src1_sel:WORD_1
.LBB163_266:
	s_cbranch_execnz .LBB163_286
.LBB163_267:
	s_cmp_lt_i32 s0, 2
	s_cbranch_scc1 .LBB163_271
; %bb.268:
	s_cmp_lt_i32 s0, 3
	s_cbranch_scc1 .LBB163_272
; %bb.269:
	s_cmp_gt_i32 s0, 3
	s_cbranch_scc0 .LBB163_273
; %bb.270:
	global_load_dwordx2 v[3:4], v[0:1], off
	s_mov_b32 s1, 0
	s_waitcnt vmcnt(0)
	v_xor_b32_e32 v5, v3, v4
	v_ffbh_i32_e32 v6, v4
	v_ashrrev_i32_e32 v5, 31, v5
	v_add_nc_u32_e32 v6, -1, v6
	v_add_nc_u32_e32 v5, 32, v5
	v_min_u32_e32 v5, v6, v5
	v_lshlrev_b64 v[3:4], v5, v[3:4]
	v_min_u32_e32 v3, 1, v3
	v_or_b32_e32 v3, v4, v3
	v_sub_nc_u32_e32 v4, 32, v5
	v_cvt_f32_i32_e32 v3, v3
	v_ldexp_f32 v3, v3, v4
	v_bfe_u32 v4, v3, 16, 1
	v_add3_u32 v3, v3, v4, 0x7fff
	v_lshrrev_b32_e32 v3, 16, v3
	s_branch .LBB163_274
.LBB163_271:
	s_mov_b32 s1, -1
                                        ; implicit-def: $vgpr3
	s_branch .LBB163_280
.LBB163_272:
	s_mov_b32 s1, -1
                                        ; implicit-def: $vgpr3
	s_branch .LBB163_277
.LBB163_273:
	s_mov_b32 s1, -1
                                        ; implicit-def: $vgpr3
.LBB163_274:
	s_andn2_b32 vcc_lo, exec_lo, s1
	s_cbranch_vccnz .LBB163_276
; %bb.275:
	global_load_dword v3, v[0:1], off
	s_waitcnt vmcnt(0)
	v_cvt_f32_i32_e32 v3, v3
	v_bfe_u32 v4, v3, 16, 1
	v_add3_u32 v3, v3, v4, 0x7fff
	v_lshrrev_b32_e32 v3, 16, v3
.LBB163_276:
	s_mov_b32 s1, 0
.LBB163_277:
	s_andn2_b32 vcc_lo, exec_lo, s1
	s_cbranch_vccnz .LBB163_279
; %bb.278:
	global_load_sshort v3, v[0:1], off
	s_waitcnt vmcnt(0)
	v_cvt_f32_i32_e32 v3, v3
	v_bfe_u32 v4, v3, 16, 1
	v_add3_u32 v3, v3, v4, 0x7fff
	v_lshrrev_b32_e32 v3, 16, v3
.LBB163_279:
	s_mov_b32 s1, 0
.LBB163_280:
	s_andn2_b32 vcc_lo, exec_lo, s1
	s_cbranch_vccnz .LBB163_286
; %bb.281:
	s_cmp_gt_i32 s0, 0
	s_mov_b32 s0, 0
	s_cbranch_scc0 .LBB163_283
; %bb.282:
	global_load_sbyte v3, v[0:1], off
	s_waitcnt vmcnt(0)
	v_cvt_f32_i32_e32 v3, v3
	v_bfe_u32 v4, v3, 16, 1
	v_add3_u32 v3, v3, v4, 0x7fff
	v_lshrrev_b32_e32 v3, 16, v3
	s_branch .LBB163_284
.LBB163_283:
	s_mov_b32 s0, -1
                                        ; implicit-def: $vgpr3
.LBB163_284:
	s_andn2_b32 vcc_lo, exec_lo, s0
	s_cbranch_vccnz .LBB163_286
; %bb.285:
	global_load_ubyte v0, v[0:1], off
	s_waitcnt vmcnt(0)
	v_cvt_f32_ubyte0_e32 v0, v0
	v_bfe_u32 v1, v0, 16, 1
	v_add3_u32 v0, v0, v1, 0x7fff
	v_lshrrev_b32_e32 v3, 16, v0
.LBB163_286:
	s_branch .LBB163_11
.LBB163_287:
	s_mov_b32 s0, 0
.LBB163_288:
	s_mov_b32 s1, 0
                                        ; implicit-def: $vgpr2
.LBB163_289:
	s_and_b32 s6, s0, exec_lo
	s_and_b32 s14, s14, exec_lo
	s_orn2_b32 s1, s1, exec_lo
.LBB163_290:
	s_or_b32 exec_lo, exec_lo, s15
	s_mov_b32 s17, 0
	s_mov_b32 s0, 0
                                        ; implicit-def: $vgpr0_vgpr1
                                        ; implicit-def: $vgpr4
	s_and_saveexec_b32 s15, s1
	s_cbranch_execz .LBB163_299
; %bb.291:
	s_mov_b32 s0, -1
	s_mov_b32 s16, s14
	s_mov_b32 s17, s6
	s_mov_b32 s18, exec_lo
	v_cmpx_gt_i32_e64 s7, v2
	s_cbranch_execz .LBB163_591
; %bb.292:
	v_mul_lo_u32 v0, v2, s13
	s_and_b32 s0, 0xffff, s3
	s_cmp_lt_i32 s0, 11
	v_ashrrev_i32_e32 v1, 31, v0
	v_add_co_u32 v0, vcc_lo, s10, v0
	v_add_co_ci_u32_e64 v1, null, s11, v1, vcc_lo
	s_cbranch_scc1 .LBB163_302
; %bb.293:
	s_cmp_gt_i32 s0, 25
	s_cbranch_scc0 .LBB163_349
; %bb.294:
	s_cmp_gt_i32 s0, 28
	s_cbranch_scc0 .LBB163_351
	;; [unrolled: 3-line block ×4, first 2 shown]
; %bb.297:
	s_cmp_eq_u32 s0, 46
	s_mov_b32 s17, 0
	s_cbranch_scc0 .LBB163_361
; %bb.298:
	global_load_dword v3, v[0:1], off
	s_mov_b32 s1, -1
	s_mov_b32 s16, 0
	s_branch .LBB163_363
.LBB163_299:
	s_or_b32 exec_lo, exec_lo, s15
	s_mov_b32 s7, 0
	s_and_saveexec_b32 s1, s14
	s_cbranch_execnz .LBB163_977
.LBB163_300:
	s_or_b32 exec_lo, exec_lo, s1
	s_and_saveexec_b32 s1, s16
	s_xor_b32 s1, exec_lo, s1
	s_cbranch_execz .LBB163_978
.LBB163_301:
	global_load_ubyte v3, v[0:1], off
	s_or_b32 s0, s0, exec_lo
	s_waitcnt vmcnt(0)
	v_cmp_ne_u16_e32 vcc_lo, 0, v3
	v_cndmask_b32_e64 v3, 0, 1.0, vcc_lo
	v_lshrrev_b32_e32 v4, 16, v3
	s_or_b32 exec_lo, exec_lo, s1
	s_and_saveexec_b32 s1, s17
	s_cbranch_execz .LBB163_1024
	s_branch .LBB163_979
.LBB163_302:
	s_mov_b32 s1, 0
	s_mov_b32 s16, s14
                                        ; implicit-def: $vgpr3
	s_cbranch_execnz .LBB163_540
.LBB163_303:
	s_andn2_b32 vcc_lo, exec_lo, s1
	s_cbranch_vccnz .LBB163_588
.LBB163_304:
	s_waitcnt vmcnt(0)
	v_lshlrev_b32_e32 v0, 16, v3
	s_mov_b32 s1, exec_lo
                                        ; implicit-def: $vgpr3
	v_and_b32_e32 v1, 0x7fffffff, v0
	v_cmpx_ngt_f32_e64 0x3c800000, |v0|
	s_xor_b32 s1, exec_lo, s1
	s_cbranch_execz .LBB163_334
; %bb.305:
	s_mov_b32 s17, exec_lo
                                        ; implicit-def: $vgpr3
	v_cmpx_nlt_f32_e64 |v0|, 2.0
	s_xor_b32 s17, exec_lo, s17
	s_cbranch_execz .LBB163_315
; %bb.306:
	v_cmp_ngt_f32_e64 s0, 0x41000000, |v0|
                                        ; implicit-def: $vgpr3
	s_and_saveexec_b32 s19, s0
	s_xor_b32 s0, exec_lo, s19
	s_cbranch_execz .LBB163_312
; %bb.307:
	v_cmp_ngt_f32_e64 s19, 0x5c800000, |v0|
                                        ; implicit-def: $vgpr3
	s_and_saveexec_b32 s20, s19
	s_xor_b32 s19, exec_lo, s20
	s_cbranch_execz .LBB163_309
; %bb.308:
	v_cmp_gt_f32_e64 s20, 0x800000, |v0|
	v_cndmask_b32_e64 v3, 0, 32, s20
	v_ldexp_f32 v3, |v0|, v3
	v_log_f32_e32 v3, v3
	v_mul_f32_e32 v4, 0x3f317217, v3
	v_cmp_gt_f32_e64 vcc_lo, 0x7f800000, |v3|
	v_fma_f32 v5, 0x3f317217, v3, -v4
	v_fmamk_f32 v5, v3, 0x3377d1cf, v5
	v_add_f32_e32 v4, v4, v5
	v_cndmask_b32_e32 v3, v3, v4, vcc_lo
	v_cndmask_b32_e64 v4, 0, 0x41b17218, s20
	v_sub_f32_e32 v3, v3, v4
	v_fma_f32 v3, |v0|, v3, -|v0|
.LBB163_309:
	s_andn2_saveexec_b32 s19, s19
	s_cbranch_execz .LBB163_311
; %bb.310:
	v_cmp_gt_f32_e64 s20, 0x800000, |v0|
	v_rcp_f32_e64 v4, |v0|
	s_mov_b32 s21, 0xbad5c4e8
	v_cndmask_b32_e64 v3, 0, 32, s20
	v_ldexp_f32 v3, |v0|, v3
	v_mul_f32_e32 v5, v4, v4
	v_log_f32_e32 v3, v3
	v_fmaak_f32 v7, s21, v5, 0x3a5b3dd2
	v_fmaak_f32 v7, v5, v7, 0xba1c065c
	v_mul_f32_e32 v6, 0x3f317217, v3
	v_fmaak_f32 v7, v5, v7, 0x3a500cfd
	v_cmp_gt_f32_e64 vcc_lo, 0x7f800000, |v3|
	v_fma_f32 v8, 0x3f317217, v3, -v6
	v_fmaak_f32 v7, v5, v7, 0xbb360b61
	v_fmamk_f32 v8, v3, 0x3377d1cf, v8
	v_fmaak_f32 v5, v5, v7, 0x3daaaaab
	v_add_f32_e32 v6, v6, v8
	v_cndmask_b32_e32 v3, v3, v6, vcc_lo
	v_cndmask_b32_e64 v6, 0, 0x41b17218, s20
	v_sub_f32_e32 v6, v3, v6
	v_fmaak_f32 v3, v4, v5, 0x3ed67f1d
	v_add_f32_e64 v4, |v0|, -0.5
	v_add_f32_e32 v5, -1.0, v6
	v_fmac_f32_e32 v3, v4, v5
.LBB163_311:
	s_or_b32 exec_lo, exec_lo, s19
.LBB163_312:
	s_andn2_saveexec_b32 s19, s0
	s_cbranch_execz .LBB163_314
; %bb.313:
	v_cvt_i32_f32_e32 v3, v1
	s_mov_b32 s0, 0x36f5d7bd
	s_mov_b32 s20, 0x3805ff67
	v_cvt_f32_i32_e32 v4, v3
	v_cmp_lt_i32_e32 vcc_lo, 2, v3
	v_sub_f32_e64 v4, |v0|, v4
	v_add_f32_e32 v5, 2.0, v4
	v_add_f32_e32 v6, 0x40400000, v4
	v_add_f32_e32 v7, 4.0, v4
	v_add_f32_e32 v8, 0x40a00000, v4
	v_cndmask_b32_e32 v5, 1.0, v5, vcc_lo
	v_cmp_lt_i32_e32 vcc_lo, 3, v3
	v_cndmask_b32_e32 v6, 1.0, v6, vcc_lo
	v_cmp_lt_i32_e32 vcc_lo, 4, v3
	v_mul_f32_e32 v5, v5, v6
	v_cndmask_b32_e32 v7, 1.0, v7, vcc_lo
	v_cmp_lt_i32_e32 vcc_lo, 5, v3
	v_add_f32_e32 v6, 0x40c00000, v4
	v_mul_f32_e32 v5, v7, v5
	v_cndmask_b32_e32 v8, 1.0, v8, vcc_lo
	v_cmp_lt_i32_e32 vcc_lo, 6, v3
	v_fmaak_f32 v7, s20, v4, 0x3af135b4
	v_mul_f32_e32 v5, v8, v5
	v_cndmask_b32_e32 v3, 1.0, v6, vcc_lo
	v_mul_f32_e32 v3, v3, v5
	v_fmaak_f32 v5, s0, v4, 0x3a4beed6
	v_cmp_gt_f32_e32 vcc_lo, 0x800000, v3
	v_fmaak_f32 v5, v4, v5, 0x3c98bf54
	v_cndmask_b32_e64 v6, 0, 32, vcc_lo
	v_fmaak_f32 v5, v4, v5, 0x3e300f6e
	v_ldexp_f32 v3, v3, v6
	v_fmaak_f32 v6, v4, v7, 0x3cda40e4
	v_fmaak_f32 v5, v4, v5, 0x3f38d0c5
	v_log_f32_e32 v3, v3
	v_fmaak_f32 v6, v4, v6, 0x3e15dce6
	v_fmaak_f32 v5, v4, v5, 0x3fb22d3b
	;; [unrolled: 1-line block ×3, first 2 shown]
	v_fma_f32 v5, v4, v5, 1.0
	v_mul_f32_e32 v7, 0x3f317217, v3
	v_fmaak_f32 v6, v4, v6, 0x3e5c245a
	v_rcp_f32_e32 v5, v5
	v_cmp_gt_f32_e64 s0, 0x7f800000, |v3|
	v_fma_f32 v8, 0x3f317217, v3, -v7
	v_fmaak_f32 v6, v4, v6, 0xbd9e233f
	v_fmamk_f32 v8, v3, 0x3377d1cf, v8
	v_mul_f32_e32 v6, v4, v6
	v_add_f32_e32 v7, v7, v8
	v_mul_f32_e32 v5, v6, v5
	v_cndmask_b32_e64 v6, 0, 0x41b17218, vcc_lo
	v_cndmask_b32_e64 v3, v3, v7, s0
	v_fmac_f32_e32 v5, 0.5, v4
	v_sub_f32_e32 v3, v3, v6
	v_add_f32_e32 v3, v3, v5
.LBB163_314:
	s_or_b32 exec_lo, exec_lo, s19
.LBB163_315:
	s_andn2_saveexec_b32 s17, s17
	s_cbranch_execz .LBB163_333
; %bb.316:
	s_mov_b32 s19, exec_lo
                                        ; implicit-def: $vgpr3
                                        ; implicit-def: $vgpr5
                                        ; implicit-def: $vgpr4
	v_cmpx_ge_f32_e64 0x3f666666, |v0|
	s_xor_b32 s19, exec_lo, s19
	s_cbranch_execz .LBB163_318
; %bb.317:
	v_cmp_gt_f32_e64 s0, 0x800000, |v0|
	v_sub_f32_e64 v6, 1.0, |v0|
	v_cmp_gt_f32_e64 vcc_lo, 0x3f3b4a23, |v0|
	v_cndmask_b32_e64 v3, 0, 32, s0
	v_cndmask_b32_e64 v7, 0, 0x41b17218, s0
	v_ldexp_f32 v3, |v0|, v3
	v_log_f32_e32 v3, v3
	v_mul_f32_e32 v4, 0x3f317217, v3
	v_cmp_gt_f32_e64 s0, 0x7f800000, |v3|
	v_fma_f32 v5, 0x3f317217, v3, -v4
	v_fmamk_f32 v5, v3, 0x3377d1cf, v5
	v_add_f32_e32 v4, v4, v5
	v_add_f32_e64 v5, 0xbeec5b0c, |v0|
	v_cndmask_b32_e64 v3, v3, v4, s0
	v_cndmask_b32_e32 v4, v6, v5, vcc_lo
	v_cndmask_b32_e64 v5, 0, 1, vcc_lo
	v_cmp_gt_f32_e64 s0, 0x3e6d3309, |v0|
	v_sub_f32_e32 v3, v3, v7
	v_cndmask_b32_e64 v4, v4, |v0|, s0
	v_cndmask_b32_e64 v5, v5, 2, s0
	v_xor_b32_e32 v3, 0x80000000, v3
.LBB163_318:
	s_andn2_saveexec_b32 s0, s19
	s_cbranch_execz .LBB163_320
; %bb.319:
	v_sub_f32_e64 v3, 2.0, |v0|
	v_add_f32_e64 v4, 0xbfbb16c3, |v0|
	v_cmp_gt_f32_e64 vcc_lo, 0x3fdda512, |v0|
	v_add_f32_e64 v5, |v0|, -1.0
	v_cndmask_b32_e32 v4, v3, v4, vcc_lo
	v_cndmask_b32_e64 v3, v3, 1.0, vcc_lo
	v_cmp_gt_f32_e64 vcc_lo, 0x3f9d70a4, |v0|
	v_cvt_i32_f32_e32 v3, v3
	v_cndmask_b32_e32 v4, v4, v5, vcc_lo
	v_cndmask_b32_e64 v5, v3, 2, vcc_lo
	v_mov_b32_e32 v3, 0
.LBB163_320:
	s_or_b32 exec_lo, exec_lo, s0
	s_mov_b32 s0, exec_lo
	v_cmpx_lt_i32_e32 0, v5
	s_xor_b32 s0, exec_lo, s0
	s_cbranch_execz .LBB163_328
; %bb.321:
	s_mov_b32 s19, exec_lo
	v_cmpx_lt_i32_e32 1, v5
	s_xor_b32 s19, exec_lo, s19
	s_cbranch_execz .LBB163_325
; %bb.322:
	s_mov_b32 s20, exec_lo
	v_cmpx_eq_u32_e32 2, v5
	s_cbranch_execz .LBB163_324
; %bb.323:
	s_mov_b32 s21, 0x3b52d5db
	v_fmaak_f32 v5, s21, v4, 0x3dd572af
	s_mov_b32 s21, 0x3c5b3c5e
	v_fmaak_f32 v6, s21, v4, 0x3e6a7578
	v_fmaak_f32 v5, v4, v5, 0x3f44efdf
	;; [unrolled: 1-line block ×7, first 2 shown]
	v_fma_f32 v5, v4, v5, 1.0
	v_fmaak_f32 v6, v4, v6, 0xbd9e233f
	v_rcp_f32_e32 v5, v5
	v_mul_f32_e32 v6, v4, v6
	v_mul_f32_e32 v5, v6, v5
	v_fmac_f32_e32 v5, -0.5, v4
	v_add_f32_e32 v3, v3, v5
.LBB163_324:
	s_or_b32 exec_lo, exec_lo, s20
                                        ; implicit-def: $vgpr4
.LBB163_325:
	s_andn2_saveexec_b32 s19, s19
	s_cbranch_execz .LBB163_327
; %bb.326:
	v_mul_f32_e32 v5, v4, v4
	s_mov_b32 s20, 0xb9a3f927
	s_mov_b32 s21, 0x39afe9f7
	v_mul_f32_e32 v6, v4, v5
	v_fmaak_f32 v7, s20, v6, 0x3a66f867
	v_fmaak_f32 v8, s21, v6, 0xba0d3085
	s_mov_b32 s20, 0x39a57b6b
	v_fmaak_f32 v9, s20, v6, 0xbab7f476
	v_fmaak_f32 v7, v6, v7, 0xbb7177fe
	;; [unrolled: 1-line block ×9, first 2 shown]
	v_fmac_f32_e32 v7, v4, v8
	v_fmaak_f32 v4, v6, v9, 0x3ef7b95e
	v_fma_f32 v6, v6, -v7, 0xa2863e55
	v_fma_f32 v4, v5, v4, -v6
	v_add_f32_e32 v4, 0xbdf8cdce, v4
	v_add_f32_e32 v3, v3, v4
.LBB163_327:
	s_or_b32 exec_lo, exec_lo, s19
                                        ; implicit-def: $vgpr5
                                        ; implicit-def: $vgpr4
.LBB163_328:
	s_andn2_saveexec_b32 s0, s0
	s_cbranch_execz .LBB163_332
; %bb.329:
	s_mov_b32 s19, exec_lo
	v_cmpx_eq_u32_e32 0, v5
	s_cbranch_execz .LBB163_331
; %bb.330:
	v_mul_f32_e32 v5, v4, v4
	s_mov_b32 s20, 0x383c2c75
	v_fmaak_f32 v6, s20, v5, 0x38e28445
	s_mov_b32 s20, 0x37d383a2
	v_fmaak_f32 v7, s20, v5, 0x39679767
	v_fmaak_f32 v6, v5, v6, 0x3a05b634
	;; [unrolled: 1-line block ×9, first 2 shown]
	v_mul_f32_e32 v5, v5, v6
	v_fmac_f32_e32 v5, v4, v7
	v_fmac_f32_e32 v5, -0.5, v4
	v_add_f32_e32 v3, v3, v5
.LBB163_331:
	s_or_b32 exec_lo, exec_lo, s19
.LBB163_332:
	s_or_b32 exec_lo, exec_lo, s0
.LBB163_333:
	s_or_b32 exec_lo, exec_lo, s17
.LBB163_334:
	s_andn2_saveexec_b32 s0, s1
	s_cbranch_execz .LBB163_336
; %bb.335:
	v_cmp_gt_f32_e64 s1, 0x800000, |v0|
	s_mov_b32 s17, 0x3e8a8991
	v_fma_f32 v6, |v0|, s17, 0xbecd26ab
	v_cndmask_b32_e64 v3, 0, 32, s1
	v_ldexp_f32 v3, |v0|, v3
	v_log_f32_e32 v3, v3
	v_mul_f32_e32 v4, 0x3f317217, v3
	v_cmp_gt_f32_e64 vcc_lo, 0x7f800000, |v3|
	v_fma_f32 v5, 0x3f317217, v3, -v4
	v_fmamk_f32 v5, v3, 0x3377d1cf, v5
	v_add_f32_e32 v4, v4, v5
	v_fma_f32 v5, |v0|, v6, 0x3f528d33
	v_cndmask_b32_e32 v3, v3, v4, vcc_lo
	v_cndmask_b32_e64 v4, 0, 0x41b17218, s1
	v_fma_f32 v5, |v0|, v5, 0xbf13c468
	v_sub_f32_e32 v3, v3, v4
	v_fma_f32 v3, |v0|, v5, -v3
.LBB163_336:
	s_or_b32 exec_lo, exec_lo, s0
	v_cmp_le_f32_e32 vcc_lo, 0, v0
	s_mov_b32 s1, exec_lo
	v_cmpx_nle_f32_e32 0, v0
	s_xor_b32 s17, exec_lo, s1
	s_cbranch_execz .LBB163_340
; %bb.337:
	v_cmp_gt_f32_e64 s0, 0x4b000000, |v0|
	v_cmp_lt_f32_e64 s1, 0x35000000, |v0|
	s_and_b32 s0, s0, s1
	s_and_saveexec_b32 s19, s0
	s_cbranch_execz .LBB163_339
; %bb.338:
	v_mul_f32_e64 v4, |v0|, 0.5
	s_mov_b32 s1, 0x3d4be544
	v_floor_f32_e32 v5, v4
	v_cmp_neq_f32_e64 s0, 0x7f800000, v4
	v_sub_f32_e32 v5, v4, v5
	v_min_f32_e32 v5, 0x3f7fffff, v5
	v_add_f32_e32 v5, v5, v5
	v_cndmask_b32_e64 v4, 0, v5, s0
	v_cmp_gt_f32_e64 s0, |v0|, 1.0
	v_cndmask_b32_e64 v4, |v0|, v4, s0
	s_mov_b32 s0, 0x3e75aa41
	v_add_f32_e32 v5, v4, v4
	v_rndne_f32_e32 v5, v5
	v_fmac_f32_e32 v4, -0.5, v5
	v_cvt_i32_f32_e32 v5, v5
	v_mul_f32_e32 v6, v4, v4
	v_fmaak_f32 v7, s0, v6, 0xbf1f24be
	v_fmaak_f32 v8, s1, v6, 0x3e642e9d
	v_mul_f32_e32 v9, v4, v6
	v_fmaak_f32 v7, v6, v7, 0x40234736
	v_fmaak_f32 v8, v6, v8, 0xbfaad1da
	;; [unrolled: 1-line block ×4, first 2 shown]
	v_mul_f32_e32 v7, v9, v7
	v_fmaak_f32 v8, v6, v8, 0xc09de9e6
	v_and_b32_e32 v9, 1, v5
	v_lshlrev_b32_e32 v5, 30, v5
	v_fmamk_f32 v4, v4, 0x40490fdb, v7
	v_fma_f32 v6, v6, v8, 1.0
	v_cmp_eq_u32_e64 s0, 0, v9
	v_and_or_b32 v1, 0x80000000, v5, v1
	v_cndmask_b32_e64 v4, v6, v4, s0
	v_xor3_b32 v1, v1, v4, v0
	v_mul_f32_e32 v1, v0, v1
	v_frexp_mant_f32_e64 v4, |v1|
	v_frexp_exp_i32_f32_e32 v1, v1
	v_rcp_f32_e32 v4, v4
	v_sub_nc_u32_e32 v1, 2, v1
	v_mul_f32_e32 v4, 0x3f490fdb, v4
	v_ldexp_f32 v1, v4, v1
	v_cmp_gt_f32_e64 s0, 0x800000, v1
	v_cndmask_b32_e64 v4, 0, 32, s0
	v_ldexp_f32 v1, v1, v4
	v_log_f32_e32 v1, v1
	v_mul_f32_e32 v4, 0x3f317217, v1
	v_cmp_gt_f32_e64 s1, 0x7f800000, |v1|
	v_fma_f32 v5, 0x3f317217, v1, -v4
	v_fmamk_f32 v5, v1, 0x3377d1cf, v5
	v_add_f32_e32 v4, v4, v5
	v_floor_f32_e32 v5, v0
	v_cndmask_b32_e64 v1, v1, v4, s1
	v_cndmask_b32_e64 v4, 0, 0x41b17218, s0
	v_sub_f32_e32 v5, v0, v5
	v_sub_f32_e32 v1, v1, v4
	v_min_f32_e32 v4, 0x3f7fffff, v5
	v_sub_f32_e32 v1, v1, v3
	v_cmp_neq_f32_e64 s0, 0, v4
	v_cndmask_b32_e64 v3, 0x7f800000, v1, s0
.LBB163_339:
	s_or_b32 exec_lo, exec_lo, s19
.LBB163_340:
	s_andn2_saveexec_b32 s17, s17
; %bb.341:
	v_cmp_eq_f32_e64 s0, 1.0, v0
	v_cmp_eq_f32_e64 s1, 2.0, v0
	s_or_b32 s0, s0, s1
	v_cndmask_b32_e64 v3, v3, 0, s0
; %bb.342:
	s_or_b32 exec_lo, exec_lo, s17
	v_cmp_gt_f32_e64 s0, 0x4b000000, |v0|
	v_mov_b32_e32 v4, 0x7fc0
	s_and_b32 s1, s5, 0xff
	s_or_b32 vcc_lo, vcc_lo, s0
	v_cmp_class_f32_e64 s0, v0, 0x264
	v_cndmask_b32_e32 v1, 0x7f800000, v3, vcc_lo
	v_cmp_u_f32_e32 vcc_lo, v0, v0
	s_cmp_lt_i32 s1, 11
	v_cndmask_b32_e64 v1, v1, 0x7f800000, s0
	v_cndmask_b32_e32 v0, v1, v0, vcc_lo
	v_mul_lo_u32 v1, v2, s12
	v_bfe_u32 v3, v0, 16, 1
	v_cmp_o_f32_e32 vcc_lo, v0, v0
	v_ashrrev_i32_e32 v5, 31, v1
	v_add3_u32 v3, v0, v3, 0x7fff
	v_add_co_u32 v0, s0, s8, v1
	v_add_co_ci_u32_e64 v1, null, s9, v5, s0
	v_cndmask_b32_sdwa v3, v4, v3, vcc_lo dst_sel:DWORD dst_unused:UNUSED_PAD src0_sel:DWORD src1_sel:WORD_1
	s_cbranch_scc1 .LBB163_350
; %bb.343:
	s_and_b32 s17, 0xffff, s1
	s_cmp_gt_i32 s17, 25
	s_cbranch_scc0 .LBB163_352
; %bb.344:
	s_cmp_gt_i32 s17, 28
	s_cbranch_scc0 .LBB163_354
; %bb.345:
	;; [unrolled: 3-line block ×4, first 2 shown]
	s_mov_b32 s20, 0
	s_mov_b32 s0, -1
	s_cmp_eq_u32 s17, 46
	s_mov_b32 s19, 0
	s_cbranch_scc0 .LBB163_367
; %bb.348:
	v_and_b32_e32 v4, 0xffff, v3
	s_mov_b32 s19, -1
	s_mov_b32 s0, 0
	global_store_dword v[0:1], v4, off
	s_branch .LBB163_367
.LBB163_349:
	s_mov_b32 s17, -1
	s_mov_b32 s1, 0
	s_mov_b32 s16, s14
                                        ; implicit-def: $vgpr3
	s_branch .LBB163_504
.LBB163_350:
	s_mov_b32 s17, -1
	s_mov_b32 s19, 0
	s_mov_b32 s0, s6
	s_branch .LBB163_436
.LBB163_351:
	s_mov_b32 s17, -1
	s_mov_b32 s1, 0
	s_mov_b32 s16, s14
                                        ; implicit-def: $vgpr3
	s_branch .LBB163_485
.LBB163_352:
	s_mov_b32 s20, -1
	s_mov_b32 s19, 0
	s_mov_b32 s0, s6
	s_branch .LBB163_394
.LBB163_353:
	s_mov_b32 s17, -1
	s_mov_b32 s1, 0
	s_mov_b32 s16, s14
                                        ; implicit-def: $vgpr3
	s_branch .LBB163_480
.LBB163_354:
	s_mov_b32 s20, -1
	s_mov_b32 s19, 0
	s_mov_b32 s0, s6
	s_branch .LBB163_377
.LBB163_355:
	s_andn2_saveexec_b32 s19, s19
	s_cbranch_execz .LBB163_92
.LBB163_356:
	v_add_f32_e64 v5, 0x46000000, |v6|
	s_andn2_b32 s18, s18, exec_lo
	v_and_b32_e32 v5, 0xff, v5
	v_cmp_ne_u32_e32 vcc_lo, 0, v5
	s_and_b32 s20, vcc_lo, exec_lo
	s_or_b32 s18, s18, s20
	s_or_b32 exec_lo, exec_lo, s19
	v_mov_b32_e32 v7, 0
	s_and_saveexec_b32 s19, s18
	s_cbranch_execnz .LBB163_93
	s_branch .LBB163_94
.LBB163_357:
	s_mov_b32 s17, -1
	s_mov_b32 s1, 0
	s_mov_b32 s16, s14
	s_branch .LBB163_362
.LBB163_358:
	s_mov_b32 s20, -1
	s_mov_b32 s19, 0
	s_mov_b32 s0, s6
	s_branch .LBB163_373
.LBB163_359:
	s_andn2_saveexec_b32 s19, s19
	s_cbranch_execz .LBB163_105
.LBB163_360:
	v_add_f32_e64 v5, 0x42800000, |v6|
	s_andn2_b32 s18, s18, exec_lo
	v_and_b32_e32 v5, 0xff, v5
	v_cmp_ne_u32_e32 vcc_lo, 0, v5
	s_and_b32 s20, vcc_lo, exec_lo
	s_or_b32 s18, s18, s20
	s_or_b32 exec_lo, exec_lo, s19
	v_mov_b32_e32 v7, 0
	s_and_saveexec_b32 s19, s18
	s_cbranch_execnz .LBB163_106
	s_branch .LBB163_107
.LBB163_361:
	s_mov_b32 s16, -1
	s_mov_b32 s1, 0
.LBB163_362:
                                        ; implicit-def: $vgpr3
.LBB163_363:
	s_and_b32 vcc_lo, exec_lo, s17
	s_cbranch_vccz .LBB163_479
; %bb.364:
	s_cmp_eq_u32 s0, 44
	s_cbranch_scc0 .LBB163_478
; %bb.365:
	global_load_ubyte v3, v[0:1], off
	s_mov_b32 s16, 0
	s_mov_b32 s1, -1
	s_waitcnt vmcnt(0)
	v_lshlrev_b32_e32 v4, 23, v3
	v_cmp_ne_u32_e32 vcc_lo, 0xff, v3
	v_cndmask_b32_e32 v4, 0x7f800001, v4, vcc_lo
	v_cmp_ne_u32_e32 vcc_lo, 0, v3
	v_cndmask_b32_e32 v3, 0x400000, v4, vcc_lo
	v_mov_b32_e32 v4, 0x7fc0
	v_cmp_o_f32_e32 vcc_lo, v3, v3
	v_add_nc_u32_e32 v3, 0x7fff, v3
	v_cndmask_b32_sdwa v3, v4, v3, vcc_lo dst_sel:DWORD dst_unused:UNUSED_PAD src0_sel:DWORD src1_sel:WORD_1
	s_branch .LBB163_479
.LBB163_366:
	s_mov_b32 s20, -1
	s_mov_b32 s19, 0
	s_mov_b32 s0, s6
.LBB163_367:
	s_and_b32 vcc_lo, exec_lo, s20
	s_cbranch_vccz .LBB163_372
; %bb.368:
	s_cmp_eq_u32 s17, 44
	s_mov_b32 s0, -1
	s_cbranch_scc0 .LBB163_372
; %bb.369:
	v_and_b32_e32 v4, 0xffff, v3
	v_mov_b32_e32 v5, 0xff
	s_mov_b32 s19, exec_lo
	v_bfe_u32 v6, v4, 7, 8
	v_cmpx_ne_u32_e32 0xff, v6
	s_cbranch_execz .LBB163_371
; %bb.370:
	v_lshlrev_b32_e32 v5, 16, v4
	v_and_b32_e32 v7, 64, v4
	v_lshrrev_b32_e32 v4, 7, v4
	v_and_or_b32 v5, 0x3f0000, v5, v6
	v_cmp_ne_u32_e32 vcc_lo, 0, v7
	v_cmp_ne_u32_e64 s0, 0, v5
	s_and_b32 s0, vcc_lo, s0
	v_cndmask_b32_e64 v5, 0, 1, s0
	v_add_nc_u32_e32 v5, v4, v5
.LBB163_371:
	s_or_b32 exec_lo, exec_lo, s19
	s_mov_b32 s19, -1
	s_mov_b32 s0, 0
	global_store_byte v[0:1], v5, off
.LBB163_372:
	s_mov_b32 s20, 0
.LBB163_373:
	s_and_b32 vcc_lo, exec_lo, s20
	s_cbranch_vccz .LBB163_376
; %bb.374:
	s_cmp_eq_u32 s17, 29
	s_mov_b32 s0, -1
	s_cbranch_scc0 .LBB163_376
; %bb.375:
	v_lshlrev_b32_e32 v4, 16, v3
	s_mov_b32 s19, -1
	s_mov_b32 s0, 0
	s_mov_b32 s20, 0
	v_trunc_f32_e32 v4, v4
	v_mul_f32_e32 v5, 0x2f800000, v4
	v_floor_f32_e32 v5, v5
	v_fmamk_f32 v4, v5, 0xcf800000, v4
	v_cvt_u32_f32_e32 v5, v5
	v_cvt_u32_f32_e32 v4, v4
	global_store_dwordx2 v[0:1], v[4:5], off
	s_branch .LBB163_377
.LBB163_376:
	s_mov_b32 s20, 0
.LBB163_377:
	s_and_b32 vcc_lo, exec_lo, s20
	s_cbranch_vccz .LBB163_393
; %bb.378:
	s_cmp_lt_i32 s17, 27
	s_mov_b32 s19, -1
	s_cbranch_scc1 .LBB163_384
; %bb.379:
	s_cmp_gt_i32 s17, 27
	s_cbranch_scc0 .LBB163_381
; %bb.380:
	v_lshlrev_b32_e32 v4, 16, v3
	s_mov_b32 s19, 0
	v_cvt_u32_f32_e32 v4, v4
	global_store_dword v[0:1], v4, off
.LBB163_381:
	s_andn2_b32 vcc_lo, exec_lo, s19
	s_cbranch_vccnz .LBB163_383
; %bb.382:
	v_lshlrev_b32_e32 v4, 16, v3
	v_cvt_u32_f32_e32 v4, v4
	global_store_short v[0:1], v4, off
.LBB163_383:
	s_mov_b32 s19, 0
.LBB163_384:
	s_andn2_b32 vcc_lo, exec_lo, s19
	s_cbranch_vccnz .LBB163_392
; %bb.385:
	v_lshlrev_b32_e32 v6, 16, v3
	v_mov_b32_e32 v7, 0x80
	s_mov_b32 s19, exec_lo
	v_and_b32_e32 v5, 0x7fffffff, v6
	v_cmpx_gt_u32_e32 0x43800000, v5
	s_cbranch_execz .LBB163_391
; %bb.386:
	v_and_b32_e32 v4, 0xffff, v3
	v_cmp_lt_u32_e32 vcc_lo, 0x3bffffff, v5
	s_mov_b32 s20, 0
                                        ; implicit-def: $vgpr5
	s_and_saveexec_b32 s21, vcc_lo
	s_xor_b32 s21, exec_lo, s21
	s_cbranch_execz .LBB163_604
; %bb.387:
	v_bfe_u32 v5, v4, 4, 1
	s_mov_b32 s20, exec_lo
	v_add3_u32 v5, v6, v5, 0x487ffff
                                        ; implicit-def: $vgpr6
	v_lshrrev_b32_e32 v5, 20, v5
	s_andn2_saveexec_b32 s21, s21
	s_cbranch_execnz .LBB163_605
.LBB163_388:
	s_or_b32 exec_lo, exec_lo, s21
	v_mov_b32_e32 v7, 0
	s_and_saveexec_b32 s21, s20
.LBB163_389:
	v_lshrrev_b32_e32 v4, 8, v4
	v_and_or_b32 v7, 0x80, v4, v5
.LBB163_390:
	s_or_b32 exec_lo, exec_lo, s21
.LBB163_391:
	s_or_b32 exec_lo, exec_lo, s19
	global_store_byte v[0:1], v7, off
.LBB163_392:
	s_mov_b32 s19, -1
.LBB163_393:
	s_mov_b32 s20, 0
.LBB163_394:
	s_and_b32 vcc_lo, exec_lo, s20
	s_cbranch_vccz .LBB163_435
; %bb.395:
	s_cmp_gt_i32 s17, 22
	s_mov_b32 s20, -1
	s_cbranch_scc0 .LBB163_427
; %bb.396:
	s_cmp_lt_i32 s17, 24
	s_mov_b32 s19, -1
	s_cbranch_scc1 .LBB163_416
; %bb.397:
	s_cmp_gt_i32 s17, 24
	s_cbranch_scc0 .LBB163_405
; %bb.398:
	v_lshlrev_b32_e32 v6, 16, v3
	v_mov_b32_e32 v7, 0x80
	s_mov_b32 s19, exec_lo
	v_and_b32_e32 v5, 0x7fffffff, v6
	v_cmpx_gt_u32_e32 0x47800000, v5
	s_cbranch_execz .LBB163_404
; %bb.399:
	v_and_b32_e32 v4, 0xffff, v3
	v_cmp_lt_u32_e32 vcc_lo, 0x37ffffff, v5
	s_mov_b32 s20, 0
                                        ; implicit-def: $vgpr5
	s_and_saveexec_b32 s21, vcc_lo
	s_xor_b32 s21, exec_lo, s21
	s_cbranch_execz .LBB163_607
; %bb.400:
	v_bfe_u32 v5, v4, 5, 1
	s_mov_b32 s20, exec_lo
	v_add3_u32 v5, v6, v5, 0x88fffff
                                        ; implicit-def: $vgpr6
	v_lshrrev_b32_e32 v5, 21, v5
	s_andn2_saveexec_b32 s21, s21
	s_cbranch_execnz .LBB163_608
.LBB163_401:
	s_or_b32 exec_lo, exec_lo, s21
	v_mov_b32_e32 v7, 0
	s_and_saveexec_b32 s21, s20
.LBB163_402:
	v_lshrrev_b32_e32 v4, 8, v4
	v_and_or_b32 v7, 0x80, v4, v5
.LBB163_403:
	s_or_b32 exec_lo, exec_lo, s21
.LBB163_404:
	s_or_b32 exec_lo, exec_lo, s19
	s_mov_b32 s19, 0
	global_store_byte v[0:1], v7, off
.LBB163_405:
	s_and_b32 vcc_lo, exec_lo, s19
	s_cbranch_vccz .LBB163_415
; %bb.406:
	v_lshlrev_b32_e32 v6, 16, v3
	v_and_b32_e32 v4, 0xffff, v3
	s_mov_b32 s19, exec_lo
                                        ; implicit-def: $vgpr5
	v_and_b32_e32 v7, 0x7fffffff, v6
	v_cmpx_gt_u32_e32 0x43f00000, v7
	s_xor_b32 s19, exec_lo, s19
	s_cbranch_execz .LBB163_412
; %bb.407:
	s_mov_b32 s20, exec_lo
                                        ; implicit-def: $vgpr5
	v_cmpx_lt_u32_e32 0x3c7fffff, v7
	s_xor_b32 s20, exec_lo, s20
; %bb.408:
	v_bfe_u32 v5, v4, 4, 1
	v_add3_u32 v5, v6, v5, 0x407ffff
	v_and_b32_e32 v6, 0xff00000, v5
	v_lshrrev_b32_e32 v5, 20, v5
	v_cmp_ne_u32_e32 vcc_lo, 0x7f00000, v6
                                        ; implicit-def: $vgpr6
	v_cndmask_b32_e32 v5, 0x7e, v5, vcc_lo
; %bb.409:
	s_andn2_saveexec_b32 s20, s20
; %bb.410:
	v_add_f32_e64 v5, 0x46800000, |v6|
; %bb.411:
	s_or_b32 exec_lo, exec_lo, s20
                                        ; implicit-def: $vgpr7
.LBB163_412:
	s_andn2_saveexec_b32 s19, s19
; %bb.413:
	v_mov_b32_e32 v5, 0x7f
	v_cmp_lt_u32_e32 vcc_lo, 0x7f800000, v7
	v_cndmask_b32_e32 v5, 0x7e, v5, vcc_lo
; %bb.414:
	s_or_b32 exec_lo, exec_lo, s19
	v_lshrrev_b32_e32 v4, 8, v4
	v_and_or_b32 v4, 0x80, v4, v5
	global_store_byte v[0:1], v4, off
.LBB163_415:
	s_mov_b32 s19, 0
.LBB163_416:
	s_andn2_b32 vcc_lo, exec_lo, s19
	s_cbranch_vccnz .LBB163_426
; %bb.417:
	v_lshlrev_b32_e32 v6, 16, v3
	v_and_b32_e32 v4, 0xffff, v3
	s_mov_b32 s19, exec_lo
                                        ; implicit-def: $vgpr5
	v_and_b32_e32 v7, 0x7fffffff, v6
	v_cmpx_gt_u32_e32 0x47800000, v7
	s_xor_b32 s19, exec_lo, s19
	s_cbranch_execz .LBB163_423
; %bb.418:
	s_mov_b32 s20, exec_lo
                                        ; implicit-def: $vgpr5
	v_cmpx_lt_u32_e32 0x387fffff, v7
	s_xor_b32 s20, exec_lo, s20
; %bb.419:
	v_bfe_u32 v5, v4, 5, 1
	v_add3_u32 v5, v6, v5, 0x80fffff
                                        ; implicit-def: $vgpr6
	v_lshrrev_b32_e32 v5, 21, v5
; %bb.420:
	s_andn2_saveexec_b32 s20, s20
; %bb.421:
	v_add_f32_e64 v5, 0x43000000, |v6|
; %bb.422:
	s_or_b32 exec_lo, exec_lo, s20
                                        ; implicit-def: $vgpr7
.LBB163_423:
	s_andn2_saveexec_b32 s19, s19
; %bb.424:
	v_mov_b32_e32 v5, 0x7f
	v_cmp_lt_u32_e32 vcc_lo, 0x7f800000, v7
	v_cndmask_b32_e32 v5, 0x7c, v5, vcc_lo
; %bb.425:
	s_or_b32 exec_lo, exec_lo, s19
	v_lshrrev_b32_e32 v4, 8, v4
	v_and_or_b32 v4, 0x80, v4, v5
	global_store_byte v[0:1], v4, off
.LBB163_426:
	s_mov_b32 s20, 0
	s_mov_b32 s19, -1
.LBB163_427:
	s_andn2_b32 vcc_lo, exec_lo, s20
	s_cbranch_vccnz .LBB163_435
; %bb.428:
	s_cmp_gt_i32 s17, 14
	s_mov_b32 s20, -1
	s_cbranch_scc0 .LBB163_432
; %bb.429:
	s_cmp_eq_u32 s17, 15
	s_mov_b32 s0, -1
	s_cbranch_scc0 .LBB163_431
; %bb.430:
	s_mov_b32 s19, -1
	s_mov_b32 s0, 0
	global_store_short v[0:1], v3, off
.LBB163_431:
	s_mov_b32 s20, 0
.LBB163_432:
	s_and_b32 vcc_lo, exec_lo, s20
	s_cbranch_vccz .LBB163_435
; %bb.433:
	s_cmp_eq_u32 s17, 11
	s_mov_b32 s0, -1
	s_cbranch_scc0 .LBB163_435
; %bb.434:
	v_and_b32_e32 v4, 0x7fff, v3
	s_mov_b32 s0, 0
	s_mov_b32 s19, -1
	v_cmp_ne_u16_e32 vcc_lo, 0, v4
	v_cndmask_b32_e64 v4, 0, 1, vcc_lo
	global_store_byte v[0:1], v4, off
.LBB163_435:
	s_mov_b32 s17, 0
.LBB163_436:
	s_and_b32 vcc_lo, exec_lo, s17
	s_cbranch_vccz .LBB163_475
; %bb.437:
	s_and_b32 s1, 0xffff, s1
	s_mov_b32 s17, -1
	s_cmp_lt_i32 s1, 5
	s_cbranch_scc1 .LBB163_458
; %bb.438:
	s_cmp_lt_i32 s1, 8
	s_cbranch_scc1 .LBB163_448
; %bb.439:
	;; [unrolled: 3-line block ×3, first 2 shown]
	s_cmp_gt_i32 s1, 9
	s_cbranch_scc0 .LBB163_442
; %bb.441:
	v_lshlrev_b32_e32 v4, 16, v3
	v_mov_b32_e32 v6, 0
	s_mov_b32 s17, 0
	v_cvt_f64_f32_e32 v[4:5], v4
	v_mov_b32_e32 v7, v6
	global_store_dwordx4 v[0:1], v[4:7], off
.LBB163_442:
	s_andn2_b32 vcc_lo, exec_lo, s17
	s_cbranch_vccnz .LBB163_444
; %bb.443:
	v_lshlrev_b32_e32 v4, 16, v3
	v_mov_b32_e32 v5, 0
	global_store_dwordx2 v[0:1], v[4:5], off
.LBB163_444:
	s_mov_b32 s17, 0
.LBB163_445:
	s_andn2_b32 vcc_lo, exec_lo, s17
	s_cbranch_vccnz .LBB163_447
; %bb.446:
	v_lshlrev_b32_e32 v4, 16, v3
	v_cvt_f16_f32_e32 v4, v4
	v_and_b32_e32 v4, 0xffff, v4
	global_store_dword v[0:1], v4, off
.LBB163_447:
	s_mov_b32 s17, 0
.LBB163_448:
	s_andn2_b32 vcc_lo, exec_lo, s17
	s_cbranch_vccnz .LBB163_457
; %bb.449:
	s_cmp_lt_i32 s1, 6
	s_mov_b32 s17, -1
	s_cbranch_scc1 .LBB163_455
; %bb.450:
	s_cmp_gt_i32 s1, 6
	s_cbranch_scc0 .LBB163_452
; %bb.451:
	v_lshlrev_b32_e32 v4, 16, v3
	s_mov_b32 s17, 0
	v_cvt_f64_f32_e32 v[4:5], v4
	global_store_dwordx2 v[0:1], v[4:5], off
.LBB163_452:
	s_andn2_b32 vcc_lo, exec_lo, s17
	s_cbranch_vccnz .LBB163_454
; %bb.453:
	v_lshlrev_b32_e32 v4, 16, v3
	global_store_dword v[0:1], v4, off
.LBB163_454:
	s_mov_b32 s17, 0
.LBB163_455:
	s_andn2_b32 vcc_lo, exec_lo, s17
	s_cbranch_vccnz .LBB163_457
; %bb.456:
	v_lshlrev_b32_e32 v4, 16, v3
	v_cvt_f16_f32_e32 v4, v4
	global_store_short v[0:1], v4, off
.LBB163_457:
	s_mov_b32 s17, 0
.LBB163_458:
	s_andn2_b32 vcc_lo, exec_lo, s17
	s_cbranch_vccnz .LBB163_474
; %bb.459:
	s_cmp_lt_i32 s1, 2
	s_mov_b32 s17, -1
	s_cbranch_scc1 .LBB163_469
; %bb.460:
	s_cmp_lt_i32 s1, 3
	s_cbranch_scc1 .LBB163_466
; %bb.461:
	s_cmp_gt_i32 s1, 3
	s_cbranch_scc0 .LBB163_463
; %bb.462:
	v_lshlrev_b32_e32 v4, 16, v3
	s_mov_b32 s17, 0
	v_trunc_f32_e32 v4, v4
	v_mul_f32_e64 v5, 0x2f800000, |v4|
	v_ashrrev_i32_e32 v7, 31, v4
	v_floor_f32_e32 v5, v5
	v_fma_f32 v6, 0xcf800000, v5, |v4|
	v_cvt_u32_f32_e32 v5, v5
	v_cvt_u32_f32_e32 v4, v6
	v_xor_b32_e32 v5, v5, v7
	v_xor_b32_e32 v4, v4, v7
	v_sub_co_u32 v4, vcc_lo, v4, v7
	v_sub_co_ci_u32_e64 v5, null, v5, v7, vcc_lo
	global_store_dwordx2 v[0:1], v[4:5], off
.LBB163_463:
	s_andn2_b32 vcc_lo, exec_lo, s17
	s_cbranch_vccnz .LBB163_465
; %bb.464:
	v_lshlrev_b32_e32 v4, 16, v3
	v_cvt_i32_f32_e32 v4, v4
	global_store_dword v[0:1], v4, off
.LBB163_465:
	s_mov_b32 s17, 0
.LBB163_466:
	s_andn2_b32 vcc_lo, exec_lo, s17
	s_cbranch_vccnz .LBB163_468
; %bb.467:
	v_lshlrev_b32_e32 v4, 16, v3
	v_cvt_i32_f32_e32 v4, v4
	global_store_short v[0:1], v4, off
.LBB163_468:
	s_mov_b32 s17, 0
.LBB163_469:
	s_andn2_b32 vcc_lo, exec_lo, s17
	s_cbranch_vccnz .LBB163_474
; %bb.470:
	v_lshlrev_b32_e32 v3, 16, v3
	s_cmp_gt_i32 s1, 0
	s_mov_b32 s1, -1
	s_cbranch_scc0 .LBB163_472
; %bb.471:
	v_cvt_i32_f32_e32 v4, v3
	s_mov_b32 s1, 0
	global_store_byte v[0:1], v4, off
.LBB163_472:
	s_andn2_b32 vcc_lo, exec_lo, s1
	s_cbranch_vccnz .LBB163_474
; %bb.473:
	v_trunc_f32_e32 v3, v3
	v_mul_f32_e64 v4, 0x2f800000, |v3|
	v_floor_f32_e32 v4, v4
	v_fma_f32 v4, 0xcf800000, v4, |v3|
	v_ashrrev_i32_e32 v3, 31, v3
	v_cvt_u32_f32_e32 v4, v4
	v_xor_b32_e32 v4, v4, v3
	v_sub_nc_u32_e32 v3, v4, v3
	global_store_byte v[0:1], v3, off
.LBB163_474:
	s_mov_b32 s19, -1
.LBB163_475:
	s_andn2_b32 vcc_lo, exec_lo, s19
	s_cbranch_vccnz .LBB163_477
; %bb.476:
	v_add_nc_u32_e32 v2, 0x80, v2
	s_mov_b32 s1, -1
	s_branch .LBB163_590
.LBB163_477:
	s_mov_b32 s1, 0
	s_branch .LBB163_589
.LBB163_478:
	s_mov_b32 s16, -1
                                        ; implicit-def: $vgpr3
.LBB163_479:
	s_mov_b32 s17, 0
.LBB163_480:
	s_and_b32 vcc_lo, exec_lo, s17
	s_cbranch_vccz .LBB163_484
; %bb.481:
	s_cmp_eq_u32 s0, 29
	s_cbranch_scc0 .LBB163_483
; %bb.482:
	global_load_dwordx2 v[3:4], v[0:1], off
	s_mov_b32 s1, -1
	s_mov_b32 s16, 0
	s_mov_b32 s17, 0
	s_waitcnt vmcnt(0)
	v_ffbh_u32_e32 v5, v4
	v_min_u32_e32 v5, 32, v5
	v_lshlrev_b64 v[3:4], v5, v[3:4]
	v_min_u32_e32 v3, 1, v3
	v_or_b32_e32 v3, v4, v3
	v_sub_nc_u32_e32 v4, 32, v5
	v_cvt_f32_u32_e32 v3, v3
	v_ldexp_f32 v3, v3, v4
	v_bfe_u32 v4, v3, 16, 1
	v_add3_u32 v3, v3, v4, 0x7fff
	v_lshrrev_b32_e32 v3, 16, v3
	s_branch .LBB163_485
.LBB163_483:
	s_mov_b32 s16, -1
                                        ; implicit-def: $vgpr3
.LBB163_484:
	s_mov_b32 s17, 0
.LBB163_485:
	s_and_b32 vcc_lo, exec_lo, s17
	s_cbranch_vccz .LBB163_503
; %bb.486:
	s_cmp_lt_i32 s0, 27
	s_cbranch_scc1 .LBB163_489
; %bb.487:
	s_cmp_gt_i32 s0, 27
	s_cbranch_scc0 .LBB163_490
; %bb.488:
	global_load_dword v3, v[0:1], off
	s_mov_b32 s1, 0
	s_waitcnt vmcnt(0)
	v_cvt_f32_u32_e32 v3, v3
	v_bfe_u32 v4, v3, 16, 1
	v_add3_u32 v3, v3, v4, 0x7fff
	v_lshrrev_b32_e32 v3, 16, v3
	s_branch .LBB163_491
.LBB163_489:
	s_mov_b32 s1, -1
                                        ; implicit-def: $vgpr3
	s_branch .LBB163_494
.LBB163_490:
	s_mov_b32 s1, -1
                                        ; implicit-def: $vgpr3
.LBB163_491:
	s_andn2_b32 vcc_lo, exec_lo, s1
	s_cbranch_vccnz .LBB163_493
; %bb.492:
	global_load_ushort v3, v[0:1], off
	s_waitcnt vmcnt(0)
	v_cvt_f32_u32_e32 v3, v3
	v_bfe_u32 v4, v3, 16, 1
	v_add3_u32 v3, v3, v4, 0x7fff
	v_lshrrev_b32_e32 v3, 16, v3
.LBB163_493:
	s_mov_b32 s1, 0
.LBB163_494:
	s_andn2_b32 vcc_lo, exec_lo, s1
	s_cbranch_vccnz .LBB163_502
; %bb.495:
	global_load_ubyte v3, v[0:1], off
	s_mov_b32 s1, 0
	s_mov_b32 s17, exec_lo
	s_waitcnt vmcnt(0)
	v_cmpx_lt_i16_e32 0x7f, v3
	s_xor_b32 s17, exec_lo, s17
	s_cbranch_execz .LBB163_516
; %bb.496:
	s_mov_b32 s1, -1
	s_mov_b32 s19, exec_lo
	v_cmpx_eq_u16_e32 0x80, v3
; %bb.497:
	s_xor_b32 s1, exec_lo, -1
; %bb.498:
	s_or_b32 exec_lo, exec_lo, s19
	s_and_b32 s1, s1, exec_lo
	s_or_saveexec_b32 s17, s17
	v_mov_b32_e32 v4, 0x7f800001
	s_xor_b32 exec_lo, exec_lo, s17
	s_cbranch_execnz .LBB163_517
.LBB163_499:
	s_or_b32 exec_lo, exec_lo, s17
	s_and_saveexec_b32 s17, s1
	s_cbranch_execz .LBB163_501
.LBB163_500:
	v_and_b32_e32 v4, 0xffff, v3
	v_lshlrev_b32_e32 v3, 24, v3
	v_and_b32_e32 v5, 7, v4
	v_bfe_u32 v8, v4, 3, 4
	v_and_b32_e32 v3, 0x80000000, v3
	v_ffbh_u32_e32 v6, v5
	v_cmp_eq_u32_e32 vcc_lo, 0, v8
	v_min_u32_e32 v6, 32, v6
	v_subrev_nc_u32_e32 v7, 28, v6
	v_sub_nc_u32_e32 v6, 29, v6
	v_lshlrev_b32_e32 v4, v7, v4
	v_cndmask_b32_e32 v6, v8, v6, vcc_lo
	v_and_b32_e32 v4, 7, v4
	v_cndmask_b32_e32 v4, v5, v4, vcc_lo
	v_lshl_add_u32 v5, v6, 23, 0x3b800000
	v_lshlrev_b32_e32 v4, 20, v4
	v_or3_b32 v4, v3, v5, v4
.LBB163_501:
	s_or_b32 exec_lo, exec_lo, s17
	v_bfe_u32 v3, v4, 16, 1
	v_cmp_o_f32_e32 vcc_lo, v4, v4
	v_add3_u32 v3, v4, v3, 0x7fff
	v_mov_b32_e32 v4, 0x7fc0
	v_cndmask_b32_sdwa v3, v4, v3, vcc_lo dst_sel:DWORD dst_unused:UNUSED_PAD src0_sel:DWORD src1_sel:WORD_1
.LBB163_502:
	s_mov_b32 s1, -1
.LBB163_503:
	s_mov_b32 s17, 0
.LBB163_504:
	s_and_b32 vcc_lo, exec_lo, s17
	s_cbranch_vccz .LBB163_539
; %bb.505:
	s_cmp_gt_i32 s0, 22
	s_cbranch_scc0 .LBB163_515
; %bb.506:
	s_cmp_lt_i32 s0, 24
	s_cbranch_scc1 .LBB163_518
; %bb.507:
	s_cmp_gt_i32 s0, 24
	s_cbranch_scc0 .LBB163_519
; %bb.508:
	global_load_ubyte v3, v[0:1], off
	s_mov_b32 s1, 0
	s_mov_b32 s17, exec_lo
	s_waitcnt vmcnt(0)
	v_cmpx_lt_i16_e32 0x7f, v3
	s_xor_b32 s17, exec_lo, s17
	s_cbranch_execz .LBB163_531
; %bb.509:
	s_mov_b32 s1, -1
	s_mov_b32 s19, exec_lo
	v_cmpx_eq_u16_e32 0x80, v3
; %bb.510:
	s_xor_b32 s1, exec_lo, -1
; %bb.511:
	s_or_b32 exec_lo, exec_lo, s19
	s_and_b32 s1, s1, exec_lo
	s_or_saveexec_b32 s17, s17
	v_mov_b32_e32 v4, 0x7f800001
	s_xor_b32 exec_lo, exec_lo, s17
	s_cbranch_execnz .LBB163_532
.LBB163_512:
	s_or_b32 exec_lo, exec_lo, s17
	s_and_saveexec_b32 s17, s1
	s_cbranch_execz .LBB163_514
.LBB163_513:
	v_and_b32_e32 v4, 0xffff, v3
	v_lshlrev_b32_e32 v3, 24, v3
	v_and_b32_e32 v5, 3, v4
	v_bfe_u32 v8, v4, 2, 5
	v_and_b32_e32 v3, 0x80000000, v3
	v_ffbh_u32_e32 v6, v5
	v_cmp_eq_u32_e32 vcc_lo, 0, v8
	v_min_u32_e32 v6, 32, v6
	v_subrev_nc_u32_e32 v7, 29, v6
	v_sub_nc_u32_e32 v6, 30, v6
	v_lshlrev_b32_e32 v4, v7, v4
	v_cndmask_b32_e32 v6, v8, v6, vcc_lo
	v_and_b32_e32 v4, 3, v4
	v_cndmask_b32_e32 v4, v5, v4, vcc_lo
	v_lshl_add_u32 v5, v6, 23, 0x37800000
	v_lshlrev_b32_e32 v4, 21, v4
	v_or3_b32 v4, v3, v5, v4
.LBB163_514:
	s_or_b32 exec_lo, exec_lo, s17
	v_bfe_u32 v3, v4, 16, 1
	v_cmp_o_f32_e32 vcc_lo, v4, v4
	s_mov_b32 s1, 0
	v_add3_u32 v3, v4, v3, 0x7fff
	v_mov_b32_e32 v4, 0x7fc0
	v_cndmask_b32_sdwa v3, v4, v3, vcc_lo dst_sel:DWORD dst_unused:UNUSED_PAD src0_sel:DWORD src1_sel:WORD_1
	s_branch .LBB163_520
.LBB163_515:
	s_mov_b32 s17, -1
                                        ; implicit-def: $vgpr3
	s_branch .LBB163_526
.LBB163_516:
	s_or_saveexec_b32 s17, s17
	v_mov_b32_e32 v4, 0x7f800001
	s_xor_b32 exec_lo, exec_lo, s17
	s_cbranch_execz .LBB163_499
.LBB163_517:
	v_cmp_ne_u16_e32 vcc_lo, 0, v3
	v_mov_b32_e32 v4, 0
	s_andn2_b32 s1, s1, exec_lo
	s_and_b32 s19, vcc_lo, exec_lo
	s_or_b32 s1, s1, s19
	s_or_b32 exec_lo, exec_lo, s17
	s_and_saveexec_b32 s17, s1
	s_cbranch_execnz .LBB163_500
	s_branch .LBB163_501
.LBB163_518:
	s_mov_b32 s1, -1
                                        ; implicit-def: $vgpr3
	s_branch .LBB163_523
.LBB163_519:
	s_mov_b32 s1, -1
                                        ; implicit-def: $vgpr3
.LBB163_520:
	s_and_b32 vcc_lo, exec_lo, s1
	s_cbranch_vccz .LBB163_522
; %bb.521:
	global_load_ubyte v3, v[0:1], off
	s_waitcnt vmcnt(0)
	v_lshlrev_b32_e32 v3, 24, v3
	v_and_b32_e32 v4, 0x7f000000, v3
	v_ffbh_u32_e32 v5, v4
	v_add_nc_u32_e32 v7, 0x1000000, v4
	v_cmp_ne_u32_e32 vcc_lo, 0, v4
	v_min_u32_e32 v5, 32, v5
	v_sub_nc_u32_e64 v5, v5, 4 clamp
	v_lshlrev_b32_e32 v6, v5, v4
	v_lshlrev_b32_e32 v5, 23, v5
	v_lshrrev_b32_e32 v6, 4, v6
	v_sub_nc_u32_e32 v5, v6, v5
	v_ashrrev_i32_e32 v6, 8, v7
	v_add_nc_u32_e32 v5, 0x3c000000, v5
	v_and_or_b32 v5, 0x7f800000, v6, v5
	v_cndmask_b32_e32 v4, 0, v5, vcc_lo
	v_and_or_b32 v3, 0x80000000, v3, v4
	v_bfe_u32 v4, v4, 16, 1
	v_cmp_o_f32_e32 vcc_lo, v3, v3
	v_add3_u32 v3, v3, v4, 0x7fff
	v_mov_b32_e32 v4, 0x7fc0
	v_cndmask_b32_sdwa v3, v4, v3, vcc_lo dst_sel:DWORD dst_unused:UNUSED_PAD src0_sel:DWORD src1_sel:WORD_1
.LBB163_522:
	s_mov_b32 s1, 0
.LBB163_523:
	s_andn2_b32 vcc_lo, exec_lo, s1
	s_cbranch_vccnz .LBB163_525
; %bb.524:
	global_load_ubyte v3, v[0:1], off
	s_waitcnt vmcnt(0)
	v_lshlrev_b32_e32 v4, 25, v3
	v_lshlrev_b16 v3, 8, v3
	v_lshrrev_b32_e32 v5, 4, v4
	v_and_or_b32 v6, 0x7f00, v3, 0.5
	v_cmp_gt_u32_e32 vcc_lo, 0x8000000, v4
	v_bfe_i32 v3, v3, 0, 16
	v_or_b32_e32 v5, 0x70000000, v5
	v_add_f32_e32 v6, -0.5, v6
	v_mul_f32_e32 v5, 0x7800000, v5
	v_cndmask_b32_e32 v4, v5, v6, vcc_lo
	v_and_or_b32 v3, 0x80000000, v3, v4
	v_bfe_u32 v4, v4, 16, 1
	v_cmp_o_f32_e32 vcc_lo, v3, v3
	v_add3_u32 v3, v3, v4, 0x7fff
	v_mov_b32_e32 v4, 0x7fc0
	v_cndmask_b32_sdwa v3, v4, v3, vcc_lo dst_sel:DWORD dst_unused:UNUSED_PAD src0_sel:DWORD src1_sel:WORD_1
.LBB163_525:
	s_mov_b32 s17, 0
	s_mov_b32 s1, -1
.LBB163_526:
	s_andn2_b32 vcc_lo, exec_lo, s17
	s_cbranch_vccnz .LBB163_539
; %bb.527:
	s_cmp_gt_i32 s0, 14
	s_cbranch_scc0 .LBB163_530
; %bb.528:
	s_cmp_eq_u32 s0, 15
	s_cbranch_scc0 .LBB163_533
; %bb.529:
	global_load_ushort v3, v[0:1], off
	s_mov_b32 s1, -1
	s_mov_b32 s16, 0
	s_branch .LBB163_534
.LBB163_530:
	s_mov_b32 s17, -1
                                        ; implicit-def: $vgpr3
	s_branch .LBB163_535
.LBB163_531:
	s_or_saveexec_b32 s17, s17
	v_mov_b32_e32 v4, 0x7f800001
	s_xor_b32 exec_lo, exec_lo, s17
	s_cbranch_execz .LBB163_512
.LBB163_532:
	v_cmp_ne_u16_e32 vcc_lo, 0, v3
	v_mov_b32_e32 v4, 0
	s_andn2_b32 s1, s1, exec_lo
	s_and_b32 s19, vcc_lo, exec_lo
	s_or_b32 s1, s1, s19
	s_or_b32 exec_lo, exec_lo, s17
	s_and_saveexec_b32 s17, s1
	s_cbranch_execnz .LBB163_513
	s_branch .LBB163_514
.LBB163_533:
	s_mov_b32 s16, -1
                                        ; implicit-def: $vgpr3
.LBB163_534:
	s_mov_b32 s17, 0
.LBB163_535:
	s_and_b32 vcc_lo, exec_lo, s17
	s_cbranch_vccz .LBB163_539
; %bb.536:
	s_cmp_eq_u32 s0, 11
	s_cbranch_scc0 .LBB163_538
; %bb.537:
	global_load_ubyte v3, v[0:1], off
	s_mov_b32 s16, 0
	s_mov_b32 s1, -1
	s_waitcnt vmcnt(0)
	v_cmp_ne_u16_e32 vcc_lo, 0, v3
	v_cndmask_b32_e64 v3, 0, 1.0, vcc_lo
	v_lshrrev_b32_e32 v3, 16, v3
	s_branch .LBB163_539
.LBB163_538:
	s_mov_b32 s16, -1
                                        ; implicit-def: $vgpr3
.LBB163_539:
	s_branch .LBB163_303
.LBB163_540:
	s_cmp_lt_i32 s0, 5
	s_cbranch_scc1 .LBB163_545
; %bb.541:
	s_cmp_lt_i32 s0, 8
	s_cbranch_scc1 .LBB163_546
; %bb.542:
	;; [unrolled: 3-line block ×3, first 2 shown]
	s_cmp_gt_i32 s0, 9
	s_cbranch_scc0 .LBB163_548
; %bb.544:
	global_load_dwordx2 v[3:4], v[0:1], off
	s_mov_b32 s1, 0
	s_waitcnt vmcnt(0)
	v_cvt_f32_f64_e32 v3, v[3:4]
	v_bfe_u32 v4, v3, 16, 1
	v_cmp_o_f32_e32 vcc_lo, v3, v3
	v_add3_u32 v3, v3, v4, 0x7fff
	v_mov_b32_e32 v4, 0x7fc0
	v_cndmask_b32_sdwa v3, v4, v3, vcc_lo dst_sel:DWORD dst_unused:UNUSED_PAD src0_sel:DWORD src1_sel:WORD_1
	s_branch .LBB163_549
.LBB163_545:
	s_mov_b32 s1, -1
                                        ; implicit-def: $vgpr3
	s_branch .LBB163_567
.LBB163_546:
	s_mov_b32 s1, -1
                                        ; implicit-def: $vgpr3
	s_branch .LBB163_555
.LBB163_547:
	s_mov_b32 s1, -1
                                        ; implicit-def: $vgpr3
	s_branch .LBB163_552
.LBB163_548:
	s_mov_b32 s1, -1
                                        ; implicit-def: $vgpr3
.LBB163_549:
	s_andn2_b32 vcc_lo, exec_lo, s1
	s_cbranch_vccnz .LBB163_551
; %bb.550:
	global_load_dword v3, v[0:1], off
	s_waitcnt vmcnt(0)
	v_bfe_u32 v4, v3, 16, 1
	v_cmp_o_f32_e32 vcc_lo, v3, v3
	v_add3_u32 v3, v3, v4, 0x7fff
	v_mov_b32_e32 v4, 0x7fc0
	v_cndmask_b32_sdwa v3, v4, v3, vcc_lo dst_sel:DWORD dst_unused:UNUSED_PAD src0_sel:DWORD src1_sel:WORD_1
.LBB163_551:
	s_mov_b32 s1, 0
.LBB163_552:
	s_andn2_b32 vcc_lo, exec_lo, s1
	s_cbranch_vccnz .LBB163_554
; %bb.553:
	global_load_dword v3, v[0:1], off
	s_waitcnt vmcnt(0)
	v_cvt_f32_f16_e32 v4, v3
	v_cmp_o_f16_e32 vcc_lo, v3, v3
	v_bfe_u32 v5, v4, 16, 1
	v_add3_u32 v3, v4, v5, 0x7fff
	v_mov_b32_e32 v4, 0x7fc0
	v_cndmask_b32_sdwa v3, v4, v3, vcc_lo dst_sel:DWORD dst_unused:UNUSED_PAD src0_sel:DWORD src1_sel:WORD_1
.LBB163_554:
	s_mov_b32 s1, 0
.LBB163_555:
	s_andn2_b32 vcc_lo, exec_lo, s1
	s_cbranch_vccnz .LBB163_566
; %bb.556:
	s_cmp_lt_i32 s0, 6
	s_cbranch_scc1 .LBB163_559
; %bb.557:
	s_cmp_gt_i32 s0, 6
	s_cbranch_scc0 .LBB163_560
; %bb.558:
	global_load_dwordx2 v[3:4], v[0:1], off
	s_mov_b32 s1, 0
	s_waitcnt vmcnt(0)
	v_cvt_f32_f64_e32 v3, v[3:4]
	v_bfe_u32 v4, v3, 16, 1
	v_cmp_o_f32_e32 vcc_lo, v3, v3
	v_add3_u32 v3, v3, v4, 0x7fff
	v_mov_b32_e32 v4, 0x7fc0
	v_cndmask_b32_sdwa v3, v4, v3, vcc_lo dst_sel:DWORD dst_unused:UNUSED_PAD src0_sel:DWORD src1_sel:WORD_1
	s_branch .LBB163_561
.LBB163_559:
	s_mov_b32 s1, -1
                                        ; implicit-def: $vgpr3
	s_branch .LBB163_564
.LBB163_560:
	s_mov_b32 s1, -1
                                        ; implicit-def: $vgpr3
.LBB163_561:
	s_andn2_b32 vcc_lo, exec_lo, s1
	s_cbranch_vccnz .LBB163_563
; %bb.562:
	global_load_dword v3, v[0:1], off
	s_waitcnt vmcnt(0)
	v_bfe_u32 v4, v3, 16, 1
	v_cmp_o_f32_e32 vcc_lo, v3, v3
	v_add3_u32 v3, v3, v4, 0x7fff
	v_mov_b32_e32 v4, 0x7fc0
	v_cndmask_b32_sdwa v3, v4, v3, vcc_lo dst_sel:DWORD dst_unused:UNUSED_PAD src0_sel:DWORD src1_sel:WORD_1
.LBB163_563:
	s_mov_b32 s1, 0
.LBB163_564:
	s_andn2_b32 vcc_lo, exec_lo, s1
	s_cbranch_vccnz .LBB163_566
; %bb.565:
	global_load_ushort v3, v[0:1], off
	s_waitcnt vmcnt(0)
	v_cvt_f32_f16_e32 v4, v3
	v_cmp_o_f16_e32 vcc_lo, v3, v3
	v_bfe_u32 v5, v4, 16, 1
	v_add3_u32 v3, v4, v5, 0x7fff
	v_mov_b32_e32 v4, 0x7fc0
	v_cndmask_b32_sdwa v3, v4, v3, vcc_lo dst_sel:DWORD dst_unused:UNUSED_PAD src0_sel:DWORD src1_sel:WORD_1
.LBB163_566:
	s_mov_b32 s1, 0
.LBB163_567:
	s_andn2_b32 vcc_lo, exec_lo, s1
	s_cbranch_vccnz .LBB163_587
; %bb.568:
	s_cmp_lt_i32 s0, 2
	s_cbranch_scc1 .LBB163_572
; %bb.569:
	s_cmp_lt_i32 s0, 3
	s_cbranch_scc1 .LBB163_573
; %bb.570:
	s_cmp_gt_i32 s0, 3
	s_cbranch_scc0 .LBB163_574
; %bb.571:
	global_load_dwordx2 v[3:4], v[0:1], off
	s_mov_b32 s1, 0
	s_waitcnt vmcnt(0)
	v_xor_b32_e32 v5, v3, v4
	v_ffbh_i32_e32 v6, v4
	v_ashrrev_i32_e32 v5, 31, v5
	v_add_nc_u32_e32 v6, -1, v6
	v_add_nc_u32_e32 v5, 32, v5
	v_min_u32_e32 v5, v6, v5
	v_lshlrev_b64 v[3:4], v5, v[3:4]
	v_min_u32_e32 v3, 1, v3
	v_or_b32_e32 v3, v4, v3
	v_sub_nc_u32_e32 v4, 32, v5
	v_cvt_f32_i32_e32 v3, v3
	v_ldexp_f32 v3, v3, v4
	v_bfe_u32 v4, v3, 16, 1
	v_add3_u32 v3, v3, v4, 0x7fff
	v_lshrrev_b32_e32 v3, 16, v3
	s_branch .LBB163_575
.LBB163_572:
	s_mov_b32 s1, -1
                                        ; implicit-def: $vgpr3
	s_branch .LBB163_581
.LBB163_573:
	s_mov_b32 s1, -1
                                        ; implicit-def: $vgpr3
	s_branch .LBB163_578
.LBB163_574:
	s_mov_b32 s1, -1
                                        ; implicit-def: $vgpr3
.LBB163_575:
	s_andn2_b32 vcc_lo, exec_lo, s1
	s_cbranch_vccnz .LBB163_577
; %bb.576:
	global_load_dword v3, v[0:1], off
	s_waitcnt vmcnt(0)
	v_cvt_f32_i32_e32 v3, v3
	v_bfe_u32 v4, v3, 16, 1
	v_add3_u32 v3, v3, v4, 0x7fff
	v_lshrrev_b32_e32 v3, 16, v3
.LBB163_577:
	s_mov_b32 s1, 0
.LBB163_578:
	s_andn2_b32 vcc_lo, exec_lo, s1
	s_cbranch_vccnz .LBB163_580
; %bb.579:
	global_load_sshort v3, v[0:1], off
	s_waitcnt vmcnt(0)
	v_cvt_f32_i32_e32 v3, v3
	v_bfe_u32 v4, v3, 16, 1
	v_add3_u32 v3, v3, v4, 0x7fff
	v_lshrrev_b32_e32 v3, 16, v3
.LBB163_580:
	s_mov_b32 s1, 0
.LBB163_581:
	s_andn2_b32 vcc_lo, exec_lo, s1
	s_cbranch_vccnz .LBB163_587
; %bb.582:
	s_cmp_gt_i32 s0, 0
	s_mov_b32 s0, 0
	s_cbranch_scc0 .LBB163_584
; %bb.583:
	global_load_sbyte v3, v[0:1], off
	s_waitcnt vmcnt(0)
	v_cvt_f32_i32_e32 v3, v3
	v_bfe_u32 v4, v3, 16, 1
	v_add3_u32 v3, v3, v4, 0x7fff
	v_lshrrev_b32_e32 v3, 16, v3
	s_branch .LBB163_585
.LBB163_584:
	s_mov_b32 s0, -1
                                        ; implicit-def: $vgpr3
.LBB163_585:
	s_andn2_b32 vcc_lo, exec_lo, s0
	s_cbranch_vccnz .LBB163_587
; %bb.586:
	global_load_ubyte v0, v[0:1], off
	s_waitcnt vmcnt(0)
	v_cvt_f32_ubyte0_e32 v0, v0
	v_bfe_u32 v1, v0, 16, 1
	v_add3_u32 v0, v0, v1, 0x7fff
	v_lshrrev_b32_e32 v3, 16, v0
.LBB163_587:
	s_branch .LBB163_304
.LBB163_588:
	s_mov_b32 s1, 0
	s_mov_b32 s0, s6
.LBB163_589:
                                        ; implicit-def: $vgpr2
.LBB163_590:
	s_andn2_b32 s17, s6, exec_lo
	s_and_b32 s0, s0, exec_lo
	s_andn2_b32 s19, s14, exec_lo
	s_and_b32 s16, s16, exec_lo
	s_or_b32 s17, s17, s0
	s_or_b32 s16, s19, s16
	s_orn2_b32 s0, s1, exec_lo
.LBB163_591:
	s_or_b32 exec_lo, exec_lo, s18
	s_mov_b32 s1, 0
	s_mov_b32 s19, 0
	s_mov_b32 s20, 0
                                        ; implicit-def: $vgpr0_vgpr1
                                        ; implicit-def: $vgpr4
	s_and_saveexec_b32 s18, s0
	s_cbranch_execz .LBB163_976
; %bb.592:
	s_mov_b32 s20, -1
	s_mov_b32 s0, s16
	s_mov_b32 s1, s17
	s_mov_b32 s19, exec_lo
	v_cmpx_gt_i32_e64 s7, v2
	s_cbranch_execz .LBB163_890
; %bb.593:
	v_mul_lo_u32 v0, v2, s13
	s_and_b32 s0, 0xffff, s3
	s_cmp_lt_i32 s0, 11
	v_ashrrev_i32_e32 v1, 31, v0
	v_add_co_u32 v0, vcc_lo, s10, v0
	v_add_co_ci_u32_e64 v1, null, s11, v1, vcc_lo
	s_cbranch_scc1 .LBB163_600
; %bb.594:
	s_cmp_gt_i32 s0, 25
	s_cbranch_scc0 .LBB163_601
; %bb.595:
	s_cmp_gt_i32 s0, 28
	s_cbranch_scc0 .LBB163_602
	;; [unrolled: 3-line block ×4, first 2 shown]
; %bb.598:
	s_cmp_eq_u32 s0, 46
	s_mov_b32 s21, 0
	s_cbranch_scc0 .LBB163_609
; %bb.599:
	global_load_dword v3, v[0:1], off
	s_mov_b32 s1, -1
	s_mov_b32 s20, 0
	s_branch .LBB163_611
.LBB163_600:
	s_mov_b32 s21, -1
	s_mov_b32 s1, 0
	s_mov_b32 s20, s16
                                        ; implicit-def: $vgpr3
	s_branch .LBB163_676
.LBB163_601:
	s_mov_b32 s21, -1
	s_mov_b32 s1, 0
	s_mov_b32 s20, s16
                                        ; implicit-def: $vgpr3
	s_branch .LBB163_640
.LBB163_602:
	s_mov_b32 s21, -1
	s_mov_b32 s1, 0
	s_mov_b32 s20, s16
                                        ; implicit-def: $vgpr3
	s_branch .LBB163_621
.LBB163_603:
	s_mov_b32 s21, -1
	s_mov_b32 s1, 0
	s_mov_b32 s20, s16
                                        ; implicit-def: $vgpr3
	s_branch .LBB163_616
.LBB163_604:
	s_andn2_saveexec_b32 s21, s21
	s_cbranch_execz .LBB163_388
.LBB163_605:
	v_add_f32_e64 v5, 0x46000000, |v6|
	s_andn2_b32 s20, s20, exec_lo
	v_and_b32_e32 v5, 0xff, v5
	v_cmp_ne_u32_e32 vcc_lo, 0, v5
	s_and_b32 s22, vcc_lo, exec_lo
	s_or_b32 s20, s20, s22
	s_or_b32 exec_lo, exec_lo, s21
	v_mov_b32_e32 v7, 0
	s_and_saveexec_b32 s21, s20
	s_cbranch_execnz .LBB163_389
	s_branch .LBB163_390
.LBB163_606:
	s_mov_b32 s21, -1
	s_mov_b32 s1, 0
	s_mov_b32 s20, s16
	s_branch .LBB163_610
.LBB163_607:
	s_andn2_saveexec_b32 s21, s21
	s_cbranch_execz .LBB163_401
.LBB163_608:
	v_add_f32_e64 v5, 0x42800000, |v6|
	s_andn2_b32 s20, s20, exec_lo
	v_and_b32_e32 v5, 0xff, v5
	v_cmp_ne_u32_e32 vcc_lo, 0, v5
	s_and_b32 s22, vcc_lo, exec_lo
	s_or_b32 s20, s20, s22
	s_or_b32 exec_lo, exec_lo, s21
	v_mov_b32_e32 v7, 0
	s_and_saveexec_b32 s21, s20
	s_cbranch_execnz .LBB163_402
	s_branch .LBB163_403
.LBB163_609:
	s_mov_b32 s1, 0
.LBB163_610:
                                        ; implicit-def: $vgpr3
.LBB163_611:
	s_and_b32 vcc_lo, exec_lo, s21
	s_cbranch_vccz .LBB163_615
; %bb.612:
	s_cmp_eq_u32 s0, 44
	s_cbranch_scc0 .LBB163_614
; %bb.613:
	global_load_ubyte v3, v[0:1], off
	s_mov_b32 s20, 0
	s_mov_b32 s1, -1
	s_waitcnt vmcnt(0)
	v_lshlrev_b32_e32 v4, 23, v3
	v_cmp_ne_u32_e32 vcc_lo, 0xff, v3
	v_cndmask_b32_e32 v4, 0x7f800001, v4, vcc_lo
	v_cmp_ne_u32_e32 vcc_lo, 0, v3
	v_cndmask_b32_e32 v3, 0x400000, v4, vcc_lo
	v_mov_b32_e32 v4, 0x7fc0
	v_cmp_o_f32_e32 vcc_lo, v3, v3
	v_add_nc_u32_e32 v3, 0x7fff, v3
	v_cndmask_b32_sdwa v3, v4, v3, vcc_lo dst_sel:DWORD dst_unused:UNUSED_PAD src0_sel:DWORD src1_sel:WORD_1
	s_branch .LBB163_615
.LBB163_614:
	s_mov_b32 s20, -1
                                        ; implicit-def: $vgpr3
.LBB163_615:
	s_mov_b32 s21, 0
.LBB163_616:
	s_and_b32 vcc_lo, exec_lo, s21
	s_cbranch_vccz .LBB163_620
; %bb.617:
	s_cmp_eq_u32 s0, 29
	s_cbranch_scc0 .LBB163_619
; %bb.618:
	global_load_dwordx2 v[3:4], v[0:1], off
	s_mov_b32 s1, -1
	s_mov_b32 s20, 0
	s_mov_b32 s21, 0
	s_waitcnt vmcnt(0)
	v_ffbh_u32_e32 v5, v4
	v_min_u32_e32 v5, 32, v5
	v_lshlrev_b64 v[3:4], v5, v[3:4]
	v_min_u32_e32 v3, 1, v3
	v_or_b32_e32 v3, v4, v3
	v_sub_nc_u32_e32 v4, 32, v5
	v_cvt_f32_u32_e32 v3, v3
	v_ldexp_f32 v3, v3, v4
	v_bfe_u32 v4, v3, 16, 1
	v_add3_u32 v3, v3, v4, 0x7fff
	v_lshrrev_b32_e32 v3, 16, v3
	s_branch .LBB163_621
.LBB163_619:
	s_mov_b32 s20, -1
                                        ; implicit-def: $vgpr3
.LBB163_620:
	s_mov_b32 s21, 0
.LBB163_621:
	s_and_b32 vcc_lo, exec_lo, s21
	s_cbranch_vccz .LBB163_639
; %bb.622:
	s_cmp_lt_i32 s0, 27
	s_cbranch_scc1 .LBB163_625
; %bb.623:
	s_cmp_gt_i32 s0, 27
	s_cbranch_scc0 .LBB163_626
; %bb.624:
	global_load_dword v3, v[0:1], off
	s_mov_b32 s1, 0
	s_waitcnt vmcnt(0)
	v_cvt_f32_u32_e32 v3, v3
	v_bfe_u32 v4, v3, 16, 1
	v_add3_u32 v3, v3, v4, 0x7fff
	v_lshrrev_b32_e32 v3, 16, v3
	s_branch .LBB163_627
.LBB163_625:
	s_mov_b32 s1, -1
                                        ; implicit-def: $vgpr3
	s_branch .LBB163_630
.LBB163_626:
	s_mov_b32 s1, -1
                                        ; implicit-def: $vgpr3
.LBB163_627:
	s_andn2_b32 vcc_lo, exec_lo, s1
	s_cbranch_vccnz .LBB163_629
; %bb.628:
	global_load_ushort v3, v[0:1], off
	s_waitcnt vmcnt(0)
	v_cvt_f32_u32_e32 v3, v3
	v_bfe_u32 v4, v3, 16, 1
	v_add3_u32 v3, v3, v4, 0x7fff
	v_lshrrev_b32_e32 v3, 16, v3
.LBB163_629:
	s_mov_b32 s1, 0
.LBB163_630:
	s_andn2_b32 vcc_lo, exec_lo, s1
	s_cbranch_vccnz .LBB163_638
; %bb.631:
	global_load_ubyte v3, v[0:1], off
	s_mov_b32 s1, 0
	s_mov_b32 s21, exec_lo
	s_waitcnt vmcnt(0)
	v_cmpx_lt_i16_e32 0x7f, v3
	s_xor_b32 s21, exec_lo, s21
	s_cbranch_execz .LBB163_652
; %bb.632:
	s_mov_b32 s1, -1
	s_mov_b32 s22, exec_lo
	v_cmpx_eq_u16_e32 0x80, v3
; %bb.633:
	s_xor_b32 s1, exec_lo, -1
; %bb.634:
	s_or_b32 exec_lo, exec_lo, s22
	s_and_b32 s1, s1, exec_lo
	s_or_saveexec_b32 s21, s21
	v_mov_b32_e32 v4, 0x7f800001
	s_xor_b32 exec_lo, exec_lo, s21
	s_cbranch_execnz .LBB163_653
.LBB163_635:
	s_or_b32 exec_lo, exec_lo, s21
	s_and_saveexec_b32 s21, s1
	s_cbranch_execz .LBB163_637
.LBB163_636:
	v_and_b32_e32 v4, 0xffff, v3
	v_lshlrev_b32_e32 v3, 24, v3
	v_and_b32_e32 v5, 7, v4
	v_bfe_u32 v8, v4, 3, 4
	v_and_b32_e32 v3, 0x80000000, v3
	v_ffbh_u32_e32 v6, v5
	v_cmp_eq_u32_e32 vcc_lo, 0, v8
	v_min_u32_e32 v6, 32, v6
	v_subrev_nc_u32_e32 v7, 28, v6
	v_sub_nc_u32_e32 v6, 29, v6
	v_lshlrev_b32_e32 v4, v7, v4
	v_cndmask_b32_e32 v6, v8, v6, vcc_lo
	v_and_b32_e32 v4, 7, v4
	v_cndmask_b32_e32 v4, v5, v4, vcc_lo
	v_lshl_add_u32 v5, v6, 23, 0x3b800000
	v_lshlrev_b32_e32 v4, 20, v4
	v_or3_b32 v4, v3, v5, v4
.LBB163_637:
	s_or_b32 exec_lo, exec_lo, s21
	v_bfe_u32 v3, v4, 16, 1
	v_cmp_o_f32_e32 vcc_lo, v4, v4
	v_add3_u32 v3, v4, v3, 0x7fff
	v_mov_b32_e32 v4, 0x7fc0
	v_cndmask_b32_sdwa v3, v4, v3, vcc_lo dst_sel:DWORD dst_unused:UNUSED_PAD src0_sel:DWORD src1_sel:WORD_1
.LBB163_638:
	s_mov_b32 s1, -1
.LBB163_639:
	s_mov_b32 s21, 0
.LBB163_640:
	s_and_b32 vcc_lo, exec_lo, s21
	s_cbranch_vccz .LBB163_675
; %bb.641:
	s_cmp_gt_i32 s0, 22
	s_cbranch_scc0 .LBB163_651
; %bb.642:
	s_cmp_lt_i32 s0, 24
	s_cbranch_scc1 .LBB163_654
; %bb.643:
	s_cmp_gt_i32 s0, 24
	s_cbranch_scc0 .LBB163_655
; %bb.644:
	global_load_ubyte v3, v[0:1], off
	s_mov_b32 s1, 0
	s_mov_b32 s21, exec_lo
	s_waitcnt vmcnt(0)
	v_cmpx_lt_i16_e32 0x7f, v3
	s_xor_b32 s21, exec_lo, s21
	s_cbranch_execz .LBB163_667
; %bb.645:
	s_mov_b32 s1, -1
	s_mov_b32 s22, exec_lo
	v_cmpx_eq_u16_e32 0x80, v3
; %bb.646:
	s_xor_b32 s1, exec_lo, -1
; %bb.647:
	s_or_b32 exec_lo, exec_lo, s22
	s_and_b32 s1, s1, exec_lo
	s_or_saveexec_b32 s21, s21
	v_mov_b32_e32 v4, 0x7f800001
	s_xor_b32 exec_lo, exec_lo, s21
	s_cbranch_execnz .LBB163_668
.LBB163_648:
	s_or_b32 exec_lo, exec_lo, s21
	s_and_saveexec_b32 s21, s1
	s_cbranch_execz .LBB163_650
.LBB163_649:
	v_and_b32_e32 v4, 0xffff, v3
	v_lshlrev_b32_e32 v3, 24, v3
	v_and_b32_e32 v5, 3, v4
	v_bfe_u32 v8, v4, 2, 5
	v_and_b32_e32 v3, 0x80000000, v3
	v_ffbh_u32_e32 v6, v5
	v_cmp_eq_u32_e32 vcc_lo, 0, v8
	v_min_u32_e32 v6, 32, v6
	v_subrev_nc_u32_e32 v7, 29, v6
	v_sub_nc_u32_e32 v6, 30, v6
	v_lshlrev_b32_e32 v4, v7, v4
	v_cndmask_b32_e32 v6, v8, v6, vcc_lo
	v_and_b32_e32 v4, 3, v4
	v_cndmask_b32_e32 v4, v5, v4, vcc_lo
	v_lshl_add_u32 v5, v6, 23, 0x37800000
	v_lshlrev_b32_e32 v4, 21, v4
	v_or3_b32 v4, v3, v5, v4
.LBB163_650:
	s_or_b32 exec_lo, exec_lo, s21
	v_bfe_u32 v3, v4, 16, 1
	v_cmp_o_f32_e32 vcc_lo, v4, v4
	s_mov_b32 s1, 0
	v_add3_u32 v3, v4, v3, 0x7fff
	v_mov_b32_e32 v4, 0x7fc0
	v_cndmask_b32_sdwa v3, v4, v3, vcc_lo dst_sel:DWORD dst_unused:UNUSED_PAD src0_sel:DWORD src1_sel:WORD_1
	s_branch .LBB163_656
.LBB163_651:
	s_mov_b32 s21, -1
                                        ; implicit-def: $vgpr3
	s_branch .LBB163_662
.LBB163_652:
	s_or_saveexec_b32 s21, s21
	v_mov_b32_e32 v4, 0x7f800001
	s_xor_b32 exec_lo, exec_lo, s21
	s_cbranch_execz .LBB163_635
.LBB163_653:
	v_cmp_ne_u16_e32 vcc_lo, 0, v3
	v_mov_b32_e32 v4, 0
	s_andn2_b32 s1, s1, exec_lo
	s_and_b32 s22, vcc_lo, exec_lo
	s_or_b32 s1, s1, s22
	s_or_b32 exec_lo, exec_lo, s21
	s_and_saveexec_b32 s21, s1
	s_cbranch_execnz .LBB163_636
	s_branch .LBB163_637
.LBB163_654:
	s_mov_b32 s1, -1
                                        ; implicit-def: $vgpr3
	s_branch .LBB163_659
.LBB163_655:
	s_mov_b32 s1, -1
                                        ; implicit-def: $vgpr3
.LBB163_656:
	s_and_b32 vcc_lo, exec_lo, s1
	s_cbranch_vccz .LBB163_658
; %bb.657:
	global_load_ubyte v3, v[0:1], off
	s_waitcnt vmcnt(0)
	v_lshlrev_b32_e32 v3, 24, v3
	v_and_b32_e32 v4, 0x7f000000, v3
	v_ffbh_u32_e32 v5, v4
	v_add_nc_u32_e32 v7, 0x1000000, v4
	v_cmp_ne_u32_e32 vcc_lo, 0, v4
	v_min_u32_e32 v5, 32, v5
	v_sub_nc_u32_e64 v5, v5, 4 clamp
	v_lshlrev_b32_e32 v6, v5, v4
	v_lshlrev_b32_e32 v5, 23, v5
	v_lshrrev_b32_e32 v6, 4, v6
	v_sub_nc_u32_e32 v5, v6, v5
	v_ashrrev_i32_e32 v6, 8, v7
	v_add_nc_u32_e32 v5, 0x3c000000, v5
	v_and_or_b32 v5, 0x7f800000, v6, v5
	v_cndmask_b32_e32 v4, 0, v5, vcc_lo
	v_and_or_b32 v3, 0x80000000, v3, v4
	v_bfe_u32 v4, v4, 16, 1
	v_cmp_o_f32_e32 vcc_lo, v3, v3
	v_add3_u32 v3, v3, v4, 0x7fff
	v_mov_b32_e32 v4, 0x7fc0
	v_cndmask_b32_sdwa v3, v4, v3, vcc_lo dst_sel:DWORD dst_unused:UNUSED_PAD src0_sel:DWORD src1_sel:WORD_1
.LBB163_658:
	s_mov_b32 s1, 0
.LBB163_659:
	s_andn2_b32 vcc_lo, exec_lo, s1
	s_cbranch_vccnz .LBB163_661
; %bb.660:
	global_load_ubyte v3, v[0:1], off
	s_waitcnt vmcnt(0)
	v_lshlrev_b32_e32 v4, 25, v3
	v_lshlrev_b16 v3, 8, v3
	v_lshrrev_b32_e32 v5, 4, v4
	v_and_or_b32 v6, 0x7f00, v3, 0.5
	v_cmp_gt_u32_e32 vcc_lo, 0x8000000, v4
	v_bfe_i32 v3, v3, 0, 16
	v_or_b32_e32 v5, 0x70000000, v5
	v_add_f32_e32 v6, -0.5, v6
	v_mul_f32_e32 v5, 0x7800000, v5
	v_cndmask_b32_e32 v4, v5, v6, vcc_lo
	v_and_or_b32 v3, 0x80000000, v3, v4
	v_bfe_u32 v4, v4, 16, 1
	v_cmp_o_f32_e32 vcc_lo, v3, v3
	v_add3_u32 v3, v3, v4, 0x7fff
	v_mov_b32_e32 v4, 0x7fc0
	v_cndmask_b32_sdwa v3, v4, v3, vcc_lo dst_sel:DWORD dst_unused:UNUSED_PAD src0_sel:DWORD src1_sel:WORD_1
.LBB163_661:
	s_mov_b32 s21, 0
	s_mov_b32 s1, -1
.LBB163_662:
	s_andn2_b32 vcc_lo, exec_lo, s21
	s_cbranch_vccnz .LBB163_675
; %bb.663:
	s_cmp_gt_i32 s0, 14
	s_cbranch_scc0 .LBB163_666
; %bb.664:
	s_cmp_eq_u32 s0, 15
	s_cbranch_scc0 .LBB163_669
; %bb.665:
	global_load_ushort v3, v[0:1], off
	s_mov_b32 s1, -1
	s_mov_b32 s20, 0
	s_branch .LBB163_670
.LBB163_666:
	s_mov_b32 s21, -1
                                        ; implicit-def: $vgpr3
	s_branch .LBB163_671
.LBB163_667:
	s_or_saveexec_b32 s21, s21
	v_mov_b32_e32 v4, 0x7f800001
	s_xor_b32 exec_lo, exec_lo, s21
	s_cbranch_execz .LBB163_648
.LBB163_668:
	v_cmp_ne_u16_e32 vcc_lo, 0, v3
	v_mov_b32_e32 v4, 0
	s_andn2_b32 s1, s1, exec_lo
	s_and_b32 s22, vcc_lo, exec_lo
	s_or_b32 s1, s1, s22
	s_or_b32 exec_lo, exec_lo, s21
	s_and_saveexec_b32 s21, s1
	s_cbranch_execnz .LBB163_649
	s_branch .LBB163_650
.LBB163_669:
	s_mov_b32 s20, -1
                                        ; implicit-def: $vgpr3
.LBB163_670:
	s_mov_b32 s21, 0
.LBB163_671:
	s_and_b32 vcc_lo, exec_lo, s21
	s_cbranch_vccz .LBB163_675
; %bb.672:
	s_cmp_eq_u32 s0, 11
	s_cbranch_scc0 .LBB163_674
; %bb.673:
	global_load_ubyte v3, v[0:1], off
	s_mov_b32 s20, 0
	s_mov_b32 s1, -1
	s_waitcnt vmcnt(0)
	v_cmp_ne_u16_e32 vcc_lo, 0, v3
	v_cndmask_b32_e64 v3, 0, 1.0, vcc_lo
	v_lshrrev_b32_e32 v3, 16, v3
	s_branch .LBB163_675
.LBB163_674:
	s_mov_b32 s20, -1
                                        ; implicit-def: $vgpr3
.LBB163_675:
	s_mov_b32 s21, 0
.LBB163_676:
	s_and_b32 vcc_lo, exec_lo, s21
	s_cbranch_vccz .LBB163_725
; %bb.677:
	s_cmp_lt_i32 s0, 5
	s_cbranch_scc1 .LBB163_682
; %bb.678:
	s_cmp_lt_i32 s0, 8
	s_cbranch_scc1 .LBB163_683
	;; [unrolled: 3-line block ×3, first 2 shown]
; %bb.680:
	s_cmp_gt_i32 s0, 9
	s_cbranch_scc0 .LBB163_685
; %bb.681:
	global_load_dwordx2 v[3:4], v[0:1], off
	s_mov_b32 s1, 0
	s_waitcnt vmcnt(0)
	v_cvt_f32_f64_e32 v3, v[3:4]
	v_bfe_u32 v4, v3, 16, 1
	v_cmp_o_f32_e32 vcc_lo, v3, v3
	v_add3_u32 v3, v3, v4, 0x7fff
	v_mov_b32_e32 v4, 0x7fc0
	v_cndmask_b32_sdwa v3, v4, v3, vcc_lo dst_sel:DWORD dst_unused:UNUSED_PAD src0_sel:DWORD src1_sel:WORD_1
	s_branch .LBB163_686
.LBB163_682:
	s_mov_b32 s1, -1
                                        ; implicit-def: $vgpr3
	s_branch .LBB163_704
.LBB163_683:
	s_mov_b32 s1, -1
                                        ; implicit-def: $vgpr3
	s_branch .LBB163_692
.LBB163_684:
	s_mov_b32 s1, -1
                                        ; implicit-def: $vgpr3
	s_branch .LBB163_689
.LBB163_685:
	s_mov_b32 s1, -1
                                        ; implicit-def: $vgpr3
.LBB163_686:
	s_andn2_b32 vcc_lo, exec_lo, s1
	s_cbranch_vccnz .LBB163_688
; %bb.687:
	global_load_dword v3, v[0:1], off
	s_waitcnt vmcnt(0)
	v_bfe_u32 v4, v3, 16, 1
	v_cmp_o_f32_e32 vcc_lo, v3, v3
	v_add3_u32 v3, v3, v4, 0x7fff
	v_mov_b32_e32 v4, 0x7fc0
	v_cndmask_b32_sdwa v3, v4, v3, vcc_lo dst_sel:DWORD dst_unused:UNUSED_PAD src0_sel:DWORD src1_sel:WORD_1
.LBB163_688:
	s_mov_b32 s1, 0
.LBB163_689:
	s_andn2_b32 vcc_lo, exec_lo, s1
	s_cbranch_vccnz .LBB163_691
; %bb.690:
	global_load_dword v3, v[0:1], off
	s_waitcnt vmcnt(0)
	v_cvt_f32_f16_e32 v4, v3
	v_cmp_o_f16_e32 vcc_lo, v3, v3
	v_bfe_u32 v5, v4, 16, 1
	v_add3_u32 v3, v4, v5, 0x7fff
	v_mov_b32_e32 v4, 0x7fc0
	v_cndmask_b32_sdwa v3, v4, v3, vcc_lo dst_sel:DWORD dst_unused:UNUSED_PAD src0_sel:DWORD src1_sel:WORD_1
.LBB163_691:
	s_mov_b32 s1, 0
.LBB163_692:
	s_andn2_b32 vcc_lo, exec_lo, s1
	s_cbranch_vccnz .LBB163_703
; %bb.693:
	s_cmp_lt_i32 s0, 6
	s_cbranch_scc1 .LBB163_696
; %bb.694:
	s_cmp_gt_i32 s0, 6
	s_cbranch_scc0 .LBB163_697
; %bb.695:
	global_load_dwordx2 v[3:4], v[0:1], off
	s_mov_b32 s1, 0
	s_waitcnt vmcnt(0)
	v_cvt_f32_f64_e32 v3, v[3:4]
	v_bfe_u32 v4, v3, 16, 1
	v_cmp_o_f32_e32 vcc_lo, v3, v3
	v_add3_u32 v3, v3, v4, 0x7fff
	v_mov_b32_e32 v4, 0x7fc0
	v_cndmask_b32_sdwa v3, v4, v3, vcc_lo dst_sel:DWORD dst_unused:UNUSED_PAD src0_sel:DWORD src1_sel:WORD_1
	s_branch .LBB163_698
.LBB163_696:
	s_mov_b32 s1, -1
                                        ; implicit-def: $vgpr3
	s_branch .LBB163_701
.LBB163_697:
	s_mov_b32 s1, -1
                                        ; implicit-def: $vgpr3
.LBB163_698:
	s_andn2_b32 vcc_lo, exec_lo, s1
	s_cbranch_vccnz .LBB163_700
; %bb.699:
	global_load_dword v3, v[0:1], off
	s_waitcnt vmcnt(0)
	v_bfe_u32 v4, v3, 16, 1
	v_cmp_o_f32_e32 vcc_lo, v3, v3
	v_add3_u32 v3, v3, v4, 0x7fff
	v_mov_b32_e32 v4, 0x7fc0
	v_cndmask_b32_sdwa v3, v4, v3, vcc_lo dst_sel:DWORD dst_unused:UNUSED_PAD src0_sel:DWORD src1_sel:WORD_1
.LBB163_700:
	s_mov_b32 s1, 0
.LBB163_701:
	s_andn2_b32 vcc_lo, exec_lo, s1
	s_cbranch_vccnz .LBB163_703
; %bb.702:
	global_load_ushort v3, v[0:1], off
	s_waitcnt vmcnt(0)
	v_cvt_f32_f16_e32 v4, v3
	v_cmp_o_f16_e32 vcc_lo, v3, v3
	v_bfe_u32 v5, v4, 16, 1
	v_add3_u32 v3, v4, v5, 0x7fff
	v_mov_b32_e32 v4, 0x7fc0
	v_cndmask_b32_sdwa v3, v4, v3, vcc_lo dst_sel:DWORD dst_unused:UNUSED_PAD src0_sel:DWORD src1_sel:WORD_1
.LBB163_703:
	s_mov_b32 s1, 0
.LBB163_704:
	s_andn2_b32 vcc_lo, exec_lo, s1
	s_cbranch_vccnz .LBB163_724
; %bb.705:
	s_cmp_lt_i32 s0, 2
	s_cbranch_scc1 .LBB163_709
; %bb.706:
	s_cmp_lt_i32 s0, 3
	s_cbranch_scc1 .LBB163_710
; %bb.707:
	s_cmp_gt_i32 s0, 3
	s_cbranch_scc0 .LBB163_711
; %bb.708:
	global_load_dwordx2 v[3:4], v[0:1], off
	s_mov_b32 s1, 0
	s_waitcnt vmcnt(0)
	v_xor_b32_e32 v5, v3, v4
	v_ffbh_i32_e32 v6, v4
	v_ashrrev_i32_e32 v5, 31, v5
	v_add_nc_u32_e32 v6, -1, v6
	v_add_nc_u32_e32 v5, 32, v5
	v_min_u32_e32 v5, v6, v5
	v_lshlrev_b64 v[3:4], v5, v[3:4]
	v_min_u32_e32 v3, 1, v3
	v_or_b32_e32 v3, v4, v3
	v_sub_nc_u32_e32 v4, 32, v5
	v_cvt_f32_i32_e32 v3, v3
	v_ldexp_f32 v3, v3, v4
	v_bfe_u32 v4, v3, 16, 1
	v_add3_u32 v3, v3, v4, 0x7fff
	v_lshrrev_b32_e32 v3, 16, v3
	s_branch .LBB163_712
.LBB163_709:
	s_mov_b32 s1, -1
                                        ; implicit-def: $vgpr3
	s_branch .LBB163_718
.LBB163_710:
	s_mov_b32 s1, -1
                                        ; implicit-def: $vgpr3
	s_branch .LBB163_715
.LBB163_711:
	s_mov_b32 s1, -1
                                        ; implicit-def: $vgpr3
.LBB163_712:
	s_andn2_b32 vcc_lo, exec_lo, s1
	s_cbranch_vccnz .LBB163_714
; %bb.713:
	global_load_dword v3, v[0:1], off
	s_waitcnt vmcnt(0)
	v_cvt_f32_i32_e32 v3, v3
	v_bfe_u32 v4, v3, 16, 1
	v_add3_u32 v3, v3, v4, 0x7fff
	v_lshrrev_b32_e32 v3, 16, v3
.LBB163_714:
	s_mov_b32 s1, 0
.LBB163_715:
	s_andn2_b32 vcc_lo, exec_lo, s1
	s_cbranch_vccnz .LBB163_717
; %bb.716:
	global_load_sshort v3, v[0:1], off
	s_waitcnt vmcnt(0)
	v_cvt_f32_i32_e32 v3, v3
	v_bfe_u32 v4, v3, 16, 1
	v_add3_u32 v3, v3, v4, 0x7fff
	v_lshrrev_b32_e32 v3, 16, v3
.LBB163_717:
	s_mov_b32 s1, 0
.LBB163_718:
	s_andn2_b32 vcc_lo, exec_lo, s1
	s_cbranch_vccnz .LBB163_724
; %bb.719:
	s_cmp_gt_i32 s0, 0
	s_mov_b32 s0, 0
	s_cbranch_scc0 .LBB163_721
; %bb.720:
	global_load_sbyte v3, v[0:1], off
	s_waitcnt vmcnt(0)
	v_cvt_f32_i32_e32 v3, v3
	v_bfe_u32 v4, v3, 16, 1
	v_add3_u32 v3, v3, v4, 0x7fff
	v_lshrrev_b32_e32 v3, 16, v3
	s_branch .LBB163_722
.LBB163_721:
	s_mov_b32 s0, -1
                                        ; implicit-def: $vgpr3
.LBB163_722:
	s_andn2_b32 vcc_lo, exec_lo, s0
	s_cbranch_vccnz .LBB163_724
; %bb.723:
	global_load_ubyte v0, v[0:1], off
	s_waitcnt vmcnt(0)
	v_cvt_f32_ubyte0_e32 v0, v0
	v_bfe_u32 v1, v0, 16, 1
	v_add3_u32 v0, v0, v1, 0x7fff
	v_lshrrev_b32_e32 v3, 16, v0
.LBB163_724:
	s_mov_b32 s1, -1
.LBB163_725:
	s_andn2_b32 vcc_lo, exec_lo, s1
	s_cbranch_vccnz .LBB163_771
; %bb.726:
	s_waitcnt vmcnt(0)
	v_lshlrev_b32_e32 v0, 16, v3
	s_mov_b32 s1, exec_lo
                                        ; implicit-def: $vgpr3
	v_and_b32_e32 v1, 0x7fffffff, v0
	v_cmpx_ngt_f32_e64 0x3c800000, |v0|
	s_xor_b32 s1, exec_lo, s1
	s_cbranch_execz .LBB163_756
; %bb.727:
	s_mov_b32 s21, exec_lo
                                        ; implicit-def: $vgpr3
	v_cmpx_nlt_f32_e64 |v0|, 2.0
	s_xor_b32 s21, exec_lo, s21
	s_cbranch_execz .LBB163_737
; %bb.728:
	v_cmp_ngt_f32_e64 s0, 0x41000000, |v0|
                                        ; implicit-def: $vgpr3
	s_and_saveexec_b32 s22, s0
	s_xor_b32 s0, exec_lo, s22
	s_cbranch_execz .LBB163_734
; %bb.729:
	v_cmp_ngt_f32_e64 s22, 0x5c800000, |v0|
                                        ; implicit-def: $vgpr3
	s_and_saveexec_b32 s23, s22
	s_xor_b32 s22, exec_lo, s23
	s_cbranch_execz .LBB163_731
; %bb.730:
	v_cmp_gt_f32_e64 s23, 0x800000, |v0|
	v_cndmask_b32_e64 v3, 0, 32, s23
	v_ldexp_f32 v3, |v0|, v3
	v_log_f32_e32 v3, v3
	v_mul_f32_e32 v4, 0x3f317217, v3
	v_cmp_gt_f32_e64 vcc_lo, 0x7f800000, |v3|
	v_fma_f32 v5, 0x3f317217, v3, -v4
	v_fmamk_f32 v5, v3, 0x3377d1cf, v5
	v_add_f32_e32 v4, v4, v5
	v_cndmask_b32_e32 v3, v3, v4, vcc_lo
	v_cndmask_b32_e64 v4, 0, 0x41b17218, s23
	v_sub_f32_e32 v3, v3, v4
	v_fma_f32 v3, |v0|, v3, -|v0|
.LBB163_731:
	s_andn2_saveexec_b32 s22, s22
	s_cbranch_execz .LBB163_733
; %bb.732:
	v_cmp_gt_f32_e64 s23, 0x800000, |v0|
	v_rcp_f32_e64 v4, |v0|
	s_mov_b32 s24, 0xbad5c4e8
	v_cndmask_b32_e64 v3, 0, 32, s23
	v_ldexp_f32 v3, |v0|, v3
	v_mul_f32_e32 v5, v4, v4
	v_log_f32_e32 v3, v3
	v_fmaak_f32 v7, s24, v5, 0x3a5b3dd2
	v_fmaak_f32 v7, v5, v7, 0xba1c065c
	v_mul_f32_e32 v6, 0x3f317217, v3
	v_fmaak_f32 v7, v5, v7, 0x3a500cfd
	v_cmp_gt_f32_e64 vcc_lo, 0x7f800000, |v3|
	v_fma_f32 v8, 0x3f317217, v3, -v6
	v_fmaak_f32 v7, v5, v7, 0xbb360b61
	v_fmamk_f32 v8, v3, 0x3377d1cf, v8
	v_fmaak_f32 v5, v5, v7, 0x3daaaaab
	v_add_f32_e32 v6, v6, v8
	v_cndmask_b32_e32 v3, v3, v6, vcc_lo
	v_cndmask_b32_e64 v6, 0, 0x41b17218, s23
	v_sub_f32_e32 v6, v3, v6
	v_fmaak_f32 v3, v4, v5, 0x3ed67f1d
	v_add_f32_e64 v4, |v0|, -0.5
	v_add_f32_e32 v5, -1.0, v6
	v_fmac_f32_e32 v3, v4, v5
.LBB163_733:
	s_or_b32 exec_lo, exec_lo, s22
.LBB163_734:
	s_andn2_saveexec_b32 s22, s0
	s_cbranch_execz .LBB163_736
; %bb.735:
	v_cvt_i32_f32_e32 v3, v1
	s_mov_b32 s0, 0x36f5d7bd
	s_mov_b32 s23, 0x3805ff67
	v_cvt_f32_i32_e32 v4, v3
	v_cmp_lt_i32_e32 vcc_lo, 2, v3
	v_sub_f32_e64 v4, |v0|, v4
	v_add_f32_e32 v5, 2.0, v4
	v_add_f32_e32 v6, 0x40400000, v4
	v_add_f32_e32 v7, 4.0, v4
	v_add_f32_e32 v8, 0x40a00000, v4
	v_cndmask_b32_e32 v5, 1.0, v5, vcc_lo
	v_cmp_lt_i32_e32 vcc_lo, 3, v3
	v_cndmask_b32_e32 v6, 1.0, v6, vcc_lo
	v_cmp_lt_i32_e32 vcc_lo, 4, v3
	v_mul_f32_e32 v5, v5, v6
	v_cndmask_b32_e32 v7, 1.0, v7, vcc_lo
	v_cmp_lt_i32_e32 vcc_lo, 5, v3
	v_add_f32_e32 v6, 0x40c00000, v4
	v_mul_f32_e32 v5, v7, v5
	v_cndmask_b32_e32 v8, 1.0, v8, vcc_lo
	v_cmp_lt_i32_e32 vcc_lo, 6, v3
	v_fmaak_f32 v7, s23, v4, 0x3af135b4
	v_mul_f32_e32 v5, v8, v5
	v_cndmask_b32_e32 v3, 1.0, v6, vcc_lo
	v_mul_f32_e32 v3, v3, v5
	v_fmaak_f32 v5, s0, v4, 0x3a4beed6
	v_cmp_gt_f32_e32 vcc_lo, 0x800000, v3
	v_fmaak_f32 v5, v4, v5, 0x3c98bf54
	v_cndmask_b32_e64 v6, 0, 32, vcc_lo
	v_fmaak_f32 v5, v4, v5, 0x3e300f6e
	v_ldexp_f32 v3, v3, v6
	v_fmaak_f32 v6, v4, v7, 0x3cda40e4
	v_fmaak_f32 v5, v4, v5, 0x3f38d0c5
	v_log_f32_e32 v3, v3
	v_fmaak_f32 v6, v4, v6, 0x3e15dce6
	v_fmaak_f32 v5, v4, v5, 0x3fb22d3b
	;; [unrolled: 1-line block ×3, first 2 shown]
	v_fma_f32 v5, v4, v5, 1.0
	v_mul_f32_e32 v7, 0x3f317217, v3
	v_fmaak_f32 v6, v4, v6, 0x3e5c245a
	v_rcp_f32_e32 v5, v5
	v_cmp_gt_f32_e64 s0, 0x7f800000, |v3|
	v_fma_f32 v8, 0x3f317217, v3, -v7
	v_fmaak_f32 v6, v4, v6, 0xbd9e233f
	v_fmamk_f32 v8, v3, 0x3377d1cf, v8
	v_mul_f32_e32 v6, v4, v6
	v_add_f32_e32 v7, v7, v8
	v_mul_f32_e32 v5, v6, v5
	v_cndmask_b32_e64 v6, 0, 0x41b17218, vcc_lo
	v_cndmask_b32_e64 v3, v3, v7, s0
	v_fmac_f32_e32 v5, 0.5, v4
	v_sub_f32_e32 v3, v3, v6
	v_add_f32_e32 v3, v3, v5
.LBB163_736:
	s_or_b32 exec_lo, exec_lo, s22
.LBB163_737:
	s_andn2_saveexec_b32 s21, s21
	s_cbranch_execz .LBB163_755
; %bb.738:
	s_mov_b32 s22, exec_lo
                                        ; implicit-def: $vgpr3
                                        ; implicit-def: $vgpr5
                                        ; implicit-def: $vgpr4
	v_cmpx_ge_f32_e64 0x3f666666, |v0|
	s_xor_b32 s22, exec_lo, s22
	s_cbranch_execz .LBB163_740
; %bb.739:
	v_cmp_gt_f32_e64 s0, 0x800000, |v0|
	v_sub_f32_e64 v6, 1.0, |v0|
	v_cmp_gt_f32_e64 vcc_lo, 0x3f3b4a23, |v0|
	v_cndmask_b32_e64 v3, 0, 32, s0
	v_cndmask_b32_e64 v7, 0, 0x41b17218, s0
	v_ldexp_f32 v3, |v0|, v3
	v_log_f32_e32 v3, v3
	v_mul_f32_e32 v4, 0x3f317217, v3
	v_cmp_gt_f32_e64 s0, 0x7f800000, |v3|
	v_fma_f32 v5, 0x3f317217, v3, -v4
	v_fmamk_f32 v5, v3, 0x3377d1cf, v5
	v_add_f32_e32 v4, v4, v5
	v_add_f32_e64 v5, 0xbeec5b0c, |v0|
	v_cndmask_b32_e64 v3, v3, v4, s0
	v_cndmask_b32_e32 v4, v6, v5, vcc_lo
	v_cndmask_b32_e64 v5, 0, 1, vcc_lo
	v_cmp_gt_f32_e64 s0, 0x3e6d3309, |v0|
	v_sub_f32_e32 v3, v3, v7
	v_cndmask_b32_e64 v4, v4, |v0|, s0
	v_cndmask_b32_e64 v5, v5, 2, s0
	v_xor_b32_e32 v3, 0x80000000, v3
.LBB163_740:
	s_andn2_saveexec_b32 s0, s22
	s_cbranch_execz .LBB163_742
; %bb.741:
	v_sub_f32_e64 v3, 2.0, |v0|
	v_add_f32_e64 v4, 0xbfbb16c3, |v0|
	v_cmp_gt_f32_e64 vcc_lo, 0x3fdda512, |v0|
	v_add_f32_e64 v5, |v0|, -1.0
	v_cndmask_b32_e32 v4, v3, v4, vcc_lo
	v_cndmask_b32_e64 v3, v3, 1.0, vcc_lo
	v_cmp_gt_f32_e64 vcc_lo, 0x3f9d70a4, |v0|
	v_cvt_i32_f32_e32 v3, v3
	v_cndmask_b32_e32 v4, v4, v5, vcc_lo
	v_cndmask_b32_e64 v5, v3, 2, vcc_lo
	v_mov_b32_e32 v3, 0
.LBB163_742:
	s_or_b32 exec_lo, exec_lo, s0
	s_mov_b32 s0, exec_lo
	v_cmpx_lt_i32_e32 0, v5
	s_xor_b32 s0, exec_lo, s0
	s_cbranch_execz .LBB163_750
; %bb.743:
	s_mov_b32 s22, exec_lo
	v_cmpx_lt_i32_e32 1, v5
	s_xor_b32 s22, exec_lo, s22
	s_cbranch_execz .LBB163_747
; %bb.744:
	s_mov_b32 s23, exec_lo
	v_cmpx_eq_u32_e32 2, v5
	s_cbranch_execz .LBB163_746
; %bb.745:
	s_mov_b32 s24, 0x3b52d5db
	v_fmaak_f32 v5, s24, v4, 0x3dd572af
	s_mov_b32 s24, 0x3c5b3c5e
	v_fmaak_f32 v6, s24, v4, 0x3e6a7578
	v_fmaak_f32 v5, v4, v5, 0x3f44efdf
	v_fmaak_f32 v6, v4, v6, 0x3f7a4bb2
	v_fmaak_f32 v5, v4, v5, 0x4008392d
	v_fmaak_f32 v6, v4, v6, 0x3fba3ae7
	v_fmaak_f32 v5, v4, v5, 0x401d2ebe
	v_fmaak_f32 v6, v4, v6, 0x3f2200f4
	v_fma_f32 v5, v4, v5, 1.0
	v_fmaak_f32 v6, v4, v6, 0xbd9e233f
	v_rcp_f32_e32 v5, v5
	v_mul_f32_e32 v6, v4, v6
	v_mul_f32_e32 v5, v6, v5
	v_fmac_f32_e32 v5, -0.5, v4
	v_add_f32_e32 v3, v3, v5
.LBB163_746:
	s_or_b32 exec_lo, exec_lo, s23
                                        ; implicit-def: $vgpr4
.LBB163_747:
	s_andn2_saveexec_b32 s22, s22
	s_cbranch_execz .LBB163_749
; %bb.748:
	v_mul_f32_e32 v5, v4, v4
	s_mov_b32 s23, 0xb9a3f927
	s_mov_b32 s24, 0x39afe9f7
	v_mul_f32_e32 v6, v4, v5
	v_fmaak_f32 v7, s23, v6, 0x3a66f867
	v_fmaak_f32 v8, s24, v6, 0xba0d3085
	s_mov_b32 s23, 0x39a57b6b
	v_fmaak_f32 v9, s23, v6, 0xbab7f476
	v_fmaak_f32 v7, v6, v7, 0xbb7177fe
	;; [unrolled: 1-line block ×9, first 2 shown]
	v_fmac_f32_e32 v7, v4, v8
	v_fmaak_f32 v4, v6, v9, 0x3ef7b95e
	v_fma_f32 v6, v6, -v7, 0xa2863e55
	v_fma_f32 v4, v5, v4, -v6
	v_add_f32_e32 v4, 0xbdf8cdce, v4
	v_add_f32_e32 v3, v3, v4
.LBB163_749:
	s_or_b32 exec_lo, exec_lo, s22
                                        ; implicit-def: $vgpr5
                                        ; implicit-def: $vgpr4
.LBB163_750:
	s_andn2_saveexec_b32 s0, s0
	s_cbranch_execz .LBB163_754
; %bb.751:
	s_mov_b32 s22, exec_lo
	v_cmpx_eq_u32_e32 0, v5
	s_cbranch_execz .LBB163_753
; %bb.752:
	v_mul_f32_e32 v5, v4, v4
	s_mov_b32 s23, 0x383c2c75
	v_fmaak_f32 v6, s23, v5, 0x38e28445
	s_mov_b32 s23, 0x37d383a2
	v_fmaak_f32 v7, s23, v5, 0x39679767
	v_fmaak_f32 v6, v5, v6, 0x3a05b634
	;; [unrolled: 1-line block ×9, first 2 shown]
	v_mul_f32_e32 v5, v5, v6
	v_fmac_f32_e32 v5, v4, v7
	v_fmac_f32_e32 v5, -0.5, v4
	v_add_f32_e32 v3, v3, v5
.LBB163_753:
	s_or_b32 exec_lo, exec_lo, s22
.LBB163_754:
	s_or_b32 exec_lo, exec_lo, s0
.LBB163_755:
	s_or_b32 exec_lo, exec_lo, s21
.LBB163_756:
	s_andn2_saveexec_b32 s0, s1
	s_cbranch_execz .LBB163_758
; %bb.757:
	v_cmp_gt_f32_e64 s1, 0x800000, |v0|
	s_mov_b32 s21, 0x3e8a8991
	v_fma_f32 v6, |v0|, s21, 0xbecd26ab
	v_cndmask_b32_e64 v3, 0, 32, s1
	v_ldexp_f32 v3, |v0|, v3
	v_log_f32_e32 v3, v3
	v_mul_f32_e32 v4, 0x3f317217, v3
	v_cmp_gt_f32_e64 vcc_lo, 0x7f800000, |v3|
	v_fma_f32 v5, 0x3f317217, v3, -v4
	v_fmamk_f32 v5, v3, 0x3377d1cf, v5
	v_add_f32_e32 v4, v4, v5
	v_fma_f32 v5, |v0|, v6, 0x3f528d33
	v_cndmask_b32_e32 v3, v3, v4, vcc_lo
	v_cndmask_b32_e64 v4, 0, 0x41b17218, s1
	v_fma_f32 v5, |v0|, v5, 0xbf13c468
	v_sub_f32_e32 v3, v3, v4
	v_fma_f32 v3, |v0|, v5, -v3
.LBB163_758:
	s_or_b32 exec_lo, exec_lo, s0
	v_cmp_le_f32_e32 vcc_lo, 0, v0
	s_mov_b32 s1, exec_lo
	v_cmpx_nle_f32_e32 0, v0
	s_xor_b32 s21, exec_lo, s1
	s_cbranch_execz .LBB163_762
; %bb.759:
	v_cmp_gt_f32_e64 s0, 0x4b000000, |v0|
	v_cmp_lt_f32_e64 s1, 0x35000000, |v0|
	s_and_b32 s0, s0, s1
	s_and_saveexec_b32 s22, s0
	s_cbranch_execz .LBB163_761
; %bb.760:
	v_mul_f32_e64 v4, |v0|, 0.5
	s_mov_b32 s1, 0x3d4be544
	v_floor_f32_e32 v5, v4
	v_cmp_neq_f32_e64 s0, 0x7f800000, v4
	v_sub_f32_e32 v5, v4, v5
	v_min_f32_e32 v5, 0x3f7fffff, v5
	v_add_f32_e32 v5, v5, v5
	v_cndmask_b32_e64 v4, 0, v5, s0
	v_cmp_gt_f32_e64 s0, |v0|, 1.0
	v_cndmask_b32_e64 v4, |v0|, v4, s0
	s_mov_b32 s0, 0x3e75aa41
	v_add_f32_e32 v5, v4, v4
	v_rndne_f32_e32 v5, v5
	v_fmac_f32_e32 v4, -0.5, v5
	v_cvt_i32_f32_e32 v5, v5
	v_mul_f32_e32 v6, v4, v4
	v_fmaak_f32 v7, s0, v6, 0xbf1f24be
	v_fmaak_f32 v8, s1, v6, 0x3e642e9d
	v_mul_f32_e32 v9, v4, v6
	v_fmaak_f32 v7, v6, v7, 0x40234736
	v_fmaak_f32 v8, v6, v8, 0xbfaad1da
	;; [unrolled: 1-line block ×4, first 2 shown]
	v_mul_f32_e32 v7, v9, v7
	v_fmaak_f32 v8, v6, v8, 0xc09de9e6
	v_and_b32_e32 v9, 1, v5
	v_lshlrev_b32_e32 v5, 30, v5
	v_fmamk_f32 v4, v4, 0x40490fdb, v7
	v_fma_f32 v6, v6, v8, 1.0
	v_cmp_eq_u32_e64 s0, 0, v9
	v_and_or_b32 v1, 0x80000000, v5, v1
	v_cndmask_b32_e64 v4, v6, v4, s0
	v_xor3_b32 v1, v1, v4, v0
	v_mul_f32_e32 v1, v0, v1
	v_frexp_mant_f32_e64 v4, |v1|
	v_frexp_exp_i32_f32_e32 v1, v1
	v_rcp_f32_e32 v4, v4
	v_sub_nc_u32_e32 v1, 2, v1
	v_mul_f32_e32 v4, 0x3f490fdb, v4
	v_ldexp_f32 v1, v4, v1
	v_cmp_gt_f32_e64 s0, 0x800000, v1
	v_cndmask_b32_e64 v4, 0, 32, s0
	v_ldexp_f32 v1, v1, v4
	v_log_f32_e32 v1, v1
	v_mul_f32_e32 v4, 0x3f317217, v1
	v_cmp_gt_f32_e64 s1, 0x7f800000, |v1|
	v_fma_f32 v5, 0x3f317217, v1, -v4
	v_fmamk_f32 v5, v1, 0x3377d1cf, v5
	v_add_f32_e32 v4, v4, v5
	v_floor_f32_e32 v5, v0
	v_cndmask_b32_e64 v1, v1, v4, s1
	v_cndmask_b32_e64 v4, 0, 0x41b17218, s0
	v_sub_f32_e32 v5, v0, v5
	v_sub_f32_e32 v1, v1, v4
	v_min_f32_e32 v4, 0x3f7fffff, v5
	v_sub_f32_e32 v1, v1, v3
	v_cmp_neq_f32_e64 s0, 0, v4
	v_cndmask_b32_e64 v3, 0x7f800000, v1, s0
.LBB163_761:
	s_or_b32 exec_lo, exec_lo, s22
.LBB163_762:
	s_andn2_saveexec_b32 s21, s21
; %bb.763:
	v_cmp_eq_f32_e64 s0, 1.0, v0
	v_cmp_eq_f32_e64 s1, 2.0, v0
	s_or_b32 s0, s0, s1
	v_cndmask_b32_e64 v3, v3, 0, s0
; %bb.764:
	s_or_b32 exec_lo, exec_lo, s21
	v_cmp_gt_f32_e64 s0, 0x4b000000, |v0|
	v_mov_b32_e32 v4, 0x7fc0
	s_and_b32 s1, s5, 0xff
	s_or_b32 vcc_lo, vcc_lo, s0
	v_cmp_class_f32_e64 s0, v0, 0x264
	v_cndmask_b32_e32 v1, 0x7f800000, v3, vcc_lo
	v_cmp_u_f32_e32 vcc_lo, v0, v0
	s_cmp_lt_i32 s1, 11
	v_cndmask_b32_e64 v1, v1, 0x7f800000, s0
	v_cndmask_b32_e32 v0, v1, v0, vcc_lo
	v_mul_lo_u32 v1, v2, s12
	v_bfe_u32 v3, v0, 16, 1
	v_cmp_o_f32_e32 vcc_lo, v0, v0
	v_ashrrev_i32_e32 v5, 31, v1
	v_add3_u32 v3, v0, v3, 0x7fff
	v_add_co_u32 v0, s0, s8, v1
	v_add_co_ci_u32_e64 v1, null, s9, v5, s0
	v_cndmask_b32_sdwa v3, v4, v3, vcc_lo dst_sel:DWORD dst_unused:UNUSED_PAD src0_sel:DWORD src1_sel:WORD_1
	s_cbranch_scc1 .LBB163_772
; %bb.765:
	s_and_b32 s21, 0xffff, s1
	s_cmp_gt_i32 s21, 25
	s_cbranch_scc0 .LBB163_773
; %bb.766:
	s_cmp_gt_i32 s21, 28
	s_cbranch_scc0 .LBB163_774
; %bb.767:
	;; [unrolled: 3-line block ×4, first 2 shown]
	s_mov_b32 s23, 0
	s_mov_b32 s0, -1
	s_cmp_eq_u32 s21, 46
	s_mov_b32 s22, 0
	s_cbranch_scc0 .LBB163_777
; %bb.770:
	v_and_b32_e32 v4, 0xffff, v3
	s_mov_b32 s22, -1
	s_mov_b32 s0, 0
	global_store_dword v[0:1], v4, off
	s_branch .LBB163_777
.LBB163_771:
	s_mov_b32 s21, 0
	s_mov_b32 s0, s17
	s_branch .LBB163_888
.LBB163_772:
	s_mov_b32 s21, -1
	s_mov_b32 s22, 0
	s_mov_b32 s0, s17
	s_branch .LBB163_846
.LBB163_773:
	s_mov_b32 s23, -1
	s_mov_b32 s22, 0
	s_mov_b32 s0, s17
	s_branch .LBB163_804
.LBB163_774:
	s_mov_b32 s23, -1
	s_mov_b32 s22, 0
	s_mov_b32 s0, s17
	s_branch .LBB163_787
.LBB163_775:
	s_mov_b32 s23, -1
	s_mov_b32 s22, 0
	s_mov_b32 s0, s17
	s_branch .LBB163_783
.LBB163_776:
	s_mov_b32 s23, -1
	s_mov_b32 s22, 0
	s_mov_b32 s0, s17
.LBB163_777:
	s_and_b32 vcc_lo, exec_lo, s23
	s_cbranch_vccz .LBB163_782
; %bb.778:
	s_cmp_eq_u32 s21, 44
	s_mov_b32 s0, -1
	s_cbranch_scc0 .LBB163_782
; %bb.779:
	v_and_b32_e32 v4, 0xffff, v3
	v_mov_b32_e32 v5, 0xff
	s_mov_b32 s22, exec_lo
	v_bfe_u32 v6, v4, 7, 8
	v_cmpx_ne_u32_e32 0xff, v6
	s_cbranch_execz .LBB163_781
; %bb.780:
	v_lshlrev_b32_e32 v5, 16, v4
	v_and_b32_e32 v7, 64, v4
	v_lshrrev_b32_e32 v4, 7, v4
	v_and_or_b32 v5, 0x3f0000, v5, v6
	v_cmp_ne_u32_e32 vcc_lo, 0, v7
	v_cmp_ne_u32_e64 s0, 0, v5
	s_and_b32 s0, vcc_lo, s0
	v_cndmask_b32_e64 v5, 0, 1, s0
	v_add_nc_u32_e32 v5, v4, v5
.LBB163_781:
	s_or_b32 exec_lo, exec_lo, s22
	s_mov_b32 s22, -1
	s_mov_b32 s0, 0
	global_store_byte v[0:1], v5, off
.LBB163_782:
	s_mov_b32 s23, 0
.LBB163_783:
	s_and_b32 vcc_lo, exec_lo, s23
	s_cbranch_vccz .LBB163_786
; %bb.784:
	s_cmp_eq_u32 s21, 29
	s_mov_b32 s0, -1
	s_cbranch_scc0 .LBB163_786
; %bb.785:
	v_lshlrev_b32_e32 v4, 16, v3
	s_mov_b32 s22, -1
	s_mov_b32 s0, 0
	s_mov_b32 s23, 0
	v_trunc_f32_e32 v4, v4
	v_mul_f32_e32 v5, 0x2f800000, v4
	v_floor_f32_e32 v5, v5
	v_fmamk_f32 v4, v5, 0xcf800000, v4
	v_cvt_u32_f32_e32 v5, v5
	v_cvt_u32_f32_e32 v4, v4
	global_store_dwordx2 v[0:1], v[4:5], off
	s_branch .LBB163_787
.LBB163_786:
	s_mov_b32 s23, 0
.LBB163_787:
	s_and_b32 vcc_lo, exec_lo, s23
	s_cbranch_vccz .LBB163_803
; %bb.788:
	s_cmp_lt_i32 s21, 27
	s_mov_b32 s22, -1
	s_cbranch_scc1 .LBB163_794
; %bb.789:
	s_cmp_gt_i32 s21, 27
	s_cbranch_scc0 .LBB163_791
; %bb.790:
	v_lshlrev_b32_e32 v4, 16, v3
	s_mov_b32 s22, 0
	v_cvt_u32_f32_e32 v4, v4
	global_store_dword v[0:1], v4, off
.LBB163_791:
	s_andn2_b32 vcc_lo, exec_lo, s22
	s_cbranch_vccnz .LBB163_793
; %bb.792:
	v_lshlrev_b32_e32 v4, 16, v3
	v_cvt_u32_f32_e32 v4, v4
	global_store_short v[0:1], v4, off
.LBB163_793:
	s_mov_b32 s22, 0
.LBB163_794:
	s_andn2_b32 vcc_lo, exec_lo, s22
	s_cbranch_vccnz .LBB163_802
; %bb.795:
	v_lshlrev_b32_e32 v6, 16, v3
	v_mov_b32_e32 v7, 0x80
	s_mov_b32 s22, exec_lo
	v_and_b32_e32 v5, 0x7fffffff, v6
	v_cmpx_gt_u32_e32 0x43800000, v5
	s_cbranch_execz .LBB163_801
; %bb.796:
	v_and_b32_e32 v4, 0xffff, v3
	v_cmp_lt_u32_e32 vcc_lo, 0x3bffffff, v5
	s_mov_b32 s23, 0
                                        ; implicit-def: $vgpr5
	s_and_saveexec_b32 s24, vcc_lo
	s_xor_b32 s24, exec_lo, s24
	s_cbranch_execz .LBB163_903
; %bb.797:
	v_bfe_u32 v5, v4, 4, 1
	s_mov_b32 s23, exec_lo
	v_add3_u32 v5, v6, v5, 0x487ffff
                                        ; implicit-def: $vgpr6
	v_lshrrev_b32_e32 v5, 20, v5
	s_andn2_saveexec_b32 s24, s24
	s_cbranch_execnz .LBB163_904
.LBB163_798:
	s_or_b32 exec_lo, exec_lo, s24
	v_mov_b32_e32 v7, 0
	s_and_saveexec_b32 s24, s23
.LBB163_799:
	v_lshrrev_b32_e32 v4, 8, v4
	v_and_or_b32 v7, 0x80, v4, v5
.LBB163_800:
	s_or_b32 exec_lo, exec_lo, s24
.LBB163_801:
	s_or_b32 exec_lo, exec_lo, s22
	global_store_byte v[0:1], v7, off
.LBB163_802:
	s_mov_b32 s22, -1
.LBB163_803:
	s_mov_b32 s23, 0
.LBB163_804:
	s_and_b32 vcc_lo, exec_lo, s23
	s_cbranch_vccz .LBB163_845
; %bb.805:
	s_cmp_gt_i32 s21, 22
	s_mov_b32 s23, -1
	s_cbranch_scc0 .LBB163_837
; %bb.806:
	s_cmp_lt_i32 s21, 24
	s_mov_b32 s22, -1
	s_cbranch_scc1 .LBB163_826
; %bb.807:
	s_cmp_gt_i32 s21, 24
	s_cbranch_scc0 .LBB163_815
; %bb.808:
	v_lshlrev_b32_e32 v6, 16, v3
	v_mov_b32_e32 v7, 0x80
	s_mov_b32 s22, exec_lo
	v_and_b32_e32 v5, 0x7fffffff, v6
	v_cmpx_gt_u32_e32 0x47800000, v5
	s_cbranch_execz .LBB163_814
; %bb.809:
	v_and_b32_e32 v4, 0xffff, v3
	v_cmp_lt_u32_e32 vcc_lo, 0x37ffffff, v5
	s_mov_b32 s23, 0
                                        ; implicit-def: $vgpr5
	s_and_saveexec_b32 s24, vcc_lo
	s_xor_b32 s24, exec_lo, s24
	s_cbranch_execz .LBB163_906
; %bb.810:
	v_bfe_u32 v5, v4, 5, 1
	s_mov_b32 s23, exec_lo
	v_add3_u32 v5, v6, v5, 0x88fffff
                                        ; implicit-def: $vgpr6
	v_lshrrev_b32_e32 v5, 21, v5
	s_andn2_saveexec_b32 s24, s24
	s_cbranch_execnz .LBB163_907
.LBB163_811:
	s_or_b32 exec_lo, exec_lo, s24
	v_mov_b32_e32 v7, 0
	s_and_saveexec_b32 s24, s23
.LBB163_812:
	v_lshrrev_b32_e32 v4, 8, v4
	v_and_or_b32 v7, 0x80, v4, v5
.LBB163_813:
	s_or_b32 exec_lo, exec_lo, s24
.LBB163_814:
	s_or_b32 exec_lo, exec_lo, s22
	s_mov_b32 s22, 0
	global_store_byte v[0:1], v7, off
.LBB163_815:
	s_and_b32 vcc_lo, exec_lo, s22
	s_cbranch_vccz .LBB163_825
; %bb.816:
	v_lshlrev_b32_e32 v6, 16, v3
	v_and_b32_e32 v4, 0xffff, v3
	s_mov_b32 s22, exec_lo
                                        ; implicit-def: $vgpr5
	v_and_b32_e32 v7, 0x7fffffff, v6
	v_cmpx_gt_u32_e32 0x43f00000, v7
	s_xor_b32 s22, exec_lo, s22
	s_cbranch_execz .LBB163_822
; %bb.817:
	s_mov_b32 s23, exec_lo
                                        ; implicit-def: $vgpr5
	v_cmpx_lt_u32_e32 0x3c7fffff, v7
	s_xor_b32 s23, exec_lo, s23
; %bb.818:
	v_bfe_u32 v5, v4, 4, 1
	v_add3_u32 v5, v6, v5, 0x407ffff
	v_and_b32_e32 v6, 0xff00000, v5
	v_lshrrev_b32_e32 v5, 20, v5
	v_cmp_ne_u32_e32 vcc_lo, 0x7f00000, v6
                                        ; implicit-def: $vgpr6
	v_cndmask_b32_e32 v5, 0x7e, v5, vcc_lo
; %bb.819:
	s_andn2_saveexec_b32 s23, s23
; %bb.820:
	v_add_f32_e64 v5, 0x46800000, |v6|
; %bb.821:
	s_or_b32 exec_lo, exec_lo, s23
                                        ; implicit-def: $vgpr7
.LBB163_822:
	s_andn2_saveexec_b32 s22, s22
; %bb.823:
	v_mov_b32_e32 v5, 0x7f
	v_cmp_lt_u32_e32 vcc_lo, 0x7f800000, v7
	v_cndmask_b32_e32 v5, 0x7e, v5, vcc_lo
; %bb.824:
	s_or_b32 exec_lo, exec_lo, s22
	v_lshrrev_b32_e32 v4, 8, v4
	v_and_or_b32 v4, 0x80, v4, v5
	global_store_byte v[0:1], v4, off
.LBB163_825:
	s_mov_b32 s22, 0
.LBB163_826:
	s_andn2_b32 vcc_lo, exec_lo, s22
	s_cbranch_vccnz .LBB163_836
; %bb.827:
	v_lshlrev_b32_e32 v6, 16, v3
	v_and_b32_e32 v4, 0xffff, v3
	s_mov_b32 s22, exec_lo
                                        ; implicit-def: $vgpr5
	v_and_b32_e32 v7, 0x7fffffff, v6
	v_cmpx_gt_u32_e32 0x47800000, v7
	s_xor_b32 s22, exec_lo, s22
	s_cbranch_execz .LBB163_833
; %bb.828:
	s_mov_b32 s23, exec_lo
                                        ; implicit-def: $vgpr5
	v_cmpx_lt_u32_e32 0x387fffff, v7
	s_xor_b32 s23, exec_lo, s23
; %bb.829:
	v_bfe_u32 v5, v4, 5, 1
	v_add3_u32 v5, v6, v5, 0x80fffff
                                        ; implicit-def: $vgpr6
	v_lshrrev_b32_e32 v5, 21, v5
; %bb.830:
	s_andn2_saveexec_b32 s23, s23
; %bb.831:
	v_add_f32_e64 v5, 0x43000000, |v6|
; %bb.832:
	s_or_b32 exec_lo, exec_lo, s23
                                        ; implicit-def: $vgpr7
.LBB163_833:
	s_andn2_saveexec_b32 s22, s22
; %bb.834:
	v_mov_b32_e32 v5, 0x7f
	v_cmp_lt_u32_e32 vcc_lo, 0x7f800000, v7
	v_cndmask_b32_e32 v5, 0x7c, v5, vcc_lo
; %bb.835:
	s_or_b32 exec_lo, exec_lo, s22
	v_lshrrev_b32_e32 v4, 8, v4
	v_and_or_b32 v4, 0x80, v4, v5
	global_store_byte v[0:1], v4, off
.LBB163_836:
	s_mov_b32 s23, 0
	s_mov_b32 s22, -1
.LBB163_837:
	s_andn2_b32 vcc_lo, exec_lo, s23
	s_cbranch_vccnz .LBB163_845
; %bb.838:
	s_cmp_gt_i32 s21, 14
	s_mov_b32 s23, -1
	s_cbranch_scc0 .LBB163_842
; %bb.839:
	s_cmp_eq_u32 s21, 15
	s_mov_b32 s0, -1
	s_cbranch_scc0 .LBB163_841
; %bb.840:
	s_mov_b32 s22, -1
	s_mov_b32 s0, 0
	global_store_short v[0:1], v3, off
.LBB163_841:
	s_mov_b32 s23, 0
.LBB163_842:
	s_and_b32 vcc_lo, exec_lo, s23
	s_cbranch_vccz .LBB163_845
; %bb.843:
	s_cmp_eq_u32 s21, 11
	s_mov_b32 s0, -1
	s_cbranch_scc0 .LBB163_845
; %bb.844:
	v_and_b32_e32 v4, 0x7fff, v3
	s_mov_b32 s0, 0
	s_mov_b32 s22, -1
	v_cmp_ne_u16_e32 vcc_lo, 0, v4
	v_cndmask_b32_e64 v4, 0, 1, vcc_lo
	global_store_byte v[0:1], v4, off
.LBB163_845:
	s_mov_b32 s21, 0
.LBB163_846:
	s_and_b32 vcc_lo, exec_lo, s21
	s_cbranch_vccz .LBB163_885
; %bb.847:
	s_and_b32 s1, 0xffff, s1
	s_mov_b32 s21, -1
	s_cmp_lt_i32 s1, 5
	s_cbranch_scc1 .LBB163_868
; %bb.848:
	s_cmp_lt_i32 s1, 8
	s_cbranch_scc1 .LBB163_858
; %bb.849:
	;; [unrolled: 3-line block ×3, first 2 shown]
	s_cmp_gt_i32 s1, 9
	s_cbranch_scc0 .LBB163_852
; %bb.851:
	v_lshlrev_b32_e32 v4, 16, v3
	v_mov_b32_e32 v6, 0
	s_mov_b32 s21, 0
	v_cvt_f64_f32_e32 v[4:5], v4
	v_mov_b32_e32 v7, v6
	global_store_dwordx4 v[0:1], v[4:7], off
.LBB163_852:
	s_andn2_b32 vcc_lo, exec_lo, s21
	s_cbranch_vccnz .LBB163_854
; %bb.853:
	v_lshlrev_b32_e32 v4, 16, v3
	v_mov_b32_e32 v5, 0
	global_store_dwordx2 v[0:1], v[4:5], off
.LBB163_854:
	s_mov_b32 s21, 0
.LBB163_855:
	s_andn2_b32 vcc_lo, exec_lo, s21
	s_cbranch_vccnz .LBB163_857
; %bb.856:
	v_lshlrev_b32_e32 v4, 16, v3
	v_cvt_f16_f32_e32 v4, v4
	v_and_b32_e32 v4, 0xffff, v4
	global_store_dword v[0:1], v4, off
.LBB163_857:
	s_mov_b32 s21, 0
.LBB163_858:
	s_andn2_b32 vcc_lo, exec_lo, s21
	s_cbranch_vccnz .LBB163_867
; %bb.859:
	s_cmp_lt_i32 s1, 6
	s_mov_b32 s21, -1
	s_cbranch_scc1 .LBB163_865
; %bb.860:
	s_cmp_gt_i32 s1, 6
	s_cbranch_scc0 .LBB163_862
; %bb.861:
	v_lshlrev_b32_e32 v4, 16, v3
	s_mov_b32 s21, 0
	v_cvt_f64_f32_e32 v[4:5], v4
	global_store_dwordx2 v[0:1], v[4:5], off
.LBB163_862:
	s_andn2_b32 vcc_lo, exec_lo, s21
	s_cbranch_vccnz .LBB163_864
; %bb.863:
	v_lshlrev_b32_e32 v4, 16, v3
	global_store_dword v[0:1], v4, off
.LBB163_864:
	s_mov_b32 s21, 0
.LBB163_865:
	s_andn2_b32 vcc_lo, exec_lo, s21
	s_cbranch_vccnz .LBB163_867
; %bb.866:
	v_lshlrev_b32_e32 v4, 16, v3
	v_cvt_f16_f32_e32 v4, v4
	global_store_short v[0:1], v4, off
.LBB163_867:
	s_mov_b32 s21, 0
.LBB163_868:
	s_andn2_b32 vcc_lo, exec_lo, s21
	s_cbranch_vccnz .LBB163_884
; %bb.869:
	s_cmp_lt_i32 s1, 2
	s_mov_b32 s21, -1
	s_cbranch_scc1 .LBB163_879
; %bb.870:
	s_cmp_lt_i32 s1, 3
	s_cbranch_scc1 .LBB163_876
; %bb.871:
	s_cmp_gt_i32 s1, 3
	s_cbranch_scc0 .LBB163_873
; %bb.872:
	v_lshlrev_b32_e32 v4, 16, v3
	s_mov_b32 s21, 0
	v_trunc_f32_e32 v4, v4
	v_mul_f32_e64 v5, 0x2f800000, |v4|
	v_ashrrev_i32_e32 v7, 31, v4
	v_floor_f32_e32 v5, v5
	v_fma_f32 v6, 0xcf800000, v5, |v4|
	v_cvt_u32_f32_e32 v5, v5
	v_cvt_u32_f32_e32 v4, v6
	v_xor_b32_e32 v5, v5, v7
	v_xor_b32_e32 v4, v4, v7
	v_sub_co_u32 v4, vcc_lo, v4, v7
	v_sub_co_ci_u32_e64 v5, null, v5, v7, vcc_lo
	global_store_dwordx2 v[0:1], v[4:5], off
.LBB163_873:
	s_andn2_b32 vcc_lo, exec_lo, s21
	s_cbranch_vccnz .LBB163_875
; %bb.874:
	v_lshlrev_b32_e32 v4, 16, v3
	v_cvt_i32_f32_e32 v4, v4
	global_store_dword v[0:1], v4, off
.LBB163_875:
	s_mov_b32 s21, 0
.LBB163_876:
	s_andn2_b32 vcc_lo, exec_lo, s21
	s_cbranch_vccnz .LBB163_878
; %bb.877:
	v_lshlrev_b32_e32 v4, 16, v3
	v_cvt_i32_f32_e32 v4, v4
	global_store_short v[0:1], v4, off
.LBB163_878:
	s_mov_b32 s21, 0
.LBB163_879:
	s_andn2_b32 vcc_lo, exec_lo, s21
	s_cbranch_vccnz .LBB163_884
; %bb.880:
	v_lshlrev_b32_e32 v3, 16, v3
	s_cmp_gt_i32 s1, 0
	s_mov_b32 s1, -1
	s_cbranch_scc0 .LBB163_882
; %bb.881:
	v_cvt_i32_f32_e32 v4, v3
	s_mov_b32 s1, 0
	global_store_byte v[0:1], v4, off
.LBB163_882:
	s_andn2_b32 vcc_lo, exec_lo, s1
	s_cbranch_vccnz .LBB163_884
; %bb.883:
	v_trunc_f32_e32 v3, v3
	v_mul_f32_e64 v4, 0x2f800000, |v3|
	v_floor_f32_e32 v4, v4
	v_fma_f32 v4, 0xcf800000, v4, |v3|
	v_ashrrev_i32_e32 v3, 31, v3
	v_cvt_u32_f32_e32 v4, v4
	v_xor_b32_e32 v4, v4, v3
	v_sub_nc_u32_e32 v3, v4, v3
	global_store_byte v[0:1], v3, off
.LBB163_884:
	s_mov_b32 s22, -1
.LBB163_885:
	s_andn2_b32 vcc_lo, exec_lo, s22
	s_cbranch_vccnz .LBB163_887
; %bb.886:
	v_add_nc_u32_e32 v2, 0x80, v2
	s_mov_b32 s21, -1
	s_branch .LBB163_889
.LBB163_887:
	s_mov_b32 s21, 0
.LBB163_888:
                                        ; implicit-def: $vgpr2
.LBB163_889:
	s_andn2_b32 s1, s17, exec_lo
	s_and_b32 s0, s0, exec_lo
	s_andn2_b32 s22, s16, exec_lo
	s_and_b32 s20, s20, exec_lo
	s_or_b32 s1, s1, s0
	s_or_b32 s0, s22, s20
	s_orn2_b32 s20, s21, exec_lo
.LBB163_890:
	s_or_b32 exec_lo, exec_lo, s19
	s_mov_b32 s21, 0
	s_mov_b32 s22, 0
	;; [unrolled: 1-line block ×3, first 2 shown]
                                        ; implicit-def: $vgpr0_vgpr1
                                        ; implicit-def: $vgpr4
	s_and_saveexec_b32 s19, s20
	s_cbranch_execz .LBB163_975
; %bb.891:
	v_cmp_gt_i32_e32 vcc_lo, s7, v2
	s_mov_b32 s20, 0
	s_mov_b32 s21, s0
	;; [unrolled: 1-line block ×3, first 2 shown]
                                        ; implicit-def: $vgpr0_vgpr1
                                        ; implicit-def: $vgpr4
	s_and_saveexec_b32 s7, vcc_lo
	s_cbranch_execz .LBB163_974
; %bb.892:
	v_mul_lo_u32 v0, v2, s13
	s_and_b32 s20, 0xffff, s3
	s_cmp_lt_i32 s20, 11
	v_ashrrev_i32_e32 v1, 31, v0
	v_add_co_u32 v0, vcc_lo, s10, v0
	v_add_co_ci_u32_e64 v1, null, s11, v1, vcc_lo
	s_cbranch_scc1 .LBB163_899
; %bb.893:
	s_cmp_gt_i32 s20, 25
	s_cbranch_scc0 .LBB163_900
; %bb.894:
	s_cmp_gt_i32 s20, 28
	s_cbranch_scc0 .LBB163_901
	;; [unrolled: 3-line block ×4, first 2 shown]
; %bb.897:
	s_cmp_eq_u32 s20, 46
	s_cbranch_scc0 .LBB163_908
; %bb.898:
	global_load_dword v4, v[0:1], off
	s_mov_b32 s21, 0
	s_mov_b32 s23, -1
	s_branch .LBB163_910
.LBB163_899:
	s_mov_b32 s20, -1
	s_mov_b32 s21, s0
                                        ; implicit-def: $vgpr4
	s_branch .LBB163_973
.LBB163_900:
	s_mov_b32 s24, -1
	s_mov_b32 s21, s0
                                        ; implicit-def: $vgpr4
	s_branch .LBB163_939
.LBB163_901:
	s_mov_b32 s24, -1
	s_mov_b32 s21, s0
                                        ; implicit-def: $vgpr4
	s_branch .LBB163_920
.LBB163_902:
	s_mov_b32 s24, -1
	s_mov_b32 s21, s0
                                        ; implicit-def: $vgpr4
	s_branch .LBB163_915
.LBB163_903:
	s_andn2_saveexec_b32 s24, s24
	s_cbranch_execz .LBB163_798
.LBB163_904:
	v_add_f32_e64 v5, 0x46000000, |v6|
	s_andn2_b32 s23, s23, exec_lo
	v_and_b32_e32 v5, 0xff, v5
	v_cmp_ne_u32_e32 vcc_lo, 0, v5
	s_and_b32 s25, vcc_lo, exec_lo
	s_or_b32 s23, s23, s25
	s_or_b32 exec_lo, exec_lo, s24
	v_mov_b32_e32 v7, 0
	s_and_saveexec_b32 s24, s23
	s_cbranch_execnz .LBB163_799
	s_branch .LBB163_800
.LBB163_905:
	s_mov_b32 s24, -1
	s_mov_b32 s21, s0
	s_branch .LBB163_909
.LBB163_906:
	s_andn2_saveexec_b32 s24, s24
	s_cbranch_execz .LBB163_811
.LBB163_907:
	v_add_f32_e64 v5, 0x42800000, |v6|
	s_andn2_b32 s23, s23, exec_lo
	v_and_b32_e32 v5, 0xff, v5
	v_cmp_ne_u32_e32 vcc_lo, 0, v5
	s_and_b32 s25, vcc_lo, exec_lo
	s_or_b32 s23, s23, s25
	s_or_b32 exec_lo, exec_lo, s24
	v_mov_b32_e32 v7, 0
	s_and_saveexec_b32 s24, s23
	s_cbranch_execnz .LBB163_812
	s_branch .LBB163_813
.LBB163_908:
	s_mov_b32 s21, -1
.LBB163_909:
                                        ; implicit-def: $vgpr4
.LBB163_910:
	s_and_b32 vcc_lo, exec_lo, s24
	s_cbranch_vccz .LBB163_914
; %bb.911:
	s_cmp_eq_u32 s20, 44
	s_cbranch_scc0 .LBB163_913
; %bb.912:
	global_load_ubyte v3, v[0:1], off
	s_mov_b32 s21, 0
	s_mov_b32 s23, -1
	s_waitcnt vmcnt(0)
	v_lshlrev_b32_e32 v4, 23, v3
	v_cmp_ne_u32_e32 vcc_lo, 0xff, v3
	v_cndmask_b32_e32 v4, 0x7f800001, v4, vcc_lo
	v_cmp_ne_u32_e32 vcc_lo, 0, v3
	v_cndmask_b32_e32 v3, 0x400000, v4, vcc_lo
	v_mov_b32_e32 v4, 0x7fc0
	v_cmp_o_f32_e32 vcc_lo, v3, v3
	v_add_nc_u32_e32 v3, 0x7fff, v3
	v_cndmask_b32_sdwa v4, v4, v3, vcc_lo dst_sel:DWORD dst_unused:UNUSED_PAD src0_sel:DWORD src1_sel:WORD_1
	s_branch .LBB163_914
.LBB163_913:
	s_mov_b32 s21, -1
                                        ; implicit-def: $vgpr4
.LBB163_914:
	s_mov_b32 s24, 0
.LBB163_915:
	s_and_b32 vcc_lo, exec_lo, s24
	s_cbranch_vccz .LBB163_919
; %bb.916:
	s_cmp_eq_u32 s20, 29
	s_cbranch_scc0 .LBB163_918
; %bb.917:
	global_load_dwordx2 v[3:4], v[0:1], off
	s_mov_b32 s21, 0
	s_mov_b32 s23, -1
	s_mov_b32 s24, 0
	s_waitcnt vmcnt(0)
	v_ffbh_u32_e32 v5, v4
	v_min_u32_e32 v5, 32, v5
	v_lshlrev_b64 v[3:4], v5, v[3:4]
	v_min_u32_e32 v3, 1, v3
	v_or_b32_e32 v3, v4, v3
	v_sub_nc_u32_e32 v4, 32, v5
	v_cvt_f32_u32_e32 v3, v3
	v_ldexp_f32 v3, v3, v4
	v_bfe_u32 v4, v3, 16, 1
	v_add3_u32 v3, v3, v4, 0x7fff
	v_lshrrev_b32_e32 v4, 16, v3
	s_branch .LBB163_920
.LBB163_918:
	s_mov_b32 s21, -1
                                        ; implicit-def: $vgpr4
.LBB163_919:
	s_mov_b32 s24, 0
.LBB163_920:
	s_and_b32 vcc_lo, exec_lo, s24
	s_cbranch_vccz .LBB163_938
; %bb.921:
	s_cmp_lt_i32 s20, 27
	s_cbranch_scc1 .LBB163_924
; %bb.922:
	s_cmp_gt_i32 s20, 27
	s_cbranch_scc0 .LBB163_925
; %bb.923:
	global_load_dword v3, v[0:1], off
	s_mov_b32 s23, 0
	s_waitcnt vmcnt(0)
	v_cvt_f32_u32_e32 v3, v3
	v_bfe_u32 v4, v3, 16, 1
	v_add3_u32 v3, v3, v4, 0x7fff
	v_lshrrev_b32_e32 v4, 16, v3
	s_branch .LBB163_926
.LBB163_924:
	s_mov_b32 s23, -1
                                        ; implicit-def: $vgpr4
	s_branch .LBB163_929
.LBB163_925:
	s_mov_b32 s23, -1
                                        ; implicit-def: $vgpr4
.LBB163_926:
	s_andn2_b32 vcc_lo, exec_lo, s23
	s_cbranch_vccnz .LBB163_928
; %bb.927:
	global_load_ushort v3, v[0:1], off
	s_waitcnt vmcnt(0)
	v_cvt_f32_u32_e32 v3, v3
	v_bfe_u32 v4, v3, 16, 1
	v_add3_u32 v3, v3, v4, 0x7fff
	v_lshrrev_b32_e32 v4, 16, v3
.LBB163_928:
	s_mov_b32 s23, 0
.LBB163_929:
	s_andn2_b32 vcc_lo, exec_lo, s23
	s_cbranch_vccnz .LBB163_937
; %bb.930:
	global_load_ubyte v3, v[0:1], off
	s_mov_b32 s23, 0
	s_mov_b32 s24, exec_lo
	s_waitcnt vmcnt(0)
	v_cmpx_lt_i16_e32 0x7f, v3
	s_xor_b32 s24, exec_lo, s24
	s_cbranch_execz .LBB163_951
; %bb.931:
	s_mov_b32 s23, -1
	s_mov_b32 s25, exec_lo
	v_cmpx_eq_u16_e32 0x80, v3
; %bb.932:
	s_xor_b32 s23, exec_lo, -1
; %bb.933:
	s_or_b32 exec_lo, exec_lo, s25
	s_and_b32 s23, s23, exec_lo
	s_or_saveexec_b32 s24, s24
	v_mov_b32_e32 v4, 0x7f800001
	s_xor_b32 exec_lo, exec_lo, s24
	s_cbranch_execnz .LBB163_952
.LBB163_934:
	s_or_b32 exec_lo, exec_lo, s24
	s_and_saveexec_b32 s24, s23
	s_cbranch_execz .LBB163_936
.LBB163_935:
	v_and_b32_e32 v4, 0xffff, v3
	v_lshlrev_b32_e32 v3, 24, v3
	v_and_b32_e32 v5, 7, v4
	v_bfe_u32 v8, v4, 3, 4
	v_and_b32_e32 v3, 0x80000000, v3
	v_ffbh_u32_e32 v6, v5
	v_cmp_eq_u32_e32 vcc_lo, 0, v8
	v_min_u32_e32 v6, 32, v6
	v_subrev_nc_u32_e32 v7, 28, v6
	v_sub_nc_u32_e32 v6, 29, v6
	v_lshlrev_b32_e32 v4, v7, v4
	v_cndmask_b32_e32 v6, v8, v6, vcc_lo
	v_and_b32_e32 v4, 7, v4
	v_cndmask_b32_e32 v4, v5, v4, vcc_lo
	v_lshl_add_u32 v5, v6, 23, 0x3b800000
	v_lshlrev_b32_e32 v4, 20, v4
	v_or3_b32 v4, v3, v5, v4
.LBB163_936:
	s_or_b32 exec_lo, exec_lo, s24
	v_bfe_u32 v3, v4, 16, 1
	v_cmp_o_f32_e32 vcc_lo, v4, v4
	v_add3_u32 v3, v4, v3, 0x7fff
	v_mov_b32_e32 v4, 0x7fc0
	v_cndmask_b32_sdwa v4, v4, v3, vcc_lo dst_sel:DWORD dst_unused:UNUSED_PAD src0_sel:DWORD src1_sel:WORD_1
.LBB163_937:
	s_mov_b32 s23, -1
.LBB163_938:
	s_mov_b32 s24, 0
.LBB163_939:
	s_and_b32 vcc_lo, exec_lo, s24
	s_cbranch_vccz .LBB163_972
; %bb.940:
	s_cmp_gt_i32 s20, 22
	s_cbranch_scc0 .LBB163_950
; %bb.941:
	s_cmp_lt_i32 s20, 24
	s_cbranch_scc1 .LBB163_953
; %bb.942:
	s_cmp_gt_i32 s20, 24
	s_cbranch_scc0 .LBB163_954
; %bb.943:
	global_load_ubyte v3, v[0:1], off
	s_mov_b32 s23, exec_lo
	s_waitcnt vmcnt(0)
	v_cmpx_lt_i16_e32 0x7f, v3
	s_xor_b32 s23, exec_lo, s23
	s_cbranch_execz .LBB163_966
; %bb.944:
	s_mov_b32 s22, -1
	s_mov_b32 s24, exec_lo
	v_cmpx_eq_u16_e32 0x80, v3
; %bb.945:
	s_xor_b32 s22, exec_lo, -1
; %bb.946:
	s_or_b32 exec_lo, exec_lo, s24
	s_and_b32 s22, s22, exec_lo
	s_or_saveexec_b32 s23, s23
	v_mov_b32_e32 v4, 0x7f800001
	s_xor_b32 exec_lo, exec_lo, s23
	s_cbranch_execnz .LBB163_967
.LBB163_947:
	s_or_b32 exec_lo, exec_lo, s23
	s_and_saveexec_b32 s23, s22
	s_cbranch_execz .LBB163_949
.LBB163_948:
	v_and_b32_e32 v4, 0xffff, v3
	v_lshlrev_b32_e32 v3, 24, v3
	v_and_b32_e32 v5, 3, v4
	v_bfe_u32 v8, v4, 2, 5
	v_and_b32_e32 v3, 0x80000000, v3
	v_ffbh_u32_e32 v6, v5
	v_cmp_eq_u32_e32 vcc_lo, 0, v8
	v_min_u32_e32 v6, 32, v6
	v_subrev_nc_u32_e32 v7, 29, v6
	v_sub_nc_u32_e32 v6, 30, v6
	v_lshlrev_b32_e32 v4, v7, v4
	v_cndmask_b32_e32 v6, v8, v6, vcc_lo
	v_and_b32_e32 v4, 3, v4
	v_cndmask_b32_e32 v4, v5, v4, vcc_lo
	v_lshl_add_u32 v5, v6, 23, 0x37800000
	v_lshlrev_b32_e32 v4, 21, v4
	v_or3_b32 v4, v3, v5, v4
.LBB163_949:
	s_or_b32 exec_lo, exec_lo, s23
	v_bfe_u32 v3, v4, 16, 1
	v_cmp_o_f32_e32 vcc_lo, v4, v4
	s_mov_b32 s22, 0
	v_add3_u32 v3, v4, v3, 0x7fff
	v_mov_b32_e32 v4, 0x7fc0
	v_cndmask_b32_sdwa v4, v4, v3, vcc_lo dst_sel:DWORD dst_unused:UNUSED_PAD src0_sel:DWORD src1_sel:WORD_1
	s_branch .LBB163_955
.LBB163_950:
	s_mov_b32 s22, -1
                                        ; implicit-def: $vgpr4
	s_branch .LBB163_961
.LBB163_951:
	s_or_saveexec_b32 s24, s24
	v_mov_b32_e32 v4, 0x7f800001
	s_xor_b32 exec_lo, exec_lo, s24
	s_cbranch_execz .LBB163_934
.LBB163_952:
	v_cmp_ne_u16_e32 vcc_lo, 0, v3
	v_mov_b32_e32 v4, 0
	s_andn2_b32 s23, s23, exec_lo
	s_and_b32 s25, vcc_lo, exec_lo
	s_or_b32 s23, s23, s25
	s_or_b32 exec_lo, exec_lo, s24
	s_and_saveexec_b32 s24, s23
	s_cbranch_execnz .LBB163_935
	s_branch .LBB163_936
.LBB163_953:
	s_mov_b32 s22, -1
                                        ; implicit-def: $vgpr4
	s_branch .LBB163_958
.LBB163_954:
	s_mov_b32 s22, -1
                                        ; implicit-def: $vgpr4
.LBB163_955:
	s_and_b32 vcc_lo, exec_lo, s22
	s_cbranch_vccz .LBB163_957
; %bb.956:
	global_load_ubyte v3, v[0:1], off
	s_waitcnt vmcnt(0)
	v_lshlrev_b32_e32 v3, 24, v3
	v_and_b32_e32 v4, 0x7f000000, v3
	v_ffbh_u32_e32 v5, v4
	v_add_nc_u32_e32 v7, 0x1000000, v4
	v_cmp_ne_u32_e32 vcc_lo, 0, v4
	v_min_u32_e32 v5, 32, v5
	v_sub_nc_u32_e64 v5, v5, 4 clamp
	v_lshlrev_b32_e32 v6, v5, v4
	v_lshlrev_b32_e32 v5, 23, v5
	v_lshrrev_b32_e32 v6, 4, v6
	v_sub_nc_u32_e32 v5, v6, v5
	v_ashrrev_i32_e32 v6, 8, v7
	v_add_nc_u32_e32 v5, 0x3c000000, v5
	v_and_or_b32 v5, 0x7f800000, v6, v5
	v_cndmask_b32_e32 v4, 0, v5, vcc_lo
	v_and_or_b32 v3, 0x80000000, v3, v4
	v_bfe_u32 v4, v4, 16, 1
	v_cmp_o_f32_e32 vcc_lo, v3, v3
	v_add3_u32 v3, v3, v4, 0x7fff
	v_mov_b32_e32 v4, 0x7fc0
	v_cndmask_b32_sdwa v4, v4, v3, vcc_lo dst_sel:DWORD dst_unused:UNUSED_PAD src0_sel:DWORD src1_sel:WORD_1
.LBB163_957:
	s_mov_b32 s22, 0
.LBB163_958:
	s_andn2_b32 vcc_lo, exec_lo, s22
	s_cbranch_vccnz .LBB163_960
; %bb.959:
	global_load_ubyte v3, v[0:1], off
	s_waitcnt vmcnt(0)
	v_lshlrev_b32_e32 v4, 25, v3
	v_lshlrev_b16 v3, 8, v3
	v_lshrrev_b32_e32 v5, 4, v4
	v_and_or_b32 v6, 0x7f00, v3, 0.5
	v_cmp_gt_u32_e32 vcc_lo, 0x8000000, v4
	v_bfe_i32 v3, v3, 0, 16
	v_or_b32_e32 v5, 0x70000000, v5
	v_add_f32_e32 v6, -0.5, v6
	v_mul_f32_e32 v5, 0x7800000, v5
	v_cndmask_b32_e32 v4, v5, v6, vcc_lo
	v_and_or_b32 v3, 0x80000000, v3, v4
	v_bfe_u32 v4, v4, 16, 1
	v_cmp_o_f32_e32 vcc_lo, v3, v3
	v_add3_u32 v3, v3, v4, 0x7fff
	v_mov_b32_e32 v4, 0x7fc0
	v_cndmask_b32_sdwa v4, v4, v3, vcc_lo dst_sel:DWORD dst_unused:UNUSED_PAD src0_sel:DWORD src1_sel:WORD_1
.LBB163_960:
	s_mov_b32 s22, 0
	s_mov_b32 s23, -1
.LBB163_961:
	s_andn2_b32 vcc_lo, exec_lo, s22
	s_mov_b32 s22, 0
	s_cbranch_vccnz .LBB163_972
; %bb.962:
	s_cmp_gt_i32 s20, 14
	s_cbranch_scc0 .LBB163_965
; %bb.963:
	s_cmp_eq_u32 s20, 15
	s_cbranch_scc0 .LBB163_968
; %bb.964:
	global_load_ushort v4, v[0:1], off
	s_mov_b32 s21, 0
	s_mov_b32 s23, -1
	s_branch .LBB163_970
.LBB163_965:
	s_mov_b32 s22, -1
	s_branch .LBB163_969
.LBB163_966:
	s_or_saveexec_b32 s23, s23
	v_mov_b32_e32 v4, 0x7f800001
	s_xor_b32 exec_lo, exec_lo, s23
	s_cbranch_execz .LBB163_947
.LBB163_967:
	v_cmp_ne_u16_e32 vcc_lo, 0, v3
	v_mov_b32_e32 v4, 0
	s_andn2_b32 s22, s22, exec_lo
	s_and_b32 s24, vcc_lo, exec_lo
	s_or_b32 s22, s22, s24
	s_or_b32 exec_lo, exec_lo, s23
	s_and_saveexec_b32 s23, s22
	s_cbranch_execnz .LBB163_948
	s_branch .LBB163_949
.LBB163_968:
	s_mov_b32 s21, -1
.LBB163_969:
                                        ; implicit-def: $vgpr4
.LBB163_970:
	s_and_b32 vcc_lo, exec_lo, s22
	s_mov_b32 s22, 0
	s_cbranch_vccz .LBB163_972
; %bb.971:
	s_cmp_lg_u32 s20, 11
	s_mov_b32 s22, -1
	s_cselect_b32 s20, -1, 0
	s_andn2_b32 s21, s21, exec_lo
	s_and_b32 s20, s20, exec_lo
	s_or_b32 s21, s21, s20
.LBB163_972:
	s_mov_b32 s20, 0
.LBB163_973:
	s_andn2_b32 s25, s0, exec_lo
	s_and_b32 s21, s21, exec_lo
	s_and_b32 s23, s23, exec_lo
	;; [unrolled: 1-line block ×4, first 2 shown]
	s_or_b32 s21, s25, s21
.LBB163_974:
	s_or_b32 exec_lo, exec_lo, s7
	s_andn2_b32 s0, s0, exec_lo
	s_and_b32 s7, s21, exec_lo
	s_and_b32 s23, s23, exec_lo
	;; [unrolled: 1-line block ×4, first 2 shown]
	s_or_b32 s0, s0, s7
.LBB163_975:
	s_or_b32 exec_lo, exec_lo, s19
	s_andn2_b32 s7, s17, exec_lo
	s_and_b32 s1, s1, exec_lo
	s_and_b32 s0, s0, exec_lo
	s_or_b32 s17, s7, s1
	s_andn2_b32 s7, s16, exec_lo
	s_and_b32 s20, s23, exec_lo
	s_and_b32 s19, s22, exec_lo
	s_and_b32 s1, s21, exec_lo
	s_or_b32 s16, s7, s0
.LBB163_976:
	s_or_b32 exec_lo, exec_lo, s18
	s_andn2_b32 s0, s6, exec_lo
	s_and_b32 s6, s17, exec_lo
	s_andn2_b32 s7, s14, exec_lo
	s_and_b32 s14, s16, exec_lo
	s_or_b32 s6, s0, s6
	s_and_b32 s0, s20, exec_lo
	s_and_b32 s17, s19, exec_lo
	s_and_b32 s16, s1, exec_lo
	s_or_b32 s14, s7, s14
	s_or_b32 exec_lo, exec_lo, s15
	s_mov_b32 s7, 0
	s_and_saveexec_b32 s1, s14
	s_cbranch_execz .LBB163_300
.LBB163_977:
	s_mov_b32 s7, exec_lo
	s_andn2_b32 s16, s16, exec_lo
	s_trap 2
	s_or_b32 exec_lo, exec_lo, s1
	s_and_saveexec_b32 s1, s16
	s_xor_b32 s1, exec_lo, s1
	s_cbranch_execnz .LBB163_301
.LBB163_978:
	s_or_b32 exec_lo, exec_lo, s1
	s_and_saveexec_b32 s1, s17
	s_cbranch_execz .LBB163_1024
.LBB163_979:
	s_sext_i32_i16 s14, s3
	s_cmp_lt_i32 s14, 5
	s_cbranch_scc1 .LBB163_984
; %bb.980:
	s_cmp_lt_i32 s14, 8
	s_cbranch_scc1 .LBB163_985
; %bb.981:
	;; [unrolled: 3-line block ×3, first 2 shown]
	s_cmp_gt_i32 s14, 9
	s_cbranch_scc0 .LBB163_987
; %bb.983:
	global_load_dwordx2 v[3:4], v[0:1], off
	s_mov_b32 s14, 0
	s_waitcnt vmcnt(0)
	v_cvt_f32_f64_e32 v3, v[3:4]
	v_bfe_u32 v4, v3, 16, 1
	v_cmp_o_f32_e32 vcc_lo, v3, v3
	v_add3_u32 v3, v3, v4, 0x7fff
	v_mov_b32_e32 v4, 0x7fc0
	v_cndmask_b32_sdwa v4, v4, v3, vcc_lo dst_sel:DWORD dst_unused:UNUSED_PAD src0_sel:DWORD src1_sel:WORD_1
	s_branch .LBB163_988
.LBB163_984:
                                        ; implicit-def: $vgpr4
	s_branch .LBB163_1005
.LBB163_985:
                                        ; implicit-def: $vgpr4
	s_branch .LBB163_994
.LBB163_986:
	s_mov_b32 s14, -1
                                        ; implicit-def: $vgpr4
	s_branch .LBB163_991
.LBB163_987:
	s_mov_b32 s14, -1
                                        ; implicit-def: $vgpr4
.LBB163_988:
	s_andn2_b32 vcc_lo, exec_lo, s14
	s_cbranch_vccnz .LBB163_990
; %bb.989:
	global_load_dword v3, v[0:1], off
	s_waitcnt vmcnt(0)
	v_bfe_u32 v4, v3, 16, 1
	v_cmp_o_f32_e32 vcc_lo, v3, v3
	v_add3_u32 v3, v3, v4, 0x7fff
	v_mov_b32_e32 v4, 0x7fc0
	v_cndmask_b32_sdwa v4, v4, v3, vcc_lo dst_sel:DWORD dst_unused:UNUSED_PAD src0_sel:DWORD src1_sel:WORD_1
.LBB163_990:
	s_mov_b32 s14, 0
.LBB163_991:
	s_andn2_b32 vcc_lo, exec_lo, s14
	s_cbranch_vccnz .LBB163_993
; %bb.992:
	global_load_dword v3, v[0:1], off
	s_waitcnt vmcnt(0)
	v_cvt_f32_f16_e32 v4, v3
	v_cmp_o_f16_e32 vcc_lo, v3, v3
	v_bfe_u32 v5, v4, 16, 1
	v_add3_u32 v3, v4, v5, 0x7fff
	v_mov_b32_e32 v4, 0x7fc0
	v_cndmask_b32_sdwa v4, v4, v3, vcc_lo dst_sel:DWORD dst_unused:UNUSED_PAD src0_sel:DWORD src1_sel:WORD_1
.LBB163_993:
	s_cbranch_execnz .LBB163_1004
.LBB163_994:
	s_sext_i32_i16 s14, s3
	s_cmp_lt_i32 s14, 6
	s_cbranch_scc1 .LBB163_997
; %bb.995:
	s_cmp_gt_i32 s14, 6
	s_cbranch_scc0 .LBB163_998
; %bb.996:
	global_load_dwordx2 v[3:4], v[0:1], off
	s_mov_b32 s14, 0
	s_waitcnt vmcnt(0)
	v_cvt_f32_f64_e32 v3, v[3:4]
	v_bfe_u32 v4, v3, 16, 1
	v_cmp_o_f32_e32 vcc_lo, v3, v3
	v_add3_u32 v3, v3, v4, 0x7fff
	v_mov_b32_e32 v4, 0x7fc0
	v_cndmask_b32_sdwa v4, v4, v3, vcc_lo dst_sel:DWORD dst_unused:UNUSED_PAD src0_sel:DWORD src1_sel:WORD_1
	s_branch .LBB163_999
.LBB163_997:
	s_mov_b32 s14, -1
                                        ; implicit-def: $vgpr4
	s_branch .LBB163_1002
.LBB163_998:
	s_mov_b32 s14, -1
                                        ; implicit-def: $vgpr4
.LBB163_999:
	s_andn2_b32 vcc_lo, exec_lo, s14
	s_cbranch_vccnz .LBB163_1001
; %bb.1000:
	global_load_dword v3, v[0:1], off
	s_waitcnt vmcnt(0)
	v_bfe_u32 v4, v3, 16, 1
	v_cmp_o_f32_e32 vcc_lo, v3, v3
	v_add3_u32 v3, v3, v4, 0x7fff
	v_mov_b32_e32 v4, 0x7fc0
	v_cndmask_b32_sdwa v4, v4, v3, vcc_lo dst_sel:DWORD dst_unused:UNUSED_PAD src0_sel:DWORD src1_sel:WORD_1
.LBB163_1001:
	s_mov_b32 s14, 0
.LBB163_1002:
	s_andn2_b32 vcc_lo, exec_lo, s14
	s_cbranch_vccnz .LBB163_1004
; %bb.1003:
	global_load_ushort v3, v[0:1], off
	s_waitcnt vmcnt(0)
	v_cvt_f32_f16_e32 v4, v3
	v_cmp_o_f16_e32 vcc_lo, v3, v3
	v_bfe_u32 v5, v4, 16, 1
	v_add3_u32 v3, v4, v5, 0x7fff
	v_mov_b32_e32 v4, 0x7fc0
	v_cndmask_b32_sdwa v4, v4, v3, vcc_lo dst_sel:DWORD dst_unused:UNUSED_PAD src0_sel:DWORD src1_sel:WORD_1
.LBB163_1004:
	s_cbranch_execnz .LBB163_1023
.LBB163_1005:
	s_sext_i32_i16 s14, s3
	s_cmp_lt_i32 s14, 2
	s_cbranch_scc1 .LBB163_1009
; %bb.1006:
	s_cmp_lt_i32 s14, 3
	s_cbranch_scc1 .LBB163_1010
; %bb.1007:
	s_cmp_gt_i32 s14, 3
	s_cbranch_scc0 .LBB163_1011
; %bb.1008:
	global_load_dwordx2 v[3:4], v[0:1], off
	s_mov_b32 s14, 0
	s_waitcnt vmcnt(0)
	v_xor_b32_e32 v5, v3, v4
	v_ffbh_i32_e32 v6, v4
	v_ashrrev_i32_e32 v5, 31, v5
	v_add_nc_u32_e32 v6, -1, v6
	v_add_nc_u32_e32 v5, 32, v5
	v_min_u32_e32 v5, v6, v5
	v_lshlrev_b64 v[3:4], v5, v[3:4]
	v_min_u32_e32 v3, 1, v3
	v_or_b32_e32 v3, v4, v3
	v_sub_nc_u32_e32 v4, 32, v5
	v_cvt_f32_i32_e32 v3, v3
	v_ldexp_f32 v3, v3, v4
	v_bfe_u32 v4, v3, 16, 1
	v_add3_u32 v3, v3, v4, 0x7fff
	v_lshrrev_b32_e32 v4, 16, v3
	s_branch .LBB163_1012
.LBB163_1009:
                                        ; implicit-def: $vgpr4
	s_branch .LBB163_1018
.LBB163_1010:
	s_mov_b32 s14, -1
                                        ; implicit-def: $vgpr4
	s_branch .LBB163_1015
.LBB163_1011:
	s_mov_b32 s14, -1
                                        ; implicit-def: $vgpr4
.LBB163_1012:
	s_andn2_b32 vcc_lo, exec_lo, s14
	s_cbranch_vccnz .LBB163_1014
; %bb.1013:
	global_load_dword v3, v[0:1], off
	s_waitcnt vmcnt(0)
	v_cvt_f32_i32_e32 v3, v3
	v_bfe_u32 v4, v3, 16, 1
	v_add3_u32 v3, v3, v4, 0x7fff
	v_lshrrev_b32_e32 v4, 16, v3
.LBB163_1014:
	s_mov_b32 s14, 0
.LBB163_1015:
	s_andn2_b32 vcc_lo, exec_lo, s14
	s_cbranch_vccnz .LBB163_1017
; %bb.1016:
	global_load_sshort v3, v[0:1], off
	s_waitcnt vmcnt(0)
	v_cvt_f32_i32_e32 v3, v3
	v_bfe_u32 v4, v3, 16, 1
	v_add3_u32 v3, v3, v4, 0x7fff
	v_lshrrev_b32_e32 v4, 16, v3
.LBB163_1017:
	s_cbranch_execnz .LBB163_1023
.LBB163_1018:
	s_sext_i32_i16 s14, s3
	s_cmp_gt_i32 s14, 0
	s_mov_b32 s14, 0
	s_cbranch_scc0 .LBB163_1020
; %bb.1019:
	global_load_sbyte v3, v[0:1], off
	s_waitcnt vmcnt(0)
	v_cvt_f32_i32_e32 v3, v3
	v_bfe_u32 v4, v3, 16, 1
	v_add3_u32 v3, v3, v4, 0x7fff
	v_lshrrev_b32_e32 v4, 16, v3
	s_branch .LBB163_1021
.LBB163_1020:
	s_mov_b32 s14, -1
                                        ; implicit-def: $vgpr4
.LBB163_1021:
	s_andn2_b32 vcc_lo, exec_lo, s14
	s_cbranch_vccnz .LBB163_1023
; %bb.1022:
	global_load_ubyte v0, v[0:1], off
	s_waitcnt vmcnt(0)
	v_cvt_f32_ubyte0_e32 v0, v0
	v_bfe_u32 v1, v0, 16, 1
	v_add3_u32 v0, v0, v1, 0x7fff
	v_lshrrev_b32_e32 v4, 16, v0
.LBB163_1023:
	s_or_b32 s0, s0, exec_lo
.LBB163_1024:
	s_or_b32 exec_lo, exec_lo, s1
	s_mov_b32 s16, 0
	s_mov_b32 s15, 0
                                        ; implicit-def: $sgpr1
                                        ; implicit-def: $vgpr0_vgpr1
                                        ; implicit-def: $vgpr3
	s_and_saveexec_b32 s14, s0
	s_cbranch_execz .LBB163_1070
; %bb.1025:
	s_waitcnt vmcnt(0)
	v_lshlrev_b32_e32 v0, 16, v4
	s_mov_b32 s1, exec_lo
                                        ; implicit-def: $vgpr3
	v_and_b32_e32 v1, 0x7fffffff, v0
	v_cmpx_ngt_f32_e64 0x3c800000, |v0|
	s_xor_b32 s1, exec_lo, s1
	s_cbranch_execz .LBB163_1055
; %bb.1026:
	s_mov_b32 s15, exec_lo
                                        ; implicit-def: $vgpr3
	v_cmpx_nlt_f32_e64 |v0|, 2.0
	s_xor_b32 s15, exec_lo, s15
	s_cbranch_execz .LBB163_1036
; %bb.1027:
	v_cmp_ngt_f32_e64 s0, 0x41000000, |v0|
                                        ; implicit-def: $vgpr3
	s_and_saveexec_b32 s16, s0
	s_xor_b32 s0, exec_lo, s16
	s_cbranch_execz .LBB163_1033
; %bb.1028:
	v_cmp_ngt_f32_e64 s16, 0x5c800000, |v0|
                                        ; implicit-def: $vgpr3
	s_and_saveexec_b32 s17, s16
	s_xor_b32 s16, exec_lo, s17
	s_cbranch_execz .LBB163_1030
; %bb.1029:
	v_cmp_gt_f32_e64 s17, 0x800000, |v0|
	v_cndmask_b32_e64 v3, 0, 32, s17
	v_ldexp_f32 v3, |v0|, v3
	v_log_f32_e32 v3, v3
	v_mul_f32_e32 v4, 0x3f317217, v3
	v_cmp_gt_f32_e64 vcc_lo, 0x7f800000, |v3|
	v_fma_f32 v5, 0x3f317217, v3, -v4
	v_fmamk_f32 v5, v3, 0x3377d1cf, v5
	v_add_f32_e32 v4, v4, v5
	v_cndmask_b32_e32 v3, v3, v4, vcc_lo
	v_cndmask_b32_e64 v4, 0, 0x41b17218, s17
	v_sub_f32_e32 v3, v3, v4
	v_fma_f32 v3, |v0|, v3, -|v0|
.LBB163_1030:
	s_andn2_saveexec_b32 s16, s16
	s_cbranch_execz .LBB163_1032
; %bb.1031:
	v_cmp_gt_f32_e64 s17, 0x800000, |v0|
	v_rcp_f32_e64 v4, |v0|
	s_mov_b32 s18, 0xbad5c4e8
	v_cndmask_b32_e64 v3, 0, 32, s17
	v_ldexp_f32 v3, |v0|, v3
	v_mul_f32_e32 v5, v4, v4
	v_log_f32_e32 v3, v3
	v_fmaak_f32 v7, s18, v5, 0x3a5b3dd2
	v_fmaak_f32 v7, v5, v7, 0xba1c065c
	v_mul_f32_e32 v6, 0x3f317217, v3
	v_fmaak_f32 v7, v5, v7, 0x3a500cfd
	v_cmp_gt_f32_e64 vcc_lo, 0x7f800000, |v3|
	v_fma_f32 v8, 0x3f317217, v3, -v6
	v_fmaak_f32 v7, v5, v7, 0xbb360b61
	v_fmamk_f32 v8, v3, 0x3377d1cf, v8
	v_fmaak_f32 v5, v5, v7, 0x3daaaaab
	v_add_f32_e32 v6, v6, v8
	v_cndmask_b32_e32 v3, v3, v6, vcc_lo
	v_cndmask_b32_e64 v6, 0, 0x41b17218, s17
	v_sub_f32_e32 v6, v3, v6
	v_fmaak_f32 v3, v4, v5, 0x3ed67f1d
	v_add_f32_e64 v4, |v0|, -0.5
	v_add_f32_e32 v5, -1.0, v6
	v_fmac_f32_e32 v3, v4, v5
.LBB163_1032:
	s_or_b32 exec_lo, exec_lo, s16
.LBB163_1033:
	s_andn2_saveexec_b32 s16, s0
	s_cbranch_execz .LBB163_1035
; %bb.1034:
	v_cvt_i32_f32_e32 v3, v1
	s_mov_b32 s0, 0x36f5d7bd
	s_mov_b32 s17, 0x3805ff67
	v_cvt_f32_i32_e32 v4, v3
	v_cmp_lt_i32_e32 vcc_lo, 2, v3
	v_sub_f32_e64 v4, |v0|, v4
	v_add_f32_e32 v5, 2.0, v4
	v_add_f32_e32 v6, 0x40400000, v4
	v_add_f32_e32 v7, 4.0, v4
	v_add_f32_e32 v8, 0x40a00000, v4
	v_cndmask_b32_e32 v5, 1.0, v5, vcc_lo
	v_cmp_lt_i32_e32 vcc_lo, 3, v3
	v_cndmask_b32_e32 v6, 1.0, v6, vcc_lo
	v_cmp_lt_i32_e32 vcc_lo, 4, v3
	v_mul_f32_e32 v5, v5, v6
	v_cndmask_b32_e32 v7, 1.0, v7, vcc_lo
	v_cmp_lt_i32_e32 vcc_lo, 5, v3
	v_add_f32_e32 v6, 0x40c00000, v4
	v_mul_f32_e32 v5, v7, v5
	v_cndmask_b32_e32 v8, 1.0, v8, vcc_lo
	v_cmp_lt_i32_e32 vcc_lo, 6, v3
	v_fmaak_f32 v7, s17, v4, 0x3af135b4
	v_mul_f32_e32 v5, v8, v5
	v_cndmask_b32_e32 v3, 1.0, v6, vcc_lo
	v_mul_f32_e32 v3, v3, v5
	v_fmaak_f32 v5, s0, v4, 0x3a4beed6
	v_cmp_gt_f32_e32 vcc_lo, 0x800000, v3
	v_fmaak_f32 v5, v4, v5, 0x3c98bf54
	v_cndmask_b32_e64 v6, 0, 32, vcc_lo
	v_fmaak_f32 v5, v4, v5, 0x3e300f6e
	v_ldexp_f32 v3, v3, v6
	v_fmaak_f32 v6, v4, v7, 0x3cda40e4
	v_fmaak_f32 v5, v4, v5, 0x3f38d0c5
	v_log_f32_e32 v3, v3
	v_fmaak_f32 v6, v4, v6, 0x3e15dce6
	v_fmaak_f32 v5, v4, v5, 0x3fb22d3b
	;; [unrolled: 1-line block ×3, first 2 shown]
	v_fma_f32 v5, v4, v5, 1.0
	v_mul_f32_e32 v7, 0x3f317217, v3
	v_fmaak_f32 v6, v4, v6, 0x3e5c245a
	v_rcp_f32_e32 v5, v5
	v_cmp_gt_f32_e64 s0, 0x7f800000, |v3|
	v_fma_f32 v8, 0x3f317217, v3, -v7
	v_fmaak_f32 v6, v4, v6, 0xbd9e233f
	v_fmamk_f32 v8, v3, 0x3377d1cf, v8
	v_mul_f32_e32 v6, v4, v6
	v_add_f32_e32 v7, v7, v8
	v_mul_f32_e32 v5, v6, v5
	v_cndmask_b32_e64 v6, 0, 0x41b17218, vcc_lo
	v_cndmask_b32_e64 v3, v3, v7, s0
	v_fmac_f32_e32 v5, 0.5, v4
	v_sub_f32_e32 v3, v3, v6
	v_add_f32_e32 v3, v3, v5
.LBB163_1035:
	s_or_b32 exec_lo, exec_lo, s16
.LBB163_1036:
	s_andn2_saveexec_b32 s15, s15
	s_cbranch_execz .LBB163_1054
; %bb.1037:
	s_mov_b32 s16, exec_lo
                                        ; implicit-def: $vgpr3
                                        ; implicit-def: $vgpr5
                                        ; implicit-def: $vgpr4
	v_cmpx_ge_f32_e64 0x3f666666, |v0|
	s_xor_b32 s16, exec_lo, s16
	s_cbranch_execz .LBB163_1039
; %bb.1038:
	v_cmp_gt_f32_e64 s0, 0x800000, |v0|
	v_sub_f32_e64 v6, 1.0, |v0|
	v_cmp_gt_f32_e64 vcc_lo, 0x3f3b4a23, |v0|
	v_cndmask_b32_e64 v3, 0, 32, s0
	v_cndmask_b32_e64 v7, 0, 0x41b17218, s0
	v_ldexp_f32 v3, |v0|, v3
	v_log_f32_e32 v3, v3
	v_mul_f32_e32 v4, 0x3f317217, v3
	v_cmp_gt_f32_e64 s0, 0x7f800000, |v3|
	v_fma_f32 v5, 0x3f317217, v3, -v4
	v_fmamk_f32 v5, v3, 0x3377d1cf, v5
	v_add_f32_e32 v4, v4, v5
	v_add_f32_e64 v5, 0xbeec5b0c, |v0|
	v_cndmask_b32_e64 v3, v3, v4, s0
	v_cndmask_b32_e32 v4, v6, v5, vcc_lo
	v_cndmask_b32_e64 v5, 0, 1, vcc_lo
	v_cmp_gt_f32_e64 s0, 0x3e6d3309, |v0|
	v_sub_f32_e32 v3, v3, v7
	v_cndmask_b32_e64 v4, v4, |v0|, s0
	v_cndmask_b32_e64 v5, v5, 2, s0
	v_xor_b32_e32 v3, 0x80000000, v3
.LBB163_1039:
	s_andn2_saveexec_b32 s0, s16
	s_cbranch_execz .LBB163_1041
; %bb.1040:
	v_sub_f32_e64 v3, 2.0, |v0|
	v_add_f32_e64 v4, 0xbfbb16c3, |v0|
	v_cmp_gt_f32_e64 vcc_lo, 0x3fdda512, |v0|
	v_add_f32_e64 v5, |v0|, -1.0
	v_cndmask_b32_e32 v4, v3, v4, vcc_lo
	v_cndmask_b32_e64 v3, v3, 1.0, vcc_lo
	v_cmp_gt_f32_e64 vcc_lo, 0x3f9d70a4, |v0|
	v_cvt_i32_f32_e32 v3, v3
	v_cndmask_b32_e32 v4, v4, v5, vcc_lo
	v_cndmask_b32_e64 v5, v3, 2, vcc_lo
	v_mov_b32_e32 v3, 0
.LBB163_1041:
	s_or_b32 exec_lo, exec_lo, s0
	s_mov_b32 s0, exec_lo
	v_cmpx_lt_i32_e32 0, v5
	s_xor_b32 s0, exec_lo, s0
	s_cbranch_execz .LBB163_1049
; %bb.1042:
	s_mov_b32 s16, exec_lo
	v_cmpx_lt_i32_e32 1, v5
	s_xor_b32 s16, exec_lo, s16
	s_cbranch_execz .LBB163_1046
; %bb.1043:
	s_mov_b32 s17, exec_lo
	v_cmpx_eq_u32_e32 2, v5
	s_cbranch_execz .LBB163_1045
; %bb.1044:
	s_mov_b32 s18, 0x3b52d5db
	v_fmaak_f32 v5, s18, v4, 0x3dd572af
	s_mov_b32 s18, 0x3c5b3c5e
	v_fmaak_f32 v6, s18, v4, 0x3e6a7578
	v_fmaak_f32 v5, v4, v5, 0x3f44efdf
	;; [unrolled: 1-line block ×7, first 2 shown]
	v_fma_f32 v5, v4, v5, 1.0
	v_fmaak_f32 v6, v4, v6, 0xbd9e233f
	v_rcp_f32_e32 v5, v5
	v_mul_f32_e32 v6, v4, v6
	v_mul_f32_e32 v5, v6, v5
	v_fmac_f32_e32 v5, -0.5, v4
	v_add_f32_e32 v3, v3, v5
.LBB163_1045:
	s_or_b32 exec_lo, exec_lo, s17
                                        ; implicit-def: $vgpr4
.LBB163_1046:
	s_andn2_saveexec_b32 s16, s16
	s_cbranch_execz .LBB163_1048
; %bb.1047:
	v_mul_f32_e32 v5, v4, v4
	s_mov_b32 s17, 0xb9a3f927
	s_mov_b32 s18, 0x39afe9f7
	v_mul_f32_e32 v6, v4, v5
	v_fmaak_f32 v7, s17, v6, 0x3a66f867
	v_fmaak_f32 v8, s18, v6, 0xba0d3085
	s_mov_b32 s17, 0x39a57b6b
	v_fmaak_f32 v9, s17, v6, 0xbab7f476
	v_fmaak_f32 v7, v6, v7, 0xbb7177fe
	;; [unrolled: 1-line block ×9, first 2 shown]
	v_fmac_f32_e32 v7, v4, v8
	v_fmaak_f32 v4, v6, v9, 0x3ef7b95e
	v_fma_f32 v6, v6, -v7, 0xa2863e55
	v_fma_f32 v4, v5, v4, -v6
	v_add_f32_e32 v4, 0xbdf8cdce, v4
	v_add_f32_e32 v3, v3, v4
.LBB163_1048:
	s_or_b32 exec_lo, exec_lo, s16
                                        ; implicit-def: $vgpr5
                                        ; implicit-def: $vgpr4
.LBB163_1049:
	s_andn2_saveexec_b32 s0, s0
	s_cbranch_execz .LBB163_1053
; %bb.1050:
	s_mov_b32 s16, exec_lo
	v_cmpx_eq_u32_e32 0, v5
	s_cbranch_execz .LBB163_1052
; %bb.1051:
	v_mul_f32_e32 v5, v4, v4
	s_mov_b32 s17, 0x383c2c75
	v_fmaak_f32 v6, s17, v5, 0x38e28445
	s_mov_b32 s17, 0x37d383a2
	v_fmaak_f32 v7, s17, v5, 0x39679767
	v_fmaak_f32 v6, v5, v6, 0x3a05b634
	;; [unrolled: 1-line block ×9, first 2 shown]
	v_mul_f32_e32 v5, v5, v6
	v_fmac_f32_e32 v5, v4, v7
	v_fmac_f32_e32 v5, -0.5, v4
	v_add_f32_e32 v3, v3, v5
.LBB163_1052:
	s_or_b32 exec_lo, exec_lo, s16
.LBB163_1053:
	s_or_b32 exec_lo, exec_lo, s0
.LBB163_1054:
	s_or_b32 exec_lo, exec_lo, s15
.LBB163_1055:
	s_andn2_saveexec_b32 s0, s1
	s_cbranch_execz .LBB163_1057
; %bb.1056:
	v_cmp_gt_f32_e64 s1, 0x800000, |v0|
	s_mov_b32 s15, 0x3e8a8991
	v_fma_f32 v6, |v0|, s15, 0xbecd26ab
	v_cndmask_b32_e64 v3, 0, 32, s1
	v_ldexp_f32 v3, |v0|, v3
	v_log_f32_e32 v3, v3
	v_mul_f32_e32 v4, 0x3f317217, v3
	v_cmp_gt_f32_e64 vcc_lo, 0x7f800000, |v3|
	v_fma_f32 v5, 0x3f317217, v3, -v4
	v_fmamk_f32 v5, v3, 0x3377d1cf, v5
	v_add_f32_e32 v4, v4, v5
	v_fma_f32 v5, |v0|, v6, 0x3f528d33
	v_cndmask_b32_e32 v3, v3, v4, vcc_lo
	v_cndmask_b32_e64 v4, 0, 0x41b17218, s1
	v_fma_f32 v5, |v0|, v5, 0xbf13c468
	v_sub_f32_e32 v3, v3, v4
	v_fma_f32 v3, |v0|, v5, -v3
.LBB163_1057:
	s_or_b32 exec_lo, exec_lo, s0
	v_cmp_le_f32_e32 vcc_lo, 0, v0
	s_mov_b32 s1, exec_lo
	v_cmpx_nle_f32_e32 0, v0
	s_xor_b32 s15, exec_lo, s1
	s_cbranch_execz .LBB163_1061
; %bb.1058:
	v_cmp_gt_f32_e64 s0, 0x4b000000, |v0|
	v_cmp_lt_f32_e64 s1, 0x35000000, |v0|
	s_and_b32 s0, s0, s1
	s_and_saveexec_b32 s16, s0
	s_cbranch_execz .LBB163_1060
; %bb.1059:
	v_mul_f32_e64 v4, |v0|, 0.5
	s_mov_b32 s1, 0x3d4be544
	v_floor_f32_e32 v5, v4
	v_cmp_neq_f32_e64 s0, 0x7f800000, v4
	v_sub_f32_e32 v5, v4, v5
	v_min_f32_e32 v5, 0x3f7fffff, v5
	v_add_f32_e32 v5, v5, v5
	v_cndmask_b32_e64 v4, 0, v5, s0
	v_cmp_gt_f32_e64 s0, |v0|, 1.0
	v_cndmask_b32_e64 v4, |v0|, v4, s0
	s_mov_b32 s0, 0x3e75aa41
	v_add_f32_e32 v5, v4, v4
	v_rndne_f32_e32 v5, v5
	v_fmac_f32_e32 v4, -0.5, v5
	v_cvt_i32_f32_e32 v5, v5
	v_mul_f32_e32 v6, v4, v4
	v_fmaak_f32 v7, s0, v6, 0xbf1f24be
	v_fmaak_f32 v8, s1, v6, 0x3e642e9d
	v_mul_f32_e32 v9, v4, v6
	v_fmaak_f32 v7, v6, v7, 0x40234736
	v_fmaak_f32 v8, v6, v8, 0xbfaad1da
	;; [unrolled: 1-line block ×4, first 2 shown]
	v_mul_f32_e32 v7, v9, v7
	v_fmaak_f32 v8, v6, v8, 0xc09de9e6
	v_and_b32_e32 v9, 1, v5
	v_lshlrev_b32_e32 v5, 30, v5
	v_fmamk_f32 v4, v4, 0x40490fdb, v7
	v_fma_f32 v6, v6, v8, 1.0
	v_cmp_eq_u32_e64 s0, 0, v9
	v_and_or_b32 v1, 0x80000000, v5, v1
	v_cndmask_b32_e64 v4, v6, v4, s0
	v_xor3_b32 v1, v1, v4, v0
	v_mul_f32_e32 v1, v0, v1
	v_frexp_mant_f32_e64 v4, |v1|
	v_frexp_exp_i32_f32_e32 v1, v1
	v_rcp_f32_e32 v4, v4
	v_sub_nc_u32_e32 v1, 2, v1
	v_mul_f32_e32 v4, 0x3f490fdb, v4
	v_ldexp_f32 v1, v4, v1
	v_cmp_gt_f32_e64 s0, 0x800000, v1
	v_cndmask_b32_e64 v4, 0, 32, s0
	v_ldexp_f32 v1, v1, v4
	v_log_f32_e32 v1, v1
	v_mul_f32_e32 v4, 0x3f317217, v1
	v_cmp_gt_f32_e64 s1, 0x7f800000, |v1|
	v_fma_f32 v5, 0x3f317217, v1, -v4
	v_fmamk_f32 v5, v1, 0x3377d1cf, v5
	v_add_f32_e32 v4, v4, v5
	v_floor_f32_e32 v5, v0
	v_cndmask_b32_e64 v1, v1, v4, s1
	v_cndmask_b32_e64 v4, 0, 0x41b17218, s0
	v_sub_f32_e32 v5, v0, v5
	v_sub_f32_e32 v1, v1, v4
	v_min_f32_e32 v4, 0x3f7fffff, v5
	v_sub_f32_e32 v1, v1, v3
	v_cmp_neq_f32_e64 s0, 0, v4
	v_cndmask_b32_e64 v3, 0x7f800000, v1, s0
.LBB163_1060:
	s_or_b32 exec_lo, exec_lo, s16
.LBB163_1061:
	s_andn2_saveexec_b32 s15, s15
; %bb.1062:
	v_cmp_eq_f32_e64 s0, 1.0, v0
	v_cmp_eq_f32_e64 s1, 2.0, v0
	s_or_b32 s0, s0, s1
	v_cndmask_b32_e64 v3, v3, 0, s0
; %bb.1063:
	s_or_b32 exec_lo, exec_lo, s15
	v_cmp_gt_f32_e64 s0, 0x4b000000, |v0|
	s_and_b32 s1, s5, 0xff
	s_or_b32 vcc_lo, vcc_lo, s0
	v_cmp_class_f32_e64 s0, v0, 0x264
	v_cndmask_b32_e32 v1, 0x7f800000, v3, vcc_lo
	v_cmp_u_f32_e32 vcc_lo, v0, v0
	v_mov_b32_e32 v3, 0x7fc0
	s_cmp_lt_i32 s1, 11
	v_cndmask_b32_e64 v1, v1, 0x7f800000, s0
	v_cndmask_b32_e32 v0, v1, v0, vcc_lo
	v_mul_lo_u32 v1, v2, s12
	v_bfe_u32 v2, v0, 16, 1
	v_cmp_o_f32_e32 vcc_lo, v0, v0
	v_ashrrev_i32_e32 v4, 31, v1
	v_add3_u32 v2, v0, v2, 0x7fff
	v_add_co_u32 v0, s0, s8, v1
	v_add_co_ci_u32_e64 v1, null, s9, v4, s0
	v_cndmask_b32_sdwa v3, v3, v2, vcc_lo dst_sel:DWORD dst_unused:UNUSED_PAD src0_sel:DWORD src1_sel:WORD_1
	s_cbranch_scc1 .LBB163_1073
; %bb.1064:
	s_and_b32 s15, 0xffff, s1
	s_mov_b32 s16, -1
	s_cmp_gt_i32 s15, 25
	s_mov_b32 s0, s6
	s_cbranch_scc0 .LBB163_1101
; %bb.1065:
	s_cmp_gt_i32 s15, 28
	s_mov_b32 s0, s6
	s_cbranch_scc0 .LBB163_1085
; %bb.1066:
	s_cmp_gt_i32 s15, 43
	s_mov_b32 s0, s6
	s_cbranch_scc0 .LBB163_1081
; %bb.1067:
	s_cmp_gt_i32 s15, 45
	s_mov_b32 s0, s6
	s_cbranch_scc0 .LBB163_1075
; %bb.1068:
	s_cmp_eq_u32 s15, 46
	s_mov_b32 s0, -1
	s_cbranch_scc0 .LBB163_1074
; %bb.1069:
	v_and_b32_e32 v2, 0xffff, v3
	s_mov_b32 s0, 0
	s_mov_b32 s16, 0
	global_store_dword v[0:1], v2, off
	s_branch .LBB163_1075
.LBB163_1070:
	s_or_b32 exec_lo, exec_lo, s14
	s_and_saveexec_b32 s0, s6
	s_cbranch_execnz .LBB163_1143
.LBB163_1071:
	s_or_b32 exec_lo, exec_lo, s0
	s_and_saveexec_b32 s0, s16
	s_xor_b32 s0, exec_lo, s0
	s_cbranch_execz .LBB163_1144
.LBB163_1072:
	s_waitcnt vmcnt(0)
	v_and_b32_e32 v2, 0x7fff, v3
	v_cmp_ne_u16_e32 vcc_lo, 0, v2
	v_cndmask_b32_e64 v2, 0, 1, vcc_lo
	global_store_byte v[0:1], v2, off
	s_or_b32 exec_lo, exec_lo, s0
	s_and_saveexec_b32 s0, s15
	s_xor_b32 s0, exec_lo, s0
	s_cbranch_execz .LBB163_1182
	s_branch .LBB163_1145
.LBB163_1073:
	s_mov_b32 s17, 0
	s_mov_b32 s16, -1
	s_mov_b32 s0, s6
	s_branch .LBB163_1142
.LBB163_1074:
	s_mov_b32 s16, 0
.LBB163_1075:
	s_and_b32 vcc_lo, exec_lo, s16
	s_cbranch_vccz .LBB163_1080
; %bb.1076:
	s_cmp_eq_u32 s15, 44
	s_mov_b32 s0, -1
	s_cbranch_scc0 .LBB163_1080
; %bb.1077:
	v_and_b32_e32 v2, 0xffff, v3
	v_mov_b32_e32 v4, 0xff
	s_mov_b32 s16, exec_lo
	v_bfe_u32 v5, v2, 7, 8
	v_cmpx_ne_u32_e32 0xff, v5
	s_cbranch_execz .LBB163_1079
; %bb.1078:
	v_lshlrev_b32_e32 v4, 16, v2
	v_and_b32_e32 v6, 64, v2
	v_lshrrev_b32_e32 v2, 7, v2
	v_and_or_b32 v4, 0x3f0000, v4, v5
	v_cmp_ne_u32_e32 vcc_lo, 0, v6
	v_cmp_ne_u32_e64 s0, 0, v4
	s_and_b32 s0, vcc_lo, s0
	v_cndmask_b32_e64 v4, 0, 1, s0
	v_add_nc_u32_e32 v4, v2, v4
.LBB163_1079:
	s_or_b32 exec_lo, exec_lo, s16
	s_mov_b32 s0, 0
	global_store_byte v[0:1], v4, off
.LBB163_1080:
	s_mov_b32 s16, 0
.LBB163_1081:
	s_and_b32 vcc_lo, exec_lo, s16
	s_cbranch_vccz .LBB163_1084
; %bb.1082:
	s_cmp_eq_u32 s15, 29
	s_mov_b32 s0, -1
	s_cbranch_scc0 .LBB163_1084
; %bb.1083:
	v_lshlrev_b32_e32 v2, 16, v3
	s_mov_b32 s0, 0
	s_mov_b32 s16, 0
	v_trunc_f32_e32 v2, v2
	v_mul_f32_e32 v4, 0x2f800000, v2
	v_floor_f32_e32 v4, v4
	v_fmamk_f32 v2, v4, 0xcf800000, v2
	v_cvt_u32_f32_e32 v5, v4
	v_cvt_u32_f32_e32 v4, v2
	global_store_dwordx2 v[0:1], v[4:5], off
	s_branch .LBB163_1085
.LBB163_1084:
	s_mov_b32 s16, 0
.LBB163_1085:
	s_and_b32 vcc_lo, exec_lo, s16
	s_cbranch_vccz .LBB163_1100
; %bb.1086:
	s_cmp_lt_i32 s15, 27
	s_mov_b32 s16, -1
	s_cbranch_scc1 .LBB163_1092
; %bb.1087:
	s_cmp_gt_i32 s15, 27
	s_cbranch_scc0 .LBB163_1089
; %bb.1088:
	v_lshlrev_b32_e32 v2, 16, v3
	s_mov_b32 s16, 0
	v_cvt_u32_f32_e32 v2, v2
	global_store_dword v[0:1], v2, off
.LBB163_1089:
	s_andn2_b32 vcc_lo, exec_lo, s16
	s_cbranch_vccnz .LBB163_1091
; %bb.1090:
	v_lshlrev_b32_e32 v2, 16, v3
	v_cvt_u32_f32_e32 v2, v2
	global_store_short v[0:1], v2, off
.LBB163_1091:
	s_mov_b32 s16, 0
.LBB163_1092:
	s_andn2_b32 vcc_lo, exec_lo, s16
	s_cbranch_vccnz .LBB163_1100
; %bb.1093:
	v_lshlrev_b32_e32 v5, 16, v3
	v_mov_b32_e32 v6, 0x80
	s_mov_b32 s16, exec_lo
	v_and_b32_e32 v4, 0x7fffffff, v5
	v_cmpx_gt_u32_e32 0x43800000, v4
	s_cbranch_execz .LBB163_1099
; %bb.1094:
	v_and_b32_e32 v2, 0xffff, v3
	v_cmp_lt_u32_e32 vcc_lo, 0x3bffffff, v4
	s_mov_b32 s17, 0
                                        ; implicit-def: $vgpr4
	s_and_saveexec_b32 s18, vcc_lo
	s_xor_b32 s18, exec_lo, s18
	s_cbranch_execz .LBB163_1197
; %bb.1095:
	v_bfe_u32 v4, v2, 4, 1
	s_mov_b32 s17, exec_lo
	v_add3_u32 v4, v5, v4, 0x487ffff
                                        ; implicit-def: $vgpr5
	v_lshrrev_b32_e32 v4, 20, v4
	s_andn2_saveexec_b32 s18, s18
	s_cbranch_execnz .LBB163_1198
.LBB163_1096:
	s_or_b32 exec_lo, exec_lo, s18
	v_mov_b32_e32 v6, 0
	s_and_saveexec_b32 s18, s17
.LBB163_1097:
	v_lshrrev_b32_e32 v2, 8, v2
	v_and_or_b32 v6, 0x80, v2, v4
.LBB163_1098:
	s_or_b32 exec_lo, exec_lo, s18
.LBB163_1099:
	s_or_b32 exec_lo, exec_lo, s16
	global_store_byte v[0:1], v6, off
.LBB163_1100:
	s_mov_b32 s16, 0
.LBB163_1101:
	s_and_b32 vcc_lo, exec_lo, s16
	s_mov_b32 s16, 0
	s_cbranch_vccz .LBB163_1141
; %bb.1102:
	s_cmp_gt_i32 s15, 22
	s_mov_b32 s17, -1
	s_cbranch_scc0 .LBB163_1134
; %bb.1103:
	s_cmp_lt_i32 s15, 24
	s_cbranch_scc1 .LBB163_1123
; %bb.1104:
	s_cmp_gt_i32 s15, 24
	s_cbranch_scc0 .LBB163_1112
; %bb.1105:
	v_lshlrev_b32_e32 v5, 16, v3
	v_mov_b32_e32 v6, 0x80
	s_mov_b32 s17, exec_lo
	v_and_b32_e32 v4, 0x7fffffff, v5
	v_cmpx_gt_u32_e32 0x47800000, v4
	s_cbranch_execz .LBB163_1111
; %bb.1106:
	v_and_b32_e32 v2, 0xffff, v3
	v_cmp_lt_u32_e32 vcc_lo, 0x37ffffff, v4
	s_mov_b32 s18, 0
                                        ; implicit-def: $vgpr4
	s_and_saveexec_b32 s19, vcc_lo
	s_xor_b32 s19, exec_lo, s19
	s_cbranch_execz .LBB163_1361
; %bb.1107:
	v_bfe_u32 v4, v2, 5, 1
	s_mov_b32 s18, exec_lo
	v_add3_u32 v4, v5, v4, 0x88fffff
                                        ; implicit-def: $vgpr5
	v_lshrrev_b32_e32 v4, 21, v4
	s_andn2_saveexec_b32 s19, s19
	s_cbranch_execnz .LBB163_1362
.LBB163_1108:
	s_or_b32 exec_lo, exec_lo, s19
	v_mov_b32_e32 v6, 0
	s_and_saveexec_b32 s19, s18
.LBB163_1109:
	v_lshrrev_b32_e32 v2, 8, v2
	v_and_or_b32 v6, 0x80, v2, v4
.LBB163_1110:
	s_or_b32 exec_lo, exec_lo, s19
.LBB163_1111:
	s_or_b32 exec_lo, exec_lo, s17
	s_mov_b32 s17, 0
	global_store_byte v[0:1], v6, off
.LBB163_1112:
	s_and_b32 vcc_lo, exec_lo, s17
	s_cbranch_vccz .LBB163_1122
; %bb.1113:
	v_lshlrev_b32_e32 v5, 16, v3
	v_and_b32_e32 v2, 0xffff, v3
	s_mov_b32 s17, exec_lo
                                        ; implicit-def: $vgpr4
	v_and_b32_e32 v6, 0x7fffffff, v5
	v_cmpx_gt_u32_e32 0x43f00000, v6
	s_xor_b32 s17, exec_lo, s17
	s_cbranch_execz .LBB163_1119
; %bb.1114:
	s_mov_b32 s18, exec_lo
                                        ; implicit-def: $vgpr4
	v_cmpx_lt_u32_e32 0x3c7fffff, v6
	s_xor_b32 s18, exec_lo, s18
; %bb.1115:
	v_bfe_u32 v4, v2, 4, 1
	v_add3_u32 v4, v5, v4, 0x407ffff
	v_and_b32_e32 v5, 0xff00000, v4
	v_lshrrev_b32_e32 v4, 20, v4
	v_cmp_ne_u32_e32 vcc_lo, 0x7f00000, v5
                                        ; implicit-def: $vgpr5
	v_cndmask_b32_e32 v4, 0x7e, v4, vcc_lo
; %bb.1116:
	s_andn2_saveexec_b32 s18, s18
; %bb.1117:
	v_add_f32_e64 v4, 0x46800000, |v5|
; %bb.1118:
	s_or_b32 exec_lo, exec_lo, s18
                                        ; implicit-def: $vgpr6
.LBB163_1119:
	s_andn2_saveexec_b32 s17, s17
; %bb.1120:
	v_mov_b32_e32 v4, 0x7f
	v_cmp_lt_u32_e32 vcc_lo, 0x7f800000, v6
	v_cndmask_b32_e32 v4, 0x7e, v4, vcc_lo
; %bb.1121:
	s_or_b32 exec_lo, exec_lo, s17
	v_lshrrev_b32_e32 v2, 8, v2
	v_and_or_b32 v2, 0x80, v2, v4
	global_store_byte v[0:1], v2, off
.LBB163_1122:
	s_mov_b32 s17, 0
.LBB163_1123:
	s_andn2_b32 vcc_lo, exec_lo, s17
	s_cbranch_vccnz .LBB163_1133
; %bb.1124:
	v_lshlrev_b32_e32 v5, 16, v3
	v_and_b32_e32 v2, 0xffff, v3
	s_mov_b32 s17, exec_lo
                                        ; implicit-def: $vgpr4
	v_and_b32_e32 v6, 0x7fffffff, v5
	v_cmpx_gt_u32_e32 0x47800000, v6
	s_xor_b32 s17, exec_lo, s17
	s_cbranch_execz .LBB163_1130
; %bb.1125:
	s_mov_b32 s18, exec_lo
                                        ; implicit-def: $vgpr4
	v_cmpx_lt_u32_e32 0x387fffff, v6
	s_xor_b32 s18, exec_lo, s18
; %bb.1126:
	v_bfe_u32 v4, v2, 5, 1
	v_add3_u32 v4, v5, v4, 0x80fffff
                                        ; implicit-def: $vgpr5
	v_lshrrev_b32_e32 v4, 21, v4
; %bb.1127:
	s_andn2_saveexec_b32 s18, s18
; %bb.1128:
	v_add_f32_e64 v4, 0x43000000, |v5|
; %bb.1129:
	s_or_b32 exec_lo, exec_lo, s18
                                        ; implicit-def: $vgpr6
.LBB163_1130:
	s_andn2_saveexec_b32 s17, s17
; %bb.1131:
	v_mov_b32_e32 v4, 0x7f
	v_cmp_lt_u32_e32 vcc_lo, 0x7f800000, v6
	v_cndmask_b32_e32 v4, 0x7c, v4, vcc_lo
; %bb.1132:
	s_or_b32 exec_lo, exec_lo, s17
	v_lshrrev_b32_e32 v2, 8, v2
	v_and_or_b32 v2, 0x80, v2, v4
	global_store_byte v[0:1], v2, off
.LBB163_1133:
	s_mov_b32 s17, 0
.LBB163_1134:
	s_andn2_b32 vcc_lo, exec_lo, s17
	s_mov_b32 s17, 0
	s_cbranch_vccnz .LBB163_1142
; %bb.1135:
	s_cmp_gt_i32 s15, 14
	s_mov_b32 s17, -1
	s_cbranch_scc0 .LBB163_1139
; %bb.1136:
	s_cmp_eq_u32 s15, 15
	s_mov_b32 s0, -1
	s_cbranch_scc0 .LBB163_1138
; %bb.1137:
	s_mov_b32 s0, 0
	global_store_short v[0:1], v3, off
.LBB163_1138:
	s_mov_b32 s17, 0
.LBB163_1139:
	s_and_b32 vcc_lo, exec_lo, s17
	s_mov_b32 s17, 0
	s_cbranch_vccz .LBB163_1142
; %bb.1140:
	s_cmp_lg_u32 s15, 11
	s_mov_b32 s17, -1
	s_cselect_b32 s15, -1, 0
	s_andn2_b32 s0, s0, exec_lo
	s_and_b32 s15, s15, exec_lo
	s_or_b32 s0, s0, s15
	s_branch .LBB163_1142
.LBB163_1141:
	s_mov_b32 s17, 0
.LBB163_1142:
	s_andn2_b32 s6, s6, exec_lo
	s_and_b32 s0, s0, exec_lo
	s_and_b32 s15, s16, exec_lo
	;; [unrolled: 1-line block ×3, first 2 shown]
	s_or_b32 s6, s6, s0
	s_or_b32 exec_lo, exec_lo, s14
	s_and_saveexec_b32 s0, s6
	s_cbranch_execz .LBB163_1071
.LBB163_1143:
	s_or_b32 s7, s7, exec_lo
	s_andn2_b32 s16, s16, exec_lo
	s_trap 2
	s_or_b32 exec_lo, exec_lo, s0
	s_and_saveexec_b32 s0, s16
	s_xor_b32 s0, exec_lo, s0
	s_cbranch_execnz .LBB163_1072
.LBB163_1144:
	s_or_b32 exec_lo, exec_lo, s0
	s_and_saveexec_b32 s0, s15
	s_xor_b32 s0, exec_lo, s0
	s_cbranch_execz .LBB163_1182
.LBB163_1145:
	s_sext_i32_i16 s14, s1
	s_mov_b32 s6, -1
	s_cmp_lt_i32 s14, 5
	s_cbranch_scc1 .LBB163_1166
; %bb.1146:
	s_cmp_lt_i32 s14, 8
	s_cbranch_scc1 .LBB163_1156
; %bb.1147:
	;; [unrolled: 3-line block ×3, first 2 shown]
	s_cmp_gt_i32 s14, 9
	s_cbranch_scc0 .LBB163_1150
; %bb.1149:
	s_waitcnt vmcnt(0)
	v_lshlrev_b32_e32 v2, 16, v3
	v_mov_b32_e32 v6, 0
	s_mov_b32 s6, 0
	v_cvt_f64_f32_e32 v[4:5], v2
	v_mov_b32_e32 v7, v6
	global_store_dwordx4 v[0:1], v[4:7], off
.LBB163_1150:
	s_andn2_b32 vcc_lo, exec_lo, s6
	s_cbranch_vccnz .LBB163_1152
; %bb.1151:
	s_waitcnt vmcnt(0)
	v_lshlrev_b32_e32 v4, 16, v3
	v_mov_b32_e32 v5, 0
	global_store_dwordx2 v[0:1], v[4:5], off
.LBB163_1152:
	s_mov_b32 s6, 0
.LBB163_1153:
	s_andn2_b32 vcc_lo, exec_lo, s6
	s_cbranch_vccnz .LBB163_1155
; %bb.1154:
	s_waitcnt vmcnt(0)
	v_lshlrev_b32_e32 v2, 16, v3
	v_cvt_f16_f32_e32 v2, v2
	v_and_b32_e32 v2, 0xffff, v2
	global_store_dword v[0:1], v2, off
.LBB163_1155:
	s_mov_b32 s6, 0
.LBB163_1156:
	s_andn2_b32 vcc_lo, exec_lo, s6
	s_cbranch_vccnz .LBB163_1165
; %bb.1157:
	s_sext_i32_i16 s14, s1
	s_mov_b32 s6, -1
	s_cmp_lt_i32 s14, 6
	s_cbranch_scc1 .LBB163_1163
; %bb.1158:
	s_cmp_gt_i32 s14, 6
	s_cbranch_scc0 .LBB163_1160
; %bb.1159:
	s_waitcnt vmcnt(0)
	v_lshlrev_b32_e32 v2, 16, v3
	s_mov_b32 s6, 0
	v_cvt_f64_f32_e32 v[4:5], v2
	global_store_dwordx2 v[0:1], v[4:5], off
.LBB163_1160:
	s_andn2_b32 vcc_lo, exec_lo, s6
	s_cbranch_vccnz .LBB163_1162
; %bb.1161:
	s_waitcnt vmcnt(0)
	v_lshlrev_b32_e32 v2, 16, v3
	global_store_dword v[0:1], v2, off
.LBB163_1162:
	s_mov_b32 s6, 0
.LBB163_1163:
	s_andn2_b32 vcc_lo, exec_lo, s6
	s_cbranch_vccnz .LBB163_1165
; %bb.1164:
	s_waitcnt vmcnt(0)
	v_lshlrev_b32_e32 v2, 16, v3
	v_cvt_f16_f32_e32 v2, v2
	global_store_short v[0:1], v2, off
.LBB163_1165:
	s_mov_b32 s6, 0
.LBB163_1166:
	s_andn2_b32 vcc_lo, exec_lo, s6
	s_cbranch_vccnz .LBB163_1182
; %bb.1167:
	s_sext_i32_i16 s14, s1
	s_mov_b32 s6, -1
	s_cmp_lt_i32 s14, 2
	s_cbranch_scc1 .LBB163_1177
; %bb.1168:
	s_cmp_lt_i32 s14, 3
	s_cbranch_scc1 .LBB163_1174
; %bb.1169:
	s_cmp_gt_i32 s14, 3
	s_cbranch_scc0 .LBB163_1171
; %bb.1170:
	s_waitcnt vmcnt(0)
	v_lshlrev_b32_e32 v2, 16, v3
	s_mov_b32 s6, 0
	v_trunc_f32_e32 v2, v2
	v_mul_f32_e64 v4, 0x2f800000, |v2|
	v_floor_f32_e32 v4, v4
	v_fma_f32 v5, 0xcf800000, v4, |v2|
	v_ashrrev_i32_e32 v2, 31, v2
	v_cvt_u32_f32_e32 v4, v4
	v_cvt_u32_f32_e32 v5, v5
	v_xor_b32_e32 v6, v4, v2
	v_xor_b32_e32 v5, v5, v2
	v_sub_co_u32 v4, vcc_lo, v5, v2
	v_sub_co_ci_u32_e64 v5, null, v6, v2, vcc_lo
	global_store_dwordx2 v[0:1], v[4:5], off
.LBB163_1171:
	s_andn2_b32 vcc_lo, exec_lo, s6
	s_cbranch_vccnz .LBB163_1173
; %bb.1172:
	s_waitcnt vmcnt(0)
	v_lshlrev_b32_e32 v2, 16, v3
	v_cvt_i32_f32_e32 v2, v2
	global_store_dword v[0:1], v2, off
.LBB163_1173:
	s_mov_b32 s6, 0
.LBB163_1174:
	s_andn2_b32 vcc_lo, exec_lo, s6
	s_cbranch_vccnz .LBB163_1176
; %bb.1175:
	s_waitcnt vmcnt(0)
	v_lshlrev_b32_e32 v2, 16, v3
	v_cvt_i32_f32_e32 v2, v2
	global_store_short v[0:1], v2, off
.LBB163_1176:
	s_mov_b32 s6, 0
.LBB163_1177:
	s_andn2_b32 vcc_lo, exec_lo, s6
	s_cbranch_vccnz .LBB163_1182
; %bb.1178:
	s_waitcnt vmcnt(0)
	v_lshlrev_b32_e32 v2, 16, v3
	s_sext_i32_i16 s1, s1
	s_cmp_gt_i32 s1, 0
	s_mov_b32 s1, -1
	s_cbranch_scc0 .LBB163_1180
; %bb.1179:
	v_cvt_i32_f32_e32 v3, v2
	s_mov_b32 s1, 0
	global_store_byte v[0:1], v3, off
.LBB163_1180:
	s_andn2_b32 vcc_lo, exec_lo, s1
	s_cbranch_vccnz .LBB163_1182
; %bb.1181:
	v_trunc_f32_e32 v2, v2
	v_mul_f32_e64 v3, 0x2f800000, |v2|
	v_floor_f32_e32 v3, v3
	v_fma_f32 v3, 0xcf800000, v3, |v2|
	v_ashrrev_i32_e32 v2, 31, v2
	v_cvt_u32_f32_e32 v3, v3
	v_xor_b32_e32 v3, v3, v2
	v_sub_nc_u32_e32 v2, v3, v2
	global_store_byte v[0:1], v2, off
.LBB163_1182:
	s_or_b32 exec_lo, exec_lo, s0
	s_and_b32 s6, s7, exec_lo
                                        ; implicit-def: $vgpr2
.LBB163_1183:
	s_or_saveexec_b32 s7, s4
	s_mov_b32 s0, 0
                                        ; implicit-def: $sgpr4
                                        ; implicit-def: $vgpr0_vgpr1
                                        ; implicit-def: $vgpr3
	s_xor_b32 exec_lo, exec_lo, s7
	s_cbranch_execz .LBB163_2287
; %bb.1184:
	v_mul_lo_u32 v5, s13, v2
	s_and_b32 s4, 0xffff, s3
	s_cmp_lt_i32 s4, 11
	v_ashrrev_i32_e32 v1, 31, v5
	v_add_co_u32 v0, vcc_lo, s10, v5
	v_add_co_ci_u32_e64 v1, null, s11, v1, vcc_lo
	s_cbranch_scc1 .LBB163_1191
; %bb.1185:
	s_cmp_gt_i32 s4, 25
	s_mov_b32 s1, 0
	s_cbranch_scc0 .LBB163_1193
; %bb.1186:
	s_cmp_gt_i32 s4, 28
	s_cbranch_scc0 .LBB163_1194
; %bb.1187:
	s_cmp_gt_i32 s4, 43
	;; [unrolled: 3-line block ×3, first 2 shown]
	s_cbranch_scc0 .LBB163_1196
; %bb.1189:
	s_cmp_eq_u32 s4, 46
	s_mov_b32 s3, 0
	s_cbranch_scc0 .LBB163_1199
; %bb.1190:
	global_load_dword v3, v[0:1], off
	s_mov_b32 s2, -1
	s_branch .LBB163_1201
.LBB163_1191:
	s_mov_b32 s14, s6
                                        ; implicit-def: $vgpr3
	s_cbranch_execnz .LBB163_1264
.LBB163_1192:
	s_andn2_b32 vcc_lo, exec_lo, s2
	s_cbranch_vccz .LBB163_1309
	s_branch .LBB163_2285
.LBB163_1193:
                                        ; implicit-def: $vgpr3
	s_cbranch_execnz .LBB163_1229
	s_branch .LBB163_1260
.LBB163_1194:
	s_mov_b32 s3, -1
                                        ; implicit-def: $vgpr3
	s_branch .LBB163_1210
.LBB163_1195:
                                        ; implicit-def: $vgpr3
	s_cbranch_execnz .LBB163_1206
	s_branch .LBB163_1209
.LBB163_1196:
	s_mov_b32 s3, -1
	s_branch .LBB163_1200
.LBB163_1197:
	s_andn2_saveexec_b32 s18, s18
	s_cbranch_execz .LBB163_1096
.LBB163_1198:
	v_add_f32_e64 v4, 0x46000000, |v5|
	s_andn2_b32 s17, s17, exec_lo
	v_and_b32_e32 v4, 0xff, v4
	v_cmp_ne_u32_e32 vcc_lo, 0, v4
	s_and_b32 s19, vcc_lo, exec_lo
	s_or_b32 s17, s17, s19
	s_or_b32 exec_lo, exec_lo, s18
	v_mov_b32_e32 v6, 0
	s_and_saveexec_b32 s18, s17
	s_cbranch_execnz .LBB163_1097
	s_branch .LBB163_1098
.LBB163_1199:
	s_mov_b32 s0, -1
.LBB163_1200:
                                        ; implicit-def: $vgpr3
.LBB163_1201:
	s_and_b32 vcc_lo, exec_lo, s3
	s_cbranch_vccz .LBB163_1204
; %bb.1202:
	s_cmp_eq_u32 s4, 44
	s_cbranch_scc0 .LBB163_1205
; %bb.1203:
	global_load_ubyte v3, v[0:1], off
	s_mov_b32 s0, 0
	s_mov_b32 s2, -1
	s_waitcnt vmcnt(0)
	v_lshlrev_b32_e32 v4, 23, v3
	v_cmp_ne_u32_e32 vcc_lo, 0xff, v3
	v_cndmask_b32_e32 v4, 0x7f800001, v4, vcc_lo
	v_cmp_ne_u32_e32 vcc_lo, 0, v3
	v_cndmask_b32_e32 v3, 0x400000, v4, vcc_lo
	v_mov_b32_e32 v4, 0x7fc0
	v_cmp_o_f32_e32 vcc_lo, v3, v3
	v_add_nc_u32_e32 v3, 0x7fff, v3
	v_cndmask_b32_sdwa v3, v4, v3, vcc_lo dst_sel:DWORD dst_unused:UNUSED_PAD src0_sel:DWORD src1_sel:WORD_1
.LBB163_1204:
	s_branch .LBB163_1209
.LBB163_1205:
	s_mov_b32 s0, -1
                                        ; implicit-def: $vgpr3
	s_branch .LBB163_1209
.LBB163_1206:
	s_cmp_eq_u32 s4, 29
	s_cbranch_scc0 .LBB163_1208
; %bb.1207:
	global_load_dwordx2 v[3:4], v[0:1], off
	s_mov_b32 s0, 0
	s_mov_b32 s2, -1
	s_mov_b32 s3, 0
	s_waitcnt vmcnt(0)
	v_ffbh_u32_e32 v6, v4
	v_min_u32_e32 v6, 32, v6
	v_lshlrev_b64 v[3:4], v6, v[3:4]
	v_min_u32_e32 v3, 1, v3
	v_or_b32_e32 v3, v4, v3
	v_sub_nc_u32_e32 v4, 32, v6
	v_cvt_f32_u32_e32 v3, v3
	v_ldexp_f32 v3, v3, v4
	v_bfe_u32 v4, v3, 16, 1
	v_add3_u32 v3, v3, v4, 0x7fff
	v_lshrrev_b32_e32 v3, 16, v3
	s_branch .LBB163_1210
.LBB163_1208:
	s_mov_b32 s0, -1
                                        ; implicit-def: $vgpr3
.LBB163_1209:
	s_mov_b32 s3, 0
.LBB163_1210:
	s_and_b32 vcc_lo, exec_lo, s3
	s_cbranch_vccz .LBB163_1228
; %bb.1211:
	s_cmp_lt_i32 s4, 27
	s_cbranch_scc1 .LBB163_1214
; %bb.1212:
	s_cmp_gt_i32 s4, 27
	s_cbranch_scc0 .LBB163_1215
; %bb.1213:
	global_load_dword v3, v[0:1], off
	s_mov_b32 s2, 0
	s_waitcnt vmcnt(0)
	v_cvt_f32_u32_e32 v3, v3
	v_bfe_u32 v4, v3, 16, 1
	v_add3_u32 v3, v3, v4, 0x7fff
	v_lshrrev_b32_e32 v3, 16, v3
	s_branch .LBB163_1216
.LBB163_1214:
	s_mov_b32 s2, -1
                                        ; implicit-def: $vgpr3
	s_branch .LBB163_1219
.LBB163_1215:
	s_mov_b32 s2, -1
                                        ; implicit-def: $vgpr3
.LBB163_1216:
	s_andn2_b32 vcc_lo, exec_lo, s2
	s_cbranch_vccnz .LBB163_1218
; %bb.1217:
	global_load_ushort v3, v[0:1], off
	s_waitcnt vmcnt(0)
	v_cvt_f32_u32_e32 v3, v3
	v_bfe_u32 v4, v3, 16, 1
	v_add3_u32 v3, v3, v4, 0x7fff
	v_lshrrev_b32_e32 v3, 16, v3
.LBB163_1218:
	s_mov_b32 s2, 0
.LBB163_1219:
	s_andn2_b32 vcc_lo, exec_lo, s2
	s_cbranch_vccnz .LBB163_1227
; %bb.1220:
	global_load_ubyte v3, v[0:1], off
	s_mov_b32 s2, 0
	s_mov_b32 s3, exec_lo
	s_waitcnt vmcnt(0)
	v_cmpx_lt_i16_e32 0x7f, v3
	s_xor_b32 s3, exec_lo, s3
	s_cbranch_execz .LBB163_1240
; %bb.1221:
	s_mov_b32 s2, -1
	s_mov_b32 s14, exec_lo
	v_cmpx_eq_u16_e32 0x80, v3
; %bb.1222:
	s_xor_b32 s2, exec_lo, -1
; %bb.1223:
	s_or_b32 exec_lo, exec_lo, s14
	s_and_b32 s2, s2, exec_lo
	s_or_saveexec_b32 s3, s3
	v_mov_b32_e32 v4, 0x7f800001
	s_xor_b32 exec_lo, exec_lo, s3
	s_cbranch_execnz .LBB163_1241
.LBB163_1224:
	s_or_b32 exec_lo, exec_lo, s3
	s_and_saveexec_b32 s3, s2
	s_cbranch_execz .LBB163_1226
.LBB163_1225:
	v_and_b32_e32 v4, 0xffff, v3
	v_lshlrev_b32_e32 v3, 24, v3
	v_and_b32_e32 v6, 7, v4
	v_bfe_u32 v9, v4, 3, 4
	v_and_b32_e32 v3, 0x80000000, v3
	v_ffbh_u32_e32 v7, v6
	v_cmp_eq_u32_e32 vcc_lo, 0, v9
	v_min_u32_e32 v7, 32, v7
	v_subrev_nc_u32_e32 v8, 28, v7
	v_sub_nc_u32_e32 v7, 29, v7
	v_lshlrev_b32_e32 v4, v8, v4
	v_cndmask_b32_e32 v7, v9, v7, vcc_lo
	v_and_b32_e32 v4, 7, v4
	v_cndmask_b32_e32 v4, v6, v4, vcc_lo
	v_lshl_add_u32 v6, v7, 23, 0x3b800000
	v_lshlrev_b32_e32 v4, 20, v4
	v_or3_b32 v4, v3, v6, v4
.LBB163_1226:
	s_or_b32 exec_lo, exec_lo, s3
	v_bfe_u32 v3, v4, 16, 1
	v_cmp_o_f32_e32 vcc_lo, v4, v4
	v_add3_u32 v3, v4, v3, 0x7fff
	v_mov_b32_e32 v4, 0x7fc0
	v_cndmask_b32_sdwa v3, v4, v3, vcc_lo dst_sel:DWORD dst_unused:UNUSED_PAD src0_sel:DWORD src1_sel:WORD_1
.LBB163_1227:
	s_mov_b32 s2, -1
.LBB163_1228:
	s_branch .LBB163_1260
.LBB163_1229:
	s_cmp_gt_i32 s4, 22
	s_cbranch_scc0 .LBB163_1239
; %bb.1230:
	s_cmp_lt_i32 s4, 24
	s_cbranch_scc1 .LBB163_1242
; %bb.1231:
	s_cmp_gt_i32 s4, 24
	s_cbranch_scc0 .LBB163_1243
; %bb.1232:
	global_load_ubyte v3, v[0:1], off
	s_mov_b32 s2, exec_lo
	s_waitcnt vmcnt(0)
	v_cmpx_lt_i16_e32 0x7f, v3
	s_xor_b32 s2, exec_lo, s2
	s_cbranch_execz .LBB163_1254
; %bb.1233:
	s_mov_b32 s1, -1
	s_mov_b32 s3, exec_lo
	v_cmpx_eq_u16_e32 0x80, v3
; %bb.1234:
	s_xor_b32 s1, exec_lo, -1
; %bb.1235:
	s_or_b32 exec_lo, exec_lo, s3
	s_and_b32 s1, s1, exec_lo
	s_or_saveexec_b32 s2, s2
	v_mov_b32_e32 v4, 0x7f800001
	s_xor_b32 exec_lo, exec_lo, s2
	s_cbranch_execnz .LBB163_1255
.LBB163_1236:
	s_or_b32 exec_lo, exec_lo, s2
	s_and_saveexec_b32 s2, s1
	s_cbranch_execz .LBB163_1238
.LBB163_1237:
	v_and_b32_e32 v4, 0xffff, v3
	v_lshlrev_b32_e32 v3, 24, v3
	v_and_b32_e32 v6, 3, v4
	v_bfe_u32 v9, v4, 2, 5
	v_and_b32_e32 v3, 0x80000000, v3
	v_ffbh_u32_e32 v7, v6
	v_cmp_eq_u32_e32 vcc_lo, 0, v9
	v_min_u32_e32 v7, 32, v7
	v_subrev_nc_u32_e32 v8, 29, v7
	v_sub_nc_u32_e32 v7, 30, v7
	v_lshlrev_b32_e32 v4, v8, v4
	v_cndmask_b32_e32 v7, v9, v7, vcc_lo
	v_and_b32_e32 v4, 3, v4
	v_cndmask_b32_e32 v4, v6, v4, vcc_lo
	v_lshl_add_u32 v6, v7, 23, 0x37800000
	v_lshlrev_b32_e32 v4, 21, v4
	v_or3_b32 v4, v3, v6, v4
.LBB163_1238:
	s_or_b32 exec_lo, exec_lo, s2
	v_bfe_u32 v3, v4, 16, 1
	v_cmp_o_f32_e32 vcc_lo, v4, v4
	s_mov_b32 s1, 0
	v_add3_u32 v3, v4, v3, 0x7fff
	v_mov_b32_e32 v4, 0x7fc0
	v_cndmask_b32_sdwa v3, v4, v3, vcc_lo dst_sel:DWORD dst_unused:UNUSED_PAD src0_sel:DWORD src1_sel:WORD_1
	s_branch .LBB163_1244
.LBB163_1239:
                                        ; implicit-def: $vgpr3
	s_mov_b32 s1, 0
	s_branch .LBB163_1250
.LBB163_1240:
	s_or_saveexec_b32 s3, s3
	v_mov_b32_e32 v4, 0x7f800001
	s_xor_b32 exec_lo, exec_lo, s3
	s_cbranch_execz .LBB163_1224
.LBB163_1241:
	v_cmp_ne_u16_e32 vcc_lo, 0, v3
	v_mov_b32_e32 v4, 0
	s_andn2_b32 s2, s2, exec_lo
	s_and_b32 s14, vcc_lo, exec_lo
	s_or_b32 s2, s2, s14
	s_or_b32 exec_lo, exec_lo, s3
	s_and_saveexec_b32 s3, s2
	s_cbranch_execnz .LBB163_1225
	s_branch .LBB163_1226
.LBB163_1242:
	s_mov_b32 s1, -1
                                        ; implicit-def: $vgpr3
	s_branch .LBB163_1247
.LBB163_1243:
	s_mov_b32 s1, -1
                                        ; implicit-def: $vgpr3
.LBB163_1244:
	s_and_b32 vcc_lo, exec_lo, s1
	s_cbranch_vccz .LBB163_1246
; %bb.1245:
	global_load_ubyte v3, v[0:1], off
	s_waitcnt vmcnt(0)
	v_lshlrev_b32_e32 v3, 24, v3
	v_and_b32_e32 v4, 0x7f000000, v3
	v_ffbh_u32_e32 v6, v4
	v_add_nc_u32_e32 v8, 0x1000000, v4
	v_cmp_ne_u32_e32 vcc_lo, 0, v4
	v_min_u32_e32 v6, 32, v6
	v_sub_nc_u32_e64 v6, v6, 4 clamp
	v_lshlrev_b32_e32 v7, v6, v4
	v_lshlrev_b32_e32 v6, 23, v6
	v_lshrrev_b32_e32 v7, 4, v7
	v_sub_nc_u32_e32 v6, v7, v6
	v_ashrrev_i32_e32 v7, 8, v8
	v_add_nc_u32_e32 v6, 0x3c000000, v6
	v_and_or_b32 v6, 0x7f800000, v7, v6
	v_cndmask_b32_e32 v4, 0, v6, vcc_lo
	v_and_or_b32 v3, 0x80000000, v3, v4
	v_bfe_u32 v4, v4, 16, 1
	v_cmp_o_f32_e32 vcc_lo, v3, v3
	v_add3_u32 v3, v3, v4, 0x7fff
	v_mov_b32_e32 v4, 0x7fc0
	v_cndmask_b32_sdwa v3, v4, v3, vcc_lo dst_sel:DWORD dst_unused:UNUSED_PAD src0_sel:DWORD src1_sel:WORD_1
.LBB163_1246:
	s_mov_b32 s1, 0
.LBB163_1247:
	s_andn2_b32 vcc_lo, exec_lo, s1
	s_cbranch_vccnz .LBB163_1249
; %bb.1248:
	global_load_ubyte v3, v[0:1], off
	s_waitcnt vmcnt(0)
	v_lshlrev_b32_e32 v4, 25, v3
	v_lshlrev_b16 v3, 8, v3
	v_lshrrev_b32_e32 v6, 4, v4
	v_and_or_b32 v7, 0x7f00, v3, 0.5
	v_cmp_gt_u32_e32 vcc_lo, 0x8000000, v4
	v_bfe_i32 v3, v3, 0, 16
	v_or_b32_e32 v6, 0x70000000, v6
	v_add_f32_e32 v7, -0.5, v7
	v_mul_f32_e32 v6, 0x7800000, v6
	v_cndmask_b32_e32 v4, v6, v7, vcc_lo
	v_and_or_b32 v3, 0x80000000, v3, v4
	v_bfe_u32 v4, v4, 16, 1
	v_cmp_o_f32_e32 vcc_lo, v3, v3
	v_add3_u32 v3, v3, v4, 0x7fff
	v_mov_b32_e32 v4, 0x7fc0
	v_cndmask_b32_sdwa v3, v4, v3, vcc_lo dst_sel:DWORD dst_unused:UNUSED_PAD src0_sel:DWORD src1_sel:WORD_1
.LBB163_1249:
	s_mov_b32 s2, -1
	s_mov_b32 s1, 0
	s_cbranch_execnz .LBB163_1260
.LBB163_1250:
	s_cmp_gt_i32 s4, 14
	s_cbranch_scc0 .LBB163_1253
; %bb.1251:
	s_cmp_eq_u32 s4, 15
	s_cbranch_scc0 .LBB163_1256
; %bb.1252:
	global_load_ushort v3, v[0:1], off
	s_mov_b32 s0, 0
	s_mov_b32 s2, -1
	s_branch .LBB163_1258
.LBB163_1253:
	s_mov_b32 s1, -1
	s_branch .LBB163_1257
.LBB163_1254:
	s_or_saveexec_b32 s2, s2
	v_mov_b32_e32 v4, 0x7f800001
	s_xor_b32 exec_lo, exec_lo, s2
	s_cbranch_execz .LBB163_1236
.LBB163_1255:
	v_cmp_ne_u16_e32 vcc_lo, 0, v3
	v_mov_b32_e32 v4, 0
	s_andn2_b32 s1, s1, exec_lo
	s_and_b32 s3, vcc_lo, exec_lo
	s_or_b32 s1, s1, s3
	s_or_b32 exec_lo, exec_lo, s2
	s_and_saveexec_b32 s2, s1
	s_cbranch_execnz .LBB163_1237
	s_branch .LBB163_1238
.LBB163_1256:
	s_mov_b32 s0, -1
.LBB163_1257:
                                        ; implicit-def: $vgpr3
.LBB163_1258:
	s_and_b32 vcc_lo, exec_lo, s1
	s_mov_b32 s1, 0
	s_cbranch_vccz .LBB163_1260
; %bb.1259:
	s_cmp_lg_u32 s4, 11
	s_mov_b32 s1, -1
	s_cselect_b32 s0, -1, 0
.LBB163_1260:
	s_and_b32 vcc_lo, exec_lo, s0
	s_mov_b32 s14, s6
	s_cbranch_vccnz .LBB163_1359
; %bb.1261:
	s_andn2_b32 vcc_lo, exec_lo, s1
	s_cbranch_vccnz .LBB163_1263
.LBB163_1262:
	global_load_ubyte v3, v[0:1], off
	s_mov_b32 s2, -1
	s_waitcnt vmcnt(0)
	v_cmp_ne_u16_e32 vcc_lo, 0, v3
	v_cndmask_b32_e64 v3, 0, 1.0, vcc_lo
	v_lshrrev_b32_e32 v3, 16, v3
.LBB163_1263:
	s_branch .LBB163_1192
.LBB163_1264:
	s_cmp_lt_i32 s4, 5
	s_cbranch_scc1 .LBB163_1269
; %bb.1265:
	s_cmp_lt_i32 s4, 8
	s_cbranch_scc1 .LBB163_1270
; %bb.1266:
	;; [unrolled: 3-line block ×3, first 2 shown]
	s_cmp_gt_i32 s4, 9
	s_cbranch_scc0 .LBB163_1272
; %bb.1268:
	global_load_dwordx2 v[3:4], v[0:1], off
	s_mov_b32 s0, 0
	s_waitcnt vmcnt(0)
	v_cvt_f32_f64_e32 v3, v[3:4]
	v_bfe_u32 v4, v3, 16, 1
	v_cmp_o_f32_e32 vcc_lo, v3, v3
	v_add3_u32 v3, v3, v4, 0x7fff
	v_mov_b32_e32 v4, 0x7fc0
	v_cndmask_b32_sdwa v3, v4, v3, vcc_lo dst_sel:DWORD dst_unused:UNUSED_PAD src0_sel:DWORD src1_sel:WORD_1
	s_branch .LBB163_1273
.LBB163_1269:
                                        ; implicit-def: $vgpr3
	s_branch .LBB163_1290
.LBB163_1270:
                                        ; implicit-def: $vgpr3
	s_branch .LBB163_1279
.LBB163_1271:
	s_mov_b32 s0, -1
                                        ; implicit-def: $vgpr3
	s_branch .LBB163_1276
.LBB163_1272:
	s_mov_b32 s0, -1
                                        ; implicit-def: $vgpr3
.LBB163_1273:
	s_andn2_b32 vcc_lo, exec_lo, s0
	s_cbranch_vccnz .LBB163_1275
; %bb.1274:
	global_load_dword v3, v[0:1], off
	s_waitcnt vmcnt(0)
	v_bfe_u32 v4, v3, 16, 1
	v_cmp_o_f32_e32 vcc_lo, v3, v3
	v_add3_u32 v3, v3, v4, 0x7fff
	v_mov_b32_e32 v4, 0x7fc0
	v_cndmask_b32_sdwa v3, v4, v3, vcc_lo dst_sel:DWORD dst_unused:UNUSED_PAD src0_sel:DWORD src1_sel:WORD_1
.LBB163_1275:
	s_mov_b32 s0, 0
.LBB163_1276:
	s_andn2_b32 vcc_lo, exec_lo, s0
	s_cbranch_vccnz .LBB163_1278
; %bb.1277:
	global_load_dword v3, v[0:1], off
	s_waitcnt vmcnt(0)
	v_cvt_f32_f16_e32 v4, v3
	v_cmp_o_f16_e32 vcc_lo, v3, v3
	v_bfe_u32 v6, v4, 16, 1
	v_add3_u32 v3, v4, v6, 0x7fff
	v_mov_b32_e32 v4, 0x7fc0
	v_cndmask_b32_sdwa v3, v4, v3, vcc_lo dst_sel:DWORD dst_unused:UNUSED_PAD src0_sel:DWORD src1_sel:WORD_1
.LBB163_1278:
	s_cbranch_execnz .LBB163_1289
.LBB163_1279:
	s_cmp_lt_i32 s4, 6
	s_cbranch_scc1 .LBB163_1282
; %bb.1280:
	s_cmp_gt_i32 s4, 6
	s_cbranch_scc0 .LBB163_1283
; %bb.1281:
	global_load_dwordx2 v[3:4], v[0:1], off
	s_mov_b32 s0, 0
	s_waitcnt vmcnt(0)
	v_cvt_f32_f64_e32 v3, v[3:4]
	v_bfe_u32 v4, v3, 16, 1
	v_cmp_o_f32_e32 vcc_lo, v3, v3
	v_add3_u32 v3, v3, v4, 0x7fff
	v_mov_b32_e32 v4, 0x7fc0
	v_cndmask_b32_sdwa v3, v4, v3, vcc_lo dst_sel:DWORD dst_unused:UNUSED_PAD src0_sel:DWORD src1_sel:WORD_1
	s_branch .LBB163_1284
.LBB163_1282:
	s_mov_b32 s0, -1
                                        ; implicit-def: $vgpr3
	s_branch .LBB163_1287
.LBB163_1283:
	s_mov_b32 s0, -1
                                        ; implicit-def: $vgpr3
.LBB163_1284:
	s_andn2_b32 vcc_lo, exec_lo, s0
	s_cbranch_vccnz .LBB163_1286
; %bb.1285:
	global_load_dword v3, v[0:1], off
	s_waitcnt vmcnt(0)
	v_bfe_u32 v4, v3, 16, 1
	v_cmp_o_f32_e32 vcc_lo, v3, v3
	v_add3_u32 v3, v3, v4, 0x7fff
	v_mov_b32_e32 v4, 0x7fc0
	v_cndmask_b32_sdwa v3, v4, v3, vcc_lo dst_sel:DWORD dst_unused:UNUSED_PAD src0_sel:DWORD src1_sel:WORD_1
.LBB163_1286:
	s_mov_b32 s0, 0
.LBB163_1287:
	s_andn2_b32 vcc_lo, exec_lo, s0
	s_cbranch_vccnz .LBB163_1289
; %bb.1288:
	global_load_ushort v3, v[0:1], off
	s_waitcnt vmcnt(0)
	v_cvt_f32_f16_e32 v4, v3
	v_cmp_o_f16_e32 vcc_lo, v3, v3
	v_bfe_u32 v6, v4, 16, 1
	v_add3_u32 v3, v4, v6, 0x7fff
	v_mov_b32_e32 v4, 0x7fc0
	v_cndmask_b32_sdwa v3, v4, v3, vcc_lo dst_sel:DWORD dst_unused:UNUSED_PAD src0_sel:DWORD src1_sel:WORD_1
.LBB163_1289:
	s_cbranch_execnz .LBB163_1308
.LBB163_1290:
	s_cmp_lt_i32 s4, 2
	s_cbranch_scc1 .LBB163_1294
; %bb.1291:
	s_cmp_lt_i32 s4, 3
	s_cbranch_scc1 .LBB163_1295
; %bb.1292:
	s_cmp_gt_i32 s4, 3
	s_cbranch_scc0 .LBB163_1296
; %bb.1293:
	global_load_dwordx2 v[3:4], v[0:1], off
	s_mov_b32 s0, 0
	s_waitcnt vmcnt(0)
	v_xor_b32_e32 v6, v3, v4
	v_ffbh_i32_e32 v7, v4
	v_ashrrev_i32_e32 v6, 31, v6
	v_add_nc_u32_e32 v7, -1, v7
	v_add_nc_u32_e32 v6, 32, v6
	v_min_u32_e32 v6, v7, v6
	v_lshlrev_b64 v[3:4], v6, v[3:4]
	v_min_u32_e32 v3, 1, v3
	v_or_b32_e32 v3, v4, v3
	v_sub_nc_u32_e32 v4, 32, v6
	v_cvt_f32_i32_e32 v3, v3
	v_ldexp_f32 v3, v3, v4
	v_bfe_u32 v4, v3, 16, 1
	v_add3_u32 v3, v3, v4, 0x7fff
	v_lshrrev_b32_e32 v3, 16, v3
	s_branch .LBB163_1297
.LBB163_1294:
                                        ; implicit-def: $vgpr3
	s_branch .LBB163_1303
.LBB163_1295:
	s_mov_b32 s0, -1
                                        ; implicit-def: $vgpr3
	s_branch .LBB163_1300
.LBB163_1296:
	s_mov_b32 s0, -1
                                        ; implicit-def: $vgpr3
.LBB163_1297:
	s_andn2_b32 vcc_lo, exec_lo, s0
	s_cbranch_vccnz .LBB163_1299
; %bb.1298:
	global_load_dword v3, v[0:1], off
	s_waitcnt vmcnt(0)
	v_cvt_f32_i32_e32 v3, v3
	v_bfe_u32 v4, v3, 16, 1
	v_add3_u32 v3, v3, v4, 0x7fff
	v_lshrrev_b32_e32 v3, 16, v3
.LBB163_1299:
	s_mov_b32 s0, 0
.LBB163_1300:
	s_andn2_b32 vcc_lo, exec_lo, s0
	s_cbranch_vccnz .LBB163_1302
; %bb.1301:
	global_load_sshort v3, v[0:1], off
	s_waitcnt vmcnt(0)
	v_cvt_f32_i32_e32 v3, v3
	v_bfe_u32 v4, v3, 16, 1
	v_add3_u32 v3, v3, v4, 0x7fff
	v_lshrrev_b32_e32 v3, 16, v3
.LBB163_1302:
	s_cbranch_execnz .LBB163_1308
.LBB163_1303:
	s_cmp_gt_i32 s4, 0
	s_mov_b32 s0, 0
	s_cbranch_scc0 .LBB163_1305
; %bb.1304:
	global_load_sbyte v3, v[0:1], off
	s_waitcnt vmcnt(0)
	v_cvt_f32_i32_e32 v3, v3
	v_bfe_u32 v4, v3, 16, 1
	v_add3_u32 v3, v3, v4, 0x7fff
	v_lshrrev_b32_e32 v3, 16, v3
	s_branch .LBB163_1306
.LBB163_1305:
	s_mov_b32 s0, -1
                                        ; implicit-def: $vgpr3
.LBB163_1306:
	s_andn2_b32 vcc_lo, exec_lo, s0
	s_cbranch_vccnz .LBB163_1308
; %bb.1307:
	global_load_ubyte v0, v[0:1], off
	s_waitcnt vmcnt(0)
	v_cvt_f32_ubyte0_e32 v0, v0
	v_bfe_u32 v1, v0, 16, 1
	v_add3_u32 v0, v0, v1, 0x7fff
	v_lshrrev_b32_e32 v3, 16, v0
.LBB163_1308:
.LBB163_1309:
	s_waitcnt vmcnt(0)
	v_lshlrev_b32_e32 v3, 16, v3
	s_mov_b32 s1, exec_lo
                                        ; implicit-def: $vgpr4
	v_and_b32_e32 v0, 0x7fffffff, v3
	v_cmpx_ngt_f32_e64 0x3c800000, |v3|
	s_xor_b32 s1, exec_lo, s1
	s_cbranch_execz .LBB163_1339
; %bb.1310:
	s_mov_b32 s2, exec_lo
                                        ; implicit-def: $vgpr4
	v_cmpx_nlt_f32_e64 |v3|, 2.0
	s_xor_b32 s2, exec_lo, s2
	s_cbranch_execz .LBB163_1320
; %bb.1311:
	v_cmp_ngt_f32_e64 s0, 0x41000000, |v3|
                                        ; implicit-def: $vgpr4
	s_and_saveexec_b32 s3, s0
	s_xor_b32 s0, exec_lo, s3
	s_cbranch_execz .LBB163_1317
; %bb.1312:
	v_cmp_ngt_f32_e64 s3, 0x5c800000, |v3|
                                        ; implicit-def: $vgpr4
	s_and_saveexec_b32 s15, s3
	s_xor_b32 s3, exec_lo, s15
	s_cbranch_execz .LBB163_1314
; %bb.1313:
	v_cmp_gt_f32_e64 s15, 0x800000, |v3|
	v_cndmask_b32_e64 v1, 0, 32, s15
	v_ldexp_f32 v1, |v3|, v1
	v_log_f32_e32 v1, v1
	v_mul_f32_e32 v4, 0x3f317217, v1
	v_cmp_gt_f32_e64 vcc_lo, 0x7f800000, |v1|
	v_fma_f32 v6, 0x3f317217, v1, -v4
	v_fmamk_f32 v6, v1, 0x3377d1cf, v6
	v_add_f32_e32 v4, v4, v6
	v_cndmask_b32_e32 v1, v1, v4, vcc_lo
	v_cndmask_b32_e64 v4, 0, 0x41b17218, s15
	v_sub_f32_e32 v1, v1, v4
	v_fma_f32 v4, |v3|, v1, -|v3|
.LBB163_1314:
	s_andn2_saveexec_b32 s3, s3
	s_cbranch_execz .LBB163_1316
; %bb.1315:
	v_cmp_gt_f32_e64 s15, 0x800000, |v3|
	v_rcp_f32_e64 v4, |v3|
	s_mov_b32 s16, 0xbad5c4e8
	v_cndmask_b32_e64 v1, 0, 32, s15
	v_ldexp_f32 v1, |v3|, v1
	v_mul_f32_e32 v6, v4, v4
	v_log_f32_e32 v1, v1
	v_fmaak_f32 v8, s16, v6, 0x3a5b3dd2
	v_fmaak_f32 v8, v6, v8, 0xba1c065c
	v_mul_f32_e32 v7, 0x3f317217, v1
	v_fmaak_f32 v8, v6, v8, 0x3a500cfd
	v_cmp_gt_f32_e64 vcc_lo, 0x7f800000, |v1|
	v_fma_f32 v9, 0x3f317217, v1, -v7
	v_fmaak_f32 v8, v6, v8, 0xbb360b61
	v_fmamk_f32 v9, v1, 0x3377d1cf, v9
	v_fmaak_f32 v6, v6, v8, 0x3daaaaab
	v_add_f32_e32 v7, v7, v9
	v_fmaak_f32 v4, v4, v6, 0x3ed67f1d
	v_add_f32_e64 v6, |v3|, -0.5
	v_cndmask_b32_e32 v1, v1, v7, vcc_lo
	v_cndmask_b32_e64 v7, 0, 0x41b17218, s15
	v_sub_f32_e32 v1, v1, v7
	v_add_f32_e32 v1, -1.0, v1
	v_fmac_f32_e32 v4, v6, v1
.LBB163_1316:
	s_or_b32 exec_lo, exec_lo, s3
.LBB163_1317:
	s_andn2_saveexec_b32 s3, s0
	s_cbranch_execz .LBB163_1319
; %bb.1318:
	v_cvt_i32_f32_e32 v1, v0
	s_mov_b32 s0, 0x36f5d7bd
	s_mov_b32 s15, 0x3805ff67
	v_cvt_f32_i32_e32 v4, v1
	v_cmp_lt_i32_e32 vcc_lo, 2, v1
	v_sub_f32_e64 v4, |v3|, v4
	v_add_f32_e32 v6, 2.0, v4
	v_add_f32_e32 v7, 0x40400000, v4
	v_add_f32_e32 v8, 4.0, v4
	v_add_f32_e32 v9, 0x40a00000, v4
	v_cndmask_b32_e32 v6, 1.0, v6, vcc_lo
	v_cmp_lt_i32_e32 vcc_lo, 3, v1
	v_cndmask_b32_e32 v7, 1.0, v7, vcc_lo
	v_cmp_lt_i32_e32 vcc_lo, 4, v1
	v_mul_f32_e32 v6, v6, v7
	v_cndmask_b32_e32 v8, 1.0, v8, vcc_lo
	v_cmp_lt_i32_e32 vcc_lo, 5, v1
	v_add_f32_e32 v7, 0x40c00000, v4
	v_mul_f32_e32 v6, v8, v6
	v_cndmask_b32_e32 v9, 1.0, v9, vcc_lo
	v_cmp_lt_i32_e32 vcc_lo, 6, v1
	v_fmaak_f32 v8, s15, v4, 0x3af135b4
	v_mul_f32_e32 v6, v9, v6
	v_cndmask_b32_e32 v1, 1.0, v7, vcc_lo
	v_mul_f32_e32 v1, v1, v6
	v_fmaak_f32 v6, s0, v4, 0x3a4beed6
	v_cmp_gt_f32_e32 vcc_lo, 0x800000, v1
	v_fmaak_f32 v6, v4, v6, 0x3c98bf54
	v_cndmask_b32_e64 v7, 0, 32, vcc_lo
	v_fmaak_f32 v6, v4, v6, 0x3e300f6e
	v_ldexp_f32 v1, v1, v7
	v_fmaak_f32 v7, v4, v8, 0x3cda40e4
	v_fmaak_f32 v6, v4, v6, 0x3f38d0c5
	v_log_f32_e32 v1, v1
	v_fmaak_f32 v7, v4, v7, 0x3e15dce6
	v_fmaak_f32 v6, v4, v6, 0x3fb22d3b
	;; [unrolled: 1-line block ×3, first 2 shown]
	v_fma_f32 v6, v4, v6, 1.0
	v_mul_f32_e32 v8, 0x3f317217, v1
	v_fmaak_f32 v7, v4, v7, 0x3e5c245a
	v_rcp_f32_e32 v6, v6
	v_cmp_gt_f32_e64 s0, 0x7f800000, |v1|
	v_fma_f32 v9, 0x3f317217, v1, -v8
	v_fmaak_f32 v7, v4, v7, 0xbd9e233f
	v_fmamk_f32 v9, v1, 0x3377d1cf, v9
	v_mul_f32_e32 v7, v4, v7
	v_add_f32_e32 v8, v8, v9
	v_mul_f32_e32 v6, v7, v6
	v_cndmask_b32_e64 v7, 0, 0x41b17218, vcc_lo
	v_cndmask_b32_e64 v1, v1, v8, s0
	v_fmac_f32_e32 v6, 0.5, v4
	v_sub_f32_e32 v1, v1, v7
	v_add_f32_e32 v4, v1, v6
.LBB163_1319:
	s_or_b32 exec_lo, exec_lo, s3
.LBB163_1320:
	s_andn2_saveexec_b32 s2, s2
	s_cbranch_execz .LBB163_1338
; %bb.1321:
	s_mov_b32 s3, exec_lo
                                        ; implicit-def: $vgpr4
                                        ; implicit-def: $vgpr6
                                        ; implicit-def: $vgpr1
	v_cmpx_ge_f32_e64 0x3f666666, |v3|
	s_xor_b32 s3, exec_lo, s3
	s_cbranch_execz .LBB163_1323
; %bb.1322:
	v_cmp_gt_f32_e64 s0, 0x800000, |v3|
	v_sub_f32_e64 v7, 1.0, |v3|
	v_cmp_gt_f32_e64 vcc_lo, 0x3f3b4a23, |v3|
	v_cndmask_b32_e64 v1, 0, 32, s0
	v_cndmask_b32_e64 v8, 0, 0x41b17218, s0
	v_ldexp_f32 v1, |v3|, v1
	v_log_f32_e32 v1, v1
	v_mul_f32_e32 v4, 0x3f317217, v1
	v_cmp_gt_f32_e64 s0, 0x7f800000, |v1|
	v_fma_f32 v6, 0x3f317217, v1, -v4
	v_fmamk_f32 v6, v1, 0x3377d1cf, v6
	v_add_f32_e32 v4, v4, v6
	v_add_f32_e64 v6, 0xbeec5b0c, |v3|
	v_cndmask_b32_e64 v1, v1, v4, s0
	v_cndmask_b32_e32 v4, v7, v6, vcc_lo
	v_cndmask_b32_e64 v6, 0, 1, vcc_lo
	v_cmp_gt_f32_e64 s0, 0x3e6d3309, |v3|
	v_sub_f32_e32 v7, v1, v8
	v_cndmask_b32_e64 v1, v4, |v3|, s0
	v_cndmask_b32_e64 v6, v6, 2, s0
	v_xor_b32_e32 v4, 0x80000000, v7
.LBB163_1323:
	s_andn2_saveexec_b32 s0, s3
	s_cbranch_execz .LBB163_1325
; %bb.1324:
	v_sub_f32_e64 v1, 2.0, |v3|
	v_add_f32_e64 v4, 0xbfbb16c3, |v3|
	v_cmp_gt_f32_e64 vcc_lo, 0x3fdda512, |v3|
	v_add_f32_e64 v6, |v3|, -1.0
	v_cndmask_b32_e32 v4, v1, v4, vcc_lo
	v_cndmask_b32_e64 v1, v1, 1.0, vcc_lo
	v_cmp_gt_f32_e64 vcc_lo, 0x3f9d70a4, |v3|
	v_cvt_i32_f32_e32 v7, v1
	v_cndmask_b32_e32 v1, v4, v6, vcc_lo
	v_mov_b32_e32 v4, 0
	v_cndmask_b32_e64 v6, v7, 2, vcc_lo
.LBB163_1325:
	s_or_b32 exec_lo, exec_lo, s0
	s_mov_b32 s0, exec_lo
	v_cmpx_lt_i32_e32 0, v6
	s_xor_b32 s0, exec_lo, s0
	s_cbranch_execz .LBB163_1333
; %bb.1326:
	s_mov_b32 s3, exec_lo
	v_cmpx_lt_i32_e32 1, v6
	s_xor_b32 s3, exec_lo, s3
	s_cbranch_execz .LBB163_1330
; %bb.1327:
	s_mov_b32 s15, exec_lo
	v_cmpx_eq_u32_e32 2, v6
	s_cbranch_execz .LBB163_1329
; %bb.1328:
	s_mov_b32 s16, 0x3b52d5db
	v_fmaak_f32 v6, s16, v1, 0x3dd572af
	s_mov_b32 s16, 0x3c5b3c5e
	v_fmaak_f32 v7, s16, v1, 0x3e6a7578
	v_fmaak_f32 v6, v1, v6, 0x3f44efdf
	;; [unrolled: 1-line block ×7, first 2 shown]
	v_fma_f32 v6, v1, v6, 1.0
	v_fmaak_f32 v7, v1, v7, 0xbd9e233f
	v_rcp_f32_e32 v6, v6
	v_mul_f32_e32 v7, v1, v7
	v_mul_f32_e32 v6, v7, v6
	v_fmac_f32_e32 v6, -0.5, v1
	v_add_f32_e32 v4, v4, v6
.LBB163_1329:
	s_or_b32 exec_lo, exec_lo, s15
                                        ; implicit-def: $vgpr1
.LBB163_1330:
	s_andn2_saveexec_b32 s3, s3
	s_cbranch_execz .LBB163_1332
; %bb.1331:
	v_mul_f32_e32 v6, v1, v1
	s_mov_b32 s15, 0xb9a3f927
	s_mov_b32 s16, 0x39afe9f7
	v_mul_f32_e32 v7, v1, v6
	v_fmaak_f32 v8, s15, v7, 0x3a66f867
	v_fmaak_f32 v9, s16, v7, 0xba0d3085
	s_mov_b32 s15, 0x39a57b6b
	v_fmaak_f32 v10, s15, v7, 0xbab7f476
	v_fmaak_f32 v8, v7, v8, 0xbb7177fe
	;; [unrolled: 1-line block ×9, first 2 shown]
	v_fmac_f32_e32 v8, v1, v9
	v_fmaak_f32 v1, v7, v10, 0x3ef7b95e
	v_fma_f32 v7, v7, -v8, 0xa2863e55
	v_fma_f32 v1, v6, v1, -v7
	v_add_f32_e32 v1, 0xbdf8cdce, v1
	v_add_f32_e32 v4, v4, v1
.LBB163_1332:
	s_or_b32 exec_lo, exec_lo, s3
                                        ; implicit-def: $vgpr6
                                        ; implicit-def: $vgpr1
.LBB163_1333:
	s_andn2_saveexec_b32 s0, s0
	s_cbranch_execz .LBB163_1337
; %bb.1334:
	s_mov_b32 s3, exec_lo
	v_cmpx_eq_u32_e32 0, v6
	s_cbranch_execz .LBB163_1336
; %bb.1335:
	v_mul_f32_e32 v6, v1, v1
	s_mov_b32 s15, 0x383c2c75
	v_fmaak_f32 v7, s15, v6, 0x38e28445
	s_mov_b32 s15, 0x37d383a2
	v_fmaak_f32 v8, s15, v6, 0x39679767
	v_fmaak_f32 v7, v6, v7, 0x3a05b634
	v_fmaak_f32 v8, v6, v8, 0x3a9c54a1
	v_fmaak_f32 v7, v6, v7, 0x3b3d6ec6
	v_fmaak_f32 v8, v6, v8, 0x3bf2027e
	v_fmaak_f32 v7, v6, v7, 0x3ca89915
	v_fmaak_f32 v8, v6, v8, 0x3d89f001
	v_fmaak_f32 v7, v6, v7, 0x3ea51a66
	v_fmaak_f32 v8, v6, v8, 0x3d9e233f
	v_mul_f32_e32 v6, v6, v7
	v_fmac_f32_e32 v6, v1, v8
	v_fmac_f32_e32 v6, -0.5, v1
	v_add_f32_e32 v4, v4, v6
.LBB163_1336:
	s_or_b32 exec_lo, exec_lo, s3
.LBB163_1337:
	s_or_b32 exec_lo, exec_lo, s0
.LBB163_1338:
	s_or_b32 exec_lo, exec_lo, s2
.LBB163_1339:
	s_andn2_saveexec_b32 s0, s1
	s_cbranch_execz .LBB163_1341
; %bb.1340:
	v_cmp_gt_f32_e64 s1, 0x800000, |v3|
	s_mov_b32 s2, 0x3e8a8991
	v_fma_f32 v7, |v3|, s2, 0xbecd26ab
	v_cndmask_b32_e64 v1, 0, 32, s1
	v_ldexp_f32 v1, |v3|, v1
	v_log_f32_e32 v1, v1
	v_mul_f32_e32 v4, 0x3f317217, v1
	v_cmp_gt_f32_e64 vcc_lo, 0x7f800000, |v1|
	v_fma_f32 v6, 0x3f317217, v1, -v4
	v_fmamk_f32 v6, v1, 0x3377d1cf, v6
	v_add_f32_e32 v4, v4, v6
	v_fma_f32 v6, |v3|, v7, 0x3f528d33
	v_cndmask_b32_e32 v1, v1, v4, vcc_lo
	v_cndmask_b32_e64 v4, 0, 0x41b17218, s1
	v_fma_f32 v6, |v3|, v6, 0xbf13c468
	v_sub_f32_e32 v1, v1, v4
	v_fma_f32 v4, |v3|, v6, -v1
.LBB163_1341:
	s_or_b32 exec_lo, exec_lo, s0
	v_cmp_le_f32_e64 s0, 0, v3
	s_mov_b32 s1, exec_lo
	v_cmpx_nle_f32_e32 0, v3
	s_xor_b32 s2, exec_lo, s1
	s_cbranch_execz .LBB163_1345
; %bb.1342:
	v_cmp_gt_f32_e64 s1, 0x4b000000, |v3|
	v_cmp_lt_f32_e64 s3, 0x35000000, |v3|
	s_and_b32 s1, s1, s3
	s_and_saveexec_b32 s3, s1
	s_cbranch_execz .LBB163_1344
; %bb.1343:
	v_mul_f32_e64 v1, |v3|, 0.5
	v_cmp_gt_f32_e64 s1, |v3|, 1.0
	s_mov_b32 s15, 0x3d4be544
	v_floor_f32_e32 v6, v1
	v_cmp_neq_f32_e32 vcc_lo, 0x7f800000, v1
	v_sub_f32_e32 v6, v1, v6
	v_min_f32_e32 v6, 0x3f7fffff, v6
	v_add_f32_e32 v6, v6, v6
	v_cndmask_b32_e32 v1, 0, v6, vcc_lo
	v_cndmask_b32_e64 v1, |v3|, v1, s1
	s_mov_b32 s1, 0x3e75aa41
	v_add_f32_e32 v6, v1, v1
	v_rndne_f32_e32 v6, v6
	v_fmac_f32_e32 v1, -0.5, v6
	v_cvt_i32_f32_e32 v6, v6
	v_mul_f32_e32 v7, v1, v1
	v_fmaak_f32 v8, s1, v7, 0xbf1f24be
	v_fmaak_f32 v9, s15, v7, 0x3e642e9d
	v_mul_f32_e32 v10, v1, v7
	v_fmaak_f32 v8, v7, v8, 0x40234736
	v_fmaak_f32 v9, v7, v9, 0xbfaad1da
	;; [unrolled: 1-line block ×4, first 2 shown]
	v_mul_f32_e32 v8, v10, v8
	v_fmaak_f32 v9, v7, v9, 0xc09de9e6
	v_and_b32_e32 v10, 1, v6
	v_lshlrev_b32_e32 v6, 30, v6
	v_fmamk_f32 v1, v1, 0x40490fdb, v8
	v_fma_f32 v7, v7, v9, 1.0
	v_cmp_eq_u32_e32 vcc_lo, 0, v10
	v_and_or_b32 v0, 0x80000000, v6, v0
	v_cndmask_b32_e32 v1, v7, v1, vcc_lo
	v_xor3_b32 v0, v0, v1, v3
	v_mul_f32_e32 v0, v3, v0
	v_frexp_mant_f32_e64 v1, |v0|
	v_frexp_exp_i32_f32_e32 v0, v0
	v_rcp_f32_e32 v1, v1
	v_sub_nc_u32_e32 v0, 2, v0
	v_mul_f32_e32 v1, 0x3f490fdb, v1
	v_ldexp_f32 v0, v1, v0
	v_cmp_gt_f32_e32 vcc_lo, 0x800000, v0
	v_cndmask_b32_e64 v1, 0, 32, vcc_lo
	v_ldexp_f32 v0, v0, v1
	v_log_f32_e32 v0, v0
	v_mul_f32_e32 v1, 0x3f317217, v0
	v_cmp_gt_f32_e64 s1, 0x7f800000, |v0|
	v_fma_f32 v6, 0x3f317217, v0, -v1
	v_fmamk_f32 v6, v0, 0x3377d1cf, v6
	v_add_f32_e32 v1, v1, v6
	v_floor_f32_e32 v6, v3
	v_cndmask_b32_e64 v0, v0, v1, s1
	v_cndmask_b32_e64 v1, 0, 0x41b17218, vcc_lo
	v_sub_f32_e32 v6, v3, v6
	v_sub_f32_e32 v0, v0, v1
	v_min_f32_e32 v1, 0x3f7fffff, v6
	v_sub_f32_e32 v0, v0, v4
	v_cmp_neq_f32_e32 vcc_lo, 0, v1
	v_cndmask_b32_e32 v4, 0x7f800000, v0, vcc_lo
.LBB163_1344:
	s_or_b32 exec_lo, exec_lo, s3
.LBB163_1345:
	s_andn2_saveexec_b32 s2, s2
; %bb.1346:
	v_cmp_eq_f32_e32 vcc_lo, 1.0, v3
	v_cmp_eq_f32_e64 s1, 2.0, v3
	s_or_b32 s1, vcc_lo, s1
	v_cndmask_b32_e64 v4, v4, 0, s1
; %bb.1347:
	s_or_b32 exec_lo, exec_lo, s2
	s_lshl_b32 s13, s13, 7
	s_cmp_lt_i32 s4, 11
	v_add_nc_u32_e32 v7, s13, v5
	v_ashrrev_i32_e32 v1, 31, v7
	v_add_co_u32 v0, vcc_lo, s10, v7
	v_add_co_ci_u32_e64 v1, null, s11, v1, vcc_lo
	s_cbranch_scc1 .LBB163_1354
; %bb.1348:
	s_cmp_gt_i32 s4, 25
	s_mov_b32 s2, 0
	s_cbranch_scc0 .LBB163_1356
; %bb.1349:
	s_cmp_gt_i32 s4, 28
	s_cbranch_scc0 .LBB163_1357
; %bb.1350:
	s_cmp_gt_i32 s4, 43
	;; [unrolled: 3-line block ×3, first 2 shown]
	s_cbranch_scc0 .LBB163_1360
; %bb.1352:
	s_cmp_eq_u32 s4, 46
	s_mov_b32 s15, 0
	s_cbranch_scc0 .LBB163_1363
; %bb.1353:
	global_load_dword v5, v[0:1], off
	s_mov_b32 s1, 0
	s_mov_b32 s3, -1
	s_branch .LBB163_1365
.LBB163_1354:
	s_mov_b32 s3, 0
                                        ; implicit-def: $vgpr5
	s_cbranch_execnz .LBB163_1430
.LBB163_1355:
	s_andn2_b32 vcc_lo, exec_lo, s3
	s_cbranch_vccnz .LBB163_2285
	s_branch .LBB163_1477
.LBB163_1356:
	s_mov_b32 s3, 0
	s_mov_b32 s1, 0
                                        ; implicit-def: $vgpr5
	s_cbranch_execnz .LBB163_1394
	s_branch .LBB163_1426
.LBB163_1357:
	s_mov_b32 s15, -1
	s_mov_b32 s3, 0
	s_mov_b32 s1, 0
                                        ; implicit-def: $vgpr5
	s_branch .LBB163_1375
.LBB163_1358:
	s_mov_b32 s15, -1
	s_mov_b32 s3, 0
	s_mov_b32 s1, 0
                                        ; implicit-def: $vgpr5
	s_branch .LBB163_1370
.LBB163_1359:
	s_or_b32 s14, s6, exec_lo
	s_trap 2
	s_cbranch_execz .LBB163_1262
	s_branch .LBB163_1263
.LBB163_1360:
	s_mov_b32 s15, -1
	s_mov_b32 s3, 0
	s_mov_b32 s1, 0
	s_branch .LBB163_1364
.LBB163_1361:
	s_andn2_saveexec_b32 s19, s19
	s_cbranch_execz .LBB163_1108
.LBB163_1362:
	v_add_f32_e64 v4, 0x42800000, |v5|
	s_andn2_b32 s18, s18, exec_lo
	v_and_b32_e32 v4, 0xff, v4
	v_cmp_ne_u32_e32 vcc_lo, 0, v4
	s_and_b32 s20, vcc_lo, exec_lo
	s_or_b32 s18, s18, s20
	s_or_b32 exec_lo, exec_lo, s19
	v_mov_b32_e32 v6, 0
	s_and_saveexec_b32 s19, s18
	s_cbranch_execnz .LBB163_1109
	s_branch .LBB163_1110
.LBB163_1363:
	s_mov_b32 s1, -1
	s_mov_b32 s3, 0
.LBB163_1364:
                                        ; implicit-def: $vgpr5
.LBB163_1365:
	s_and_b32 vcc_lo, exec_lo, s15
	s_cbranch_vccz .LBB163_1369
; %bb.1366:
	s_cmp_eq_u32 s4, 44
	s_cbranch_scc0 .LBB163_1368
; %bb.1367:
	global_load_ubyte v5, v[0:1], off
	s_mov_b32 s1, 0
	s_mov_b32 s3, -1
	s_waitcnt vmcnt(0)
	v_lshlrev_b32_e32 v6, 23, v5
	v_cmp_ne_u32_e32 vcc_lo, 0xff, v5
	v_cndmask_b32_e32 v6, 0x7f800001, v6, vcc_lo
	v_cmp_ne_u32_e32 vcc_lo, 0, v5
	v_cndmask_b32_e32 v5, 0x400000, v6, vcc_lo
	v_mov_b32_e32 v6, 0x7fc0
	v_cmp_o_f32_e32 vcc_lo, v5, v5
	v_add_nc_u32_e32 v5, 0x7fff, v5
	v_cndmask_b32_sdwa v5, v6, v5, vcc_lo dst_sel:DWORD dst_unused:UNUSED_PAD src0_sel:DWORD src1_sel:WORD_1
	s_branch .LBB163_1369
.LBB163_1368:
	s_mov_b32 s1, -1
                                        ; implicit-def: $vgpr5
.LBB163_1369:
	s_mov_b32 s15, 0
.LBB163_1370:
	s_and_b32 vcc_lo, exec_lo, s15
	s_cbranch_vccz .LBB163_1374
; %bb.1371:
	s_cmp_eq_u32 s4, 29
	s_cbranch_scc0 .LBB163_1373
; %bb.1372:
	global_load_dwordx2 v[5:6], v[0:1], off
	s_mov_b32 s1, 0
	s_mov_b32 s3, -1
	s_mov_b32 s15, 0
	s_waitcnt vmcnt(0)
	v_ffbh_u32_e32 v8, v6
	v_min_u32_e32 v8, 32, v8
	v_lshlrev_b64 v[5:6], v8, v[5:6]
	v_min_u32_e32 v5, 1, v5
	v_or_b32_e32 v5, v6, v5
	v_sub_nc_u32_e32 v6, 32, v8
	v_cvt_f32_u32_e32 v5, v5
	v_ldexp_f32 v5, v5, v6
	v_bfe_u32 v6, v5, 16, 1
	v_add3_u32 v5, v5, v6, 0x7fff
	v_lshrrev_b32_e32 v5, 16, v5
	s_branch .LBB163_1375
.LBB163_1373:
	s_mov_b32 s1, -1
                                        ; implicit-def: $vgpr5
.LBB163_1374:
	s_mov_b32 s15, 0
.LBB163_1375:
	s_and_b32 vcc_lo, exec_lo, s15
	s_cbranch_vccz .LBB163_1393
; %bb.1376:
	s_cmp_lt_i32 s4, 27
	s_cbranch_scc1 .LBB163_1379
; %bb.1377:
	s_cmp_gt_i32 s4, 27
	s_cbranch_scc0 .LBB163_1380
; %bb.1378:
	global_load_dword v5, v[0:1], off
	s_mov_b32 s3, 0
	s_waitcnt vmcnt(0)
	v_cvt_f32_u32_e32 v5, v5
	v_bfe_u32 v6, v5, 16, 1
	v_add3_u32 v5, v5, v6, 0x7fff
	v_lshrrev_b32_e32 v5, 16, v5
	s_branch .LBB163_1381
.LBB163_1379:
	s_mov_b32 s3, -1
                                        ; implicit-def: $vgpr5
	s_branch .LBB163_1384
.LBB163_1380:
	s_mov_b32 s3, -1
                                        ; implicit-def: $vgpr5
.LBB163_1381:
	s_andn2_b32 vcc_lo, exec_lo, s3
	s_cbranch_vccnz .LBB163_1383
; %bb.1382:
	global_load_ushort v5, v[0:1], off
	s_waitcnt vmcnt(0)
	v_cvt_f32_u32_e32 v5, v5
	v_bfe_u32 v6, v5, 16, 1
	v_add3_u32 v5, v5, v6, 0x7fff
	v_lshrrev_b32_e32 v5, 16, v5
.LBB163_1383:
	s_mov_b32 s3, 0
.LBB163_1384:
	s_andn2_b32 vcc_lo, exec_lo, s3
	s_cbranch_vccnz .LBB163_1392
; %bb.1385:
	global_load_ubyte v5, v[0:1], off
	s_mov_b32 s3, 0
	s_mov_b32 s15, exec_lo
	s_waitcnt vmcnt(0)
	v_cmpx_lt_i16_e32 0x7f, v5
	s_xor_b32 s15, exec_lo, s15
	s_cbranch_execz .LBB163_1405
; %bb.1386:
	s_mov_b32 s3, -1
	s_mov_b32 s16, exec_lo
	v_cmpx_eq_u16_e32 0x80, v5
; %bb.1387:
	s_xor_b32 s3, exec_lo, -1
; %bb.1388:
	s_or_b32 exec_lo, exec_lo, s16
	s_and_b32 s3, s3, exec_lo
	s_or_saveexec_b32 s15, s15
	v_mov_b32_e32 v6, 0x7f800001
	s_xor_b32 exec_lo, exec_lo, s15
	s_cbranch_execnz .LBB163_1406
.LBB163_1389:
	s_or_b32 exec_lo, exec_lo, s15
	s_and_saveexec_b32 s15, s3
	s_cbranch_execz .LBB163_1391
.LBB163_1390:
	v_and_b32_e32 v6, 0xffff, v5
	v_lshlrev_b32_e32 v5, 24, v5
	v_and_b32_e32 v8, 7, v6
	v_bfe_u32 v11, v6, 3, 4
	v_and_b32_e32 v5, 0x80000000, v5
	v_ffbh_u32_e32 v9, v8
	v_cmp_eq_u32_e32 vcc_lo, 0, v11
	v_min_u32_e32 v9, 32, v9
	v_subrev_nc_u32_e32 v10, 28, v9
	v_sub_nc_u32_e32 v9, 29, v9
	v_lshlrev_b32_e32 v6, v10, v6
	v_cndmask_b32_e32 v9, v11, v9, vcc_lo
	v_and_b32_e32 v6, 7, v6
	v_cndmask_b32_e32 v6, v8, v6, vcc_lo
	v_lshl_add_u32 v8, v9, 23, 0x3b800000
	v_lshlrev_b32_e32 v6, 20, v6
	v_or3_b32 v6, v5, v8, v6
.LBB163_1391:
	s_or_b32 exec_lo, exec_lo, s15
	v_bfe_u32 v5, v6, 16, 1
	v_cmp_o_f32_e32 vcc_lo, v6, v6
	v_add3_u32 v5, v6, v5, 0x7fff
	v_mov_b32_e32 v6, 0x7fc0
	v_cndmask_b32_sdwa v5, v6, v5, vcc_lo dst_sel:DWORD dst_unused:UNUSED_PAD src0_sel:DWORD src1_sel:WORD_1
.LBB163_1392:
	s_mov_b32 s3, -1
.LBB163_1393:
	s_branch .LBB163_1426
.LBB163_1394:
	s_cmp_gt_i32 s4, 22
	s_cbranch_scc0 .LBB163_1404
; %bb.1395:
	s_cmp_lt_i32 s4, 24
	s_cbranch_scc1 .LBB163_1407
; %bb.1396:
	s_cmp_gt_i32 s4, 24
	s_cbranch_scc0 .LBB163_1408
; %bb.1397:
	global_load_ubyte v5, v[0:1], off
	s_mov_b32 s3, exec_lo
	s_waitcnt vmcnt(0)
	v_cmpx_lt_i16_e32 0x7f, v5
	s_xor_b32 s3, exec_lo, s3
	s_cbranch_execz .LBB163_1420
; %bb.1398:
	s_mov_b32 s2, -1
	s_mov_b32 s15, exec_lo
	v_cmpx_eq_u16_e32 0x80, v5
; %bb.1399:
	s_xor_b32 s2, exec_lo, -1
; %bb.1400:
	s_or_b32 exec_lo, exec_lo, s15
	s_and_b32 s2, s2, exec_lo
	s_or_saveexec_b32 s3, s3
	v_mov_b32_e32 v6, 0x7f800001
	s_xor_b32 exec_lo, exec_lo, s3
	s_cbranch_execnz .LBB163_1421
.LBB163_1401:
	s_or_b32 exec_lo, exec_lo, s3
	s_and_saveexec_b32 s3, s2
	s_cbranch_execz .LBB163_1403
.LBB163_1402:
	v_and_b32_e32 v6, 0xffff, v5
	v_lshlrev_b32_e32 v5, 24, v5
	v_and_b32_e32 v8, 3, v6
	v_bfe_u32 v11, v6, 2, 5
	v_and_b32_e32 v5, 0x80000000, v5
	v_ffbh_u32_e32 v9, v8
	v_cmp_eq_u32_e32 vcc_lo, 0, v11
	v_min_u32_e32 v9, 32, v9
	v_subrev_nc_u32_e32 v10, 29, v9
	v_sub_nc_u32_e32 v9, 30, v9
	v_lshlrev_b32_e32 v6, v10, v6
	v_cndmask_b32_e32 v9, v11, v9, vcc_lo
	v_and_b32_e32 v6, 3, v6
	v_cndmask_b32_e32 v6, v8, v6, vcc_lo
	v_lshl_add_u32 v8, v9, 23, 0x37800000
	v_lshlrev_b32_e32 v6, 21, v6
	v_or3_b32 v6, v5, v8, v6
.LBB163_1403:
	s_or_b32 exec_lo, exec_lo, s3
	v_bfe_u32 v5, v6, 16, 1
	v_cmp_o_f32_e32 vcc_lo, v6, v6
	s_mov_b32 s2, 0
	v_add3_u32 v5, v6, v5, 0x7fff
	v_mov_b32_e32 v6, 0x7fc0
	v_cndmask_b32_sdwa v5, v6, v5, vcc_lo dst_sel:DWORD dst_unused:UNUSED_PAD src0_sel:DWORD src1_sel:WORD_1
	s_branch .LBB163_1409
.LBB163_1404:
	s_mov_b32 s2, -1
                                        ; implicit-def: $vgpr5
	s_branch .LBB163_1415
.LBB163_1405:
	s_or_saveexec_b32 s15, s15
	v_mov_b32_e32 v6, 0x7f800001
	s_xor_b32 exec_lo, exec_lo, s15
	s_cbranch_execz .LBB163_1389
.LBB163_1406:
	v_cmp_ne_u16_e32 vcc_lo, 0, v5
	v_mov_b32_e32 v6, 0
	s_andn2_b32 s3, s3, exec_lo
	s_and_b32 s16, vcc_lo, exec_lo
	s_or_b32 s3, s3, s16
	s_or_b32 exec_lo, exec_lo, s15
	s_and_saveexec_b32 s15, s3
	s_cbranch_execnz .LBB163_1390
	s_branch .LBB163_1391
.LBB163_1407:
	s_mov_b32 s2, -1
                                        ; implicit-def: $vgpr5
	s_branch .LBB163_1412
.LBB163_1408:
	s_mov_b32 s2, -1
                                        ; implicit-def: $vgpr5
.LBB163_1409:
	s_and_b32 vcc_lo, exec_lo, s2
	s_cbranch_vccz .LBB163_1411
; %bb.1410:
	global_load_ubyte v5, v[0:1], off
	s_waitcnt vmcnt(0)
	v_lshlrev_b32_e32 v5, 24, v5
	v_and_b32_e32 v6, 0x7f000000, v5
	v_ffbh_u32_e32 v8, v6
	v_add_nc_u32_e32 v10, 0x1000000, v6
	v_cmp_ne_u32_e32 vcc_lo, 0, v6
	v_min_u32_e32 v8, 32, v8
	v_sub_nc_u32_e64 v8, v8, 4 clamp
	v_lshlrev_b32_e32 v9, v8, v6
	v_lshlrev_b32_e32 v8, 23, v8
	v_lshrrev_b32_e32 v9, 4, v9
	v_sub_nc_u32_e32 v8, v9, v8
	v_ashrrev_i32_e32 v9, 8, v10
	v_add_nc_u32_e32 v8, 0x3c000000, v8
	v_and_or_b32 v8, 0x7f800000, v9, v8
	v_cndmask_b32_e32 v6, 0, v8, vcc_lo
	v_and_or_b32 v5, 0x80000000, v5, v6
	v_bfe_u32 v6, v6, 16, 1
	v_cmp_o_f32_e32 vcc_lo, v5, v5
	v_add3_u32 v5, v5, v6, 0x7fff
	v_mov_b32_e32 v6, 0x7fc0
	v_cndmask_b32_sdwa v5, v6, v5, vcc_lo dst_sel:DWORD dst_unused:UNUSED_PAD src0_sel:DWORD src1_sel:WORD_1
.LBB163_1411:
	s_mov_b32 s2, 0
.LBB163_1412:
	s_andn2_b32 vcc_lo, exec_lo, s2
	s_cbranch_vccnz .LBB163_1414
; %bb.1413:
	global_load_ubyte v5, v[0:1], off
	s_waitcnt vmcnt(0)
	v_lshlrev_b32_e32 v6, 25, v5
	v_lshlrev_b16 v5, 8, v5
	v_lshrrev_b32_e32 v8, 4, v6
	v_and_or_b32 v9, 0x7f00, v5, 0.5
	v_cmp_gt_u32_e32 vcc_lo, 0x8000000, v6
	v_bfe_i32 v5, v5, 0, 16
	v_or_b32_e32 v8, 0x70000000, v8
	v_add_f32_e32 v9, -0.5, v9
	v_mul_f32_e32 v8, 0x7800000, v8
	v_cndmask_b32_e32 v6, v8, v9, vcc_lo
	v_and_or_b32 v5, 0x80000000, v5, v6
	v_bfe_u32 v6, v6, 16, 1
	v_cmp_o_f32_e32 vcc_lo, v5, v5
	v_add3_u32 v5, v5, v6, 0x7fff
	v_mov_b32_e32 v6, 0x7fc0
	v_cndmask_b32_sdwa v5, v6, v5, vcc_lo dst_sel:DWORD dst_unused:UNUSED_PAD src0_sel:DWORD src1_sel:WORD_1
.LBB163_1414:
	s_mov_b32 s2, 0
	s_mov_b32 s3, -1
.LBB163_1415:
	s_andn2_b32 vcc_lo, exec_lo, s2
	s_mov_b32 s2, 0
	s_cbranch_vccnz .LBB163_1426
; %bb.1416:
	s_cmp_gt_i32 s4, 14
	s_cbranch_scc0 .LBB163_1419
; %bb.1417:
	s_cmp_eq_u32 s4, 15
	s_cbranch_scc0 .LBB163_1422
; %bb.1418:
	global_load_ushort v5, v[0:1], off
	s_mov_b32 s1, 0
	s_mov_b32 s3, -1
	s_branch .LBB163_1424
.LBB163_1419:
	s_mov_b32 s2, -1
	s_branch .LBB163_1423
.LBB163_1420:
	s_or_saveexec_b32 s3, s3
	v_mov_b32_e32 v6, 0x7f800001
	s_xor_b32 exec_lo, exec_lo, s3
	s_cbranch_execz .LBB163_1401
.LBB163_1421:
	v_cmp_ne_u16_e32 vcc_lo, 0, v5
	v_mov_b32_e32 v6, 0
	s_andn2_b32 s2, s2, exec_lo
	s_and_b32 s15, vcc_lo, exec_lo
	s_or_b32 s2, s2, s15
	s_or_b32 exec_lo, exec_lo, s3
	s_and_saveexec_b32 s3, s2
	s_cbranch_execnz .LBB163_1402
	s_branch .LBB163_1403
.LBB163_1422:
	s_mov_b32 s1, -1
.LBB163_1423:
                                        ; implicit-def: $vgpr5
.LBB163_1424:
	s_and_b32 vcc_lo, exec_lo, s2
	s_mov_b32 s2, 0
	s_cbranch_vccz .LBB163_1426
; %bb.1425:
	s_cmp_lg_u32 s4, 11
	s_mov_b32 s2, -1
	s_cselect_b32 s1, -1, 0
.LBB163_1426:
	s_and_b32 vcc_lo, exec_lo, s1
	s_cbranch_vccnz .LBB163_1527
; %bb.1427:
	s_andn2_b32 vcc_lo, exec_lo, s2
	s_cbranch_vccnz .LBB163_1429
.LBB163_1428:
	global_load_ubyte v5, v[0:1], off
	s_mov_b32 s3, -1
	s_waitcnt vmcnt(0)
	v_cmp_ne_u16_e32 vcc_lo, 0, v5
	v_cndmask_b32_e64 v5, 0, 1.0, vcc_lo
	v_lshrrev_b32_e32 v5, 16, v5
.LBB163_1429:
	s_branch .LBB163_1355
.LBB163_1430:
	s_cmp_lt_i32 s4, 5
	s_cbranch_scc1 .LBB163_1435
; %bb.1431:
	s_cmp_lt_i32 s4, 8
	s_cbranch_scc1 .LBB163_1436
; %bb.1432:
	;; [unrolled: 3-line block ×3, first 2 shown]
	s_cmp_gt_i32 s4, 9
	s_cbranch_scc0 .LBB163_1438
; %bb.1434:
	global_load_dwordx2 v[5:6], v[0:1], off
	s_mov_b32 s1, 0
	s_waitcnt vmcnt(0)
	v_cvt_f32_f64_e32 v5, v[5:6]
	v_bfe_u32 v6, v5, 16, 1
	v_cmp_o_f32_e32 vcc_lo, v5, v5
	v_add3_u32 v5, v5, v6, 0x7fff
	v_mov_b32_e32 v6, 0x7fc0
	v_cndmask_b32_sdwa v5, v6, v5, vcc_lo dst_sel:DWORD dst_unused:UNUSED_PAD src0_sel:DWORD src1_sel:WORD_1
	s_branch .LBB163_1439
.LBB163_1435:
                                        ; implicit-def: $vgpr5
	s_branch .LBB163_1457
.LBB163_1436:
	s_mov_b32 s1, -1
                                        ; implicit-def: $vgpr5
	s_branch .LBB163_1445
.LBB163_1437:
	s_mov_b32 s1, -1
                                        ; implicit-def: $vgpr5
	s_branch .LBB163_1442
.LBB163_1438:
	s_mov_b32 s1, -1
                                        ; implicit-def: $vgpr5
.LBB163_1439:
	s_andn2_b32 vcc_lo, exec_lo, s1
	s_cbranch_vccnz .LBB163_1441
; %bb.1440:
	global_load_dword v5, v[0:1], off
	s_waitcnt vmcnt(0)
	v_bfe_u32 v6, v5, 16, 1
	v_cmp_o_f32_e32 vcc_lo, v5, v5
	v_add3_u32 v5, v5, v6, 0x7fff
	v_mov_b32_e32 v6, 0x7fc0
	v_cndmask_b32_sdwa v5, v6, v5, vcc_lo dst_sel:DWORD dst_unused:UNUSED_PAD src0_sel:DWORD src1_sel:WORD_1
.LBB163_1441:
	s_mov_b32 s1, 0
.LBB163_1442:
	s_andn2_b32 vcc_lo, exec_lo, s1
	s_cbranch_vccnz .LBB163_1444
; %bb.1443:
	global_load_dword v5, v[0:1], off
	s_waitcnt vmcnt(0)
	v_cvt_f32_f16_e32 v6, v5
	v_cmp_o_f16_e32 vcc_lo, v5, v5
	v_bfe_u32 v8, v6, 16, 1
	v_add3_u32 v5, v6, v8, 0x7fff
	v_mov_b32_e32 v6, 0x7fc0
	v_cndmask_b32_sdwa v5, v6, v5, vcc_lo dst_sel:DWORD dst_unused:UNUSED_PAD src0_sel:DWORD src1_sel:WORD_1
.LBB163_1444:
	s_mov_b32 s1, 0
.LBB163_1445:
	s_andn2_b32 vcc_lo, exec_lo, s1
	s_cbranch_vccnz .LBB163_1456
; %bb.1446:
	s_cmp_lt_i32 s4, 6
	s_cbranch_scc1 .LBB163_1449
; %bb.1447:
	s_cmp_gt_i32 s4, 6
	s_cbranch_scc0 .LBB163_1450
; %bb.1448:
	global_load_dwordx2 v[5:6], v[0:1], off
	s_mov_b32 s1, 0
	s_waitcnt vmcnt(0)
	v_cvt_f32_f64_e32 v5, v[5:6]
	v_bfe_u32 v6, v5, 16, 1
	v_cmp_o_f32_e32 vcc_lo, v5, v5
	v_add3_u32 v5, v5, v6, 0x7fff
	v_mov_b32_e32 v6, 0x7fc0
	v_cndmask_b32_sdwa v5, v6, v5, vcc_lo dst_sel:DWORD dst_unused:UNUSED_PAD src0_sel:DWORD src1_sel:WORD_1
	s_branch .LBB163_1451
.LBB163_1449:
	s_mov_b32 s1, -1
                                        ; implicit-def: $vgpr5
	s_branch .LBB163_1454
.LBB163_1450:
	s_mov_b32 s1, -1
                                        ; implicit-def: $vgpr5
.LBB163_1451:
	s_andn2_b32 vcc_lo, exec_lo, s1
	s_cbranch_vccnz .LBB163_1453
; %bb.1452:
	global_load_dword v5, v[0:1], off
	s_waitcnt vmcnt(0)
	v_bfe_u32 v6, v5, 16, 1
	v_cmp_o_f32_e32 vcc_lo, v5, v5
	v_add3_u32 v5, v5, v6, 0x7fff
	v_mov_b32_e32 v6, 0x7fc0
	v_cndmask_b32_sdwa v5, v6, v5, vcc_lo dst_sel:DWORD dst_unused:UNUSED_PAD src0_sel:DWORD src1_sel:WORD_1
.LBB163_1453:
	s_mov_b32 s1, 0
.LBB163_1454:
	s_andn2_b32 vcc_lo, exec_lo, s1
	s_cbranch_vccnz .LBB163_1456
; %bb.1455:
	global_load_ushort v5, v[0:1], off
	s_waitcnt vmcnt(0)
	v_cvt_f32_f16_e32 v6, v5
	v_cmp_o_f16_e32 vcc_lo, v5, v5
	v_bfe_u32 v8, v6, 16, 1
	v_add3_u32 v5, v6, v8, 0x7fff
	v_mov_b32_e32 v6, 0x7fc0
	v_cndmask_b32_sdwa v5, v6, v5, vcc_lo dst_sel:DWORD dst_unused:UNUSED_PAD src0_sel:DWORD src1_sel:WORD_1
.LBB163_1456:
	s_cbranch_execnz .LBB163_1476
.LBB163_1457:
	s_cmp_lt_i32 s4, 2
	s_cbranch_scc1 .LBB163_1461
; %bb.1458:
	s_cmp_lt_i32 s4, 3
	s_cbranch_scc1 .LBB163_1462
; %bb.1459:
	s_cmp_gt_i32 s4, 3
	s_cbranch_scc0 .LBB163_1463
; %bb.1460:
	global_load_dwordx2 v[5:6], v[0:1], off
	s_mov_b32 s1, 0
	s_waitcnt vmcnt(0)
	v_xor_b32_e32 v8, v5, v6
	v_ffbh_i32_e32 v9, v6
	v_ashrrev_i32_e32 v8, 31, v8
	v_add_nc_u32_e32 v9, -1, v9
	v_add_nc_u32_e32 v8, 32, v8
	v_min_u32_e32 v8, v9, v8
	v_lshlrev_b64 v[5:6], v8, v[5:6]
	v_min_u32_e32 v5, 1, v5
	v_or_b32_e32 v5, v6, v5
	v_sub_nc_u32_e32 v6, 32, v8
	v_cvt_f32_i32_e32 v5, v5
	v_ldexp_f32 v5, v5, v6
	v_bfe_u32 v6, v5, 16, 1
	v_add3_u32 v5, v5, v6, 0x7fff
	v_lshrrev_b32_e32 v5, 16, v5
	s_branch .LBB163_1464
.LBB163_1461:
	s_mov_b32 s1, -1
                                        ; implicit-def: $vgpr5
	s_branch .LBB163_1470
.LBB163_1462:
	s_mov_b32 s1, -1
                                        ; implicit-def: $vgpr5
	s_branch .LBB163_1467
.LBB163_1463:
	s_mov_b32 s1, -1
                                        ; implicit-def: $vgpr5
.LBB163_1464:
	s_andn2_b32 vcc_lo, exec_lo, s1
	s_cbranch_vccnz .LBB163_1466
; %bb.1465:
	global_load_dword v5, v[0:1], off
	s_waitcnt vmcnt(0)
	v_cvt_f32_i32_e32 v5, v5
	v_bfe_u32 v6, v5, 16, 1
	v_add3_u32 v5, v5, v6, 0x7fff
	v_lshrrev_b32_e32 v5, 16, v5
.LBB163_1466:
	s_mov_b32 s1, 0
.LBB163_1467:
	s_andn2_b32 vcc_lo, exec_lo, s1
	s_cbranch_vccnz .LBB163_1469
; %bb.1468:
	global_load_sshort v5, v[0:1], off
	s_waitcnt vmcnt(0)
	v_cvt_f32_i32_e32 v5, v5
	v_bfe_u32 v6, v5, 16, 1
	v_add3_u32 v5, v5, v6, 0x7fff
	v_lshrrev_b32_e32 v5, 16, v5
.LBB163_1469:
	s_mov_b32 s1, 0
.LBB163_1470:
	s_andn2_b32 vcc_lo, exec_lo, s1
	s_cbranch_vccnz .LBB163_1476
; %bb.1471:
	s_cmp_gt_i32 s4, 0
	s_mov_b32 s1, 0
	s_cbranch_scc0 .LBB163_1473
; %bb.1472:
	global_load_sbyte v5, v[0:1], off
	s_waitcnt vmcnt(0)
	v_cvt_f32_i32_e32 v5, v5
	v_bfe_u32 v6, v5, 16, 1
	v_add3_u32 v5, v5, v6, 0x7fff
	v_lshrrev_b32_e32 v5, 16, v5
	s_branch .LBB163_1474
.LBB163_1473:
	s_mov_b32 s1, -1
                                        ; implicit-def: $vgpr5
.LBB163_1474:
	s_andn2_b32 vcc_lo, exec_lo, s1
	s_cbranch_vccnz .LBB163_1476
; %bb.1475:
	global_load_ubyte v0, v[0:1], off
	s_waitcnt vmcnt(0)
	v_cvt_f32_ubyte0_e32 v0, v0
	v_bfe_u32 v1, v0, 16, 1
	v_add3_u32 v0, v0, v1, 0x7fff
	v_lshrrev_b32_e32 v5, 16, v0
.LBB163_1476:
.LBB163_1477:
	s_waitcnt vmcnt(0)
	v_lshlrev_b32_e32 v5, 16, v5
	s_mov_b32 s2, exec_lo
                                        ; implicit-def: $vgpr6
	v_and_b32_e32 v0, 0x7fffffff, v5
	v_cmpx_ngt_f32_e64 0x3c800000, |v5|
	s_xor_b32 s2, exec_lo, s2
	s_cbranch_execz .LBB163_1507
; %bb.1478:
	s_mov_b32 s3, exec_lo
                                        ; implicit-def: $vgpr6
	v_cmpx_nlt_f32_e64 |v5|, 2.0
	s_xor_b32 s3, exec_lo, s3
	s_cbranch_execz .LBB163_1488
; %bb.1479:
	v_cmp_ngt_f32_e64 s1, 0x41000000, |v5|
                                        ; implicit-def: $vgpr6
	s_and_saveexec_b32 s15, s1
	s_xor_b32 s1, exec_lo, s15
	s_cbranch_execz .LBB163_1485
; %bb.1480:
	v_cmp_ngt_f32_e64 s15, 0x5c800000, |v5|
                                        ; implicit-def: $vgpr6
	s_and_saveexec_b32 s16, s15
	s_xor_b32 s15, exec_lo, s16
	s_cbranch_execz .LBB163_1482
; %bb.1481:
	v_cmp_gt_f32_e64 s16, 0x800000, |v5|
	v_cndmask_b32_e64 v1, 0, 32, s16
	v_ldexp_f32 v1, |v5|, v1
	v_log_f32_e32 v1, v1
	v_mul_f32_e32 v6, 0x3f317217, v1
	v_cmp_gt_f32_e64 vcc_lo, 0x7f800000, |v1|
	v_fma_f32 v8, 0x3f317217, v1, -v6
	v_fmamk_f32 v8, v1, 0x3377d1cf, v8
	v_add_f32_e32 v6, v6, v8
	v_cndmask_b32_e32 v1, v1, v6, vcc_lo
	v_cndmask_b32_e64 v6, 0, 0x41b17218, s16
	v_sub_f32_e32 v1, v1, v6
	v_fma_f32 v6, |v5|, v1, -|v5|
.LBB163_1482:
	s_andn2_saveexec_b32 s15, s15
	s_cbranch_execz .LBB163_1484
; %bb.1483:
	v_cmp_gt_f32_e64 s16, 0x800000, |v5|
	v_rcp_f32_e64 v6, |v5|
	s_mov_b32 s17, 0xbad5c4e8
	v_cndmask_b32_e64 v1, 0, 32, s16
	v_ldexp_f32 v1, |v5|, v1
	v_mul_f32_e32 v8, v6, v6
	v_log_f32_e32 v1, v1
	v_fmaak_f32 v10, s17, v8, 0x3a5b3dd2
	v_fmaak_f32 v10, v8, v10, 0xba1c065c
	v_mul_f32_e32 v9, 0x3f317217, v1
	v_fmaak_f32 v10, v8, v10, 0x3a500cfd
	v_cmp_gt_f32_e64 vcc_lo, 0x7f800000, |v1|
	v_fma_f32 v11, 0x3f317217, v1, -v9
	v_fmaak_f32 v10, v8, v10, 0xbb360b61
	v_fmamk_f32 v11, v1, 0x3377d1cf, v11
	v_fmaak_f32 v8, v8, v10, 0x3daaaaab
	v_add_f32_e32 v9, v9, v11
	v_fmaak_f32 v6, v6, v8, 0x3ed67f1d
	v_add_f32_e64 v8, |v5|, -0.5
	v_cndmask_b32_e32 v1, v1, v9, vcc_lo
	v_cndmask_b32_e64 v9, 0, 0x41b17218, s16
	v_sub_f32_e32 v1, v1, v9
	v_add_f32_e32 v1, -1.0, v1
	v_fmac_f32_e32 v6, v8, v1
.LBB163_1484:
	s_or_b32 exec_lo, exec_lo, s15
.LBB163_1485:
	s_andn2_saveexec_b32 s15, s1
	s_cbranch_execz .LBB163_1487
; %bb.1486:
	v_cvt_i32_f32_e32 v1, v0
	s_mov_b32 s1, 0x36f5d7bd
	s_mov_b32 s16, 0x3805ff67
	v_cvt_f32_i32_e32 v6, v1
	v_cmp_lt_i32_e32 vcc_lo, 2, v1
	v_sub_f32_e64 v6, |v5|, v6
	v_add_f32_e32 v8, 2.0, v6
	v_add_f32_e32 v9, 0x40400000, v6
	v_add_f32_e32 v10, 4.0, v6
	v_add_f32_e32 v11, 0x40a00000, v6
	v_cndmask_b32_e32 v8, 1.0, v8, vcc_lo
	v_cmp_lt_i32_e32 vcc_lo, 3, v1
	v_cndmask_b32_e32 v9, 1.0, v9, vcc_lo
	v_cmp_lt_i32_e32 vcc_lo, 4, v1
	v_mul_f32_e32 v8, v8, v9
	v_cndmask_b32_e32 v10, 1.0, v10, vcc_lo
	v_cmp_lt_i32_e32 vcc_lo, 5, v1
	v_add_f32_e32 v9, 0x40c00000, v6
	v_mul_f32_e32 v8, v10, v8
	v_cndmask_b32_e32 v11, 1.0, v11, vcc_lo
	v_cmp_lt_i32_e32 vcc_lo, 6, v1
	v_fmaak_f32 v10, s16, v6, 0x3af135b4
	v_mul_f32_e32 v8, v11, v8
	v_cndmask_b32_e32 v1, 1.0, v9, vcc_lo
	v_mul_f32_e32 v1, v1, v8
	v_fmaak_f32 v8, s1, v6, 0x3a4beed6
	v_cmp_gt_f32_e32 vcc_lo, 0x800000, v1
	v_fmaak_f32 v8, v6, v8, 0x3c98bf54
	v_cndmask_b32_e64 v9, 0, 32, vcc_lo
	v_fmaak_f32 v8, v6, v8, 0x3e300f6e
	v_ldexp_f32 v1, v1, v9
	v_fmaak_f32 v9, v6, v10, 0x3cda40e4
	v_fmaak_f32 v8, v6, v8, 0x3f38d0c5
	v_log_f32_e32 v1, v1
	v_fmaak_f32 v9, v6, v9, 0x3e15dce6
	v_fmaak_f32 v8, v6, v8, 0x3fb22d3b
	;; [unrolled: 1-line block ×3, first 2 shown]
	v_fma_f32 v8, v6, v8, 1.0
	v_mul_f32_e32 v10, 0x3f317217, v1
	v_fmaak_f32 v9, v6, v9, 0x3e5c245a
	v_rcp_f32_e32 v8, v8
	v_cmp_gt_f32_e64 s1, 0x7f800000, |v1|
	v_fma_f32 v11, 0x3f317217, v1, -v10
	v_fmaak_f32 v9, v6, v9, 0xbd9e233f
	v_fmamk_f32 v11, v1, 0x3377d1cf, v11
	v_mul_f32_e32 v9, v6, v9
	v_add_f32_e32 v10, v10, v11
	v_mul_f32_e32 v8, v9, v8
	v_cndmask_b32_e64 v9, 0, 0x41b17218, vcc_lo
	v_cndmask_b32_e64 v1, v1, v10, s1
	v_fmac_f32_e32 v8, 0.5, v6
	v_sub_f32_e32 v1, v1, v9
	v_add_f32_e32 v6, v1, v8
.LBB163_1487:
	s_or_b32 exec_lo, exec_lo, s15
.LBB163_1488:
	s_andn2_saveexec_b32 s3, s3
	s_cbranch_execz .LBB163_1506
; %bb.1489:
	s_mov_b32 s15, exec_lo
                                        ; implicit-def: $vgpr6
                                        ; implicit-def: $vgpr8
                                        ; implicit-def: $vgpr1
	v_cmpx_ge_f32_e64 0x3f666666, |v5|
	s_xor_b32 s15, exec_lo, s15
	s_cbranch_execz .LBB163_1491
; %bb.1490:
	v_cmp_gt_f32_e64 s1, 0x800000, |v5|
	v_sub_f32_e64 v9, 1.0, |v5|
	v_cmp_gt_f32_e64 vcc_lo, 0x3f3b4a23, |v5|
	v_cndmask_b32_e64 v1, 0, 32, s1
	v_cndmask_b32_e64 v10, 0, 0x41b17218, s1
	v_ldexp_f32 v1, |v5|, v1
	v_log_f32_e32 v1, v1
	v_mul_f32_e32 v6, 0x3f317217, v1
	v_cmp_gt_f32_e64 s1, 0x7f800000, |v1|
	v_fma_f32 v8, 0x3f317217, v1, -v6
	v_fmamk_f32 v8, v1, 0x3377d1cf, v8
	v_add_f32_e32 v6, v6, v8
	v_add_f32_e64 v8, 0xbeec5b0c, |v5|
	v_cndmask_b32_e64 v1, v1, v6, s1
	v_cndmask_b32_e32 v6, v9, v8, vcc_lo
	v_cndmask_b32_e64 v8, 0, 1, vcc_lo
	v_cmp_gt_f32_e64 s1, 0x3e6d3309, |v5|
	v_sub_f32_e32 v9, v1, v10
	v_cndmask_b32_e64 v1, v6, |v5|, s1
	v_cndmask_b32_e64 v8, v8, 2, s1
	v_xor_b32_e32 v6, 0x80000000, v9
.LBB163_1491:
	s_andn2_saveexec_b32 s1, s15
	s_cbranch_execz .LBB163_1493
; %bb.1492:
	v_sub_f32_e64 v1, 2.0, |v5|
	v_add_f32_e64 v6, 0xbfbb16c3, |v5|
	v_cmp_gt_f32_e64 vcc_lo, 0x3fdda512, |v5|
	v_add_f32_e64 v8, |v5|, -1.0
	v_cndmask_b32_e32 v6, v1, v6, vcc_lo
	v_cndmask_b32_e64 v1, v1, 1.0, vcc_lo
	v_cmp_gt_f32_e64 vcc_lo, 0x3f9d70a4, |v5|
	v_cvt_i32_f32_e32 v9, v1
	v_cndmask_b32_e32 v1, v6, v8, vcc_lo
	v_mov_b32_e32 v6, 0
	v_cndmask_b32_e64 v8, v9, 2, vcc_lo
.LBB163_1493:
	s_or_b32 exec_lo, exec_lo, s1
	s_mov_b32 s1, exec_lo
	v_cmpx_lt_i32_e32 0, v8
	s_xor_b32 s1, exec_lo, s1
	s_cbranch_execz .LBB163_1501
; %bb.1494:
	s_mov_b32 s15, exec_lo
	v_cmpx_lt_i32_e32 1, v8
	s_xor_b32 s15, exec_lo, s15
	s_cbranch_execz .LBB163_1498
; %bb.1495:
	s_mov_b32 s16, exec_lo
	v_cmpx_eq_u32_e32 2, v8
	s_cbranch_execz .LBB163_1497
; %bb.1496:
	s_mov_b32 s17, 0x3b52d5db
	v_fmaak_f32 v8, s17, v1, 0x3dd572af
	s_mov_b32 s17, 0x3c5b3c5e
	v_fmaak_f32 v9, s17, v1, 0x3e6a7578
	v_fmaak_f32 v8, v1, v8, 0x3f44efdf
	;; [unrolled: 1-line block ×7, first 2 shown]
	v_fma_f32 v8, v1, v8, 1.0
	v_fmaak_f32 v9, v1, v9, 0xbd9e233f
	v_rcp_f32_e32 v8, v8
	v_mul_f32_e32 v9, v1, v9
	v_mul_f32_e32 v8, v9, v8
	v_fmac_f32_e32 v8, -0.5, v1
	v_add_f32_e32 v6, v6, v8
.LBB163_1497:
	s_or_b32 exec_lo, exec_lo, s16
                                        ; implicit-def: $vgpr1
.LBB163_1498:
	s_andn2_saveexec_b32 s15, s15
	s_cbranch_execz .LBB163_1500
; %bb.1499:
	v_mul_f32_e32 v8, v1, v1
	s_mov_b32 s16, 0xb9a3f927
	s_mov_b32 s17, 0x39afe9f7
	v_mul_f32_e32 v9, v1, v8
	v_fmaak_f32 v10, s16, v9, 0x3a66f867
	v_fmaak_f32 v11, s17, v9, 0xba0d3085
	s_mov_b32 s16, 0x39a57b6b
	v_fmaak_f32 v12, s16, v9, 0xbab7f476
	v_fmaak_f32 v10, v9, v10, 0xbb7177fe
	;; [unrolled: 1-line block ×9, first 2 shown]
	v_fmac_f32_e32 v10, v1, v11
	v_fmaak_f32 v1, v9, v12, 0x3ef7b95e
	v_fma_f32 v9, v9, -v10, 0xa2863e55
	v_fma_f32 v1, v8, v1, -v9
	v_add_f32_e32 v1, 0xbdf8cdce, v1
	v_add_f32_e32 v6, v6, v1
.LBB163_1500:
	s_or_b32 exec_lo, exec_lo, s15
                                        ; implicit-def: $vgpr8
                                        ; implicit-def: $vgpr1
.LBB163_1501:
	s_andn2_saveexec_b32 s1, s1
	s_cbranch_execz .LBB163_1505
; %bb.1502:
	s_mov_b32 s15, exec_lo
	v_cmpx_eq_u32_e32 0, v8
	s_cbranch_execz .LBB163_1504
; %bb.1503:
	v_mul_f32_e32 v8, v1, v1
	s_mov_b32 s16, 0x383c2c75
	v_fmaak_f32 v9, s16, v8, 0x38e28445
	s_mov_b32 s16, 0x37d383a2
	v_fmaak_f32 v10, s16, v8, 0x39679767
	v_fmaak_f32 v9, v8, v9, 0x3a05b634
	;; [unrolled: 1-line block ×9, first 2 shown]
	v_mul_f32_e32 v8, v8, v9
	v_fmac_f32_e32 v8, v1, v10
	v_fmac_f32_e32 v8, -0.5, v1
	v_add_f32_e32 v6, v6, v8
.LBB163_1504:
	s_or_b32 exec_lo, exec_lo, s15
.LBB163_1505:
	s_or_b32 exec_lo, exec_lo, s1
.LBB163_1506:
	s_or_b32 exec_lo, exec_lo, s3
.LBB163_1507:
	s_andn2_saveexec_b32 s1, s2
	s_cbranch_execz .LBB163_1509
; %bb.1508:
	v_cmp_gt_f32_e64 s2, 0x800000, |v5|
	s_mov_b32 s3, 0x3e8a8991
	v_fma_f32 v9, |v5|, s3, 0xbecd26ab
	v_cndmask_b32_e64 v1, 0, 32, s2
	v_ldexp_f32 v1, |v5|, v1
	v_log_f32_e32 v1, v1
	v_mul_f32_e32 v6, 0x3f317217, v1
	v_cmp_gt_f32_e64 vcc_lo, 0x7f800000, |v1|
	v_fma_f32 v8, 0x3f317217, v1, -v6
	v_fmamk_f32 v8, v1, 0x3377d1cf, v8
	v_add_f32_e32 v6, v6, v8
	v_fma_f32 v8, |v5|, v9, 0x3f528d33
	v_cndmask_b32_e32 v1, v1, v6, vcc_lo
	v_cndmask_b32_e64 v6, 0, 0x41b17218, s2
	v_fma_f32 v8, |v5|, v8, 0xbf13c468
	v_sub_f32_e32 v1, v1, v6
	v_fma_f32 v6, |v5|, v8, -v1
.LBB163_1509:
	s_or_b32 exec_lo, exec_lo, s1
	v_cmp_le_f32_e64 s1, 0, v5
	s_mov_b32 s2, exec_lo
	v_cmpx_nle_f32_e32 0, v5
	s_xor_b32 s3, exec_lo, s2
	s_cbranch_execz .LBB163_1513
; %bb.1510:
	v_cmp_gt_f32_e64 s2, 0x4b000000, |v5|
	v_cmp_lt_f32_e64 s15, 0x35000000, |v5|
	s_and_b32 s2, s2, s15
	s_and_saveexec_b32 s15, s2
	s_cbranch_execz .LBB163_1512
; %bb.1511:
	v_mul_f32_e64 v1, |v5|, 0.5
	v_cmp_gt_f32_e64 s2, |v5|, 1.0
	s_mov_b32 s16, 0x3d4be544
	v_floor_f32_e32 v8, v1
	v_cmp_neq_f32_e32 vcc_lo, 0x7f800000, v1
	v_sub_f32_e32 v8, v1, v8
	v_min_f32_e32 v8, 0x3f7fffff, v8
	v_add_f32_e32 v8, v8, v8
	v_cndmask_b32_e32 v1, 0, v8, vcc_lo
	v_cndmask_b32_e64 v1, |v5|, v1, s2
	s_mov_b32 s2, 0x3e75aa41
	v_add_f32_e32 v8, v1, v1
	v_rndne_f32_e32 v8, v8
	v_fmac_f32_e32 v1, -0.5, v8
	v_cvt_i32_f32_e32 v8, v8
	v_mul_f32_e32 v9, v1, v1
	v_fmaak_f32 v10, s2, v9, 0xbf1f24be
	v_fmaak_f32 v11, s16, v9, 0x3e642e9d
	v_mul_f32_e32 v12, v1, v9
	v_fmaak_f32 v10, v9, v10, 0x40234736
	v_fmaak_f32 v11, v9, v11, 0xbfaad1da
	;; [unrolled: 1-line block ×4, first 2 shown]
	v_mul_f32_e32 v10, v12, v10
	v_fmaak_f32 v11, v9, v11, 0xc09de9e6
	v_and_b32_e32 v12, 1, v8
	v_lshlrev_b32_e32 v8, 30, v8
	v_fmamk_f32 v1, v1, 0x40490fdb, v10
	v_fma_f32 v9, v9, v11, 1.0
	v_cmp_eq_u32_e32 vcc_lo, 0, v12
	v_and_or_b32 v0, 0x80000000, v8, v0
	v_cndmask_b32_e32 v1, v9, v1, vcc_lo
	v_xor3_b32 v0, v0, v1, v5
	v_mul_f32_e32 v0, v5, v0
	v_frexp_mant_f32_e64 v1, |v0|
	v_frexp_exp_i32_f32_e32 v0, v0
	v_rcp_f32_e32 v1, v1
	v_sub_nc_u32_e32 v0, 2, v0
	v_mul_f32_e32 v1, 0x3f490fdb, v1
	v_ldexp_f32 v0, v1, v0
	v_cmp_gt_f32_e32 vcc_lo, 0x800000, v0
	v_cndmask_b32_e64 v1, 0, 32, vcc_lo
	v_ldexp_f32 v0, v0, v1
	v_log_f32_e32 v0, v0
	v_mul_f32_e32 v1, 0x3f317217, v0
	v_cmp_gt_f32_e64 s2, 0x7f800000, |v0|
	v_fma_f32 v8, 0x3f317217, v0, -v1
	v_fmamk_f32 v8, v0, 0x3377d1cf, v8
	v_add_f32_e32 v1, v1, v8
	v_floor_f32_e32 v8, v5
	v_cndmask_b32_e64 v0, v0, v1, s2
	v_cndmask_b32_e64 v1, 0, 0x41b17218, vcc_lo
	v_sub_f32_e32 v8, v5, v8
	v_sub_f32_e32 v0, v0, v1
	v_min_f32_e32 v1, 0x3f7fffff, v8
	v_sub_f32_e32 v0, v0, v6
	v_cmp_neq_f32_e32 vcc_lo, 0, v1
	v_cndmask_b32_e32 v6, 0x7f800000, v0, vcc_lo
.LBB163_1512:
	s_or_b32 exec_lo, exec_lo, s15
.LBB163_1513:
	s_andn2_saveexec_b32 s3, s3
; %bb.1514:
	v_cmp_eq_f32_e32 vcc_lo, 1.0, v5
	v_cmp_eq_f32_e64 s2, 2.0, v5
	s_or_b32 s2, vcc_lo, s2
	v_cndmask_b32_e64 v6, v6, 0, s2
; %bb.1515:
	s_or_b32 exec_lo, exec_lo, s3
	v_add_nc_u32_e32 v9, s13, v7
	s_cmp_lt_i32 s4, 11
	v_ashrrev_i32_e32 v1, 31, v9
	v_add_co_u32 v0, vcc_lo, s10, v9
	v_add_co_ci_u32_e64 v1, null, s11, v1, vcc_lo
	s_cbranch_scc1 .LBB163_1522
; %bb.1516:
	s_cmp_gt_i32 s4, 25
	s_mov_b32 s3, 0
	s_cbranch_scc0 .LBB163_1524
; %bb.1517:
	s_cmp_gt_i32 s4, 28
	s_cbranch_scc0 .LBB163_1525
; %bb.1518:
	s_cmp_gt_i32 s4, 43
	;; [unrolled: 3-line block ×3, first 2 shown]
	s_cbranch_scc0 .LBB163_1528
; %bb.1520:
	s_cmp_eq_u32 s4, 46
	s_mov_b32 s16, 0
	s_cbranch_scc0 .LBB163_1529
; %bb.1521:
	global_load_dword v7, v[0:1], off
	s_mov_b32 s2, 0
	s_mov_b32 s15, -1
	s_branch .LBB163_1531
.LBB163_1522:
	s_mov_b32 s15, 0
                                        ; implicit-def: $vgpr7
	s_cbranch_execnz .LBB163_1597
.LBB163_1523:
	s_andn2_b32 vcc_lo, exec_lo, s15
	s_cbranch_vccnz .LBB163_2285
	s_branch .LBB163_1645
.LBB163_1524:
	s_mov_b32 s16, -1
	s_mov_b32 s15, 0
	s_mov_b32 s2, 0
                                        ; implicit-def: $vgpr7
	s_branch .LBB163_1560
.LBB163_1525:
	s_mov_b32 s16, -1
	s_mov_b32 s15, 0
	s_mov_b32 s2, 0
                                        ; implicit-def: $vgpr7
	s_branch .LBB163_1541
.LBB163_1526:
	s_mov_b32 s16, -1
	s_mov_b32 s15, 0
	s_mov_b32 s2, 0
                                        ; implicit-def: $vgpr7
	s_branch .LBB163_1536
.LBB163_1527:
	s_or_b32 s14, s14, exec_lo
	s_trap 2
	s_cbranch_execz .LBB163_1428
	s_branch .LBB163_1429
.LBB163_1528:
	s_mov_b32 s16, -1
	s_mov_b32 s15, 0
	s_mov_b32 s2, 0
	s_branch .LBB163_1530
.LBB163_1529:
	s_mov_b32 s2, -1
	s_mov_b32 s15, 0
.LBB163_1530:
                                        ; implicit-def: $vgpr7
.LBB163_1531:
	s_and_b32 vcc_lo, exec_lo, s16
	s_cbranch_vccz .LBB163_1535
; %bb.1532:
	s_cmp_eq_u32 s4, 44
	s_cbranch_scc0 .LBB163_1534
; %bb.1533:
	global_load_ubyte v7, v[0:1], off
	s_mov_b32 s2, 0
	s_mov_b32 s15, -1
	s_waitcnt vmcnt(0)
	v_lshlrev_b32_e32 v8, 23, v7
	v_cmp_ne_u32_e32 vcc_lo, 0xff, v7
	v_cndmask_b32_e32 v8, 0x7f800001, v8, vcc_lo
	v_cmp_ne_u32_e32 vcc_lo, 0, v7
	v_cndmask_b32_e32 v7, 0x400000, v8, vcc_lo
	v_mov_b32_e32 v8, 0x7fc0
	v_cmp_o_f32_e32 vcc_lo, v7, v7
	v_add_nc_u32_e32 v7, 0x7fff, v7
	v_cndmask_b32_sdwa v7, v8, v7, vcc_lo dst_sel:DWORD dst_unused:UNUSED_PAD src0_sel:DWORD src1_sel:WORD_1
	s_branch .LBB163_1535
.LBB163_1534:
	s_mov_b32 s2, -1
                                        ; implicit-def: $vgpr7
.LBB163_1535:
	s_mov_b32 s16, 0
.LBB163_1536:
	s_and_b32 vcc_lo, exec_lo, s16
	s_cbranch_vccz .LBB163_1540
; %bb.1537:
	s_cmp_eq_u32 s4, 29
	s_cbranch_scc0 .LBB163_1539
; %bb.1538:
	global_load_dwordx2 v[7:8], v[0:1], off
	s_mov_b32 s2, 0
	s_mov_b32 s15, -1
	s_mov_b32 s16, 0
	s_waitcnt vmcnt(0)
	v_ffbh_u32_e32 v10, v8
	v_min_u32_e32 v10, 32, v10
	v_lshlrev_b64 v[7:8], v10, v[7:8]
	v_min_u32_e32 v7, 1, v7
	v_or_b32_e32 v7, v8, v7
	v_sub_nc_u32_e32 v8, 32, v10
	v_cvt_f32_u32_e32 v7, v7
	v_ldexp_f32 v7, v7, v8
	v_bfe_u32 v8, v7, 16, 1
	v_add3_u32 v7, v7, v8, 0x7fff
	v_lshrrev_b32_e32 v7, 16, v7
	s_branch .LBB163_1541
.LBB163_1539:
	s_mov_b32 s2, -1
                                        ; implicit-def: $vgpr7
.LBB163_1540:
	s_mov_b32 s16, 0
.LBB163_1541:
	s_and_b32 vcc_lo, exec_lo, s16
	s_cbranch_vccz .LBB163_1559
; %bb.1542:
	s_cmp_lt_i32 s4, 27
	s_cbranch_scc1 .LBB163_1545
; %bb.1543:
	s_cmp_gt_i32 s4, 27
	s_cbranch_scc0 .LBB163_1546
; %bb.1544:
	global_load_dword v7, v[0:1], off
	s_mov_b32 s15, 0
	s_waitcnt vmcnt(0)
	v_cvt_f32_u32_e32 v7, v7
	v_bfe_u32 v8, v7, 16, 1
	v_add3_u32 v7, v7, v8, 0x7fff
	v_lshrrev_b32_e32 v7, 16, v7
	s_branch .LBB163_1547
.LBB163_1545:
	s_mov_b32 s15, -1
                                        ; implicit-def: $vgpr7
	s_branch .LBB163_1550
.LBB163_1546:
	s_mov_b32 s15, -1
                                        ; implicit-def: $vgpr7
.LBB163_1547:
	s_andn2_b32 vcc_lo, exec_lo, s15
	s_cbranch_vccnz .LBB163_1549
; %bb.1548:
	global_load_ushort v7, v[0:1], off
	s_waitcnt vmcnt(0)
	v_cvt_f32_u32_e32 v7, v7
	v_bfe_u32 v8, v7, 16, 1
	v_add3_u32 v7, v7, v8, 0x7fff
	v_lshrrev_b32_e32 v7, 16, v7
.LBB163_1549:
	s_mov_b32 s15, 0
.LBB163_1550:
	s_andn2_b32 vcc_lo, exec_lo, s15
	s_cbranch_vccnz .LBB163_1558
; %bb.1551:
	global_load_ubyte v7, v[0:1], off
	s_mov_b32 s15, 0
	s_mov_b32 s16, exec_lo
	s_waitcnt vmcnt(0)
	v_cmpx_lt_i16_e32 0x7f, v7
	s_xor_b32 s16, exec_lo, s16
	s_cbranch_execz .LBB163_1572
; %bb.1552:
	s_mov_b32 s15, -1
	s_mov_b32 s17, exec_lo
	v_cmpx_eq_u16_e32 0x80, v7
; %bb.1553:
	s_xor_b32 s15, exec_lo, -1
; %bb.1554:
	s_or_b32 exec_lo, exec_lo, s17
	s_and_b32 s15, s15, exec_lo
	s_or_saveexec_b32 s16, s16
	v_mov_b32_e32 v8, 0x7f800001
	s_xor_b32 exec_lo, exec_lo, s16
	s_cbranch_execnz .LBB163_1573
.LBB163_1555:
	s_or_b32 exec_lo, exec_lo, s16
	s_and_saveexec_b32 s16, s15
	s_cbranch_execz .LBB163_1557
.LBB163_1556:
	v_and_b32_e32 v8, 0xffff, v7
	v_lshlrev_b32_e32 v7, 24, v7
	v_and_b32_e32 v10, 7, v8
	v_bfe_u32 v13, v8, 3, 4
	v_and_b32_e32 v7, 0x80000000, v7
	v_ffbh_u32_e32 v11, v10
	v_cmp_eq_u32_e32 vcc_lo, 0, v13
	v_min_u32_e32 v11, 32, v11
	v_subrev_nc_u32_e32 v12, 28, v11
	v_sub_nc_u32_e32 v11, 29, v11
	v_lshlrev_b32_e32 v8, v12, v8
	v_cndmask_b32_e32 v11, v13, v11, vcc_lo
	v_and_b32_e32 v8, 7, v8
	v_cndmask_b32_e32 v8, v10, v8, vcc_lo
	v_lshl_add_u32 v10, v11, 23, 0x3b800000
	v_lshlrev_b32_e32 v8, 20, v8
	v_or3_b32 v8, v7, v10, v8
.LBB163_1557:
	s_or_b32 exec_lo, exec_lo, s16
	v_bfe_u32 v7, v8, 16, 1
	v_cmp_o_f32_e32 vcc_lo, v8, v8
	v_add3_u32 v7, v8, v7, 0x7fff
	v_mov_b32_e32 v8, 0x7fc0
	v_cndmask_b32_sdwa v7, v8, v7, vcc_lo dst_sel:DWORD dst_unused:UNUSED_PAD src0_sel:DWORD src1_sel:WORD_1
.LBB163_1558:
	s_mov_b32 s15, -1
.LBB163_1559:
	s_mov_b32 s16, 0
.LBB163_1560:
	s_and_b32 vcc_lo, exec_lo, s16
	s_cbranch_vccz .LBB163_1593
; %bb.1561:
	s_cmp_gt_i32 s4, 22
	s_cbranch_scc0 .LBB163_1571
; %bb.1562:
	s_cmp_lt_i32 s4, 24
	s_cbranch_scc1 .LBB163_1574
; %bb.1563:
	s_cmp_gt_i32 s4, 24
	s_cbranch_scc0 .LBB163_1575
; %bb.1564:
	global_load_ubyte v7, v[0:1], off
	s_mov_b32 s15, exec_lo
	s_waitcnt vmcnt(0)
	v_cmpx_lt_i16_e32 0x7f, v7
	s_xor_b32 s15, exec_lo, s15
	s_cbranch_execz .LBB163_1587
; %bb.1565:
	s_mov_b32 s3, -1
	s_mov_b32 s16, exec_lo
	v_cmpx_eq_u16_e32 0x80, v7
; %bb.1566:
	s_xor_b32 s3, exec_lo, -1
; %bb.1567:
	s_or_b32 exec_lo, exec_lo, s16
	s_and_b32 s3, s3, exec_lo
	s_or_saveexec_b32 s15, s15
	v_mov_b32_e32 v8, 0x7f800001
	s_xor_b32 exec_lo, exec_lo, s15
	s_cbranch_execnz .LBB163_1588
.LBB163_1568:
	s_or_b32 exec_lo, exec_lo, s15
	s_and_saveexec_b32 s15, s3
	s_cbranch_execz .LBB163_1570
.LBB163_1569:
	v_and_b32_e32 v8, 0xffff, v7
	v_lshlrev_b32_e32 v7, 24, v7
	v_and_b32_e32 v10, 3, v8
	v_bfe_u32 v13, v8, 2, 5
	v_and_b32_e32 v7, 0x80000000, v7
	v_ffbh_u32_e32 v11, v10
	v_cmp_eq_u32_e32 vcc_lo, 0, v13
	v_min_u32_e32 v11, 32, v11
	v_subrev_nc_u32_e32 v12, 29, v11
	v_sub_nc_u32_e32 v11, 30, v11
	v_lshlrev_b32_e32 v8, v12, v8
	v_cndmask_b32_e32 v11, v13, v11, vcc_lo
	v_and_b32_e32 v8, 3, v8
	v_cndmask_b32_e32 v8, v10, v8, vcc_lo
	v_lshl_add_u32 v10, v11, 23, 0x37800000
	v_lshlrev_b32_e32 v8, 21, v8
	v_or3_b32 v8, v7, v10, v8
.LBB163_1570:
	s_or_b32 exec_lo, exec_lo, s15
	v_bfe_u32 v7, v8, 16, 1
	v_cmp_o_f32_e32 vcc_lo, v8, v8
	s_mov_b32 s3, 0
	v_add3_u32 v7, v8, v7, 0x7fff
	v_mov_b32_e32 v8, 0x7fc0
	v_cndmask_b32_sdwa v7, v8, v7, vcc_lo dst_sel:DWORD dst_unused:UNUSED_PAD src0_sel:DWORD src1_sel:WORD_1
	s_branch .LBB163_1576
.LBB163_1571:
	s_mov_b32 s3, -1
                                        ; implicit-def: $vgpr7
	s_branch .LBB163_1582
.LBB163_1572:
	s_or_saveexec_b32 s16, s16
	v_mov_b32_e32 v8, 0x7f800001
	s_xor_b32 exec_lo, exec_lo, s16
	s_cbranch_execz .LBB163_1555
.LBB163_1573:
	v_cmp_ne_u16_e32 vcc_lo, 0, v7
	v_mov_b32_e32 v8, 0
	s_andn2_b32 s15, s15, exec_lo
	s_and_b32 s17, vcc_lo, exec_lo
	s_or_b32 s15, s15, s17
	s_or_b32 exec_lo, exec_lo, s16
	s_and_saveexec_b32 s16, s15
	s_cbranch_execnz .LBB163_1556
	s_branch .LBB163_1557
.LBB163_1574:
	s_mov_b32 s3, -1
                                        ; implicit-def: $vgpr7
	s_branch .LBB163_1579
.LBB163_1575:
	s_mov_b32 s3, -1
                                        ; implicit-def: $vgpr7
.LBB163_1576:
	s_and_b32 vcc_lo, exec_lo, s3
	s_cbranch_vccz .LBB163_1578
; %bb.1577:
	global_load_ubyte v7, v[0:1], off
	s_waitcnt vmcnt(0)
	v_lshlrev_b32_e32 v7, 24, v7
	v_and_b32_e32 v8, 0x7f000000, v7
	v_ffbh_u32_e32 v10, v8
	v_add_nc_u32_e32 v12, 0x1000000, v8
	v_cmp_ne_u32_e32 vcc_lo, 0, v8
	v_min_u32_e32 v10, 32, v10
	v_sub_nc_u32_e64 v10, v10, 4 clamp
	v_lshlrev_b32_e32 v11, v10, v8
	v_lshlrev_b32_e32 v10, 23, v10
	v_lshrrev_b32_e32 v11, 4, v11
	v_sub_nc_u32_e32 v10, v11, v10
	v_ashrrev_i32_e32 v11, 8, v12
	v_add_nc_u32_e32 v10, 0x3c000000, v10
	v_and_or_b32 v10, 0x7f800000, v11, v10
	v_cndmask_b32_e32 v8, 0, v10, vcc_lo
	v_and_or_b32 v7, 0x80000000, v7, v8
	v_bfe_u32 v8, v8, 16, 1
	v_cmp_o_f32_e32 vcc_lo, v7, v7
	v_add3_u32 v7, v7, v8, 0x7fff
	v_mov_b32_e32 v8, 0x7fc0
	v_cndmask_b32_sdwa v7, v8, v7, vcc_lo dst_sel:DWORD dst_unused:UNUSED_PAD src0_sel:DWORD src1_sel:WORD_1
.LBB163_1578:
	s_mov_b32 s3, 0
.LBB163_1579:
	s_andn2_b32 vcc_lo, exec_lo, s3
	s_cbranch_vccnz .LBB163_1581
; %bb.1580:
	global_load_ubyte v7, v[0:1], off
	s_waitcnt vmcnt(0)
	v_lshlrev_b32_e32 v8, 25, v7
	v_lshlrev_b16 v7, 8, v7
	v_lshrrev_b32_e32 v10, 4, v8
	v_and_or_b32 v11, 0x7f00, v7, 0.5
	v_cmp_gt_u32_e32 vcc_lo, 0x8000000, v8
	v_bfe_i32 v7, v7, 0, 16
	v_or_b32_e32 v10, 0x70000000, v10
	v_add_f32_e32 v11, -0.5, v11
	v_mul_f32_e32 v10, 0x7800000, v10
	v_cndmask_b32_e32 v8, v10, v11, vcc_lo
	v_and_or_b32 v7, 0x80000000, v7, v8
	v_bfe_u32 v8, v8, 16, 1
	v_cmp_o_f32_e32 vcc_lo, v7, v7
	v_add3_u32 v7, v7, v8, 0x7fff
	v_mov_b32_e32 v8, 0x7fc0
	v_cndmask_b32_sdwa v7, v8, v7, vcc_lo dst_sel:DWORD dst_unused:UNUSED_PAD src0_sel:DWORD src1_sel:WORD_1
.LBB163_1581:
	s_mov_b32 s3, 0
	s_mov_b32 s15, -1
.LBB163_1582:
	s_andn2_b32 vcc_lo, exec_lo, s3
	s_mov_b32 s3, 0
	s_cbranch_vccnz .LBB163_1593
; %bb.1583:
	s_cmp_gt_i32 s4, 14
	s_cbranch_scc0 .LBB163_1586
; %bb.1584:
	s_cmp_eq_u32 s4, 15
	s_cbranch_scc0 .LBB163_1589
; %bb.1585:
	global_load_ushort v7, v[0:1], off
	s_mov_b32 s2, 0
	s_mov_b32 s15, -1
	s_branch .LBB163_1591
.LBB163_1586:
	s_mov_b32 s3, -1
	s_branch .LBB163_1590
.LBB163_1587:
	s_or_saveexec_b32 s15, s15
	v_mov_b32_e32 v8, 0x7f800001
	s_xor_b32 exec_lo, exec_lo, s15
	s_cbranch_execz .LBB163_1568
.LBB163_1588:
	v_cmp_ne_u16_e32 vcc_lo, 0, v7
	v_mov_b32_e32 v8, 0
	s_andn2_b32 s3, s3, exec_lo
	s_and_b32 s16, vcc_lo, exec_lo
	s_or_b32 s3, s3, s16
	s_or_b32 exec_lo, exec_lo, s15
	s_and_saveexec_b32 s15, s3
	s_cbranch_execnz .LBB163_1569
	s_branch .LBB163_1570
.LBB163_1589:
	s_mov_b32 s2, -1
.LBB163_1590:
                                        ; implicit-def: $vgpr7
.LBB163_1591:
	s_and_b32 vcc_lo, exec_lo, s3
	s_mov_b32 s3, 0
	s_cbranch_vccz .LBB163_1593
; %bb.1592:
	s_cmp_lg_u32 s4, 11
	s_mov_b32 s3, -1
	s_cselect_b32 s2, -1, 0
.LBB163_1593:
	s_and_b32 vcc_lo, exec_lo, s2
	s_cbranch_vccnz .LBB163_1694
; %bb.1594:
	s_andn2_b32 vcc_lo, exec_lo, s3
	s_cbranch_vccnz .LBB163_1596
.LBB163_1595:
	global_load_ubyte v7, v[0:1], off
	s_mov_b32 s15, -1
	s_waitcnt vmcnt(0)
	v_cmp_ne_u16_e32 vcc_lo, 0, v7
	v_cndmask_b32_e64 v7, 0, 1.0, vcc_lo
	v_lshrrev_b32_e32 v7, 16, v7
.LBB163_1596:
	s_branch .LBB163_1523
.LBB163_1597:
	s_cmp_lt_i32 s4, 5
	s_cbranch_scc1 .LBB163_1602
; %bb.1598:
	s_cmp_lt_i32 s4, 8
	s_cbranch_scc1 .LBB163_1603
; %bb.1599:
	;; [unrolled: 3-line block ×3, first 2 shown]
	s_cmp_gt_i32 s4, 9
	s_cbranch_scc0 .LBB163_1605
; %bb.1601:
	global_load_dwordx2 v[7:8], v[0:1], off
	s_mov_b32 s2, 0
	s_waitcnt vmcnt(0)
	v_cvt_f32_f64_e32 v7, v[7:8]
	v_bfe_u32 v8, v7, 16, 1
	v_cmp_o_f32_e32 vcc_lo, v7, v7
	v_add3_u32 v7, v7, v8, 0x7fff
	v_mov_b32_e32 v8, 0x7fc0
	v_cndmask_b32_sdwa v7, v8, v7, vcc_lo dst_sel:DWORD dst_unused:UNUSED_PAD src0_sel:DWORD src1_sel:WORD_1
	s_branch .LBB163_1606
.LBB163_1602:
	s_mov_b32 s2, -1
                                        ; implicit-def: $vgpr7
	s_branch .LBB163_1624
.LBB163_1603:
	s_mov_b32 s2, -1
                                        ; implicit-def: $vgpr7
	s_branch .LBB163_1612
.LBB163_1604:
	s_mov_b32 s2, -1
                                        ; implicit-def: $vgpr7
	s_branch .LBB163_1609
.LBB163_1605:
	s_mov_b32 s2, -1
                                        ; implicit-def: $vgpr7
.LBB163_1606:
	s_andn2_b32 vcc_lo, exec_lo, s2
	s_cbranch_vccnz .LBB163_1608
; %bb.1607:
	global_load_dword v7, v[0:1], off
	s_waitcnt vmcnt(0)
	v_bfe_u32 v8, v7, 16, 1
	v_cmp_o_f32_e32 vcc_lo, v7, v7
	v_add3_u32 v7, v7, v8, 0x7fff
	v_mov_b32_e32 v8, 0x7fc0
	v_cndmask_b32_sdwa v7, v8, v7, vcc_lo dst_sel:DWORD dst_unused:UNUSED_PAD src0_sel:DWORD src1_sel:WORD_1
.LBB163_1608:
	s_mov_b32 s2, 0
.LBB163_1609:
	s_andn2_b32 vcc_lo, exec_lo, s2
	s_cbranch_vccnz .LBB163_1611
; %bb.1610:
	global_load_dword v7, v[0:1], off
	s_waitcnt vmcnt(0)
	v_cvt_f32_f16_e32 v8, v7
	v_cmp_o_f16_e32 vcc_lo, v7, v7
	v_bfe_u32 v10, v8, 16, 1
	v_add3_u32 v7, v8, v10, 0x7fff
	v_mov_b32_e32 v8, 0x7fc0
	v_cndmask_b32_sdwa v7, v8, v7, vcc_lo dst_sel:DWORD dst_unused:UNUSED_PAD src0_sel:DWORD src1_sel:WORD_1
.LBB163_1611:
	s_mov_b32 s2, 0
.LBB163_1612:
	s_andn2_b32 vcc_lo, exec_lo, s2
	s_cbranch_vccnz .LBB163_1623
; %bb.1613:
	s_cmp_lt_i32 s4, 6
	s_cbranch_scc1 .LBB163_1616
; %bb.1614:
	s_cmp_gt_i32 s4, 6
	s_cbranch_scc0 .LBB163_1617
; %bb.1615:
	global_load_dwordx2 v[7:8], v[0:1], off
	s_mov_b32 s2, 0
	s_waitcnt vmcnt(0)
	v_cvt_f32_f64_e32 v7, v[7:8]
	v_bfe_u32 v8, v7, 16, 1
	v_cmp_o_f32_e32 vcc_lo, v7, v7
	v_add3_u32 v7, v7, v8, 0x7fff
	v_mov_b32_e32 v8, 0x7fc0
	v_cndmask_b32_sdwa v7, v8, v7, vcc_lo dst_sel:DWORD dst_unused:UNUSED_PAD src0_sel:DWORD src1_sel:WORD_1
	s_branch .LBB163_1618
.LBB163_1616:
	s_mov_b32 s2, -1
                                        ; implicit-def: $vgpr7
	s_branch .LBB163_1621
.LBB163_1617:
	s_mov_b32 s2, -1
                                        ; implicit-def: $vgpr7
.LBB163_1618:
	s_andn2_b32 vcc_lo, exec_lo, s2
	s_cbranch_vccnz .LBB163_1620
; %bb.1619:
	global_load_dword v7, v[0:1], off
	s_waitcnt vmcnt(0)
	v_bfe_u32 v8, v7, 16, 1
	v_cmp_o_f32_e32 vcc_lo, v7, v7
	v_add3_u32 v7, v7, v8, 0x7fff
	v_mov_b32_e32 v8, 0x7fc0
	v_cndmask_b32_sdwa v7, v8, v7, vcc_lo dst_sel:DWORD dst_unused:UNUSED_PAD src0_sel:DWORD src1_sel:WORD_1
.LBB163_1620:
	s_mov_b32 s2, 0
.LBB163_1621:
	s_andn2_b32 vcc_lo, exec_lo, s2
	s_cbranch_vccnz .LBB163_1623
; %bb.1622:
	global_load_ushort v7, v[0:1], off
	s_waitcnt vmcnt(0)
	v_cvt_f32_f16_e32 v8, v7
	v_cmp_o_f16_e32 vcc_lo, v7, v7
	v_bfe_u32 v10, v8, 16, 1
	v_add3_u32 v7, v8, v10, 0x7fff
	v_mov_b32_e32 v8, 0x7fc0
	v_cndmask_b32_sdwa v7, v8, v7, vcc_lo dst_sel:DWORD dst_unused:UNUSED_PAD src0_sel:DWORD src1_sel:WORD_1
.LBB163_1623:
	s_mov_b32 s2, 0
.LBB163_1624:
	s_andn2_b32 vcc_lo, exec_lo, s2
	s_cbranch_vccnz .LBB163_1644
; %bb.1625:
	s_cmp_lt_i32 s4, 2
	s_cbranch_scc1 .LBB163_1629
; %bb.1626:
	s_cmp_lt_i32 s4, 3
	s_cbranch_scc1 .LBB163_1630
; %bb.1627:
	s_cmp_gt_i32 s4, 3
	s_cbranch_scc0 .LBB163_1631
; %bb.1628:
	global_load_dwordx2 v[7:8], v[0:1], off
	s_mov_b32 s2, 0
	s_waitcnt vmcnt(0)
	v_xor_b32_e32 v10, v7, v8
	v_ffbh_i32_e32 v11, v8
	v_ashrrev_i32_e32 v10, 31, v10
	v_add_nc_u32_e32 v11, -1, v11
	v_add_nc_u32_e32 v10, 32, v10
	v_min_u32_e32 v10, v11, v10
	v_lshlrev_b64 v[7:8], v10, v[7:8]
	v_min_u32_e32 v7, 1, v7
	v_or_b32_e32 v7, v8, v7
	v_sub_nc_u32_e32 v8, 32, v10
	v_cvt_f32_i32_e32 v7, v7
	v_ldexp_f32 v7, v7, v8
	v_bfe_u32 v8, v7, 16, 1
	v_add3_u32 v7, v7, v8, 0x7fff
	v_lshrrev_b32_e32 v7, 16, v7
	s_branch .LBB163_1632
.LBB163_1629:
	s_mov_b32 s2, -1
                                        ; implicit-def: $vgpr7
	s_branch .LBB163_1638
.LBB163_1630:
	s_mov_b32 s2, -1
                                        ; implicit-def: $vgpr7
	s_branch .LBB163_1635
.LBB163_1631:
	s_mov_b32 s2, -1
                                        ; implicit-def: $vgpr7
.LBB163_1632:
	s_andn2_b32 vcc_lo, exec_lo, s2
	s_cbranch_vccnz .LBB163_1634
; %bb.1633:
	global_load_dword v7, v[0:1], off
	s_waitcnt vmcnt(0)
	v_cvt_f32_i32_e32 v7, v7
	v_bfe_u32 v8, v7, 16, 1
	v_add3_u32 v7, v7, v8, 0x7fff
	v_lshrrev_b32_e32 v7, 16, v7
.LBB163_1634:
	s_mov_b32 s2, 0
.LBB163_1635:
	s_andn2_b32 vcc_lo, exec_lo, s2
	s_cbranch_vccnz .LBB163_1637
; %bb.1636:
	global_load_sshort v7, v[0:1], off
	s_waitcnt vmcnt(0)
	v_cvt_f32_i32_e32 v7, v7
	v_bfe_u32 v8, v7, 16, 1
	v_add3_u32 v7, v7, v8, 0x7fff
	v_lshrrev_b32_e32 v7, 16, v7
.LBB163_1637:
	s_mov_b32 s2, 0
.LBB163_1638:
	s_andn2_b32 vcc_lo, exec_lo, s2
	s_cbranch_vccnz .LBB163_1644
; %bb.1639:
	s_cmp_gt_i32 s4, 0
	s_mov_b32 s2, 0
	s_cbranch_scc0 .LBB163_1641
; %bb.1640:
	global_load_sbyte v7, v[0:1], off
	s_waitcnt vmcnt(0)
	v_cvt_f32_i32_e32 v7, v7
	v_bfe_u32 v8, v7, 16, 1
	v_add3_u32 v7, v7, v8, 0x7fff
	v_lshrrev_b32_e32 v7, 16, v7
	s_branch .LBB163_1642
.LBB163_1641:
	s_mov_b32 s2, -1
                                        ; implicit-def: $vgpr7
.LBB163_1642:
	s_andn2_b32 vcc_lo, exec_lo, s2
	s_cbranch_vccnz .LBB163_1644
; %bb.1643:
	global_load_ubyte v0, v[0:1], off
	s_waitcnt vmcnt(0)
	v_cvt_f32_ubyte0_e32 v0, v0
	v_bfe_u32 v1, v0, 16, 1
	v_add3_u32 v0, v0, v1, 0x7fff
	v_lshrrev_b32_e32 v7, 16, v0
.LBB163_1644:
.LBB163_1645:
	s_waitcnt vmcnt(0)
	v_lshlrev_b32_e32 v7, 16, v7
	s_mov_b32 s3, exec_lo
                                        ; implicit-def: $vgpr8
	v_and_b32_e32 v0, 0x7fffffff, v7
	v_cmpx_ngt_f32_e64 0x3c800000, |v7|
	s_xor_b32 s3, exec_lo, s3
	s_cbranch_execz .LBB163_1675
; %bb.1646:
	s_mov_b32 s15, exec_lo
                                        ; implicit-def: $vgpr8
	v_cmpx_nlt_f32_e64 |v7|, 2.0
	s_xor_b32 s15, exec_lo, s15
	s_cbranch_execz .LBB163_1656
; %bb.1647:
	v_cmp_ngt_f32_e64 s2, 0x41000000, |v7|
                                        ; implicit-def: $vgpr8
	s_and_saveexec_b32 s16, s2
	s_xor_b32 s2, exec_lo, s16
	s_cbranch_execz .LBB163_1653
; %bb.1648:
	v_cmp_ngt_f32_e64 s16, 0x5c800000, |v7|
                                        ; implicit-def: $vgpr8
	s_and_saveexec_b32 s17, s16
	s_xor_b32 s16, exec_lo, s17
	s_cbranch_execz .LBB163_1650
; %bb.1649:
	v_cmp_gt_f32_e64 s17, 0x800000, |v7|
	v_cndmask_b32_e64 v1, 0, 32, s17
	v_ldexp_f32 v1, |v7|, v1
	v_log_f32_e32 v1, v1
	v_mul_f32_e32 v8, 0x3f317217, v1
	v_cmp_gt_f32_e64 vcc_lo, 0x7f800000, |v1|
	v_fma_f32 v10, 0x3f317217, v1, -v8
	v_fmamk_f32 v10, v1, 0x3377d1cf, v10
	v_add_f32_e32 v8, v8, v10
	v_cndmask_b32_e32 v1, v1, v8, vcc_lo
	v_cndmask_b32_e64 v8, 0, 0x41b17218, s17
	v_sub_f32_e32 v1, v1, v8
	v_fma_f32 v8, |v7|, v1, -|v7|
.LBB163_1650:
	s_andn2_saveexec_b32 s16, s16
	s_cbranch_execz .LBB163_1652
; %bb.1651:
	v_cmp_gt_f32_e64 s17, 0x800000, |v7|
	v_rcp_f32_e64 v8, |v7|
	s_mov_b32 s18, 0xbad5c4e8
	v_cndmask_b32_e64 v1, 0, 32, s17
	v_ldexp_f32 v1, |v7|, v1
	v_mul_f32_e32 v10, v8, v8
	v_log_f32_e32 v1, v1
	v_fmaak_f32 v12, s18, v10, 0x3a5b3dd2
	v_fmaak_f32 v12, v10, v12, 0xba1c065c
	v_mul_f32_e32 v11, 0x3f317217, v1
	v_fmaak_f32 v12, v10, v12, 0x3a500cfd
	v_cmp_gt_f32_e64 vcc_lo, 0x7f800000, |v1|
	v_fma_f32 v13, 0x3f317217, v1, -v11
	v_fmaak_f32 v12, v10, v12, 0xbb360b61
	v_fmamk_f32 v13, v1, 0x3377d1cf, v13
	v_fmaak_f32 v10, v10, v12, 0x3daaaaab
	v_add_f32_e32 v11, v11, v13
	v_fmaak_f32 v8, v8, v10, 0x3ed67f1d
	v_add_f32_e64 v10, |v7|, -0.5
	v_cndmask_b32_e32 v1, v1, v11, vcc_lo
	v_cndmask_b32_e64 v11, 0, 0x41b17218, s17
	v_sub_f32_e32 v1, v1, v11
	v_add_f32_e32 v1, -1.0, v1
	v_fmac_f32_e32 v8, v10, v1
.LBB163_1652:
	s_or_b32 exec_lo, exec_lo, s16
.LBB163_1653:
	s_andn2_saveexec_b32 s16, s2
	s_cbranch_execz .LBB163_1655
; %bb.1654:
	v_cvt_i32_f32_e32 v1, v0
	s_mov_b32 s2, 0x36f5d7bd
	s_mov_b32 s17, 0x3805ff67
	v_cvt_f32_i32_e32 v8, v1
	v_cmp_lt_i32_e32 vcc_lo, 2, v1
	v_sub_f32_e64 v8, |v7|, v8
	v_add_f32_e32 v10, 2.0, v8
	v_add_f32_e32 v11, 0x40400000, v8
	v_add_f32_e32 v12, 4.0, v8
	v_add_f32_e32 v13, 0x40a00000, v8
	v_cndmask_b32_e32 v10, 1.0, v10, vcc_lo
	v_cmp_lt_i32_e32 vcc_lo, 3, v1
	v_cndmask_b32_e32 v11, 1.0, v11, vcc_lo
	v_cmp_lt_i32_e32 vcc_lo, 4, v1
	v_mul_f32_e32 v10, v10, v11
	v_cndmask_b32_e32 v12, 1.0, v12, vcc_lo
	v_cmp_lt_i32_e32 vcc_lo, 5, v1
	v_add_f32_e32 v11, 0x40c00000, v8
	v_mul_f32_e32 v10, v12, v10
	v_cndmask_b32_e32 v13, 1.0, v13, vcc_lo
	v_cmp_lt_i32_e32 vcc_lo, 6, v1
	v_fmaak_f32 v12, s17, v8, 0x3af135b4
	v_mul_f32_e32 v10, v13, v10
	v_cndmask_b32_e32 v1, 1.0, v11, vcc_lo
	v_mul_f32_e32 v1, v1, v10
	v_fmaak_f32 v10, s2, v8, 0x3a4beed6
	v_cmp_gt_f32_e32 vcc_lo, 0x800000, v1
	v_fmaak_f32 v10, v8, v10, 0x3c98bf54
	v_cndmask_b32_e64 v11, 0, 32, vcc_lo
	v_fmaak_f32 v10, v8, v10, 0x3e300f6e
	v_ldexp_f32 v1, v1, v11
	v_fmaak_f32 v11, v8, v12, 0x3cda40e4
	v_fmaak_f32 v10, v8, v10, 0x3f38d0c5
	v_log_f32_e32 v1, v1
	v_fmaak_f32 v11, v8, v11, 0x3e15dce6
	v_fmaak_f32 v10, v8, v10, 0x3fb22d3b
	;; [unrolled: 1-line block ×3, first 2 shown]
	v_fma_f32 v10, v8, v10, 1.0
	v_mul_f32_e32 v12, 0x3f317217, v1
	v_fmaak_f32 v11, v8, v11, 0x3e5c245a
	v_rcp_f32_e32 v10, v10
	v_cmp_gt_f32_e64 s2, 0x7f800000, |v1|
	v_fma_f32 v13, 0x3f317217, v1, -v12
	v_fmaak_f32 v11, v8, v11, 0xbd9e233f
	v_fmamk_f32 v13, v1, 0x3377d1cf, v13
	v_mul_f32_e32 v11, v8, v11
	v_add_f32_e32 v12, v12, v13
	v_mul_f32_e32 v10, v11, v10
	v_cndmask_b32_e64 v11, 0, 0x41b17218, vcc_lo
	v_cndmask_b32_e64 v1, v1, v12, s2
	v_fmac_f32_e32 v10, 0.5, v8
	v_sub_f32_e32 v1, v1, v11
	v_add_f32_e32 v8, v1, v10
.LBB163_1655:
	s_or_b32 exec_lo, exec_lo, s16
.LBB163_1656:
	s_andn2_saveexec_b32 s15, s15
	s_cbranch_execz .LBB163_1674
; %bb.1657:
	s_mov_b32 s16, exec_lo
                                        ; implicit-def: $vgpr8
                                        ; implicit-def: $vgpr10
                                        ; implicit-def: $vgpr1
	v_cmpx_ge_f32_e64 0x3f666666, |v7|
	s_xor_b32 s16, exec_lo, s16
	s_cbranch_execz .LBB163_1659
; %bb.1658:
	v_cmp_gt_f32_e64 s2, 0x800000, |v7|
	v_sub_f32_e64 v11, 1.0, |v7|
	v_cmp_gt_f32_e64 vcc_lo, 0x3f3b4a23, |v7|
	v_cndmask_b32_e64 v1, 0, 32, s2
	v_cndmask_b32_e64 v12, 0, 0x41b17218, s2
	v_ldexp_f32 v1, |v7|, v1
	v_log_f32_e32 v1, v1
	v_mul_f32_e32 v8, 0x3f317217, v1
	v_cmp_gt_f32_e64 s2, 0x7f800000, |v1|
	v_fma_f32 v10, 0x3f317217, v1, -v8
	v_fmamk_f32 v10, v1, 0x3377d1cf, v10
	v_add_f32_e32 v8, v8, v10
	v_add_f32_e64 v10, 0xbeec5b0c, |v7|
	v_cndmask_b32_e64 v1, v1, v8, s2
	v_cndmask_b32_e32 v8, v11, v10, vcc_lo
	v_cndmask_b32_e64 v10, 0, 1, vcc_lo
	v_cmp_gt_f32_e64 s2, 0x3e6d3309, |v7|
	v_sub_f32_e32 v11, v1, v12
	v_cndmask_b32_e64 v1, v8, |v7|, s2
	v_cndmask_b32_e64 v10, v10, 2, s2
	v_xor_b32_e32 v8, 0x80000000, v11
.LBB163_1659:
	s_andn2_saveexec_b32 s2, s16
	s_cbranch_execz .LBB163_1661
; %bb.1660:
	v_sub_f32_e64 v1, 2.0, |v7|
	v_add_f32_e64 v8, 0xbfbb16c3, |v7|
	v_cmp_gt_f32_e64 vcc_lo, 0x3fdda512, |v7|
	v_add_f32_e64 v10, |v7|, -1.0
	v_cndmask_b32_e32 v8, v1, v8, vcc_lo
	v_cndmask_b32_e64 v1, v1, 1.0, vcc_lo
	v_cmp_gt_f32_e64 vcc_lo, 0x3f9d70a4, |v7|
	v_cvt_i32_f32_e32 v11, v1
	v_cndmask_b32_e32 v1, v8, v10, vcc_lo
	v_mov_b32_e32 v8, 0
	v_cndmask_b32_e64 v10, v11, 2, vcc_lo
.LBB163_1661:
	s_or_b32 exec_lo, exec_lo, s2
	s_mov_b32 s2, exec_lo
	v_cmpx_lt_i32_e32 0, v10
	s_xor_b32 s2, exec_lo, s2
	s_cbranch_execz .LBB163_1669
; %bb.1662:
	s_mov_b32 s16, exec_lo
	v_cmpx_lt_i32_e32 1, v10
	s_xor_b32 s16, exec_lo, s16
	s_cbranch_execz .LBB163_1666
; %bb.1663:
	s_mov_b32 s17, exec_lo
	v_cmpx_eq_u32_e32 2, v10
	s_cbranch_execz .LBB163_1665
; %bb.1664:
	s_mov_b32 s18, 0x3b52d5db
	v_fmaak_f32 v10, s18, v1, 0x3dd572af
	s_mov_b32 s18, 0x3c5b3c5e
	v_fmaak_f32 v11, s18, v1, 0x3e6a7578
	v_fmaak_f32 v10, v1, v10, 0x3f44efdf
	;; [unrolled: 1-line block ×7, first 2 shown]
	v_fma_f32 v10, v1, v10, 1.0
	v_fmaak_f32 v11, v1, v11, 0xbd9e233f
	v_rcp_f32_e32 v10, v10
	v_mul_f32_e32 v11, v1, v11
	v_mul_f32_e32 v10, v11, v10
	v_fmac_f32_e32 v10, -0.5, v1
	v_add_f32_e32 v8, v8, v10
.LBB163_1665:
	s_or_b32 exec_lo, exec_lo, s17
                                        ; implicit-def: $vgpr1
.LBB163_1666:
	s_andn2_saveexec_b32 s16, s16
	s_cbranch_execz .LBB163_1668
; %bb.1667:
	v_mul_f32_e32 v10, v1, v1
	s_mov_b32 s17, 0xb9a3f927
	s_mov_b32 s18, 0x39afe9f7
	v_mul_f32_e32 v11, v1, v10
	v_fmaak_f32 v12, s17, v11, 0x3a66f867
	v_fmaak_f32 v13, s18, v11, 0xba0d3085
	s_mov_b32 s17, 0x39a57b6b
	v_fmaak_f32 v14, s17, v11, 0xbab7f476
	v_fmaak_f32 v12, v11, v12, 0xbb7177fe
	v_fmaak_f32 v13, v11, v13, 0x3b141699
	v_fmaak_f32 v14, v11, v14, 0x3bc7e707
	v_fmaak_f32 v12, v11, v12, 0x3c93373d
	v_fmaak_f32 v13, v11, v13, 0xbc28fcfe
	v_fmaak_f32 v14, v11, v14, 0xbd064d47
	v_fmaak_f32 v12, v11, v12, 0xbe17213c
	v_fmaak_f32 v13, v11, v13, 0x3d845a15
	v_fmac_f32_e32 v12, v1, v13
	v_fmaak_f32 v1, v11, v14, 0x3ef7b95e
	v_fma_f32 v11, v11, -v12, 0xa2863e55
	v_fma_f32 v1, v10, v1, -v11
	v_add_f32_e32 v1, 0xbdf8cdce, v1
	v_add_f32_e32 v8, v8, v1
.LBB163_1668:
	s_or_b32 exec_lo, exec_lo, s16
                                        ; implicit-def: $vgpr10
                                        ; implicit-def: $vgpr1
.LBB163_1669:
	s_andn2_saveexec_b32 s2, s2
	s_cbranch_execz .LBB163_1673
; %bb.1670:
	s_mov_b32 s16, exec_lo
	v_cmpx_eq_u32_e32 0, v10
	s_cbranch_execz .LBB163_1672
; %bb.1671:
	v_mul_f32_e32 v10, v1, v1
	s_mov_b32 s17, 0x383c2c75
	v_fmaak_f32 v11, s17, v10, 0x38e28445
	s_mov_b32 s17, 0x37d383a2
	v_fmaak_f32 v12, s17, v10, 0x39679767
	v_fmaak_f32 v11, v10, v11, 0x3a05b634
	;; [unrolled: 1-line block ×9, first 2 shown]
	v_mul_f32_e32 v10, v10, v11
	v_fmac_f32_e32 v10, v1, v12
	v_fmac_f32_e32 v10, -0.5, v1
	v_add_f32_e32 v8, v8, v10
.LBB163_1672:
	s_or_b32 exec_lo, exec_lo, s16
.LBB163_1673:
	s_or_b32 exec_lo, exec_lo, s2
.LBB163_1674:
	s_or_b32 exec_lo, exec_lo, s15
.LBB163_1675:
	s_andn2_saveexec_b32 s2, s3
	s_cbranch_execz .LBB163_1677
; %bb.1676:
	v_cmp_gt_f32_e64 s3, 0x800000, |v7|
	s_mov_b32 s15, 0x3e8a8991
	v_fma_f32 v11, |v7|, s15, 0xbecd26ab
	v_cndmask_b32_e64 v1, 0, 32, s3
	v_ldexp_f32 v1, |v7|, v1
	v_log_f32_e32 v1, v1
	v_mul_f32_e32 v8, 0x3f317217, v1
	v_cmp_gt_f32_e64 vcc_lo, 0x7f800000, |v1|
	v_fma_f32 v10, 0x3f317217, v1, -v8
	v_fmamk_f32 v10, v1, 0x3377d1cf, v10
	v_add_f32_e32 v8, v8, v10
	v_fma_f32 v10, |v7|, v11, 0x3f528d33
	v_cndmask_b32_e32 v1, v1, v8, vcc_lo
	v_cndmask_b32_e64 v8, 0, 0x41b17218, s3
	v_fma_f32 v10, |v7|, v10, 0xbf13c468
	v_sub_f32_e32 v1, v1, v8
	v_fma_f32 v8, |v7|, v10, -v1
.LBB163_1677:
	s_or_b32 exec_lo, exec_lo, s2
	v_cmp_le_f32_e64 s2, 0, v7
	s_mov_b32 s3, exec_lo
	v_cmpx_nle_f32_e32 0, v7
	s_xor_b32 s15, exec_lo, s3
	s_cbranch_execz .LBB163_1681
; %bb.1678:
	v_cmp_gt_f32_e64 s3, 0x4b000000, |v7|
	v_cmp_lt_f32_e64 s16, 0x35000000, |v7|
	s_and_b32 s3, s3, s16
	s_and_saveexec_b32 s16, s3
	s_cbranch_execz .LBB163_1680
; %bb.1679:
	v_mul_f32_e64 v1, |v7|, 0.5
	v_cmp_gt_f32_e64 s3, |v7|, 1.0
	s_mov_b32 s17, 0x3d4be544
	v_floor_f32_e32 v10, v1
	v_cmp_neq_f32_e32 vcc_lo, 0x7f800000, v1
	v_sub_f32_e32 v10, v1, v10
	v_min_f32_e32 v10, 0x3f7fffff, v10
	v_add_f32_e32 v10, v10, v10
	v_cndmask_b32_e32 v1, 0, v10, vcc_lo
	v_cndmask_b32_e64 v1, |v7|, v1, s3
	s_mov_b32 s3, 0x3e75aa41
	v_add_f32_e32 v10, v1, v1
	v_rndne_f32_e32 v10, v10
	v_fmac_f32_e32 v1, -0.5, v10
	v_cvt_i32_f32_e32 v10, v10
	v_mul_f32_e32 v11, v1, v1
	v_fmaak_f32 v12, s3, v11, 0xbf1f24be
	v_fmaak_f32 v13, s17, v11, 0x3e642e9d
	v_mul_f32_e32 v14, v1, v11
	v_fmaak_f32 v12, v11, v12, 0x40234736
	v_fmaak_f32 v13, v11, v13, 0xbfaad1da
	;; [unrolled: 1-line block ×4, first 2 shown]
	v_mul_f32_e32 v12, v14, v12
	v_fmaak_f32 v13, v11, v13, 0xc09de9e6
	v_and_b32_e32 v14, 1, v10
	v_lshlrev_b32_e32 v10, 30, v10
	v_fmamk_f32 v1, v1, 0x40490fdb, v12
	v_fma_f32 v11, v11, v13, 1.0
	v_cmp_eq_u32_e32 vcc_lo, 0, v14
	v_and_or_b32 v0, 0x80000000, v10, v0
	v_cndmask_b32_e32 v1, v11, v1, vcc_lo
	v_xor3_b32 v0, v0, v1, v7
	v_mul_f32_e32 v0, v7, v0
	v_frexp_mant_f32_e64 v1, |v0|
	v_frexp_exp_i32_f32_e32 v0, v0
	v_rcp_f32_e32 v1, v1
	v_sub_nc_u32_e32 v0, 2, v0
	v_mul_f32_e32 v1, 0x3f490fdb, v1
	v_ldexp_f32 v0, v1, v0
	v_cmp_gt_f32_e32 vcc_lo, 0x800000, v0
	v_cndmask_b32_e64 v1, 0, 32, vcc_lo
	v_ldexp_f32 v0, v0, v1
	v_log_f32_e32 v0, v0
	v_mul_f32_e32 v1, 0x3f317217, v0
	v_cmp_gt_f32_e64 s3, 0x7f800000, |v0|
	v_fma_f32 v10, 0x3f317217, v0, -v1
	v_fmamk_f32 v10, v0, 0x3377d1cf, v10
	v_add_f32_e32 v1, v1, v10
	v_floor_f32_e32 v10, v7
	v_cndmask_b32_e64 v0, v0, v1, s3
	v_cndmask_b32_e64 v1, 0, 0x41b17218, vcc_lo
	v_sub_f32_e32 v10, v7, v10
	v_sub_f32_e32 v0, v0, v1
	v_min_f32_e32 v1, 0x3f7fffff, v10
	v_sub_f32_e32 v0, v0, v8
	v_cmp_neq_f32_e32 vcc_lo, 0, v1
	v_cndmask_b32_e32 v8, 0x7f800000, v0, vcc_lo
.LBB163_1680:
	s_or_b32 exec_lo, exec_lo, s16
.LBB163_1681:
	s_andn2_saveexec_b32 s15, s15
; %bb.1682:
	v_cmp_eq_f32_e32 vcc_lo, 1.0, v7
	v_cmp_eq_f32_e64 s3, 2.0, v7
	s_or_b32 s3, vcc_lo, s3
	v_cndmask_b32_e64 v8, v8, 0, s3
; %bb.1683:
	s_or_b32 exec_lo, exec_lo, s15
	v_add_nc_u32_e32 v0, s13, v9
	s_cmp_lt_i32 s4, 11
	v_ashrrev_i32_e32 v1, 31, v0
	v_add_co_u32 v0, vcc_lo, s10, v0
	v_add_co_ci_u32_e64 v1, null, s11, v1, vcc_lo
	s_cbranch_scc1 .LBB163_1690
; %bb.1684:
	s_cmp_gt_i32 s4, 25
	s_mov_b32 s10, 0
	s_cbranch_scc0 .LBB163_1691
; %bb.1685:
	s_cmp_gt_i32 s4, 28
	s_cbranch_scc0 .LBB163_1692
; %bb.1686:
	s_cmp_gt_i32 s4, 43
	;; [unrolled: 3-line block ×3, first 2 shown]
	s_cbranch_scc0 .LBB163_1695
; %bb.1688:
	s_cmp_eq_u32 s4, 46
	s_mov_b32 s13, 0
	s_cbranch_scc0 .LBB163_1696
; %bb.1689:
	global_load_dword v9, v[0:1], off
	s_mov_b32 s3, 0
	s_mov_b32 s11, -1
	s_branch .LBB163_1698
.LBB163_1690:
	s_mov_b32 s3, -1
	s_mov_b32 s11, 0
                                        ; implicit-def: $vgpr9
	s_branch .LBB163_1764
.LBB163_1691:
	s_mov_b32 s13, -1
	s_mov_b32 s11, 0
	s_mov_b32 s3, 0
                                        ; implicit-def: $vgpr9
	s_branch .LBB163_1727
.LBB163_1692:
	s_mov_b32 s13, -1
	s_mov_b32 s11, 0
	s_mov_b32 s3, 0
                                        ; implicit-def: $vgpr9
	s_branch .LBB163_1708
.LBB163_1693:
	s_mov_b32 s13, -1
	s_mov_b32 s11, 0
	s_mov_b32 s3, 0
                                        ; implicit-def: $vgpr9
	s_branch .LBB163_1703
.LBB163_1694:
	s_or_b32 s14, s14, exec_lo
	s_trap 2
	s_cbranch_execz .LBB163_1595
	s_branch .LBB163_1596
.LBB163_1695:
	s_mov_b32 s13, -1
	s_mov_b32 s11, 0
	s_mov_b32 s3, 0
	s_branch .LBB163_1697
.LBB163_1696:
	s_mov_b32 s3, -1
	s_mov_b32 s11, 0
.LBB163_1697:
                                        ; implicit-def: $vgpr9
.LBB163_1698:
	s_and_b32 vcc_lo, exec_lo, s13
	s_cbranch_vccz .LBB163_1702
; %bb.1699:
	s_cmp_eq_u32 s4, 44
	s_cbranch_scc0 .LBB163_1701
; %bb.1700:
	global_load_ubyte v9, v[0:1], off
	s_mov_b32 s3, 0
	s_mov_b32 s11, -1
	s_waitcnt vmcnt(0)
	v_lshlrev_b32_e32 v10, 23, v9
	v_cmp_ne_u32_e32 vcc_lo, 0xff, v9
	v_cndmask_b32_e32 v10, 0x7f800001, v10, vcc_lo
	v_cmp_ne_u32_e32 vcc_lo, 0, v9
	v_cndmask_b32_e32 v9, 0x400000, v10, vcc_lo
	v_mov_b32_e32 v10, 0x7fc0
	v_cmp_o_f32_e32 vcc_lo, v9, v9
	v_add_nc_u32_e32 v9, 0x7fff, v9
	v_cndmask_b32_sdwa v9, v10, v9, vcc_lo dst_sel:DWORD dst_unused:UNUSED_PAD src0_sel:DWORD src1_sel:WORD_1
	s_branch .LBB163_1702
.LBB163_1701:
	s_mov_b32 s3, -1
                                        ; implicit-def: $vgpr9
.LBB163_1702:
	s_mov_b32 s13, 0
.LBB163_1703:
	s_and_b32 vcc_lo, exec_lo, s13
	s_cbranch_vccz .LBB163_1707
; %bb.1704:
	s_cmp_eq_u32 s4, 29
	s_cbranch_scc0 .LBB163_1706
; %bb.1705:
	global_load_dwordx2 v[9:10], v[0:1], off
	s_mov_b32 s3, 0
	s_mov_b32 s11, -1
	s_mov_b32 s13, 0
	s_waitcnt vmcnt(0)
	v_ffbh_u32_e32 v11, v10
	v_min_u32_e32 v11, 32, v11
	v_lshlrev_b64 v[9:10], v11, v[9:10]
	v_min_u32_e32 v9, 1, v9
	v_or_b32_e32 v9, v10, v9
	v_sub_nc_u32_e32 v10, 32, v11
	v_cvt_f32_u32_e32 v9, v9
	v_ldexp_f32 v9, v9, v10
	v_bfe_u32 v10, v9, 16, 1
	v_add3_u32 v9, v9, v10, 0x7fff
	v_lshrrev_b32_e32 v9, 16, v9
	s_branch .LBB163_1708
.LBB163_1706:
	s_mov_b32 s3, -1
                                        ; implicit-def: $vgpr9
.LBB163_1707:
	s_mov_b32 s13, 0
.LBB163_1708:
	s_and_b32 vcc_lo, exec_lo, s13
	s_cbranch_vccz .LBB163_1726
; %bb.1709:
	s_cmp_lt_i32 s4, 27
	s_cbranch_scc1 .LBB163_1712
; %bb.1710:
	s_cmp_gt_i32 s4, 27
	s_cbranch_scc0 .LBB163_1713
; %bb.1711:
	global_load_dword v9, v[0:1], off
	s_mov_b32 s11, 0
	s_waitcnt vmcnt(0)
	v_cvt_f32_u32_e32 v9, v9
	v_bfe_u32 v10, v9, 16, 1
	v_add3_u32 v9, v9, v10, 0x7fff
	v_lshrrev_b32_e32 v9, 16, v9
	s_branch .LBB163_1714
.LBB163_1712:
	s_mov_b32 s11, -1
                                        ; implicit-def: $vgpr9
	s_branch .LBB163_1717
.LBB163_1713:
	s_mov_b32 s11, -1
                                        ; implicit-def: $vgpr9
.LBB163_1714:
	s_andn2_b32 vcc_lo, exec_lo, s11
	s_cbranch_vccnz .LBB163_1716
; %bb.1715:
	global_load_ushort v9, v[0:1], off
	s_waitcnt vmcnt(0)
	v_cvt_f32_u32_e32 v9, v9
	v_bfe_u32 v10, v9, 16, 1
	v_add3_u32 v9, v9, v10, 0x7fff
	v_lshrrev_b32_e32 v9, 16, v9
.LBB163_1716:
	s_mov_b32 s11, 0
.LBB163_1717:
	s_andn2_b32 vcc_lo, exec_lo, s11
	s_cbranch_vccnz .LBB163_1725
; %bb.1718:
	global_load_ubyte v9, v[0:1], off
	s_mov_b32 s11, 0
	s_mov_b32 s13, exec_lo
	s_waitcnt vmcnt(0)
	v_cmpx_lt_i16_e32 0x7f, v9
	s_xor_b32 s13, exec_lo, s13
	s_cbranch_execz .LBB163_1739
; %bb.1719:
	s_mov_b32 s11, -1
	s_mov_b32 s15, exec_lo
	v_cmpx_eq_u16_e32 0x80, v9
; %bb.1720:
	s_xor_b32 s11, exec_lo, -1
; %bb.1721:
	s_or_b32 exec_lo, exec_lo, s15
	s_and_b32 s11, s11, exec_lo
	s_or_saveexec_b32 s13, s13
	v_mov_b32_e32 v10, 0x7f800001
	s_xor_b32 exec_lo, exec_lo, s13
	s_cbranch_execnz .LBB163_1740
.LBB163_1722:
	s_or_b32 exec_lo, exec_lo, s13
	s_and_saveexec_b32 s13, s11
	s_cbranch_execz .LBB163_1724
.LBB163_1723:
	v_and_b32_e32 v10, 0xffff, v9
	v_lshlrev_b32_e32 v9, 24, v9
	v_and_b32_e32 v11, 7, v10
	v_bfe_u32 v14, v10, 3, 4
	v_and_b32_e32 v9, 0x80000000, v9
	v_ffbh_u32_e32 v12, v11
	v_cmp_eq_u32_e32 vcc_lo, 0, v14
	v_min_u32_e32 v12, 32, v12
	v_subrev_nc_u32_e32 v13, 28, v12
	v_sub_nc_u32_e32 v12, 29, v12
	v_lshlrev_b32_e32 v10, v13, v10
	v_cndmask_b32_e32 v12, v14, v12, vcc_lo
	v_and_b32_e32 v10, 7, v10
	v_cndmask_b32_e32 v10, v11, v10, vcc_lo
	v_lshl_add_u32 v11, v12, 23, 0x3b800000
	v_lshlrev_b32_e32 v10, 20, v10
	v_or3_b32 v10, v9, v11, v10
.LBB163_1724:
	s_or_b32 exec_lo, exec_lo, s13
	v_bfe_u32 v9, v10, 16, 1
	v_cmp_o_f32_e32 vcc_lo, v10, v10
	v_add3_u32 v9, v10, v9, 0x7fff
	v_mov_b32_e32 v10, 0x7fc0
	v_cndmask_b32_sdwa v9, v10, v9, vcc_lo dst_sel:DWORD dst_unused:UNUSED_PAD src0_sel:DWORD src1_sel:WORD_1
.LBB163_1725:
	s_mov_b32 s11, -1
.LBB163_1726:
	s_mov_b32 s13, 0
.LBB163_1727:
	s_and_b32 vcc_lo, exec_lo, s13
	s_cbranch_vccz .LBB163_1760
; %bb.1728:
	s_cmp_gt_i32 s4, 22
	s_cbranch_scc0 .LBB163_1738
; %bb.1729:
	s_cmp_lt_i32 s4, 24
	s_cbranch_scc1 .LBB163_1741
; %bb.1730:
	s_cmp_gt_i32 s4, 24
	s_cbranch_scc0 .LBB163_1742
; %bb.1731:
	global_load_ubyte v9, v[0:1], off
	s_mov_b32 s11, exec_lo
	s_waitcnt vmcnt(0)
	v_cmpx_lt_i16_e32 0x7f, v9
	s_xor_b32 s11, exec_lo, s11
	s_cbranch_execz .LBB163_1754
; %bb.1732:
	s_mov_b32 s10, -1
	s_mov_b32 s13, exec_lo
	v_cmpx_eq_u16_e32 0x80, v9
; %bb.1733:
	s_xor_b32 s10, exec_lo, -1
; %bb.1734:
	s_or_b32 exec_lo, exec_lo, s13
	s_and_b32 s10, s10, exec_lo
	s_or_saveexec_b32 s11, s11
	v_mov_b32_e32 v10, 0x7f800001
	s_xor_b32 exec_lo, exec_lo, s11
	s_cbranch_execnz .LBB163_1755
.LBB163_1735:
	s_or_b32 exec_lo, exec_lo, s11
	s_and_saveexec_b32 s11, s10
	s_cbranch_execz .LBB163_1737
.LBB163_1736:
	v_and_b32_e32 v10, 0xffff, v9
	v_lshlrev_b32_e32 v9, 24, v9
	v_and_b32_e32 v11, 3, v10
	v_bfe_u32 v14, v10, 2, 5
	v_and_b32_e32 v9, 0x80000000, v9
	v_ffbh_u32_e32 v12, v11
	v_cmp_eq_u32_e32 vcc_lo, 0, v14
	v_min_u32_e32 v12, 32, v12
	v_subrev_nc_u32_e32 v13, 29, v12
	v_sub_nc_u32_e32 v12, 30, v12
	v_lshlrev_b32_e32 v10, v13, v10
	v_cndmask_b32_e32 v12, v14, v12, vcc_lo
	v_and_b32_e32 v10, 3, v10
	v_cndmask_b32_e32 v10, v11, v10, vcc_lo
	v_lshl_add_u32 v11, v12, 23, 0x37800000
	v_lshlrev_b32_e32 v10, 21, v10
	v_or3_b32 v10, v9, v11, v10
.LBB163_1737:
	s_or_b32 exec_lo, exec_lo, s11
	v_bfe_u32 v9, v10, 16, 1
	v_cmp_o_f32_e32 vcc_lo, v10, v10
	s_mov_b32 s10, 0
	v_add3_u32 v9, v10, v9, 0x7fff
	v_mov_b32_e32 v10, 0x7fc0
	v_cndmask_b32_sdwa v9, v10, v9, vcc_lo dst_sel:DWORD dst_unused:UNUSED_PAD src0_sel:DWORD src1_sel:WORD_1
	s_branch .LBB163_1743
.LBB163_1738:
	s_mov_b32 s10, -1
                                        ; implicit-def: $vgpr9
	s_branch .LBB163_1749
.LBB163_1739:
	s_or_saveexec_b32 s13, s13
	v_mov_b32_e32 v10, 0x7f800001
	s_xor_b32 exec_lo, exec_lo, s13
	s_cbranch_execz .LBB163_1722
.LBB163_1740:
	v_cmp_ne_u16_e32 vcc_lo, 0, v9
	v_mov_b32_e32 v10, 0
	s_andn2_b32 s11, s11, exec_lo
	s_and_b32 s15, vcc_lo, exec_lo
	s_or_b32 s11, s11, s15
	s_or_b32 exec_lo, exec_lo, s13
	s_and_saveexec_b32 s13, s11
	s_cbranch_execnz .LBB163_1723
	s_branch .LBB163_1724
.LBB163_1741:
	s_mov_b32 s10, -1
                                        ; implicit-def: $vgpr9
	s_branch .LBB163_1746
.LBB163_1742:
	s_mov_b32 s10, -1
                                        ; implicit-def: $vgpr9
.LBB163_1743:
	s_and_b32 vcc_lo, exec_lo, s10
	s_cbranch_vccz .LBB163_1745
; %bb.1744:
	global_load_ubyte v9, v[0:1], off
	s_waitcnt vmcnt(0)
	v_lshlrev_b32_e32 v9, 24, v9
	v_and_b32_e32 v10, 0x7f000000, v9
	v_ffbh_u32_e32 v11, v10
	v_add_nc_u32_e32 v13, 0x1000000, v10
	v_cmp_ne_u32_e32 vcc_lo, 0, v10
	v_min_u32_e32 v11, 32, v11
	v_sub_nc_u32_e64 v11, v11, 4 clamp
	v_lshlrev_b32_e32 v12, v11, v10
	v_lshlrev_b32_e32 v11, 23, v11
	v_lshrrev_b32_e32 v12, 4, v12
	v_sub_nc_u32_e32 v11, v12, v11
	v_ashrrev_i32_e32 v12, 8, v13
	v_add_nc_u32_e32 v11, 0x3c000000, v11
	v_and_or_b32 v11, 0x7f800000, v12, v11
	v_cndmask_b32_e32 v10, 0, v11, vcc_lo
	v_and_or_b32 v9, 0x80000000, v9, v10
	v_bfe_u32 v10, v10, 16, 1
	v_cmp_o_f32_e32 vcc_lo, v9, v9
	v_add3_u32 v9, v9, v10, 0x7fff
	v_mov_b32_e32 v10, 0x7fc0
	v_cndmask_b32_sdwa v9, v10, v9, vcc_lo dst_sel:DWORD dst_unused:UNUSED_PAD src0_sel:DWORD src1_sel:WORD_1
.LBB163_1745:
	s_mov_b32 s10, 0
.LBB163_1746:
	s_andn2_b32 vcc_lo, exec_lo, s10
	s_cbranch_vccnz .LBB163_1748
; %bb.1747:
	global_load_ubyte v9, v[0:1], off
	s_waitcnt vmcnt(0)
	v_lshlrev_b32_e32 v10, 25, v9
	v_lshlrev_b16 v9, 8, v9
	v_lshrrev_b32_e32 v11, 4, v10
	v_and_or_b32 v12, 0x7f00, v9, 0.5
	v_cmp_gt_u32_e32 vcc_lo, 0x8000000, v10
	v_bfe_i32 v9, v9, 0, 16
	v_or_b32_e32 v11, 0x70000000, v11
	v_add_f32_e32 v12, -0.5, v12
	v_mul_f32_e32 v11, 0x7800000, v11
	v_cndmask_b32_e32 v10, v11, v12, vcc_lo
	v_and_or_b32 v9, 0x80000000, v9, v10
	v_bfe_u32 v10, v10, 16, 1
	v_cmp_o_f32_e32 vcc_lo, v9, v9
	v_add3_u32 v9, v9, v10, 0x7fff
	v_mov_b32_e32 v10, 0x7fc0
	v_cndmask_b32_sdwa v9, v10, v9, vcc_lo dst_sel:DWORD dst_unused:UNUSED_PAD src0_sel:DWORD src1_sel:WORD_1
.LBB163_1748:
	s_mov_b32 s10, 0
	s_mov_b32 s11, -1
.LBB163_1749:
	s_andn2_b32 vcc_lo, exec_lo, s10
	s_mov_b32 s10, 0
	s_cbranch_vccnz .LBB163_1760
; %bb.1750:
	s_cmp_gt_i32 s4, 14
	s_cbranch_scc0 .LBB163_1753
; %bb.1751:
	s_cmp_eq_u32 s4, 15
	s_cbranch_scc0 .LBB163_1756
; %bb.1752:
	global_load_ushort v9, v[0:1], off
	s_mov_b32 s3, 0
	s_mov_b32 s11, -1
	s_branch .LBB163_1758
.LBB163_1753:
	s_mov_b32 s10, -1
	s_branch .LBB163_1757
.LBB163_1754:
	s_or_saveexec_b32 s11, s11
	v_mov_b32_e32 v10, 0x7f800001
	s_xor_b32 exec_lo, exec_lo, s11
	s_cbranch_execz .LBB163_1735
.LBB163_1755:
	v_cmp_ne_u16_e32 vcc_lo, 0, v9
	v_mov_b32_e32 v10, 0
	s_andn2_b32 s10, s10, exec_lo
	s_and_b32 s13, vcc_lo, exec_lo
	s_or_b32 s10, s10, s13
	s_or_b32 exec_lo, exec_lo, s11
	s_and_saveexec_b32 s11, s10
	s_cbranch_execnz .LBB163_1736
	s_branch .LBB163_1737
.LBB163_1756:
	s_mov_b32 s3, -1
.LBB163_1757:
                                        ; implicit-def: $vgpr9
.LBB163_1758:
	s_and_b32 vcc_lo, exec_lo, s10
	s_mov_b32 s10, 0
	s_cbranch_vccz .LBB163_1760
; %bb.1759:
	s_cmp_lg_u32 s4, 11
	s_mov_b32 s10, -1
	s_cselect_b32 s3, -1, 0
.LBB163_1760:
	s_and_b32 vcc_lo, exec_lo, s3
	s_cbranch_vccnz .LBB163_2331
; %bb.1761:
	s_andn2_b32 vcc_lo, exec_lo, s10
	s_cbranch_vccnz .LBB163_1763
.LBB163_1762:
	global_load_ubyte v9, v[0:1], off
	s_mov_b32 s11, -1
	s_waitcnt vmcnt(0)
	v_cmp_ne_u16_e32 vcc_lo, 0, v9
	v_cndmask_b32_e64 v9, 0, 1.0, vcc_lo
	v_lshrrev_b32_e32 v9, 16, v9
.LBB163_1763:
	s_mov_b32 s3, 0
.LBB163_1764:
	s_and_b32 vcc_lo, exec_lo, s3
	s_cbranch_vccz .LBB163_1813
; %bb.1765:
	s_cmp_lt_i32 s4, 5
	s_cbranch_scc1 .LBB163_1770
; %bb.1766:
	s_cmp_lt_i32 s4, 8
	s_cbranch_scc1 .LBB163_1771
; %bb.1767:
	s_cmp_lt_i32 s4, 9
	s_cbranch_scc1 .LBB163_1772
; %bb.1768:
	s_cmp_gt_i32 s4, 9
	s_cbranch_scc0 .LBB163_1773
; %bb.1769:
	global_load_dwordx2 v[9:10], v[0:1], off
	s_mov_b32 s3, 0
	s_waitcnt vmcnt(0)
	v_cvt_f32_f64_e32 v9, v[9:10]
	v_bfe_u32 v10, v9, 16, 1
	v_cmp_o_f32_e32 vcc_lo, v9, v9
	v_add3_u32 v9, v9, v10, 0x7fff
	v_mov_b32_e32 v10, 0x7fc0
	v_cndmask_b32_sdwa v9, v10, v9, vcc_lo dst_sel:DWORD dst_unused:UNUSED_PAD src0_sel:DWORD src1_sel:WORD_1
	s_branch .LBB163_1774
.LBB163_1770:
	s_mov_b32 s3, -1
                                        ; implicit-def: $vgpr9
	s_branch .LBB163_1792
.LBB163_1771:
	s_mov_b32 s3, -1
                                        ; implicit-def: $vgpr9
	s_branch .LBB163_1780
.LBB163_1772:
	s_mov_b32 s3, -1
                                        ; implicit-def: $vgpr9
	s_branch .LBB163_1777
.LBB163_1773:
	s_mov_b32 s3, -1
                                        ; implicit-def: $vgpr9
.LBB163_1774:
	s_andn2_b32 vcc_lo, exec_lo, s3
	s_cbranch_vccnz .LBB163_1776
; %bb.1775:
	global_load_dword v9, v[0:1], off
	s_waitcnt vmcnt(0)
	v_bfe_u32 v10, v9, 16, 1
	v_cmp_o_f32_e32 vcc_lo, v9, v9
	v_add3_u32 v9, v9, v10, 0x7fff
	v_mov_b32_e32 v10, 0x7fc0
	v_cndmask_b32_sdwa v9, v10, v9, vcc_lo dst_sel:DWORD dst_unused:UNUSED_PAD src0_sel:DWORD src1_sel:WORD_1
.LBB163_1776:
	s_mov_b32 s3, 0
.LBB163_1777:
	s_andn2_b32 vcc_lo, exec_lo, s3
	s_cbranch_vccnz .LBB163_1779
; %bb.1778:
	global_load_dword v9, v[0:1], off
	s_waitcnt vmcnt(0)
	v_cvt_f32_f16_e32 v10, v9
	v_cmp_o_f16_e32 vcc_lo, v9, v9
	v_bfe_u32 v11, v10, 16, 1
	v_add3_u32 v9, v10, v11, 0x7fff
	v_mov_b32_e32 v10, 0x7fc0
	v_cndmask_b32_sdwa v9, v10, v9, vcc_lo dst_sel:DWORD dst_unused:UNUSED_PAD src0_sel:DWORD src1_sel:WORD_1
.LBB163_1779:
	s_mov_b32 s3, 0
.LBB163_1780:
	s_andn2_b32 vcc_lo, exec_lo, s3
	s_cbranch_vccnz .LBB163_1791
; %bb.1781:
	s_cmp_lt_i32 s4, 6
	s_cbranch_scc1 .LBB163_1784
; %bb.1782:
	s_cmp_gt_i32 s4, 6
	s_cbranch_scc0 .LBB163_1785
; %bb.1783:
	global_load_dwordx2 v[9:10], v[0:1], off
	s_mov_b32 s3, 0
	s_waitcnt vmcnt(0)
	v_cvt_f32_f64_e32 v9, v[9:10]
	v_bfe_u32 v10, v9, 16, 1
	v_cmp_o_f32_e32 vcc_lo, v9, v9
	v_add3_u32 v9, v9, v10, 0x7fff
	v_mov_b32_e32 v10, 0x7fc0
	v_cndmask_b32_sdwa v9, v10, v9, vcc_lo dst_sel:DWORD dst_unused:UNUSED_PAD src0_sel:DWORD src1_sel:WORD_1
	s_branch .LBB163_1786
.LBB163_1784:
	s_mov_b32 s3, -1
                                        ; implicit-def: $vgpr9
	s_branch .LBB163_1789
.LBB163_1785:
	s_mov_b32 s3, -1
                                        ; implicit-def: $vgpr9
.LBB163_1786:
	s_andn2_b32 vcc_lo, exec_lo, s3
	s_cbranch_vccnz .LBB163_1788
; %bb.1787:
	global_load_dword v9, v[0:1], off
	s_waitcnt vmcnt(0)
	v_bfe_u32 v10, v9, 16, 1
	v_cmp_o_f32_e32 vcc_lo, v9, v9
	v_add3_u32 v9, v9, v10, 0x7fff
	v_mov_b32_e32 v10, 0x7fc0
	v_cndmask_b32_sdwa v9, v10, v9, vcc_lo dst_sel:DWORD dst_unused:UNUSED_PAD src0_sel:DWORD src1_sel:WORD_1
.LBB163_1788:
	s_mov_b32 s3, 0
.LBB163_1789:
	s_andn2_b32 vcc_lo, exec_lo, s3
	s_cbranch_vccnz .LBB163_1791
; %bb.1790:
	global_load_ushort v9, v[0:1], off
	s_waitcnt vmcnt(0)
	v_cvt_f32_f16_e32 v10, v9
	v_cmp_o_f16_e32 vcc_lo, v9, v9
	v_bfe_u32 v11, v10, 16, 1
	v_add3_u32 v9, v10, v11, 0x7fff
	v_mov_b32_e32 v10, 0x7fc0
	v_cndmask_b32_sdwa v9, v10, v9, vcc_lo dst_sel:DWORD dst_unused:UNUSED_PAD src0_sel:DWORD src1_sel:WORD_1
.LBB163_1791:
	s_mov_b32 s3, 0
.LBB163_1792:
	s_andn2_b32 vcc_lo, exec_lo, s3
	s_cbranch_vccnz .LBB163_1812
; %bb.1793:
	s_cmp_lt_i32 s4, 2
	s_cbranch_scc1 .LBB163_1797
; %bb.1794:
	s_cmp_lt_i32 s4, 3
	s_cbranch_scc1 .LBB163_1798
; %bb.1795:
	s_cmp_gt_i32 s4, 3
	s_cbranch_scc0 .LBB163_1799
; %bb.1796:
	global_load_dwordx2 v[9:10], v[0:1], off
	s_mov_b32 s3, 0
	s_waitcnt vmcnt(0)
	v_xor_b32_e32 v11, v9, v10
	v_ffbh_i32_e32 v12, v10
	v_ashrrev_i32_e32 v11, 31, v11
	v_add_nc_u32_e32 v12, -1, v12
	v_add_nc_u32_e32 v11, 32, v11
	v_min_u32_e32 v11, v12, v11
	v_lshlrev_b64 v[9:10], v11, v[9:10]
	v_min_u32_e32 v9, 1, v9
	v_or_b32_e32 v9, v10, v9
	v_sub_nc_u32_e32 v10, 32, v11
	v_cvt_f32_i32_e32 v9, v9
	v_ldexp_f32 v9, v9, v10
	v_bfe_u32 v10, v9, 16, 1
	v_add3_u32 v9, v9, v10, 0x7fff
	v_lshrrev_b32_e32 v9, 16, v9
	s_branch .LBB163_1800
.LBB163_1797:
	s_mov_b32 s3, -1
                                        ; implicit-def: $vgpr9
	s_branch .LBB163_1806
.LBB163_1798:
	s_mov_b32 s3, -1
                                        ; implicit-def: $vgpr9
	s_branch .LBB163_1803
.LBB163_1799:
	s_mov_b32 s3, -1
                                        ; implicit-def: $vgpr9
.LBB163_1800:
	s_andn2_b32 vcc_lo, exec_lo, s3
	s_cbranch_vccnz .LBB163_1802
; %bb.1801:
	global_load_dword v9, v[0:1], off
	s_waitcnt vmcnt(0)
	v_cvt_f32_i32_e32 v9, v9
	v_bfe_u32 v10, v9, 16, 1
	v_add3_u32 v9, v9, v10, 0x7fff
	v_lshrrev_b32_e32 v9, 16, v9
.LBB163_1802:
	s_mov_b32 s3, 0
.LBB163_1803:
	s_andn2_b32 vcc_lo, exec_lo, s3
	s_cbranch_vccnz .LBB163_1805
; %bb.1804:
	global_load_sshort v9, v[0:1], off
	s_waitcnt vmcnt(0)
	v_cvt_f32_i32_e32 v9, v9
	v_bfe_u32 v10, v9, 16, 1
	v_add3_u32 v9, v9, v10, 0x7fff
	v_lshrrev_b32_e32 v9, 16, v9
.LBB163_1805:
	s_mov_b32 s3, 0
.LBB163_1806:
	s_andn2_b32 vcc_lo, exec_lo, s3
	s_cbranch_vccnz .LBB163_1812
; %bb.1807:
	s_cmp_gt_i32 s4, 0
	s_mov_b32 s3, 0
	s_cbranch_scc0 .LBB163_1809
; %bb.1808:
	global_load_sbyte v9, v[0:1], off
	s_waitcnt vmcnt(0)
	v_cvt_f32_i32_e32 v9, v9
	v_bfe_u32 v10, v9, 16, 1
	v_add3_u32 v9, v9, v10, 0x7fff
	v_lshrrev_b32_e32 v9, 16, v9
	s_branch .LBB163_1810
.LBB163_1809:
	s_mov_b32 s3, -1
                                        ; implicit-def: $vgpr9
.LBB163_1810:
	s_andn2_b32 vcc_lo, exec_lo, s3
	s_cbranch_vccnz .LBB163_1812
; %bb.1811:
	global_load_ubyte v0, v[0:1], off
	s_waitcnt vmcnt(0)
	v_cvt_f32_ubyte0_e32 v0, v0
	v_bfe_u32 v1, v0, 16, 1
	v_add3_u32 v0, v0, v1, 0x7fff
	v_lshrrev_b32_e32 v9, 16, v0
.LBB163_1812:
	s_mov_b32 s11, -1
.LBB163_1813:
	s_andn2_b32 vcc_lo, exec_lo, s11
	s_cbranch_vccnz .LBB163_2285
; %bb.1814:
	s_waitcnt vmcnt(0)
	v_lshlrev_b32_e32 v9, 16, v9
	s_mov_b32 s4, exec_lo
                                        ; implicit-def: $vgpr10
	v_and_b32_e32 v0, 0x7fffffff, v9
	v_cmpx_ngt_f32_e64 0x3c800000, |v9|
	s_xor_b32 s4, exec_lo, s4
	s_cbranch_execz .LBB163_1844
; %bb.1815:
	s_mov_b32 s10, exec_lo
                                        ; implicit-def: $vgpr10
	v_cmpx_nlt_f32_e64 |v9|, 2.0
	s_xor_b32 s10, exec_lo, s10
	s_cbranch_execz .LBB163_1825
; %bb.1816:
	v_cmp_ngt_f32_e64 s3, 0x41000000, |v9|
                                        ; implicit-def: $vgpr10
	s_and_saveexec_b32 s11, s3
	s_xor_b32 s3, exec_lo, s11
	s_cbranch_execz .LBB163_1822
; %bb.1817:
	v_cmp_ngt_f32_e64 s11, 0x5c800000, |v9|
                                        ; implicit-def: $vgpr10
	s_and_saveexec_b32 s13, s11
	s_xor_b32 s11, exec_lo, s13
	s_cbranch_execz .LBB163_1819
; %bb.1818:
	v_cmp_gt_f32_e64 s13, 0x800000, |v9|
	v_cndmask_b32_e64 v1, 0, 32, s13
	v_ldexp_f32 v1, |v9|, v1
	v_log_f32_e32 v1, v1
	v_mul_f32_e32 v10, 0x3f317217, v1
	v_cmp_gt_f32_e64 vcc_lo, 0x7f800000, |v1|
	v_fma_f32 v11, 0x3f317217, v1, -v10
	v_fmamk_f32 v11, v1, 0x3377d1cf, v11
	v_add_f32_e32 v10, v10, v11
	v_cndmask_b32_e32 v1, v1, v10, vcc_lo
	v_cndmask_b32_e64 v10, 0, 0x41b17218, s13
	v_sub_f32_e32 v1, v1, v10
	v_fma_f32 v10, |v9|, v1, -|v9|
.LBB163_1819:
	s_andn2_saveexec_b32 s11, s11
	s_cbranch_execz .LBB163_1821
; %bb.1820:
	v_cmp_gt_f32_e64 s13, 0x800000, |v9|
	v_rcp_f32_e64 v10, |v9|
	s_mov_b32 s15, 0xbad5c4e8
	v_cndmask_b32_e64 v1, 0, 32, s13
	v_ldexp_f32 v1, |v9|, v1
	v_mul_f32_e32 v11, v10, v10
	v_log_f32_e32 v1, v1
	v_fmaak_f32 v13, s15, v11, 0x3a5b3dd2
	v_fmaak_f32 v13, v11, v13, 0xba1c065c
	v_mul_f32_e32 v12, 0x3f317217, v1
	v_fmaak_f32 v13, v11, v13, 0x3a500cfd
	v_cmp_gt_f32_e64 vcc_lo, 0x7f800000, |v1|
	v_fma_f32 v14, 0x3f317217, v1, -v12
	v_fmaak_f32 v13, v11, v13, 0xbb360b61
	v_fmamk_f32 v14, v1, 0x3377d1cf, v14
	v_fmaak_f32 v11, v11, v13, 0x3daaaaab
	v_add_f32_e32 v12, v12, v14
	v_fmaak_f32 v10, v10, v11, 0x3ed67f1d
	v_add_f32_e64 v11, |v9|, -0.5
	v_cndmask_b32_e32 v1, v1, v12, vcc_lo
	v_cndmask_b32_e64 v12, 0, 0x41b17218, s13
	v_sub_f32_e32 v1, v1, v12
	v_add_f32_e32 v1, -1.0, v1
	v_fmac_f32_e32 v10, v11, v1
.LBB163_1821:
	s_or_b32 exec_lo, exec_lo, s11
.LBB163_1822:
	s_andn2_saveexec_b32 s11, s3
	s_cbranch_execz .LBB163_1824
; %bb.1823:
	v_cvt_i32_f32_e32 v1, v0
	s_mov_b32 s3, 0x36f5d7bd
	s_mov_b32 s13, 0x3805ff67
	v_cvt_f32_i32_e32 v10, v1
	v_cmp_lt_i32_e32 vcc_lo, 2, v1
	v_sub_f32_e64 v10, |v9|, v10
	v_add_f32_e32 v11, 2.0, v10
	v_add_f32_e32 v12, 0x40400000, v10
	v_add_f32_e32 v13, 4.0, v10
	v_add_f32_e32 v14, 0x40a00000, v10
	v_cndmask_b32_e32 v11, 1.0, v11, vcc_lo
	v_cmp_lt_i32_e32 vcc_lo, 3, v1
	v_cndmask_b32_e32 v12, 1.0, v12, vcc_lo
	v_cmp_lt_i32_e32 vcc_lo, 4, v1
	v_mul_f32_e32 v11, v11, v12
	v_cndmask_b32_e32 v13, 1.0, v13, vcc_lo
	v_cmp_lt_i32_e32 vcc_lo, 5, v1
	v_add_f32_e32 v12, 0x40c00000, v10
	v_mul_f32_e32 v11, v13, v11
	v_cndmask_b32_e32 v14, 1.0, v14, vcc_lo
	v_cmp_lt_i32_e32 vcc_lo, 6, v1
	v_fmaak_f32 v13, s13, v10, 0x3af135b4
	v_mul_f32_e32 v11, v14, v11
	v_cndmask_b32_e32 v1, 1.0, v12, vcc_lo
	v_mul_f32_e32 v1, v1, v11
	v_fmaak_f32 v11, s3, v10, 0x3a4beed6
	v_cmp_gt_f32_e32 vcc_lo, 0x800000, v1
	v_fmaak_f32 v11, v10, v11, 0x3c98bf54
	v_cndmask_b32_e64 v12, 0, 32, vcc_lo
	v_fmaak_f32 v11, v10, v11, 0x3e300f6e
	v_ldexp_f32 v1, v1, v12
	v_fmaak_f32 v12, v10, v13, 0x3cda40e4
	v_fmaak_f32 v11, v10, v11, 0x3f38d0c5
	v_log_f32_e32 v1, v1
	v_fmaak_f32 v12, v10, v12, 0x3e15dce6
	v_fmaak_f32 v11, v10, v11, 0x3fb22d3b
	;; [unrolled: 1-line block ×3, first 2 shown]
	v_fma_f32 v11, v10, v11, 1.0
	v_mul_f32_e32 v13, 0x3f317217, v1
	v_fmaak_f32 v12, v10, v12, 0x3e5c245a
	v_rcp_f32_e32 v11, v11
	v_cmp_gt_f32_e64 s3, 0x7f800000, |v1|
	v_fma_f32 v14, 0x3f317217, v1, -v13
	v_fmaak_f32 v12, v10, v12, 0xbd9e233f
	v_fmamk_f32 v14, v1, 0x3377d1cf, v14
	v_mul_f32_e32 v12, v10, v12
	v_add_f32_e32 v13, v13, v14
	v_mul_f32_e32 v11, v12, v11
	v_cndmask_b32_e64 v12, 0, 0x41b17218, vcc_lo
	v_cndmask_b32_e64 v1, v1, v13, s3
	v_fmac_f32_e32 v11, 0.5, v10
	v_sub_f32_e32 v1, v1, v12
	v_add_f32_e32 v10, v1, v11
.LBB163_1824:
	s_or_b32 exec_lo, exec_lo, s11
.LBB163_1825:
	s_andn2_saveexec_b32 s10, s10
	s_cbranch_execz .LBB163_1843
; %bb.1826:
	s_mov_b32 s11, exec_lo
                                        ; implicit-def: $vgpr10
                                        ; implicit-def: $vgpr11
                                        ; implicit-def: $vgpr1
	v_cmpx_ge_f32_e64 0x3f666666, |v9|
	s_xor_b32 s11, exec_lo, s11
	s_cbranch_execz .LBB163_1828
; %bb.1827:
	v_cmp_gt_f32_e64 s3, 0x800000, |v9|
	v_sub_f32_e64 v12, 1.0, |v9|
	v_cmp_gt_f32_e64 vcc_lo, 0x3f3b4a23, |v9|
	v_cndmask_b32_e64 v1, 0, 32, s3
	v_cndmask_b32_e64 v13, 0, 0x41b17218, s3
	v_ldexp_f32 v1, |v9|, v1
	v_log_f32_e32 v1, v1
	v_mul_f32_e32 v10, 0x3f317217, v1
	v_cmp_gt_f32_e64 s3, 0x7f800000, |v1|
	v_fma_f32 v11, 0x3f317217, v1, -v10
	v_fmamk_f32 v11, v1, 0x3377d1cf, v11
	v_add_f32_e32 v10, v10, v11
	v_add_f32_e64 v11, 0xbeec5b0c, |v9|
	v_cndmask_b32_e64 v1, v1, v10, s3
	v_cndmask_b32_e32 v10, v12, v11, vcc_lo
	v_cndmask_b32_e64 v11, 0, 1, vcc_lo
	v_cmp_gt_f32_e64 s3, 0x3e6d3309, |v9|
	v_sub_f32_e32 v12, v1, v13
	v_cndmask_b32_e64 v1, v10, |v9|, s3
	v_cndmask_b32_e64 v11, v11, 2, s3
	v_xor_b32_e32 v10, 0x80000000, v12
.LBB163_1828:
	s_andn2_saveexec_b32 s3, s11
	s_cbranch_execz .LBB163_1830
; %bb.1829:
	v_sub_f32_e64 v1, 2.0, |v9|
	v_add_f32_e64 v10, 0xbfbb16c3, |v9|
	v_cmp_gt_f32_e64 vcc_lo, 0x3fdda512, |v9|
	v_add_f32_e64 v11, |v9|, -1.0
	v_cndmask_b32_e32 v10, v1, v10, vcc_lo
	v_cndmask_b32_e64 v1, v1, 1.0, vcc_lo
	v_cmp_gt_f32_e64 vcc_lo, 0x3f9d70a4, |v9|
	v_cvt_i32_f32_e32 v12, v1
	v_cndmask_b32_e32 v1, v10, v11, vcc_lo
	v_mov_b32_e32 v10, 0
	v_cndmask_b32_e64 v11, v12, 2, vcc_lo
.LBB163_1830:
	s_or_b32 exec_lo, exec_lo, s3
	s_mov_b32 s3, exec_lo
	v_cmpx_lt_i32_e32 0, v11
	s_xor_b32 s3, exec_lo, s3
	s_cbranch_execz .LBB163_1838
; %bb.1831:
	s_mov_b32 s11, exec_lo
	v_cmpx_lt_i32_e32 1, v11
	s_xor_b32 s11, exec_lo, s11
	s_cbranch_execz .LBB163_1835
; %bb.1832:
	s_mov_b32 s13, exec_lo
	v_cmpx_eq_u32_e32 2, v11
	s_cbranch_execz .LBB163_1834
; %bb.1833:
	s_mov_b32 s15, 0x3b52d5db
	v_fmaak_f32 v11, s15, v1, 0x3dd572af
	s_mov_b32 s15, 0x3c5b3c5e
	v_fmaak_f32 v12, s15, v1, 0x3e6a7578
	v_fmaak_f32 v11, v1, v11, 0x3f44efdf
	;; [unrolled: 1-line block ×7, first 2 shown]
	v_fma_f32 v11, v1, v11, 1.0
	v_fmaak_f32 v12, v1, v12, 0xbd9e233f
	v_rcp_f32_e32 v11, v11
	v_mul_f32_e32 v12, v1, v12
	v_mul_f32_e32 v11, v12, v11
	v_fmac_f32_e32 v11, -0.5, v1
	v_add_f32_e32 v10, v10, v11
.LBB163_1834:
	s_or_b32 exec_lo, exec_lo, s13
                                        ; implicit-def: $vgpr1
.LBB163_1835:
	s_andn2_saveexec_b32 s11, s11
	s_cbranch_execz .LBB163_1837
; %bb.1836:
	v_mul_f32_e32 v11, v1, v1
	s_mov_b32 s13, 0xb9a3f927
	s_mov_b32 s15, 0x39afe9f7
	v_mul_f32_e32 v12, v1, v11
	v_fmaak_f32 v13, s13, v12, 0x3a66f867
	v_fmaak_f32 v14, s15, v12, 0xba0d3085
	s_mov_b32 s13, 0x39a57b6b
	v_fmaak_f32 v15, s13, v12, 0xbab7f476
	v_fmaak_f32 v13, v12, v13, 0xbb7177fe
	;; [unrolled: 1-line block ×9, first 2 shown]
	v_fmac_f32_e32 v13, v1, v14
	v_fmaak_f32 v1, v12, v15, 0x3ef7b95e
	v_fma_f32 v12, v12, -v13, 0xa2863e55
	v_fma_f32 v1, v11, v1, -v12
	v_add_f32_e32 v1, 0xbdf8cdce, v1
	v_add_f32_e32 v10, v10, v1
.LBB163_1837:
	s_or_b32 exec_lo, exec_lo, s11
                                        ; implicit-def: $vgpr11
                                        ; implicit-def: $vgpr1
.LBB163_1838:
	s_andn2_saveexec_b32 s3, s3
	s_cbranch_execz .LBB163_1842
; %bb.1839:
	s_mov_b32 s11, exec_lo
	v_cmpx_eq_u32_e32 0, v11
	s_cbranch_execz .LBB163_1841
; %bb.1840:
	v_mul_f32_e32 v11, v1, v1
	s_mov_b32 s13, 0x383c2c75
	v_fmaak_f32 v12, s13, v11, 0x38e28445
	s_mov_b32 s13, 0x37d383a2
	v_fmaak_f32 v13, s13, v11, 0x39679767
	v_fmaak_f32 v12, v11, v12, 0x3a05b634
	;; [unrolled: 1-line block ×9, first 2 shown]
	v_mul_f32_e32 v11, v11, v12
	v_fmac_f32_e32 v11, v1, v13
	v_fmac_f32_e32 v11, -0.5, v1
	v_add_f32_e32 v10, v10, v11
.LBB163_1841:
	s_or_b32 exec_lo, exec_lo, s11
.LBB163_1842:
	s_or_b32 exec_lo, exec_lo, s3
.LBB163_1843:
	s_or_b32 exec_lo, exec_lo, s10
.LBB163_1844:
	s_andn2_saveexec_b32 s3, s4
	s_cbranch_execz .LBB163_1846
; %bb.1845:
	v_cmp_gt_f32_e64 s4, 0x800000, |v9|
	s_mov_b32 s10, 0x3e8a8991
	v_fma_f32 v12, |v9|, s10, 0xbecd26ab
	v_cndmask_b32_e64 v1, 0, 32, s4
	v_ldexp_f32 v1, |v9|, v1
	v_log_f32_e32 v1, v1
	v_mul_f32_e32 v10, 0x3f317217, v1
	v_cmp_gt_f32_e64 vcc_lo, 0x7f800000, |v1|
	v_fma_f32 v11, 0x3f317217, v1, -v10
	v_fmamk_f32 v11, v1, 0x3377d1cf, v11
	v_add_f32_e32 v10, v10, v11
	v_fma_f32 v11, |v9|, v12, 0x3f528d33
	v_cndmask_b32_e32 v1, v1, v10, vcc_lo
	v_cndmask_b32_e64 v10, 0, 0x41b17218, s4
	v_fma_f32 v11, |v9|, v11, 0xbf13c468
	v_sub_f32_e32 v1, v1, v10
	v_fma_f32 v10, |v9|, v11, -v1
.LBB163_1846:
	s_or_b32 exec_lo, exec_lo, s3
	v_cmp_le_f32_e64 s3, 0, v9
	s_mov_b32 s4, exec_lo
	v_cmpx_nle_f32_e32 0, v9
	s_xor_b32 s10, exec_lo, s4
	s_cbranch_execz .LBB163_1850
; %bb.1847:
	v_cmp_gt_f32_e64 s4, 0x4b000000, |v9|
	v_cmp_lt_f32_e64 s11, 0x35000000, |v9|
	s_and_b32 s4, s4, s11
	s_and_saveexec_b32 s11, s4
	s_cbranch_execz .LBB163_1849
; %bb.1848:
	v_mul_f32_e64 v1, |v9|, 0.5
	v_cmp_gt_f32_e64 s4, |v9|, 1.0
	s_mov_b32 s13, 0x3d4be544
	v_floor_f32_e32 v11, v1
	v_cmp_neq_f32_e32 vcc_lo, 0x7f800000, v1
	v_sub_f32_e32 v11, v1, v11
	v_min_f32_e32 v11, 0x3f7fffff, v11
	v_add_f32_e32 v11, v11, v11
	v_cndmask_b32_e32 v1, 0, v11, vcc_lo
	v_cndmask_b32_e64 v1, |v9|, v1, s4
	s_mov_b32 s4, 0x3e75aa41
	v_add_f32_e32 v11, v1, v1
	v_rndne_f32_e32 v11, v11
	v_fmac_f32_e32 v1, -0.5, v11
	v_cvt_i32_f32_e32 v11, v11
	v_mul_f32_e32 v12, v1, v1
	v_fmaak_f32 v13, s4, v12, 0xbf1f24be
	v_fmaak_f32 v14, s13, v12, 0x3e642e9d
	v_mul_f32_e32 v15, v1, v12
	v_fmaak_f32 v13, v12, v13, 0x40234736
	v_fmaak_f32 v14, v12, v14, 0xbfaad1da
	;; [unrolled: 1-line block ×4, first 2 shown]
	v_mul_f32_e32 v13, v15, v13
	v_fmaak_f32 v14, v12, v14, 0xc09de9e6
	v_and_b32_e32 v15, 1, v11
	v_lshlrev_b32_e32 v11, 30, v11
	v_fmamk_f32 v1, v1, 0x40490fdb, v13
	v_fma_f32 v12, v12, v14, 1.0
	v_cmp_eq_u32_e32 vcc_lo, 0, v15
	v_and_or_b32 v0, 0x80000000, v11, v0
	v_cndmask_b32_e32 v1, v12, v1, vcc_lo
	v_xor3_b32 v0, v0, v1, v9
	v_mul_f32_e32 v0, v9, v0
	v_frexp_mant_f32_e64 v1, |v0|
	v_frexp_exp_i32_f32_e32 v0, v0
	v_rcp_f32_e32 v1, v1
	v_sub_nc_u32_e32 v0, 2, v0
	v_mul_f32_e32 v1, 0x3f490fdb, v1
	v_ldexp_f32 v0, v1, v0
	v_cmp_gt_f32_e32 vcc_lo, 0x800000, v0
	v_cndmask_b32_e64 v1, 0, 32, vcc_lo
	v_ldexp_f32 v0, v0, v1
	v_log_f32_e32 v0, v0
	v_mul_f32_e32 v1, 0x3f317217, v0
	v_cmp_gt_f32_e64 s4, 0x7f800000, |v0|
	v_fma_f32 v11, 0x3f317217, v0, -v1
	v_fmamk_f32 v11, v0, 0x3377d1cf, v11
	v_add_f32_e32 v1, v1, v11
	v_floor_f32_e32 v11, v9
	v_cndmask_b32_e64 v0, v0, v1, s4
	v_cndmask_b32_e64 v1, 0, 0x41b17218, vcc_lo
	v_sub_f32_e32 v11, v9, v11
	v_sub_f32_e32 v0, v0, v1
	v_min_f32_e32 v1, 0x3f7fffff, v11
	v_sub_f32_e32 v0, v0, v10
	v_cmp_neq_f32_e32 vcc_lo, 0, v1
	v_cndmask_b32_e32 v10, 0x7f800000, v0, vcc_lo
.LBB163_1849:
	s_or_b32 exec_lo, exec_lo, s11
.LBB163_1850:
	s_andn2_saveexec_b32 s10, s10
; %bb.1851:
	v_cmp_eq_f32_e32 vcc_lo, 1.0, v9
	v_cmp_eq_f32_e64 s4, 2.0, v9
	s_or_b32 s4, vcc_lo, s4
	v_cndmask_b32_e64 v10, v10, 0, s4
; %bb.1852:
	s_or_b32 exec_lo, exec_lo, s10
	v_cmp_gt_f32_e64 s4, 0x4b000000, |v3|
	v_mul_lo_u32 v2, s12, v2
	s_or_b32 vcc_lo, s0, s4
	v_cmp_class_f32_e64 s0, v3, 0x264
	v_cndmask_b32_e32 v0, 0x7f800000, v4, vcc_lo
	v_cmp_u_f32_e32 vcc_lo, v3, v3
	v_ashrrev_i32_e32 v4, 31, v2
	s_and_b32 s4, s5, 0xff
	s_cmp_lt_i32 s4, 11
	v_cndmask_b32_e64 v0, v0, 0x7f800000, s0
	v_cndmask_b32_e32 v0, v0, v3, vcc_lo
	v_mov_b32_e32 v3, 0x7fc0
	v_bfe_u32 v1, v0, 16, 1
	v_cmp_o_f32_e32 vcc_lo, v0, v0
	v_add3_u32 v11, v0, v1, 0x7fff
	v_add_co_u32 v0, s0, s8, v2
	v_add_co_ci_u32_e64 v1, null, s9, v4, s0
	v_cndmask_b32_sdwa v3, v3, v11, vcc_lo dst_sel:DWORD dst_unused:UNUSED_PAD src0_sel:DWORD src1_sel:WORD_1
	s_cbranch_scc1 .LBB163_1930
; %bb.1853:
	s_and_b32 s5, 0xffff, s4
	s_mov_b32 s13, -1
	s_mov_b32 s10, 0
	s_cmp_gt_i32 s5, 25
	s_mov_b32 s11, 0
	s_mov_b32 s0, 0
	s_cbranch_scc0 .LBB163_1886
; %bb.1854:
	s_cmp_gt_i32 s5, 28
	s_cbranch_scc0 .LBB163_1869
; %bb.1855:
	s_cmp_gt_i32 s5, 43
	;; [unrolled: 3-line block ×3, first 2 shown]
	s_cbranch_scc0 .LBB163_1859
; %bb.1857:
	s_mov_b32 s0, -1
	s_mov_b32 s13, 0
	s_cmp_eq_u32 s5, 46
	s_cbranch_scc0 .LBB163_1859
; %bb.1858:
	v_and_b32_e32 v4, 0xffff, v3
	s_mov_b32 s0, 0
	s_mov_b32 s11, -1
	global_store_dword v[0:1], v4, off
.LBB163_1859:
	s_and_b32 vcc_lo, exec_lo, s13
	s_cbranch_vccz .LBB163_1864
; %bb.1860:
	s_cmp_eq_u32 s5, 44
	s_mov_b32 s0, -1
	s_cbranch_scc0 .LBB163_1864
; %bb.1861:
	v_and_b32_e32 v4, 0xffff, v3
	v_mov_b32_e32 v11, 0xff
	s_mov_b32 s11, exec_lo
	v_bfe_u32 v12, v4, 7, 8
	v_cmpx_ne_u32_e32 0xff, v12
	s_cbranch_execz .LBB163_1863
; %bb.1862:
	v_lshlrev_b32_e32 v11, 16, v4
	v_and_b32_e32 v13, 64, v4
	v_lshrrev_b32_e32 v4, 7, v4
	v_and_or_b32 v11, 0x3f0000, v11, v12
	v_cmp_ne_u32_e32 vcc_lo, 0, v13
	v_cmp_ne_u32_e64 s0, 0, v11
	s_and_b32 s0, vcc_lo, s0
	v_cndmask_b32_e64 v11, 0, 1, s0
	v_add_nc_u32_e32 v11, v4, v11
.LBB163_1863:
	s_or_b32 exec_lo, exec_lo, s11
	s_mov_b32 s0, 0
	s_mov_b32 s11, -1
	global_store_byte v[0:1], v11, off
.LBB163_1864:
	s_mov_b32 s13, 0
.LBB163_1865:
	s_and_b32 vcc_lo, exec_lo, s13
	s_cbranch_vccz .LBB163_1868
; %bb.1866:
	s_cmp_eq_u32 s5, 29
	s_mov_b32 s0, -1
	s_cbranch_scc0 .LBB163_1868
; %bb.1867:
	v_lshlrev_b32_e32 v4, 16, v3
	s_mov_b32 s0, 0
	s_mov_b32 s11, -1
	v_trunc_f32_e32 v4, v4
	v_mul_f32_e32 v11, 0x2f800000, v4
	v_floor_f32_e32 v11, v11
	v_fmamk_f32 v4, v11, 0xcf800000, v4
	v_cvt_u32_f32_e32 v12, v11
	v_cvt_u32_f32_e32 v11, v4
	global_store_dwordx2 v[0:1], v[11:12], off
.LBB163_1868:
	s_mov_b32 s13, 0
.LBB163_1869:
	s_and_b32 vcc_lo, exec_lo, s13
	s_cbranch_vccz .LBB163_1885
; %bb.1870:
	s_cmp_lt_i32 s5, 27
	s_mov_b32 s11, -1
	s_cbranch_scc1 .LBB163_1876
; %bb.1871:
	s_cmp_gt_i32 s5, 27
	s_cbranch_scc0 .LBB163_1873
; %bb.1872:
	v_lshlrev_b32_e32 v4, 16, v3
	s_mov_b32 s11, 0
	v_cvt_u32_f32_e32 v4, v4
	global_store_dword v[0:1], v4, off
.LBB163_1873:
	s_andn2_b32 vcc_lo, exec_lo, s11
	s_cbranch_vccnz .LBB163_1875
; %bb.1874:
	v_lshlrev_b32_e32 v4, 16, v3
	v_cvt_u32_f32_e32 v4, v4
	global_store_short v[0:1], v4, off
.LBB163_1875:
	s_mov_b32 s11, 0
.LBB163_1876:
	s_andn2_b32 vcc_lo, exec_lo, s11
	s_cbranch_vccnz .LBB163_1884
; %bb.1877:
	v_lshlrev_b32_e32 v12, 16, v3
	v_mov_b32_e32 v13, 0x80
	s_mov_b32 s11, exec_lo
	v_and_b32_e32 v11, 0x7fffffff, v12
	v_cmpx_gt_u32_e32 0x43800000, v11
	s_cbranch_execz .LBB163_1883
; %bb.1878:
	v_and_b32_e32 v4, 0xffff, v3
	v_cmp_lt_u32_e32 vcc_lo, 0x3bffffff, v11
	s_mov_b32 s13, 0
                                        ; implicit-def: $vgpr11
	s_and_saveexec_b32 s15, vcc_lo
	s_xor_b32 s15, exec_lo, s15
	s_cbranch_execz .LBB163_2332
; %bb.1879:
	v_bfe_u32 v11, v4, 4, 1
	s_mov_b32 s13, exec_lo
	v_add3_u32 v11, v12, v11, 0x487ffff
                                        ; implicit-def: $vgpr12
	v_lshrrev_b32_e32 v11, 20, v11
	s_andn2_saveexec_b32 s15, s15
	s_cbranch_execnz .LBB163_2333
.LBB163_1880:
	s_or_b32 exec_lo, exec_lo, s15
	v_mov_b32_e32 v13, 0
	s_and_saveexec_b32 s15, s13
.LBB163_1881:
	v_lshrrev_b32_e32 v4, 8, v4
	v_and_or_b32 v13, 0x80, v4, v11
.LBB163_1882:
	s_or_b32 exec_lo, exec_lo, s15
.LBB163_1883:
	s_or_b32 exec_lo, exec_lo, s11
	global_store_byte v[0:1], v13, off
.LBB163_1884:
	s_mov_b32 s11, -1
.LBB163_1885:
	s_mov_b32 s13, 0
.LBB163_1886:
	s_and_b32 vcc_lo, exec_lo, s13
	s_cbranch_vccz .LBB163_1926
; %bb.1887:
	s_cmp_gt_i32 s5, 22
	s_mov_b32 s10, -1
	s_cbranch_scc0 .LBB163_1919
; %bb.1888:
	s_cmp_lt_i32 s5, 24
	s_cbranch_scc1 .LBB163_1908
; %bb.1889:
	s_cmp_gt_i32 s5, 24
	s_cbranch_scc0 .LBB163_1897
; %bb.1890:
	v_lshlrev_b32_e32 v12, 16, v3
	v_mov_b32_e32 v13, 0x80
	s_mov_b32 s10, exec_lo
	v_and_b32_e32 v11, 0x7fffffff, v12
	v_cmpx_gt_u32_e32 0x47800000, v11
	s_cbranch_execz .LBB163_1896
; %bb.1891:
	v_and_b32_e32 v4, 0xffff, v3
	v_cmp_lt_u32_e32 vcc_lo, 0x37ffffff, v11
	s_mov_b32 s11, 0
                                        ; implicit-def: $vgpr11
	s_and_saveexec_b32 s13, vcc_lo
	s_xor_b32 s13, exec_lo, s13
	s_cbranch_execz .LBB163_2335
; %bb.1892:
	v_bfe_u32 v11, v4, 5, 1
	s_mov_b32 s11, exec_lo
	v_add3_u32 v11, v12, v11, 0x88fffff
                                        ; implicit-def: $vgpr12
	v_lshrrev_b32_e32 v11, 21, v11
	s_andn2_saveexec_b32 s13, s13
	s_cbranch_execnz .LBB163_2336
.LBB163_1893:
	s_or_b32 exec_lo, exec_lo, s13
	v_mov_b32_e32 v13, 0
	s_and_saveexec_b32 s13, s11
.LBB163_1894:
	v_lshrrev_b32_e32 v4, 8, v4
	v_and_or_b32 v13, 0x80, v4, v11
.LBB163_1895:
	s_or_b32 exec_lo, exec_lo, s13
.LBB163_1896:
	s_or_b32 exec_lo, exec_lo, s10
	s_mov_b32 s10, 0
	global_store_byte v[0:1], v13, off
.LBB163_1897:
	s_and_b32 vcc_lo, exec_lo, s10
	s_cbranch_vccz .LBB163_1907
; %bb.1898:
	v_lshlrev_b32_e32 v12, 16, v3
	v_and_b32_e32 v4, 0xffff, v3
	s_mov_b32 s10, exec_lo
                                        ; implicit-def: $vgpr11
	v_and_b32_e32 v13, 0x7fffffff, v12
	v_cmpx_gt_u32_e32 0x43f00000, v13
	s_xor_b32 s10, exec_lo, s10
	s_cbranch_execz .LBB163_1904
; %bb.1899:
	s_mov_b32 s11, exec_lo
                                        ; implicit-def: $vgpr11
	v_cmpx_lt_u32_e32 0x3c7fffff, v13
	s_xor_b32 s11, exec_lo, s11
; %bb.1900:
	v_bfe_u32 v11, v4, 4, 1
	v_add3_u32 v11, v12, v11, 0x407ffff
	v_and_b32_e32 v12, 0xff00000, v11
	v_lshrrev_b32_e32 v11, 20, v11
	v_cmp_ne_u32_e32 vcc_lo, 0x7f00000, v12
                                        ; implicit-def: $vgpr12
	v_cndmask_b32_e32 v11, 0x7e, v11, vcc_lo
; %bb.1901:
	s_andn2_saveexec_b32 s11, s11
; %bb.1902:
	v_add_f32_e64 v11, 0x46800000, |v12|
; %bb.1903:
	s_or_b32 exec_lo, exec_lo, s11
                                        ; implicit-def: $vgpr13
.LBB163_1904:
	s_andn2_saveexec_b32 s10, s10
; %bb.1905:
	v_mov_b32_e32 v11, 0x7f
	v_cmp_lt_u32_e32 vcc_lo, 0x7f800000, v13
	v_cndmask_b32_e32 v11, 0x7e, v11, vcc_lo
; %bb.1906:
	s_or_b32 exec_lo, exec_lo, s10
	v_lshrrev_b32_e32 v4, 8, v4
	v_and_or_b32 v4, 0x80, v4, v11
	global_store_byte v[0:1], v4, off
.LBB163_1907:
	s_mov_b32 s10, 0
.LBB163_1908:
	s_andn2_b32 vcc_lo, exec_lo, s10
	s_cbranch_vccnz .LBB163_1918
; %bb.1909:
	v_lshlrev_b32_e32 v12, 16, v3
	v_and_b32_e32 v4, 0xffff, v3
	s_mov_b32 s10, exec_lo
                                        ; implicit-def: $vgpr11
	v_and_b32_e32 v13, 0x7fffffff, v12
	v_cmpx_gt_u32_e32 0x47800000, v13
	s_xor_b32 s10, exec_lo, s10
	s_cbranch_execz .LBB163_1915
; %bb.1910:
	s_mov_b32 s11, exec_lo
                                        ; implicit-def: $vgpr11
	v_cmpx_lt_u32_e32 0x387fffff, v13
	s_xor_b32 s11, exec_lo, s11
; %bb.1911:
	v_bfe_u32 v11, v4, 5, 1
	v_add3_u32 v11, v12, v11, 0x80fffff
                                        ; implicit-def: $vgpr12
	v_lshrrev_b32_e32 v11, 21, v11
; %bb.1912:
	s_andn2_saveexec_b32 s11, s11
; %bb.1913:
	v_add_f32_e64 v11, 0x43000000, |v12|
; %bb.1914:
	s_or_b32 exec_lo, exec_lo, s11
                                        ; implicit-def: $vgpr13
.LBB163_1915:
	s_andn2_saveexec_b32 s10, s10
; %bb.1916:
	v_mov_b32_e32 v11, 0x7f
	v_cmp_lt_u32_e32 vcc_lo, 0x7f800000, v13
	v_cndmask_b32_e32 v11, 0x7c, v11, vcc_lo
; %bb.1917:
	s_or_b32 exec_lo, exec_lo, s10
	v_lshrrev_b32_e32 v4, 8, v4
	v_and_or_b32 v4, 0x80, v4, v11
	global_store_byte v[0:1], v4, off
.LBB163_1918:
	s_mov_b32 s10, 0
	s_mov_b32 s11, -1
.LBB163_1919:
	s_andn2_b32 vcc_lo, exec_lo, s10
	s_mov_b32 s10, 0
	s_cbranch_vccnz .LBB163_1926
; %bb.1920:
	s_cmp_gt_i32 s5, 14
	s_mov_b32 s10, -1
	s_cbranch_scc0 .LBB163_1924
; %bb.1921:
	s_cmp_eq_u32 s5, 15
	s_mov_b32 s0, -1
	s_cbranch_scc0 .LBB163_1923
; %bb.1922:
	s_mov_b32 s0, 0
	s_mov_b32 s11, -1
	global_store_short v[0:1], v3, off
.LBB163_1923:
	s_mov_b32 s10, 0
.LBB163_1924:
	s_and_b32 vcc_lo, exec_lo, s10
	s_mov_b32 s10, 0
	s_cbranch_vccz .LBB163_1926
; %bb.1925:
	s_cmp_lg_u32 s5, 11
	s_mov_b32 s10, -1
	s_cselect_b32 s0, -1, 0
.LBB163_1926:
	s_and_b32 vcc_lo, exec_lo, s0
	s_cbranch_vccnz .LBB163_2334
; %bb.1927:
	s_andn2_b32 vcc_lo, exec_lo, s10
	s_cbranch_vccnz .LBB163_1929
.LBB163_1928:
	v_and_b32_e32 v4, 0x7fff, v3
	s_mov_b32 s11, -1
	v_cmp_ne_u16_e32 vcc_lo, 0, v4
	v_cndmask_b32_e64 v4, 0, 1, vcc_lo
	global_store_byte v[0:1], v4, off
.LBB163_1929:
	s_mov_b32 s0, 0
	s_branch .LBB163_1931
.LBB163_1930:
	s_mov_b32 s0, -1
	s_mov_b32 s11, 0
.LBB163_1931:
	s_and_b32 vcc_lo, exec_lo, s0
	s_cbranch_vccz .LBB163_1970
; %bb.1932:
	s_and_b32 s0, 0xffff, s4
	s_mov_b32 s5, -1
	s_cmp_lt_i32 s0, 5
	s_cbranch_scc1 .LBB163_1953
; %bb.1933:
	s_cmp_lt_i32 s0, 8
	s_cbranch_scc1 .LBB163_1943
; %bb.1934:
	;; [unrolled: 3-line block ×3, first 2 shown]
	s_cmp_gt_i32 s0, 9
	s_cbranch_scc0 .LBB163_1937
; %bb.1936:
	v_lshlrev_b32_e32 v4, 16, v3
	v_mov_b32_e32 v13, 0
	s_mov_b32 s5, 0
	v_cvt_f64_f32_e32 v[11:12], v4
	v_mov_b32_e32 v14, v13
	global_store_dwordx4 v[0:1], v[11:14], off
.LBB163_1937:
	s_andn2_b32 vcc_lo, exec_lo, s5
	s_cbranch_vccnz .LBB163_1939
; %bb.1938:
	v_lshlrev_b32_e32 v11, 16, v3
	v_mov_b32_e32 v12, 0
	global_store_dwordx2 v[0:1], v[11:12], off
.LBB163_1939:
	s_mov_b32 s5, 0
.LBB163_1940:
	s_andn2_b32 vcc_lo, exec_lo, s5
	s_cbranch_vccnz .LBB163_1942
; %bb.1941:
	v_lshlrev_b32_e32 v4, 16, v3
	v_cvt_f16_f32_e32 v4, v4
	v_and_b32_e32 v4, 0xffff, v4
	global_store_dword v[0:1], v4, off
.LBB163_1942:
	s_mov_b32 s5, 0
.LBB163_1943:
	s_andn2_b32 vcc_lo, exec_lo, s5
	s_cbranch_vccnz .LBB163_1952
; %bb.1944:
	s_cmp_lt_i32 s0, 6
	s_mov_b32 s5, -1
	s_cbranch_scc1 .LBB163_1950
; %bb.1945:
	s_cmp_gt_i32 s0, 6
	s_cbranch_scc0 .LBB163_1947
; %bb.1946:
	v_lshlrev_b32_e32 v4, 16, v3
	s_mov_b32 s5, 0
	v_cvt_f64_f32_e32 v[11:12], v4
	global_store_dwordx2 v[0:1], v[11:12], off
.LBB163_1947:
	s_andn2_b32 vcc_lo, exec_lo, s5
	s_cbranch_vccnz .LBB163_1949
; %bb.1948:
	v_lshlrev_b32_e32 v4, 16, v3
	global_store_dword v[0:1], v4, off
.LBB163_1949:
	s_mov_b32 s5, 0
.LBB163_1950:
	s_andn2_b32 vcc_lo, exec_lo, s5
	s_cbranch_vccnz .LBB163_1952
; %bb.1951:
	v_lshlrev_b32_e32 v4, 16, v3
	v_cvt_f16_f32_e32 v4, v4
	global_store_short v[0:1], v4, off
.LBB163_1952:
	s_mov_b32 s5, 0
.LBB163_1953:
	s_andn2_b32 vcc_lo, exec_lo, s5
	s_cbranch_vccnz .LBB163_1969
; %bb.1954:
	s_cmp_lt_i32 s0, 2
	s_mov_b32 s5, -1
	s_cbranch_scc1 .LBB163_1964
; %bb.1955:
	s_cmp_lt_i32 s0, 3
	s_cbranch_scc1 .LBB163_1961
; %bb.1956:
	s_cmp_gt_i32 s0, 3
	s_cbranch_scc0 .LBB163_1958
; %bb.1957:
	v_lshlrev_b32_e32 v4, 16, v3
	s_mov_b32 s5, 0
	v_trunc_f32_e32 v4, v4
	v_mul_f32_e64 v11, 0x2f800000, |v4|
	v_floor_f32_e32 v11, v11
	v_fma_f32 v12, 0xcf800000, v11, |v4|
	v_ashrrev_i32_e32 v4, 31, v4
	v_cvt_u32_f32_e32 v11, v11
	v_cvt_u32_f32_e32 v12, v12
	v_xor_b32_e32 v13, v11, v4
	v_xor_b32_e32 v12, v12, v4
	v_sub_co_u32 v11, vcc_lo, v12, v4
	v_sub_co_ci_u32_e64 v12, null, v13, v4, vcc_lo
	global_store_dwordx2 v[0:1], v[11:12], off
.LBB163_1958:
	s_andn2_b32 vcc_lo, exec_lo, s5
	s_cbranch_vccnz .LBB163_1960
; %bb.1959:
	v_lshlrev_b32_e32 v4, 16, v3
	v_cvt_i32_f32_e32 v4, v4
	global_store_dword v[0:1], v4, off
.LBB163_1960:
	s_mov_b32 s5, 0
.LBB163_1961:
	s_andn2_b32 vcc_lo, exec_lo, s5
	s_cbranch_vccnz .LBB163_1963
; %bb.1962:
	v_lshlrev_b32_e32 v4, 16, v3
	v_cvt_i32_f32_e32 v4, v4
	global_store_short v[0:1], v4, off
.LBB163_1963:
	s_mov_b32 s5, 0
.LBB163_1964:
	s_andn2_b32 vcc_lo, exec_lo, s5
	s_cbranch_vccnz .LBB163_1969
; %bb.1965:
	v_lshlrev_b32_e32 v3, 16, v3
	s_cmp_gt_i32 s0, 0
	s_mov_b32 s0, -1
	s_cbranch_scc0 .LBB163_1967
; %bb.1966:
	v_cvt_i32_f32_e32 v4, v3
	s_mov_b32 s0, 0
	global_store_byte v[0:1], v4, off
.LBB163_1967:
	s_andn2_b32 vcc_lo, exec_lo, s0
	s_cbranch_vccnz .LBB163_1969
; %bb.1968:
	v_trunc_f32_e32 v3, v3
	v_mul_f32_e64 v4, 0x2f800000, |v3|
	v_floor_f32_e32 v4, v4
	v_fma_f32 v4, 0xcf800000, v4, |v3|
	v_ashrrev_i32_e32 v3, 31, v3
	v_cvt_u32_f32_e32 v4, v4
	v_xor_b32_e32 v4, v4, v3
	v_sub_nc_u32_e32 v3, v4, v3
	global_store_byte v[0:1], v3, off
.LBB163_1969:
	s_mov_b32 s11, -1
.LBB163_1970:
	s_andn2_b32 vcc_lo, exec_lo, s11
	s_cbranch_vccnz .LBB163_2285
; %bb.1971:
	v_cmp_gt_f32_e64 s0, 0x4b000000, |v5|
	v_mov_b32_e32 v3, 0x7fc0
	s_or_b32 vcc_lo, s1, s0
	v_cmp_class_f32_e64 s0, v5, 0x264
	v_cndmask_b32_e32 v0, 0x7f800000, v6, vcc_lo
	v_cmp_u_f32_e32 vcc_lo, v5, v5
	s_lshl_b32 s1, s12, 7
	s_cmp_lt_i32 s4, 11
	v_add_nc_u32_e32 v2, s1, v2
	v_cndmask_b32_e64 v0, v0, 0x7f800000, s0
	v_cndmask_b32_e32 v0, v0, v5, vcc_lo
	v_bfe_u32 v1, v0, 16, 1
	v_cmp_o_f32_e32 vcc_lo, v0, v0
	v_add3_u32 v0, v0, v1, 0x7fff
	v_ashrrev_i32_e32 v1, 31, v2
	v_cndmask_b32_sdwa v3, v3, v0, vcc_lo dst_sel:DWORD dst_unused:UNUSED_PAD src0_sel:DWORD src1_sel:WORD_1
	v_add_co_u32 v0, vcc_lo, s8, v2
	v_add_co_ci_u32_e64 v1, null, s9, v1, vcc_lo
	s_cbranch_scc1 .LBB163_2049
; %bb.1972:
	s_and_b32 s5, 0xffff, s4
	s_mov_b32 s12, -1
	s_mov_b32 s10, 0
	s_cmp_gt_i32 s5, 25
	s_mov_b32 s11, 0
	s_mov_b32 s0, 0
	s_cbranch_scc0 .LBB163_2005
; %bb.1973:
	s_cmp_gt_i32 s5, 28
	s_cbranch_scc0 .LBB163_1988
; %bb.1974:
	s_cmp_gt_i32 s5, 43
	;; [unrolled: 3-line block ×3, first 2 shown]
	s_cbranch_scc0 .LBB163_1978
; %bb.1976:
	s_mov_b32 s0, -1
	s_mov_b32 s12, 0
	s_cmp_eq_u32 s5, 46
	s_cbranch_scc0 .LBB163_1978
; %bb.1977:
	v_and_b32_e32 v4, 0xffff, v3
	s_mov_b32 s0, 0
	s_mov_b32 s11, -1
	global_store_dword v[0:1], v4, off
.LBB163_1978:
	s_and_b32 vcc_lo, exec_lo, s12
	s_cbranch_vccz .LBB163_1983
; %bb.1979:
	s_cmp_eq_u32 s5, 44
	s_mov_b32 s0, -1
	s_cbranch_scc0 .LBB163_1983
; %bb.1980:
	v_and_b32_e32 v4, 0xffff, v3
	v_mov_b32_e32 v5, 0xff
	s_mov_b32 s11, exec_lo
	v_bfe_u32 v6, v4, 7, 8
	v_cmpx_ne_u32_e32 0xff, v6
	s_cbranch_execz .LBB163_1982
; %bb.1981:
	v_lshlrev_b32_e32 v5, 16, v4
	v_and_b32_e32 v11, 64, v4
	v_lshrrev_b32_e32 v4, 7, v4
	v_and_or_b32 v5, 0x3f0000, v5, v6
	v_cmp_ne_u32_e32 vcc_lo, 0, v11
	v_cmp_ne_u32_e64 s0, 0, v5
	s_and_b32 s0, vcc_lo, s0
	v_cndmask_b32_e64 v5, 0, 1, s0
	v_add_nc_u32_e32 v5, v4, v5
.LBB163_1982:
	s_or_b32 exec_lo, exec_lo, s11
	s_mov_b32 s0, 0
	s_mov_b32 s11, -1
	global_store_byte v[0:1], v5, off
.LBB163_1983:
	s_mov_b32 s12, 0
.LBB163_1984:
	s_and_b32 vcc_lo, exec_lo, s12
	s_cbranch_vccz .LBB163_1987
; %bb.1985:
	s_cmp_eq_u32 s5, 29
	s_mov_b32 s0, -1
	s_cbranch_scc0 .LBB163_1987
; %bb.1986:
	v_lshlrev_b32_e32 v4, 16, v3
	s_mov_b32 s0, 0
	s_mov_b32 s11, -1
	v_trunc_f32_e32 v4, v4
	v_mul_f32_e32 v5, 0x2f800000, v4
	v_floor_f32_e32 v5, v5
	v_fmamk_f32 v4, v5, 0xcf800000, v4
	v_cvt_u32_f32_e32 v5, v5
	v_cvt_u32_f32_e32 v4, v4
	global_store_dwordx2 v[0:1], v[4:5], off
.LBB163_1987:
	s_mov_b32 s12, 0
.LBB163_1988:
	s_and_b32 vcc_lo, exec_lo, s12
	s_cbranch_vccz .LBB163_2004
; %bb.1989:
	s_cmp_lt_i32 s5, 27
	s_mov_b32 s11, -1
	s_cbranch_scc1 .LBB163_1995
; %bb.1990:
	s_cmp_gt_i32 s5, 27
	s_cbranch_scc0 .LBB163_1992
; %bb.1991:
	v_lshlrev_b32_e32 v4, 16, v3
	s_mov_b32 s11, 0
	v_cvt_u32_f32_e32 v4, v4
	global_store_dword v[0:1], v4, off
.LBB163_1992:
	s_andn2_b32 vcc_lo, exec_lo, s11
	s_cbranch_vccnz .LBB163_1994
; %bb.1993:
	v_lshlrev_b32_e32 v4, 16, v3
	v_cvt_u32_f32_e32 v4, v4
	global_store_short v[0:1], v4, off
.LBB163_1994:
	s_mov_b32 s11, 0
.LBB163_1995:
	s_andn2_b32 vcc_lo, exec_lo, s11
	s_cbranch_vccnz .LBB163_2003
; %bb.1996:
	v_lshlrev_b32_e32 v6, 16, v3
	v_mov_b32_e32 v11, 0x80
	s_mov_b32 s11, exec_lo
	v_and_b32_e32 v5, 0x7fffffff, v6
	v_cmpx_gt_u32_e32 0x43800000, v5
	s_cbranch_execz .LBB163_2002
; %bb.1997:
	v_and_b32_e32 v4, 0xffff, v3
	v_cmp_lt_u32_e32 vcc_lo, 0x3bffffff, v5
	s_mov_b32 s12, 0
                                        ; implicit-def: $vgpr5
	s_and_saveexec_b32 s13, vcc_lo
	s_xor_b32 s13, exec_lo, s13
	s_cbranch_execz .LBB163_2337
; %bb.1998:
	v_bfe_u32 v5, v4, 4, 1
	s_mov_b32 s12, exec_lo
	v_add3_u32 v5, v6, v5, 0x487ffff
                                        ; implicit-def: $vgpr6
	v_lshrrev_b32_e32 v5, 20, v5
	s_andn2_saveexec_b32 s13, s13
	s_cbranch_execnz .LBB163_2338
.LBB163_1999:
	s_or_b32 exec_lo, exec_lo, s13
	v_mov_b32_e32 v11, 0
	s_and_saveexec_b32 s13, s12
.LBB163_2000:
	v_lshrrev_b32_e32 v4, 8, v4
	v_and_or_b32 v11, 0x80, v4, v5
.LBB163_2001:
	s_or_b32 exec_lo, exec_lo, s13
.LBB163_2002:
	s_or_b32 exec_lo, exec_lo, s11
	global_store_byte v[0:1], v11, off
.LBB163_2003:
	s_mov_b32 s11, -1
.LBB163_2004:
	s_mov_b32 s12, 0
.LBB163_2005:
	s_and_b32 vcc_lo, exec_lo, s12
	s_cbranch_vccz .LBB163_2045
; %bb.2006:
	s_cmp_gt_i32 s5, 22
	s_mov_b32 s10, -1
	s_cbranch_scc0 .LBB163_2038
; %bb.2007:
	s_cmp_lt_i32 s5, 24
	s_cbranch_scc1 .LBB163_2027
; %bb.2008:
	s_cmp_gt_i32 s5, 24
	s_cbranch_scc0 .LBB163_2016
; %bb.2009:
	v_lshlrev_b32_e32 v6, 16, v3
	v_mov_b32_e32 v11, 0x80
	s_mov_b32 s10, exec_lo
	v_and_b32_e32 v5, 0x7fffffff, v6
	v_cmpx_gt_u32_e32 0x47800000, v5
	s_cbranch_execz .LBB163_2015
; %bb.2010:
	v_and_b32_e32 v4, 0xffff, v3
	v_cmp_lt_u32_e32 vcc_lo, 0x37ffffff, v5
	s_mov_b32 s11, 0
                                        ; implicit-def: $vgpr5
	s_and_saveexec_b32 s12, vcc_lo
	s_xor_b32 s12, exec_lo, s12
	s_cbranch_execz .LBB163_2340
; %bb.2011:
	v_bfe_u32 v5, v4, 5, 1
	s_mov_b32 s11, exec_lo
	v_add3_u32 v5, v6, v5, 0x88fffff
                                        ; implicit-def: $vgpr6
	v_lshrrev_b32_e32 v5, 21, v5
	s_andn2_saveexec_b32 s12, s12
	s_cbranch_execnz .LBB163_2341
.LBB163_2012:
	s_or_b32 exec_lo, exec_lo, s12
	v_mov_b32_e32 v11, 0
	s_and_saveexec_b32 s12, s11
.LBB163_2013:
	v_lshrrev_b32_e32 v4, 8, v4
	v_and_or_b32 v11, 0x80, v4, v5
.LBB163_2014:
	s_or_b32 exec_lo, exec_lo, s12
.LBB163_2015:
	s_or_b32 exec_lo, exec_lo, s10
	s_mov_b32 s10, 0
	global_store_byte v[0:1], v11, off
.LBB163_2016:
	s_and_b32 vcc_lo, exec_lo, s10
	s_cbranch_vccz .LBB163_2026
; %bb.2017:
	v_lshlrev_b32_e32 v6, 16, v3
	v_and_b32_e32 v4, 0xffff, v3
	s_mov_b32 s10, exec_lo
                                        ; implicit-def: $vgpr5
	v_and_b32_e32 v11, 0x7fffffff, v6
	v_cmpx_gt_u32_e32 0x43f00000, v11
	s_xor_b32 s10, exec_lo, s10
	s_cbranch_execz .LBB163_2023
; %bb.2018:
	s_mov_b32 s11, exec_lo
                                        ; implicit-def: $vgpr5
	v_cmpx_lt_u32_e32 0x3c7fffff, v11
	s_xor_b32 s11, exec_lo, s11
; %bb.2019:
	v_bfe_u32 v5, v4, 4, 1
	v_add3_u32 v5, v6, v5, 0x407ffff
	v_and_b32_e32 v6, 0xff00000, v5
	v_lshrrev_b32_e32 v5, 20, v5
	v_cmp_ne_u32_e32 vcc_lo, 0x7f00000, v6
                                        ; implicit-def: $vgpr6
	v_cndmask_b32_e32 v5, 0x7e, v5, vcc_lo
; %bb.2020:
	s_andn2_saveexec_b32 s11, s11
; %bb.2021:
	v_add_f32_e64 v5, 0x46800000, |v6|
; %bb.2022:
	s_or_b32 exec_lo, exec_lo, s11
                                        ; implicit-def: $vgpr11
.LBB163_2023:
	s_andn2_saveexec_b32 s10, s10
; %bb.2024:
	v_mov_b32_e32 v5, 0x7f
	v_cmp_lt_u32_e32 vcc_lo, 0x7f800000, v11
	v_cndmask_b32_e32 v5, 0x7e, v5, vcc_lo
; %bb.2025:
	s_or_b32 exec_lo, exec_lo, s10
	v_lshrrev_b32_e32 v4, 8, v4
	v_and_or_b32 v4, 0x80, v4, v5
	global_store_byte v[0:1], v4, off
.LBB163_2026:
	s_mov_b32 s10, 0
.LBB163_2027:
	s_andn2_b32 vcc_lo, exec_lo, s10
	s_cbranch_vccnz .LBB163_2037
; %bb.2028:
	v_lshlrev_b32_e32 v6, 16, v3
	v_and_b32_e32 v4, 0xffff, v3
	s_mov_b32 s10, exec_lo
                                        ; implicit-def: $vgpr5
	v_and_b32_e32 v11, 0x7fffffff, v6
	v_cmpx_gt_u32_e32 0x47800000, v11
	s_xor_b32 s10, exec_lo, s10
	s_cbranch_execz .LBB163_2034
; %bb.2029:
	s_mov_b32 s11, exec_lo
                                        ; implicit-def: $vgpr5
	v_cmpx_lt_u32_e32 0x387fffff, v11
	s_xor_b32 s11, exec_lo, s11
; %bb.2030:
	v_bfe_u32 v5, v4, 5, 1
	v_add3_u32 v5, v6, v5, 0x80fffff
                                        ; implicit-def: $vgpr6
	v_lshrrev_b32_e32 v5, 21, v5
; %bb.2031:
	s_andn2_saveexec_b32 s11, s11
; %bb.2032:
	v_add_f32_e64 v5, 0x43000000, |v6|
; %bb.2033:
	s_or_b32 exec_lo, exec_lo, s11
                                        ; implicit-def: $vgpr11
.LBB163_2034:
	s_andn2_saveexec_b32 s10, s10
; %bb.2035:
	v_mov_b32_e32 v5, 0x7f
	v_cmp_lt_u32_e32 vcc_lo, 0x7f800000, v11
	v_cndmask_b32_e32 v5, 0x7c, v5, vcc_lo
; %bb.2036:
	s_or_b32 exec_lo, exec_lo, s10
	v_lshrrev_b32_e32 v4, 8, v4
	v_and_or_b32 v4, 0x80, v4, v5
	global_store_byte v[0:1], v4, off
.LBB163_2037:
	s_mov_b32 s10, 0
	s_mov_b32 s11, -1
.LBB163_2038:
	s_andn2_b32 vcc_lo, exec_lo, s10
	s_mov_b32 s10, 0
	s_cbranch_vccnz .LBB163_2045
; %bb.2039:
	s_cmp_gt_i32 s5, 14
	s_mov_b32 s10, -1
	s_cbranch_scc0 .LBB163_2043
; %bb.2040:
	s_cmp_eq_u32 s5, 15
	s_mov_b32 s0, -1
	s_cbranch_scc0 .LBB163_2042
; %bb.2041:
	s_mov_b32 s0, 0
	s_mov_b32 s11, -1
	global_store_short v[0:1], v3, off
.LBB163_2042:
	s_mov_b32 s10, 0
.LBB163_2043:
	s_and_b32 vcc_lo, exec_lo, s10
	s_mov_b32 s10, 0
	s_cbranch_vccz .LBB163_2045
; %bb.2044:
	s_cmp_lg_u32 s5, 11
	s_mov_b32 s10, -1
	s_cselect_b32 s0, -1, 0
.LBB163_2045:
	s_and_b32 vcc_lo, exec_lo, s0
	s_cbranch_vccnz .LBB163_2339
; %bb.2046:
	s_andn2_b32 vcc_lo, exec_lo, s10
	s_cbranch_vccnz .LBB163_2048
.LBB163_2047:
	v_and_b32_e32 v4, 0x7fff, v3
	s_mov_b32 s11, -1
	v_cmp_ne_u16_e32 vcc_lo, 0, v4
	v_cndmask_b32_e64 v4, 0, 1, vcc_lo
	global_store_byte v[0:1], v4, off
.LBB163_2048:
	s_mov_b32 s0, 0
	s_branch .LBB163_2050
.LBB163_2049:
	s_mov_b32 s0, -1
	s_mov_b32 s11, 0
.LBB163_2050:
	s_and_b32 vcc_lo, exec_lo, s0
	s_cbranch_vccz .LBB163_2089
; %bb.2051:
	s_and_b32 s0, 0xffff, s4
	s_mov_b32 s5, -1
	s_cmp_lt_i32 s0, 5
	s_cbranch_scc1 .LBB163_2072
; %bb.2052:
	s_cmp_lt_i32 s0, 8
	s_cbranch_scc1 .LBB163_2062
; %bb.2053:
	;; [unrolled: 3-line block ×3, first 2 shown]
	s_cmp_gt_i32 s0, 9
	s_cbranch_scc0 .LBB163_2056
; %bb.2055:
	v_lshlrev_b32_e32 v4, 16, v3
	v_mov_b32_e32 v13, 0
	s_mov_b32 s5, 0
	v_cvt_f64_f32_e32 v[11:12], v4
	v_mov_b32_e32 v14, v13
	global_store_dwordx4 v[0:1], v[11:14], off
.LBB163_2056:
	s_andn2_b32 vcc_lo, exec_lo, s5
	s_cbranch_vccnz .LBB163_2058
; %bb.2057:
	v_lshlrev_b32_e32 v4, 16, v3
	v_mov_b32_e32 v5, 0
	global_store_dwordx2 v[0:1], v[4:5], off
.LBB163_2058:
	s_mov_b32 s5, 0
.LBB163_2059:
	s_andn2_b32 vcc_lo, exec_lo, s5
	s_cbranch_vccnz .LBB163_2061
; %bb.2060:
	v_lshlrev_b32_e32 v4, 16, v3
	v_cvt_f16_f32_e32 v4, v4
	v_and_b32_e32 v4, 0xffff, v4
	global_store_dword v[0:1], v4, off
.LBB163_2061:
	s_mov_b32 s5, 0
.LBB163_2062:
	s_andn2_b32 vcc_lo, exec_lo, s5
	s_cbranch_vccnz .LBB163_2071
; %bb.2063:
	s_cmp_lt_i32 s0, 6
	s_mov_b32 s5, -1
	s_cbranch_scc1 .LBB163_2069
; %bb.2064:
	s_cmp_gt_i32 s0, 6
	s_cbranch_scc0 .LBB163_2066
; %bb.2065:
	v_lshlrev_b32_e32 v4, 16, v3
	s_mov_b32 s5, 0
	v_cvt_f64_f32_e32 v[4:5], v4
	global_store_dwordx2 v[0:1], v[4:5], off
.LBB163_2066:
	s_andn2_b32 vcc_lo, exec_lo, s5
	s_cbranch_vccnz .LBB163_2068
; %bb.2067:
	v_lshlrev_b32_e32 v4, 16, v3
	global_store_dword v[0:1], v4, off
.LBB163_2068:
	s_mov_b32 s5, 0
.LBB163_2069:
	s_andn2_b32 vcc_lo, exec_lo, s5
	s_cbranch_vccnz .LBB163_2071
; %bb.2070:
	v_lshlrev_b32_e32 v4, 16, v3
	v_cvt_f16_f32_e32 v4, v4
	global_store_short v[0:1], v4, off
.LBB163_2071:
	s_mov_b32 s5, 0
.LBB163_2072:
	s_andn2_b32 vcc_lo, exec_lo, s5
	s_cbranch_vccnz .LBB163_2088
; %bb.2073:
	s_cmp_lt_i32 s0, 2
	s_mov_b32 s5, -1
	s_cbranch_scc1 .LBB163_2083
; %bb.2074:
	s_cmp_lt_i32 s0, 3
	s_cbranch_scc1 .LBB163_2080
; %bb.2075:
	s_cmp_gt_i32 s0, 3
	s_cbranch_scc0 .LBB163_2077
; %bb.2076:
	v_lshlrev_b32_e32 v4, 16, v3
	s_mov_b32 s5, 0
	v_trunc_f32_e32 v4, v4
	v_mul_f32_e64 v5, 0x2f800000, |v4|
	v_ashrrev_i32_e32 v11, 31, v4
	v_floor_f32_e32 v5, v5
	v_fma_f32 v6, 0xcf800000, v5, |v4|
	v_cvt_u32_f32_e32 v5, v5
	v_cvt_u32_f32_e32 v4, v6
	v_xor_b32_e32 v5, v5, v11
	v_xor_b32_e32 v4, v4, v11
	v_sub_co_u32 v4, vcc_lo, v4, v11
	v_sub_co_ci_u32_e64 v5, null, v5, v11, vcc_lo
	global_store_dwordx2 v[0:1], v[4:5], off
.LBB163_2077:
	s_andn2_b32 vcc_lo, exec_lo, s5
	s_cbranch_vccnz .LBB163_2079
; %bb.2078:
	v_lshlrev_b32_e32 v4, 16, v3
	v_cvt_i32_f32_e32 v4, v4
	global_store_dword v[0:1], v4, off
.LBB163_2079:
	s_mov_b32 s5, 0
.LBB163_2080:
	s_andn2_b32 vcc_lo, exec_lo, s5
	s_cbranch_vccnz .LBB163_2082
; %bb.2081:
	v_lshlrev_b32_e32 v4, 16, v3
	v_cvt_i32_f32_e32 v4, v4
	global_store_short v[0:1], v4, off
.LBB163_2082:
	s_mov_b32 s5, 0
.LBB163_2083:
	s_andn2_b32 vcc_lo, exec_lo, s5
	s_cbranch_vccnz .LBB163_2088
; %bb.2084:
	v_lshlrev_b32_e32 v3, 16, v3
	s_cmp_gt_i32 s0, 0
	s_mov_b32 s0, -1
	s_cbranch_scc0 .LBB163_2086
; %bb.2085:
	v_cvt_i32_f32_e32 v4, v3
	s_mov_b32 s0, 0
	global_store_byte v[0:1], v4, off
.LBB163_2086:
	s_andn2_b32 vcc_lo, exec_lo, s0
	s_cbranch_vccnz .LBB163_2088
; %bb.2087:
	v_trunc_f32_e32 v3, v3
	v_mul_f32_e64 v4, 0x2f800000, |v3|
	v_floor_f32_e32 v4, v4
	v_fma_f32 v4, 0xcf800000, v4, |v3|
	v_ashrrev_i32_e32 v3, 31, v3
	v_cvt_u32_f32_e32 v4, v4
	v_xor_b32_e32 v4, v4, v3
	v_sub_nc_u32_e32 v3, v4, v3
	global_store_byte v[0:1], v3, off
.LBB163_2088:
	s_mov_b32 s11, -1
.LBB163_2089:
	s_andn2_b32 vcc_lo, exec_lo, s11
	s_cbranch_vccnz .LBB163_2285
; %bb.2090:
	v_cmp_gt_f32_e64 s0, 0x4b000000, |v7|
	v_add_nc_u32_e32 v2, s1, v2
	v_mov_b32_e32 v3, 0x7fc0
	s_or_b32 vcc_lo, s2, s0
	v_cmp_class_f32_e64 s0, v7, 0x264
	v_cndmask_b32_e32 v0, 0x7f800000, v8, vcc_lo
	v_cmp_u_f32_e32 vcc_lo, v7, v7
	s_cmp_lt_i32 s4, 11
	v_cndmask_b32_e64 v0, v0, 0x7f800000, s0
	v_cndmask_b32_e32 v0, v0, v7, vcc_lo
	v_bfe_u32 v1, v0, 16, 1
	v_cmp_o_f32_e32 vcc_lo, v0, v0
	v_add3_u32 v0, v0, v1, 0x7fff
	v_ashrrev_i32_e32 v1, 31, v2
	v_cndmask_b32_sdwa v3, v3, v0, vcc_lo dst_sel:DWORD dst_unused:UNUSED_PAD src0_sel:DWORD src1_sel:WORD_1
	v_add_co_u32 v0, vcc_lo, s8, v2
	v_add_co_ci_u32_e64 v1, null, s9, v1, vcc_lo
	s_cbranch_scc1 .LBB163_2168
; %bb.2091:
	s_and_b32 s2, 0xffff, s4
	s_mov_b32 s11, -1
	s_mov_b32 s5, 0
	s_cmp_gt_i32 s2, 25
	s_mov_b32 s10, 0
	s_mov_b32 s0, 0
	s_cbranch_scc0 .LBB163_2124
; %bb.2092:
	s_cmp_gt_i32 s2, 28
	s_cbranch_scc0 .LBB163_2107
; %bb.2093:
	s_cmp_gt_i32 s2, 43
	;; [unrolled: 3-line block ×3, first 2 shown]
	s_cbranch_scc0 .LBB163_2097
; %bb.2095:
	s_mov_b32 s0, -1
	s_mov_b32 s11, 0
	s_cmp_eq_u32 s2, 46
	s_cbranch_scc0 .LBB163_2097
; %bb.2096:
	v_and_b32_e32 v4, 0xffff, v3
	s_mov_b32 s0, 0
	s_mov_b32 s10, -1
	global_store_dword v[0:1], v4, off
.LBB163_2097:
	s_and_b32 vcc_lo, exec_lo, s11
	s_cbranch_vccz .LBB163_2102
; %bb.2098:
	s_cmp_eq_u32 s2, 44
	s_mov_b32 s0, -1
	s_cbranch_scc0 .LBB163_2102
; %bb.2099:
	v_and_b32_e32 v4, 0xffff, v3
	v_mov_b32_e32 v5, 0xff
	s_mov_b32 s10, exec_lo
	v_bfe_u32 v6, v4, 7, 8
	v_cmpx_ne_u32_e32 0xff, v6
	s_cbranch_execz .LBB163_2101
; %bb.2100:
	v_lshlrev_b32_e32 v5, 16, v4
	v_and_b32_e32 v7, 64, v4
	v_lshrrev_b32_e32 v4, 7, v4
	v_and_or_b32 v5, 0x3f0000, v5, v6
	v_cmp_ne_u32_e32 vcc_lo, 0, v7
	v_cmp_ne_u32_e64 s0, 0, v5
	s_and_b32 s0, vcc_lo, s0
	v_cndmask_b32_e64 v5, 0, 1, s0
	v_add_nc_u32_e32 v5, v4, v5
.LBB163_2101:
	s_or_b32 exec_lo, exec_lo, s10
	s_mov_b32 s0, 0
	s_mov_b32 s10, -1
	global_store_byte v[0:1], v5, off
.LBB163_2102:
	s_mov_b32 s11, 0
.LBB163_2103:
	s_and_b32 vcc_lo, exec_lo, s11
	s_cbranch_vccz .LBB163_2106
; %bb.2104:
	s_cmp_eq_u32 s2, 29
	s_mov_b32 s0, -1
	s_cbranch_scc0 .LBB163_2106
; %bb.2105:
	v_lshlrev_b32_e32 v4, 16, v3
	s_mov_b32 s0, 0
	s_mov_b32 s10, -1
	v_trunc_f32_e32 v4, v4
	v_mul_f32_e32 v5, 0x2f800000, v4
	v_floor_f32_e32 v5, v5
	v_fmamk_f32 v4, v5, 0xcf800000, v4
	v_cvt_u32_f32_e32 v5, v5
	v_cvt_u32_f32_e32 v4, v4
	global_store_dwordx2 v[0:1], v[4:5], off
.LBB163_2106:
	s_mov_b32 s11, 0
.LBB163_2107:
	s_and_b32 vcc_lo, exec_lo, s11
	s_cbranch_vccz .LBB163_2123
; %bb.2108:
	s_cmp_lt_i32 s2, 27
	s_mov_b32 s10, -1
	s_cbranch_scc1 .LBB163_2114
; %bb.2109:
	s_cmp_gt_i32 s2, 27
	s_cbranch_scc0 .LBB163_2111
; %bb.2110:
	v_lshlrev_b32_e32 v4, 16, v3
	s_mov_b32 s10, 0
	v_cvt_u32_f32_e32 v4, v4
	global_store_dword v[0:1], v4, off
.LBB163_2111:
	s_andn2_b32 vcc_lo, exec_lo, s10
	s_cbranch_vccnz .LBB163_2113
; %bb.2112:
	v_lshlrev_b32_e32 v4, 16, v3
	v_cvt_u32_f32_e32 v4, v4
	global_store_short v[0:1], v4, off
.LBB163_2113:
	s_mov_b32 s10, 0
.LBB163_2114:
	s_andn2_b32 vcc_lo, exec_lo, s10
	s_cbranch_vccnz .LBB163_2122
; %bb.2115:
	v_lshlrev_b32_e32 v6, 16, v3
	v_mov_b32_e32 v7, 0x80
	s_mov_b32 s10, exec_lo
	v_and_b32_e32 v5, 0x7fffffff, v6
	v_cmpx_gt_u32_e32 0x43800000, v5
	s_cbranch_execz .LBB163_2121
; %bb.2116:
	v_and_b32_e32 v4, 0xffff, v3
	v_cmp_lt_u32_e32 vcc_lo, 0x3bffffff, v5
	s_mov_b32 s11, 0
                                        ; implicit-def: $vgpr5
	s_and_saveexec_b32 s12, vcc_lo
	s_xor_b32 s12, exec_lo, s12
	s_cbranch_execz .LBB163_2342
; %bb.2117:
	v_bfe_u32 v5, v4, 4, 1
	s_mov_b32 s11, exec_lo
	v_add3_u32 v5, v6, v5, 0x487ffff
                                        ; implicit-def: $vgpr6
	v_lshrrev_b32_e32 v5, 20, v5
	s_andn2_saveexec_b32 s12, s12
	s_cbranch_execnz .LBB163_2343
.LBB163_2118:
	s_or_b32 exec_lo, exec_lo, s12
	v_mov_b32_e32 v7, 0
	s_and_saveexec_b32 s12, s11
.LBB163_2119:
	v_lshrrev_b32_e32 v4, 8, v4
	v_and_or_b32 v7, 0x80, v4, v5
.LBB163_2120:
	s_or_b32 exec_lo, exec_lo, s12
.LBB163_2121:
	s_or_b32 exec_lo, exec_lo, s10
	global_store_byte v[0:1], v7, off
.LBB163_2122:
	s_mov_b32 s10, -1
.LBB163_2123:
	s_mov_b32 s11, 0
.LBB163_2124:
	s_and_b32 vcc_lo, exec_lo, s11
	s_cbranch_vccz .LBB163_2164
; %bb.2125:
	s_cmp_gt_i32 s2, 22
	s_mov_b32 s5, -1
	s_cbranch_scc0 .LBB163_2157
; %bb.2126:
	s_cmp_lt_i32 s2, 24
	s_cbranch_scc1 .LBB163_2146
; %bb.2127:
	s_cmp_gt_i32 s2, 24
	s_cbranch_scc0 .LBB163_2135
; %bb.2128:
	v_lshlrev_b32_e32 v6, 16, v3
	v_mov_b32_e32 v7, 0x80
	s_mov_b32 s5, exec_lo
	v_and_b32_e32 v5, 0x7fffffff, v6
	v_cmpx_gt_u32_e32 0x47800000, v5
	s_cbranch_execz .LBB163_2134
; %bb.2129:
	v_and_b32_e32 v4, 0xffff, v3
	v_cmp_lt_u32_e32 vcc_lo, 0x37ffffff, v5
	s_mov_b32 s10, 0
                                        ; implicit-def: $vgpr5
	s_and_saveexec_b32 s11, vcc_lo
	s_xor_b32 s11, exec_lo, s11
	s_cbranch_execz .LBB163_2345
; %bb.2130:
	v_bfe_u32 v5, v4, 5, 1
	s_mov_b32 s10, exec_lo
	v_add3_u32 v5, v6, v5, 0x88fffff
                                        ; implicit-def: $vgpr6
	v_lshrrev_b32_e32 v5, 21, v5
	s_andn2_saveexec_b32 s11, s11
	s_cbranch_execnz .LBB163_2346
.LBB163_2131:
	s_or_b32 exec_lo, exec_lo, s11
	v_mov_b32_e32 v7, 0
	s_and_saveexec_b32 s11, s10
.LBB163_2132:
	v_lshrrev_b32_e32 v4, 8, v4
	v_and_or_b32 v7, 0x80, v4, v5
.LBB163_2133:
	s_or_b32 exec_lo, exec_lo, s11
.LBB163_2134:
	s_or_b32 exec_lo, exec_lo, s5
	s_mov_b32 s5, 0
	global_store_byte v[0:1], v7, off
.LBB163_2135:
	s_and_b32 vcc_lo, exec_lo, s5
	s_cbranch_vccz .LBB163_2145
; %bb.2136:
	v_lshlrev_b32_e32 v6, 16, v3
	v_and_b32_e32 v4, 0xffff, v3
	s_mov_b32 s5, exec_lo
                                        ; implicit-def: $vgpr5
	v_and_b32_e32 v7, 0x7fffffff, v6
	v_cmpx_gt_u32_e32 0x43f00000, v7
	s_xor_b32 s5, exec_lo, s5
	s_cbranch_execz .LBB163_2142
; %bb.2137:
	s_mov_b32 s10, exec_lo
                                        ; implicit-def: $vgpr5
	v_cmpx_lt_u32_e32 0x3c7fffff, v7
	s_xor_b32 s10, exec_lo, s10
; %bb.2138:
	v_bfe_u32 v5, v4, 4, 1
	v_add3_u32 v5, v6, v5, 0x407ffff
	v_and_b32_e32 v6, 0xff00000, v5
	v_lshrrev_b32_e32 v5, 20, v5
	v_cmp_ne_u32_e32 vcc_lo, 0x7f00000, v6
                                        ; implicit-def: $vgpr6
	v_cndmask_b32_e32 v5, 0x7e, v5, vcc_lo
; %bb.2139:
	s_andn2_saveexec_b32 s10, s10
; %bb.2140:
	v_add_f32_e64 v5, 0x46800000, |v6|
; %bb.2141:
	s_or_b32 exec_lo, exec_lo, s10
                                        ; implicit-def: $vgpr7
.LBB163_2142:
	s_andn2_saveexec_b32 s5, s5
; %bb.2143:
	v_mov_b32_e32 v5, 0x7f
	v_cmp_lt_u32_e32 vcc_lo, 0x7f800000, v7
	v_cndmask_b32_e32 v5, 0x7e, v5, vcc_lo
; %bb.2144:
	s_or_b32 exec_lo, exec_lo, s5
	v_lshrrev_b32_e32 v4, 8, v4
	v_and_or_b32 v4, 0x80, v4, v5
	global_store_byte v[0:1], v4, off
.LBB163_2145:
	s_mov_b32 s5, 0
.LBB163_2146:
	s_andn2_b32 vcc_lo, exec_lo, s5
	s_cbranch_vccnz .LBB163_2156
; %bb.2147:
	v_lshlrev_b32_e32 v6, 16, v3
	v_and_b32_e32 v4, 0xffff, v3
	s_mov_b32 s5, exec_lo
                                        ; implicit-def: $vgpr5
	v_and_b32_e32 v7, 0x7fffffff, v6
	v_cmpx_gt_u32_e32 0x47800000, v7
	s_xor_b32 s5, exec_lo, s5
	s_cbranch_execz .LBB163_2153
; %bb.2148:
	s_mov_b32 s10, exec_lo
                                        ; implicit-def: $vgpr5
	v_cmpx_lt_u32_e32 0x387fffff, v7
	s_xor_b32 s10, exec_lo, s10
; %bb.2149:
	v_bfe_u32 v5, v4, 5, 1
	v_add3_u32 v5, v6, v5, 0x80fffff
                                        ; implicit-def: $vgpr6
	v_lshrrev_b32_e32 v5, 21, v5
; %bb.2150:
	s_andn2_saveexec_b32 s10, s10
; %bb.2151:
	v_add_f32_e64 v5, 0x43000000, |v6|
; %bb.2152:
	s_or_b32 exec_lo, exec_lo, s10
                                        ; implicit-def: $vgpr7
.LBB163_2153:
	s_andn2_saveexec_b32 s5, s5
; %bb.2154:
	v_mov_b32_e32 v5, 0x7f
	v_cmp_lt_u32_e32 vcc_lo, 0x7f800000, v7
	v_cndmask_b32_e32 v5, 0x7c, v5, vcc_lo
; %bb.2155:
	s_or_b32 exec_lo, exec_lo, s5
	v_lshrrev_b32_e32 v4, 8, v4
	v_and_or_b32 v4, 0x80, v4, v5
	global_store_byte v[0:1], v4, off
.LBB163_2156:
	s_mov_b32 s5, 0
	s_mov_b32 s10, -1
.LBB163_2157:
	s_andn2_b32 vcc_lo, exec_lo, s5
	s_mov_b32 s5, 0
	s_cbranch_vccnz .LBB163_2164
; %bb.2158:
	s_cmp_gt_i32 s2, 14
	s_mov_b32 s5, -1
	s_cbranch_scc0 .LBB163_2162
; %bb.2159:
	s_cmp_eq_u32 s2, 15
	s_mov_b32 s0, -1
	s_cbranch_scc0 .LBB163_2161
; %bb.2160:
	s_mov_b32 s0, 0
	s_mov_b32 s10, -1
	global_store_short v[0:1], v3, off
.LBB163_2161:
	s_mov_b32 s5, 0
.LBB163_2162:
	s_and_b32 vcc_lo, exec_lo, s5
	s_mov_b32 s5, 0
	s_cbranch_vccz .LBB163_2164
; %bb.2163:
	s_cmp_lg_u32 s2, 11
	s_mov_b32 s5, -1
	s_cselect_b32 s0, -1, 0
.LBB163_2164:
	s_and_b32 vcc_lo, exec_lo, s0
	s_cbranch_vccnz .LBB163_2344
; %bb.2165:
	s_andn2_b32 vcc_lo, exec_lo, s5
	s_cbranch_vccnz .LBB163_2167
.LBB163_2166:
	v_and_b32_e32 v4, 0x7fff, v3
	s_mov_b32 s10, -1
	v_cmp_ne_u16_e32 vcc_lo, 0, v4
	v_cndmask_b32_e64 v4, 0, 1, vcc_lo
	global_store_byte v[0:1], v4, off
.LBB163_2167:
	s_mov_b32 s0, 0
	s_branch .LBB163_2169
.LBB163_2168:
	s_mov_b32 s0, -1
	s_mov_b32 s10, 0
.LBB163_2169:
	s_and_b32 vcc_lo, exec_lo, s0
	s_cbranch_vccz .LBB163_2208
; %bb.2170:
	s_and_b32 s0, 0xffff, s4
	s_mov_b32 s2, -1
	s_cmp_lt_i32 s0, 5
	s_cbranch_scc1 .LBB163_2191
; %bb.2171:
	s_cmp_lt_i32 s0, 8
	s_cbranch_scc1 .LBB163_2181
; %bb.2172:
	;; [unrolled: 3-line block ×3, first 2 shown]
	s_cmp_gt_i32 s0, 9
	s_cbranch_scc0 .LBB163_2175
; %bb.2174:
	v_lshlrev_b32_e32 v4, 16, v3
	v_mov_b32_e32 v6, 0
	s_mov_b32 s2, 0
	v_cvt_f64_f32_e32 v[4:5], v4
	v_mov_b32_e32 v7, v6
	global_store_dwordx4 v[0:1], v[4:7], off
.LBB163_2175:
	s_andn2_b32 vcc_lo, exec_lo, s2
	s_cbranch_vccnz .LBB163_2177
; %bb.2176:
	v_lshlrev_b32_e32 v4, 16, v3
	v_mov_b32_e32 v5, 0
	global_store_dwordx2 v[0:1], v[4:5], off
.LBB163_2177:
	s_mov_b32 s2, 0
.LBB163_2178:
	s_andn2_b32 vcc_lo, exec_lo, s2
	s_cbranch_vccnz .LBB163_2180
; %bb.2179:
	v_lshlrev_b32_e32 v4, 16, v3
	v_cvt_f16_f32_e32 v4, v4
	v_and_b32_e32 v4, 0xffff, v4
	global_store_dword v[0:1], v4, off
.LBB163_2180:
	s_mov_b32 s2, 0
.LBB163_2181:
	s_andn2_b32 vcc_lo, exec_lo, s2
	s_cbranch_vccnz .LBB163_2190
; %bb.2182:
	s_cmp_lt_i32 s0, 6
	s_mov_b32 s2, -1
	s_cbranch_scc1 .LBB163_2188
; %bb.2183:
	s_cmp_gt_i32 s0, 6
	s_cbranch_scc0 .LBB163_2185
; %bb.2184:
	v_lshlrev_b32_e32 v4, 16, v3
	s_mov_b32 s2, 0
	v_cvt_f64_f32_e32 v[4:5], v4
	global_store_dwordx2 v[0:1], v[4:5], off
.LBB163_2185:
	s_andn2_b32 vcc_lo, exec_lo, s2
	s_cbranch_vccnz .LBB163_2187
; %bb.2186:
	v_lshlrev_b32_e32 v4, 16, v3
	global_store_dword v[0:1], v4, off
.LBB163_2187:
	s_mov_b32 s2, 0
.LBB163_2188:
	s_andn2_b32 vcc_lo, exec_lo, s2
	s_cbranch_vccnz .LBB163_2190
; %bb.2189:
	v_lshlrev_b32_e32 v4, 16, v3
	v_cvt_f16_f32_e32 v4, v4
	global_store_short v[0:1], v4, off
.LBB163_2190:
	s_mov_b32 s2, 0
.LBB163_2191:
	s_andn2_b32 vcc_lo, exec_lo, s2
	s_cbranch_vccnz .LBB163_2207
; %bb.2192:
	s_cmp_lt_i32 s0, 2
	s_mov_b32 s2, -1
	s_cbranch_scc1 .LBB163_2202
; %bb.2193:
	s_cmp_lt_i32 s0, 3
	s_cbranch_scc1 .LBB163_2199
; %bb.2194:
	s_cmp_gt_i32 s0, 3
	s_cbranch_scc0 .LBB163_2196
; %bb.2195:
	v_lshlrev_b32_e32 v4, 16, v3
	s_mov_b32 s2, 0
	v_trunc_f32_e32 v4, v4
	v_mul_f32_e64 v5, 0x2f800000, |v4|
	v_ashrrev_i32_e32 v7, 31, v4
	v_floor_f32_e32 v5, v5
	v_fma_f32 v6, 0xcf800000, v5, |v4|
	v_cvt_u32_f32_e32 v5, v5
	v_cvt_u32_f32_e32 v4, v6
	v_xor_b32_e32 v5, v5, v7
	v_xor_b32_e32 v4, v4, v7
	v_sub_co_u32 v4, vcc_lo, v4, v7
	v_sub_co_ci_u32_e64 v5, null, v5, v7, vcc_lo
	global_store_dwordx2 v[0:1], v[4:5], off
.LBB163_2196:
	s_andn2_b32 vcc_lo, exec_lo, s2
	s_cbranch_vccnz .LBB163_2198
; %bb.2197:
	v_lshlrev_b32_e32 v4, 16, v3
	v_cvt_i32_f32_e32 v4, v4
	global_store_dword v[0:1], v4, off
.LBB163_2198:
	s_mov_b32 s2, 0
.LBB163_2199:
	s_andn2_b32 vcc_lo, exec_lo, s2
	s_cbranch_vccnz .LBB163_2201
; %bb.2200:
	v_lshlrev_b32_e32 v4, 16, v3
	v_cvt_i32_f32_e32 v4, v4
	global_store_short v[0:1], v4, off
.LBB163_2201:
	s_mov_b32 s2, 0
.LBB163_2202:
	s_andn2_b32 vcc_lo, exec_lo, s2
	s_cbranch_vccnz .LBB163_2207
; %bb.2203:
	v_lshlrev_b32_e32 v3, 16, v3
	s_cmp_gt_i32 s0, 0
	s_mov_b32 s0, -1
	s_cbranch_scc0 .LBB163_2205
; %bb.2204:
	v_cvt_i32_f32_e32 v4, v3
	s_mov_b32 s0, 0
	global_store_byte v[0:1], v4, off
.LBB163_2205:
	s_andn2_b32 vcc_lo, exec_lo, s0
	s_cbranch_vccnz .LBB163_2207
; %bb.2206:
	v_trunc_f32_e32 v3, v3
	v_mul_f32_e64 v4, 0x2f800000, |v3|
	v_floor_f32_e32 v4, v4
	v_fma_f32 v4, 0xcf800000, v4, |v3|
	v_ashrrev_i32_e32 v3, 31, v3
	v_cvt_u32_f32_e32 v4, v4
	v_xor_b32_e32 v4, v4, v3
	v_sub_nc_u32_e32 v3, v4, v3
	global_store_byte v[0:1], v3, off
.LBB163_2207:
	s_mov_b32 s10, -1
.LBB163_2208:
	s_andn2_b32 vcc_lo, exec_lo, s10
	s_cbranch_vccnz .LBB163_2285
; %bb.2209:
	v_cmp_gt_f32_e64 s0, 0x4b000000, |v9|
	v_add_nc_u32_e32 v2, s1, v2
	v_mov_b32_e32 v3, 0x7fc0
	s_or_b32 vcc_lo, s3, s0
	v_cmp_class_f32_e64 s0, v9, 0x264
	v_cndmask_b32_e32 v0, 0x7f800000, v10, vcc_lo
	v_cmp_u_f32_e32 vcc_lo, v9, v9
	s_cmp_lt_i32 s4, 11
	v_cndmask_b32_e64 v0, v0, 0x7f800000, s0
	v_cndmask_b32_e32 v0, v0, v9, vcc_lo
	v_bfe_u32 v1, v0, 16, 1
	v_cmp_o_f32_e32 vcc_lo, v0, v0
	v_add3_u32 v0, v0, v1, 0x7fff
	v_ashrrev_i32_e32 v1, 31, v2
	v_cndmask_b32_sdwa v3, v3, v0, vcc_lo dst_sel:DWORD dst_unused:UNUSED_PAD src0_sel:DWORD src1_sel:WORD_1
	v_add_co_u32 v0, vcc_lo, s8, v2
	v_add_co_ci_u32_e64 v1, null, s9, v1, vcc_lo
	s_cbranch_scc1 .LBB163_2330
; %bb.2210:
	s_and_b32 s1, 0xffff, s4
	s_mov_b32 s3, -1
	s_mov_b32 s2, 0
	s_cmp_gt_i32 s1, 25
	s_mov_b32 s0, 0
	s_cbranch_scc0 .LBB163_2243
; %bb.2211:
	s_cmp_gt_i32 s1, 28
	s_cbranch_scc0 .LBB163_2227
; %bb.2212:
	s_cmp_gt_i32 s1, 43
	;; [unrolled: 3-line block ×3, first 2 shown]
	s_cbranch_scc0 .LBB163_2217
; %bb.2214:
	s_cmp_eq_u32 s1, 46
	s_mov_b32 s0, -1
	s_cbranch_scc0 .LBB163_2216
; %bb.2215:
	v_and_b32_e32 v2, 0xffff, v3
	s_mov_b32 s0, 0
	global_store_dword v[0:1], v2, off
.LBB163_2216:
	s_mov_b32 s3, 0
.LBB163_2217:
	s_and_b32 vcc_lo, exec_lo, s3
	s_cbranch_vccz .LBB163_2222
; %bb.2218:
	s_cmp_eq_u32 s1, 44
	s_mov_b32 s0, -1
	s_cbranch_scc0 .LBB163_2222
; %bb.2219:
	v_and_b32_e32 v2, 0xffff, v3
	v_mov_b32_e32 v4, 0xff
	s_mov_b32 s3, exec_lo
	v_bfe_u32 v5, v2, 7, 8
	v_cmpx_ne_u32_e32 0xff, v5
	s_cbranch_execz .LBB163_2221
; %bb.2220:
	v_lshlrev_b32_e32 v4, 16, v2
	v_and_b32_e32 v6, 64, v2
	v_lshrrev_b32_e32 v2, 7, v2
	v_and_or_b32 v4, 0x3f0000, v4, v5
	v_cmp_ne_u32_e32 vcc_lo, 0, v6
	v_cmp_ne_u32_e64 s0, 0, v4
	s_and_b32 s0, vcc_lo, s0
	v_cndmask_b32_e64 v4, 0, 1, s0
	v_add_nc_u32_e32 v4, v2, v4
.LBB163_2221:
	s_or_b32 exec_lo, exec_lo, s3
	s_mov_b32 s0, 0
	global_store_byte v[0:1], v4, off
.LBB163_2222:
	s_mov_b32 s3, 0
.LBB163_2223:
	s_and_b32 vcc_lo, exec_lo, s3
	s_cbranch_vccz .LBB163_2226
; %bb.2224:
	s_cmp_eq_u32 s1, 29
	s_mov_b32 s0, -1
	s_cbranch_scc0 .LBB163_2226
; %bb.2225:
	v_lshlrev_b32_e32 v2, 16, v3
	s_mov_b32 s0, 0
	v_trunc_f32_e32 v2, v2
	v_mul_f32_e32 v4, 0x2f800000, v2
	v_floor_f32_e32 v4, v4
	v_fmamk_f32 v2, v4, 0xcf800000, v2
	v_cvt_u32_f32_e32 v5, v4
	v_cvt_u32_f32_e32 v4, v2
	global_store_dwordx2 v[0:1], v[4:5], off
.LBB163_2226:
	s_mov_b32 s3, 0
.LBB163_2227:
	s_and_b32 vcc_lo, exec_lo, s3
	s_cbranch_vccz .LBB163_2242
; %bb.2228:
	s_cmp_lt_i32 s1, 27
	s_mov_b32 s3, -1
	s_cbranch_scc1 .LBB163_2234
; %bb.2229:
	s_cmp_gt_i32 s1, 27
	s_cbranch_scc0 .LBB163_2231
; %bb.2230:
	v_lshlrev_b32_e32 v2, 16, v3
	s_mov_b32 s3, 0
	v_cvt_u32_f32_e32 v2, v2
	global_store_dword v[0:1], v2, off
.LBB163_2231:
	s_andn2_b32 vcc_lo, exec_lo, s3
	s_cbranch_vccnz .LBB163_2233
; %bb.2232:
	v_lshlrev_b32_e32 v2, 16, v3
	v_cvt_u32_f32_e32 v2, v2
	global_store_short v[0:1], v2, off
.LBB163_2233:
	s_mov_b32 s3, 0
.LBB163_2234:
	s_andn2_b32 vcc_lo, exec_lo, s3
	s_cbranch_vccnz .LBB163_2242
; %bb.2235:
	v_lshlrev_b32_e32 v5, 16, v3
	v_mov_b32_e32 v6, 0x80
	s_mov_b32 s3, exec_lo
	v_and_b32_e32 v4, 0x7fffffff, v5
	v_cmpx_gt_u32_e32 0x43800000, v4
	s_cbranch_execz .LBB163_2241
; %bb.2236:
	v_and_b32_e32 v2, 0xffff, v3
	v_cmp_lt_u32_e32 vcc_lo, 0x3bffffff, v4
	s_mov_b32 s5, 0
                                        ; implicit-def: $vgpr4
	s_and_saveexec_b32 s8, vcc_lo
	s_xor_b32 s8, exec_lo, s8
	s_cbranch_execz .LBB163_2347
; %bb.2237:
	v_bfe_u32 v4, v2, 4, 1
	s_mov_b32 s5, exec_lo
	v_add3_u32 v4, v5, v4, 0x487ffff
                                        ; implicit-def: $vgpr5
	v_lshrrev_b32_e32 v4, 20, v4
	s_andn2_saveexec_b32 s8, s8
	s_cbranch_execnz .LBB163_2348
.LBB163_2238:
	s_or_b32 exec_lo, exec_lo, s8
	v_mov_b32_e32 v6, 0
	s_and_saveexec_b32 s8, s5
.LBB163_2239:
	v_lshrrev_b32_e32 v2, 8, v2
	v_and_or_b32 v6, 0x80, v2, v4
.LBB163_2240:
	s_or_b32 exec_lo, exec_lo, s8
.LBB163_2241:
	s_or_b32 exec_lo, exec_lo, s3
	global_store_byte v[0:1], v6, off
.LBB163_2242:
	s_mov_b32 s3, 0
.LBB163_2243:
	s_and_b32 vcc_lo, exec_lo, s3
	s_cbranch_vccz .LBB163_2283
; %bb.2244:
	s_cmp_gt_i32 s1, 22
	s_mov_b32 s2, -1
	s_cbranch_scc0 .LBB163_2276
; %bb.2245:
	s_cmp_lt_i32 s1, 24
	s_cbranch_scc1 .LBB163_2265
; %bb.2246:
	s_cmp_gt_i32 s1, 24
	s_cbranch_scc0 .LBB163_2254
; %bb.2247:
	v_lshlrev_b32_e32 v5, 16, v3
	v_mov_b32_e32 v6, 0x80
	s_mov_b32 s2, exec_lo
	v_and_b32_e32 v4, 0x7fffffff, v5
	v_cmpx_gt_u32_e32 0x47800000, v4
	s_cbranch_execz .LBB163_2253
; %bb.2248:
	v_and_b32_e32 v2, 0xffff, v3
	v_cmp_lt_u32_e32 vcc_lo, 0x37ffffff, v4
	s_mov_b32 s3, 0
                                        ; implicit-def: $vgpr4
	s_and_saveexec_b32 s5, vcc_lo
	s_xor_b32 s5, exec_lo, s5
	s_cbranch_execz .LBB163_2350
; %bb.2249:
	v_bfe_u32 v4, v2, 5, 1
	s_mov_b32 s3, exec_lo
	v_add3_u32 v4, v5, v4, 0x88fffff
                                        ; implicit-def: $vgpr5
	v_lshrrev_b32_e32 v4, 21, v4
	s_andn2_saveexec_b32 s5, s5
	s_cbranch_execnz .LBB163_2351
.LBB163_2250:
	s_or_b32 exec_lo, exec_lo, s5
	v_mov_b32_e32 v6, 0
	s_and_saveexec_b32 s5, s3
.LBB163_2251:
	v_lshrrev_b32_e32 v2, 8, v2
	v_and_or_b32 v6, 0x80, v2, v4
.LBB163_2252:
	s_or_b32 exec_lo, exec_lo, s5
.LBB163_2253:
	s_or_b32 exec_lo, exec_lo, s2
	s_mov_b32 s2, 0
	global_store_byte v[0:1], v6, off
.LBB163_2254:
	s_and_b32 vcc_lo, exec_lo, s2
	s_cbranch_vccz .LBB163_2264
; %bb.2255:
	v_lshlrev_b32_e32 v5, 16, v3
	v_and_b32_e32 v2, 0xffff, v3
	s_mov_b32 s2, exec_lo
                                        ; implicit-def: $vgpr4
	v_and_b32_e32 v6, 0x7fffffff, v5
	v_cmpx_gt_u32_e32 0x43f00000, v6
	s_xor_b32 s2, exec_lo, s2
	s_cbranch_execz .LBB163_2261
; %bb.2256:
	s_mov_b32 s3, exec_lo
                                        ; implicit-def: $vgpr4
	v_cmpx_lt_u32_e32 0x3c7fffff, v6
	s_xor_b32 s3, exec_lo, s3
; %bb.2257:
	v_bfe_u32 v4, v2, 4, 1
	v_add3_u32 v4, v5, v4, 0x407ffff
	v_and_b32_e32 v5, 0xff00000, v4
	v_lshrrev_b32_e32 v4, 20, v4
	v_cmp_ne_u32_e32 vcc_lo, 0x7f00000, v5
                                        ; implicit-def: $vgpr5
	v_cndmask_b32_e32 v4, 0x7e, v4, vcc_lo
; %bb.2258:
	s_andn2_saveexec_b32 s3, s3
; %bb.2259:
	v_add_f32_e64 v4, 0x46800000, |v5|
; %bb.2260:
	s_or_b32 exec_lo, exec_lo, s3
                                        ; implicit-def: $vgpr6
.LBB163_2261:
	s_andn2_saveexec_b32 s2, s2
; %bb.2262:
	v_mov_b32_e32 v4, 0x7f
	v_cmp_lt_u32_e32 vcc_lo, 0x7f800000, v6
	v_cndmask_b32_e32 v4, 0x7e, v4, vcc_lo
; %bb.2263:
	s_or_b32 exec_lo, exec_lo, s2
	v_lshrrev_b32_e32 v2, 8, v2
	v_and_or_b32 v2, 0x80, v2, v4
	global_store_byte v[0:1], v2, off
.LBB163_2264:
	s_mov_b32 s2, 0
.LBB163_2265:
	s_andn2_b32 vcc_lo, exec_lo, s2
	s_cbranch_vccnz .LBB163_2275
; %bb.2266:
	v_lshlrev_b32_e32 v5, 16, v3
	v_and_b32_e32 v2, 0xffff, v3
	s_mov_b32 s2, exec_lo
                                        ; implicit-def: $vgpr4
	v_and_b32_e32 v6, 0x7fffffff, v5
	v_cmpx_gt_u32_e32 0x47800000, v6
	s_xor_b32 s2, exec_lo, s2
	s_cbranch_execz .LBB163_2272
; %bb.2267:
	s_mov_b32 s3, exec_lo
                                        ; implicit-def: $vgpr4
	v_cmpx_lt_u32_e32 0x387fffff, v6
	s_xor_b32 s3, exec_lo, s3
; %bb.2268:
	v_bfe_u32 v4, v2, 5, 1
	v_add3_u32 v4, v5, v4, 0x80fffff
                                        ; implicit-def: $vgpr5
	v_lshrrev_b32_e32 v4, 21, v4
; %bb.2269:
	s_andn2_saveexec_b32 s3, s3
; %bb.2270:
	v_add_f32_e64 v4, 0x43000000, |v5|
; %bb.2271:
	s_or_b32 exec_lo, exec_lo, s3
                                        ; implicit-def: $vgpr6
.LBB163_2272:
	s_andn2_saveexec_b32 s2, s2
; %bb.2273:
	v_mov_b32_e32 v4, 0x7f
	v_cmp_lt_u32_e32 vcc_lo, 0x7f800000, v6
	v_cndmask_b32_e32 v4, 0x7c, v4, vcc_lo
; %bb.2274:
	s_or_b32 exec_lo, exec_lo, s2
	v_lshrrev_b32_e32 v2, 8, v2
	v_and_or_b32 v2, 0x80, v2, v4
	global_store_byte v[0:1], v2, off
.LBB163_2275:
	s_mov_b32 s2, 0
.LBB163_2276:
	s_andn2_b32 vcc_lo, exec_lo, s2
	s_mov_b32 s2, 0
	s_cbranch_vccnz .LBB163_2283
; %bb.2277:
	s_cmp_gt_i32 s1, 14
	s_mov_b32 s2, -1
	s_cbranch_scc0 .LBB163_2281
; %bb.2278:
	s_cmp_eq_u32 s1, 15
	s_mov_b32 s0, -1
	s_cbranch_scc0 .LBB163_2280
; %bb.2279:
	s_mov_b32 s0, 0
	global_store_short v[0:1], v3, off
.LBB163_2280:
	s_mov_b32 s2, 0
.LBB163_2281:
	s_and_b32 vcc_lo, exec_lo, s2
	s_mov_b32 s2, 0
	s_cbranch_vccz .LBB163_2283
; %bb.2282:
	s_cmp_lg_u32 s1, 11
	s_mov_b32 s2, -1
	s_cselect_b32 s0, -1, 0
.LBB163_2283:
	s_and_b32 vcc_lo, exec_lo, s0
	s_cbranch_vccnz .LBB163_2349
.LBB163_2284:
	s_mov_b32 s0, 0
	s_branch .LBB163_2286
.LBB163_2285:
	s_mov_b32 s0, 0
	s_mov_b32 s2, 0
                                        ; implicit-def: $sgpr4
                                        ; implicit-def: $vgpr0_vgpr1
                                        ; implicit-def: $vgpr3
.LBB163_2286:
	s_andn2_b32 s1, s6, exec_lo
	s_and_b32 s3, s14, exec_lo
	s_and_b32 s0, s0, exec_lo
	;; [unrolled: 1-line block ×3, first 2 shown]
	s_or_b32 s6, s1, s3
.LBB163_2287:
	s_or_b32 exec_lo, exec_lo, s7
	s_and_saveexec_b32 s1, s6
	s_cbranch_execz .LBB163_2290
; %bb.2288:
	; divergent unreachable
	s_or_b32 exec_lo, exec_lo, s1
	s_and_saveexec_b32 s1, s2
	s_xor_b32 s1, exec_lo, s1
	s_cbranch_execnz .LBB163_2291
.LBB163_2289:
	s_or_b32 exec_lo, exec_lo, s1
	s_and_saveexec_b32 s1, s0
	s_cbranch_execnz .LBB163_2292
	s_branch .LBB163_2329
.LBB163_2290:
	s_or_b32 exec_lo, exec_lo, s1
	s_and_saveexec_b32 s1, s2
	s_xor_b32 s1, exec_lo, s1
	s_cbranch_execz .LBB163_2289
.LBB163_2291:
	s_waitcnt vmcnt(0)
	v_and_b32_e32 v2, 0x7fff, v3
	v_cmp_ne_u16_e32 vcc_lo, 0, v2
	v_cndmask_b32_e64 v2, 0, 1, vcc_lo
	global_store_byte v[0:1], v2, off
	s_or_b32 exec_lo, exec_lo, s1
	s_and_saveexec_b32 s1, s0
	s_cbranch_execz .LBB163_2329
.LBB163_2292:
	s_sext_i32_i16 s1, s4
	s_mov_b32 s0, -1
	s_cmp_lt_i32 s1, 5
	s_cbranch_scc1 .LBB163_2313
; %bb.2293:
	s_cmp_lt_i32 s1, 8
	s_cbranch_scc1 .LBB163_2303
; %bb.2294:
	;; [unrolled: 3-line block ×3, first 2 shown]
	s_cmp_gt_i32 s1, 9
	s_cbranch_scc0 .LBB163_2297
; %bb.2296:
	s_waitcnt vmcnt(0)
	v_lshlrev_b32_e32 v2, 16, v3
	v_mov_b32_e32 v6, 0
	s_mov_b32 s0, 0
	v_cvt_f64_f32_e32 v[4:5], v2
	v_mov_b32_e32 v7, v6
	global_store_dwordx4 v[0:1], v[4:7], off
.LBB163_2297:
	s_andn2_b32 vcc_lo, exec_lo, s0
	s_cbranch_vccnz .LBB163_2299
; %bb.2298:
	s_waitcnt vmcnt(0)
	v_lshlrev_b32_e32 v4, 16, v3
	v_mov_b32_e32 v5, 0
	global_store_dwordx2 v[0:1], v[4:5], off
.LBB163_2299:
	s_mov_b32 s0, 0
.LBB163_2300:
	s_andn2_b32 vcc_lo, exec_lo, s0
	s_cbranch_vccnz .LBB163_2302
; %bb.2301:
	s_waitcnt vmcnt(0)
	v_lshlrev_b32_e32 v2, 16, v3
	v_cvt_f16_f32_e32 v2, v2
	v_and_b32_e32 v2, 0xffff, v2
	global_store_dword v[0:1], v2, off
.LBB163_2302:
	s_mov_b32 s0, 0
.LBB163_2303:
	s_andn2_b32 vcc_lo, exec_lo, s0
	s_cbranch_vccnz .LBB163_2312
; %bb.2304:
	s_sext_i32_i16 s1, s4
	s_mov_b32 s0, -1
	s_cmp_lt_i32 s1, 6
	s_cbranch_scc1 .LBB163_2310
; %bb.2305:
	s_cmp_gt_i32 s1, 6
	s_cbranch_scc0 .LBB163_2307
; %bb.2306:
	s_waitcnt vmcnt(0)
	v_lshlrev_b32_e32 v2, 16, v3
	s_mov_b32 s0, 0
	v_cvt_f64_f32_e32 v[4:5], v2
	global_store_dwordx2 v[0:1], v[4:5], off
.LBB163_2307:
	s_andn2_b32 vcc_lo, exec_lo, s0
	s_cbranch_vccnz .LBB163_2309
; %bb.2308:
	s_waitcnt vmcnt(0)
	v_lshlrev_b32_e32 v2, 16, v3
	global_store_dword v[0:1], v2, off
.LBB163_2309:
	s_mov_b32 s0, 0
.LBB163_2310:
	s_andn2_b32 vcc_lo, exec_lo, s0
	s_cbranch_vccnz .LBB163_2312
; %bb.2311:
	s_waitcnt vmcnt(0)
	v_lshlrev_b32_e32 v2, 16, v3
	v_cvt_f16_f32_e32 v2, v2
	global_store_short v[0:1], v2, off
.LBB163_2312:
	s_mov_b32 s0, 0
.LBB163_2313:
	s_andn2_b32 vcc_lo, exec_lo, s0
	s_cbranch_vccnz .LBB163_2329
; %bb.2314:
	s_sext_i32_i16 s1, s4
	s_mov_b32 s0, -1
	s_cmp_lt_i32 s1, 2
	s_cbranch_scc1 .LBB163_2324
; %bb.2315:
	s_cmp_lt_i32 s1, 3
	s_cbranch_scc1 .LBB163_2321
; %bb.2316:
	s_cmp_gt_i32 s1, 3
	s_cbranch_scc0 .LBB163_2318
; %bb.2317:
	s_waitcnt vmcnt(0)
	v_lshlrev_b32_e32 v2, 16, v3
	s_mov_b32 s0, 0
	v_trunc_f32_e32 v2, v2
	v_mul_f32_e64 v4, 0x2f800000, |v2|
	v_floor_f32_e32 v4, v4
	v_fma_f32 v5, 0xcf800000, v4, |v2|
	v_ashrrev_i32_e32 v2, 31, v2
	v_cvt_u32_f32_e32 v4, v4
	v_cvt_u32_f32_e32 v5, v5
	v_xor_b32_e32 v6, v4, v2
	v_xor_b32_e32 v5, v5, v2
	v_sub_co_u32 v4, vcc_lo, v5, v2
	v_sub_co_ci_u32_e64 v5, null, v6, v2, vcc_lo
	global_store_dwordx2 v[0:1], v[4:5], off
.LBB163_2318:
	s_andn2_b32 vcc_lo, exec_lo, s0
	s_cbranch_vccnz .LBB163_2320
; %bb.2319:
	s_waitcnt vmcnt(0)
	v_lshlrev_b32_e32 v2, 16, v3
	v_cvt_i32_f32_e32 v2, v2
	global_store_dword v[0:1], v2, off
.LBB163_2320:
	s_mov_b32 s0, 0
.LBB163_2321:
	s_andn2_b32 vcc_lo, exec_lo, s0
	s_cbranch_vccnz .LBB163_2323
; %bb.2322:
	s_waitcnt vmcnt(0)
	v_lshlrev_b32_e32 v2, 16, v3
	v_cvt_i32_f32_e32 v2, v2
	global_store_short v[0:1], v2, off
.LBB163_2323:
	s_mov_b32 s0, 0
.LBB163_2324:
	s_andn2_b32 vcc_lo, exec_lo, s0
	s_cbranch_vccnz .LBB163_2329
; %bb.2325:
	s_waitcnt vmcnt(0)
	v_lshlrev_b32_e32 v2, 16, v3
	s_sext_i32_i16 s0, s4
	s_cmp_gt_i32 s0, 0
	s_mov_b32 s0, -1
	s_cbranch_scc0 .LBB163_2327
; %bb.2326:
	v_cvt_i32_f32_e32 v3, v2
	s_mov_b32 s0, 0
	global_store_byte v[0:1], v3, off
.LBB163_2327:
	s_andn2_b32 vcc_lo, exec_lo, s0
	s_cbranch_vccnz .LBB163_2329
; %bb.2328:
	v_trunc_f32_e32 v2, v2
	v_mul_f32_e64 v3, 0x2f800000, |v2|
	v_floor_f32_e32 v3, v3
	v_fma_f32 v3, 0xcf800000, v3, |v2|
	v_ashrrev_i32_e32 v2, 31, v2
	v_cvt_u32_f32_e32 v3, v3
	v_xor_b32_e32 v3, v3, v2
	v_sub_nc_u32_e32 v2, v3, v2
	global_store_byte v[0:1], v2, off
	s_endpgm
.LBB163_2329:
	s_endpgm
.LBB163_2330:
	s_mov_b32 s2, 0
	s_mov_b32 s0, -1
	s_branch .LBB163_2286
.LBB163_2331:
	s_or_b32 s14, s14, exec_lo
	s_trap 2
	s_cbranch_execz .LBB163_1762
	s_branch .LBB163_1763
.LBB163_2332:
	s_andn2_saveexec_b32 s15, s15
	s_cbranch_execz .LBB163_1880
.LBB163_2333:
	v_add_f32_e64 v11, 0x46000000, |v12|
	s_andn2_b32 s13, s13, exec_lo
	v_and_b32_e32 v11, 0xff, v11
	v_cmp_ne_u32_e32 vcc_lo, 0, v11
	s_and_b32 s16, vcc_lo, exec_lo
	s_or_b32 s13, s13, s16
	s_or_b32 exec_lo, exec_lo, s15
	v_mov_b32_e32 v13, 0
	s_and_saveexec_b32 s15, s13
	s_cbranch_execnz .LBB163_1881
	s_branch .LBB163_1882
.LBB163_2334:
	s_or_b32 s14, s14, exec_lo
	s_trap 2
	s_cbranch_execz .LBB163_1928
	s_branch .LBB163_1929
.LBB163_2335:
	s_andn2_saveexec_b32 s13, s13
	s_cbranch_execz .LBB163_1893
.LBB163_2336:
	v_add_f32_e64 v11, 0x42800000, |v12|
	s_andn2_b32 s11, s11, exec_lo
	v_and_b32_e32 v11, 0xff, v11
	v_cmp_ne_u32_e32 vcc_lo, 0, v11
	s_and_b32 s15, vcc_lo, exec_lo
	s_or_b32 s11, s11, s15
	s_or_b32 exec_lo, exec_lo, s13
	v_mov_b32_e32 v13, 0
	s_and_saveexec_b32 s13, s11
	s_cbranch_execnz .LBB163_1894
	s_branch .LBB163_1895
.LBB163_2337:
	s_andn2_saveexec_b32 s13, s13
	s_cbranch_execz .LBB163_1999
.LBB163_2338:
	v_add_f32_e64 v5, 0x46000000, |v6|
	s_andn2_b32 s12, s12, exec_lo
	v_and_b32_e32 v5, 0xff, v5
	v_cmp_ne_u32_e32 vcc_lo, 0, v5
	s_and_b32 s15, vcc_lo, exec_lo
	s_or_b32 s12, s12, s15
	s_or_b32 exec_lo, exec_lo, s13
	v_mov_b32_e32 v11, 0
	s_and_saveexec_b32 s13, s12
	s_cbranch_execnz .LBB163_2000
	s_branch .LBB163_2001
.LBB163_2339:
	s_or_b32 s14, s14, exec_lo
	s_trap 2
	s_cbranch_execz .LBB163_2047
	s_branch .LBB163_2048
.LBB163_2340:
	s_andn2_saveexec_b32 s12, s12
	s_cbranch_execz .LBB163_2012
.LBB163_2341:
	v_add_f32_e64 v5, 0x42800000, |v6|
	s_andn2_b32 s11, s11, exec_lo
	v_and_b32_e32 v5, 0xff, v5
	v_cmp_ne_u32_e32 vcc_lo, 0, v5
	s_and_b32 s13, vcc_lo, exec_lo
	s_or_b32 s11, s11, s13
	s_or_b32 exec_lo, exec_lo, s12
	v_mov_b32_e32 v11, 0
	s_and_saveexec_b32 s12, s11
	s_cbranch_execnz .LBB163_2013
	s_branch .LBB163_2014
.LBB163_2342:
	s_andn2_saveexec_b32 s12, s12
	s_cbranch_execz .LBB163_2118
.LBB163_2343:
	v_add_f32_e64 v5, 0x46000000, |v6|
	s_andn2_b32 s11, s11, exec_lo
	v_and_b32_e32 v5, 0xff, v5
	v_cmp_ne_u32_e32 vcc_lo, 0, v5
	s_and_b32 s13, vcc_lo, exec_lo
	s_or_b32 s11, s11, s13
	s_or_b32 exec_lo, exec_lo, s12
	v_mov_b32_e32 v7, 0
	s_and_saveexec_b32 s12, s11
	s_cbranch_execnz .LBB163_2119
	s_branch .LBB163_2120
.LBB163_2344:
	s_or_b32 s14, s14, exec_lo
	s_trap 2
	s_cbranch_execz .LBB163_2166
	s_branch .LBB163_2167
.LBB163_2345:
	s_andn2_saveexec_b32 s11, s11
	s_cbranch_execz .LBB163_2131
.LBB163_2346:
	v_add_f32_e64 v5, 0x42800000, |v6|
	s_andn2_b32 s10, s10, exec_lo
	v_and_b32_e32 v5, 0xff, v5
	v_cmp_ne_u32_e32 vcc_lo, 0, v5
	s_and_b32 s12, vcc_lo, exec_lo
	s_or_b32 s10, s10, s12
	s_or_b32 exec_lo, exec_lo, s11
	v_mov_b32_e32 v7, 0
	s_and_saveexec_b32 s11, s10
	s_cbranch_execnz .LBB163_2132
	s_branch .LBB163_2133
.LBB163_2347:
	s_andn2_saveexec_b32 s8, s8
	s_cbranch_execz .LBB163_2238
.LBB163_2348:
	v_add_f32_e64 v4, 0x46000000, |v5|
	s_andn2_b32 s5, s5, exec_lo
	v_and_b32_e32 v4, 0xff, v4
	v_cmp_ne_u32_e32 vcc_lo, 0, v4
	s_and_b32 s9, vcc_lo, exec_lo
	s_or_b32 s5, s5, s9
	s_or_b32 exec_lo, exec_lo, s8
	v_mov_b32_e32 v6, 0
	s_and_saveexec_b32 s8, s5
	s_cbranch_execnz .LBB163_2239
	s_branch .LBB163_2240
.LBB163_2349:
	s_mov_b32 s2, 0
	s_or_b32 s14, s14, exec_lo
	s_trap 2
	s_branch .LBB163_2284
.LBB163_2350:
	s_andn2_saveexec_b32 s5, s5
	s_cbranch_execz .LBB163_2250
.LBB163_2351:
	v_add_f32_e64 v4, 0x42800000, |v5|
	s_andn2_b32 s3, s3, exec_lo
	v_and_b32_e32 v4, 0xff, v4
	v_cmp_ne_u32_e32 vcc_lo, 0, v4
	s_and_b32 s8, vcc_lo, exec_lo
	s_or_b32 s3, s3, s8
	s_or_b32 exec_lo, exec_lo, s5
	v_mov_b32_e32 v6, 0
	s_and_saveexec_b32 s5, s3
	s_cbranch_execnz .LBB163_2251
	s_branch .LBB163_2252
	.section	.rodata,"a",@progbits
	.p2align	6, 0x0
	.amdhsa_kernel _ZN2at6native32elementwise_kernel_manual_unrollILi128ELi4EZNS0_15gpu_kernel_implIZZZNS0_18lgamma_kernel_cudaERNS_18TensorIteratorBaseEENKUlvE_clEvENKUlvE2_clEvEUlN3c108BFloat16EE_EEvS4_RKT_EUlibE_EEviT1_
		.amdhsa_group_segment_fixed_size 0
		.amdhsa_private_segment_fixed_size 0
		.amdhsa_kernarg_size 40
		.amdhsa_user_sgpr_count 6
		.amdhsa_user_sgpr_private_segment_buffer 1
		.amdhsa_user_sgpr_dispatch_ptr 0
		.amdhsa_user_sgpr_queue_ptr 0
		.amdhsa_user_sgpr_kernarg_segment_ptr 1
		.amdhsa_user_sgpr_dispatch_id 0
		.amdhsa_user_sgpr_flat_scratch_init 0
		.amdhsa_user_sgpr_private_segment_size 0
		.amdhsa_wavefront_size32 1
		.amdhsa_uses_dynamic_stack 0
		.amdhsa_system_sgpr_private_segment_wavefront_offset 0
		.amdhsa_system_sgpr_workgroup_id_x 1
		.amdhsa_system_sgpr_workgroup_id_y 0
		.amdhsa_system_sgpr_workgroup_id_z 0
		.amdhsa_system_sgpr_workgroup_info 0
		.amdhsa_system_vgpr_workitem_id 0
		.amdhsa_next_free_vgpr 16
		.amdhsa_next_free_sgpr 26
		.amdhsa_reserve_vcc 1
		.amdhsa_reserve_flat_scratch 0
		.amdhsa_float_round_mode_32 0
		.amdhsa_float_round_mode_16_64 0
		.amdhsa_float_denorm_mode_32 3
		.amdhsa_float_denorm_mode_16_64 3
		.amdhsa_dx10_clamp 1
		.amdhsa_ieee_mode 1
		.amdhsa_fp16_overflow 0
		.amdhsa_workgroup_processor_mode 1
		.amdhsa_memory_ordered 1
		.amdhsa_forward_progress 1
		.amdhsa_shared_vgpr_count 0
		.amdhsa_exception_fp_ieee_invalid_op 0
		.amdhsa_exception_fp_denorm_src 0
		.amdhsa_exception_fp_ieee_div_zero 0
		.amdhsa_exception_fp_ieee_overflow 0
		.amdhsa_exception_fp_ieee_underflow 0
		.amdhsa_exception_fp_ieee_inexact 0
		.amdhsa_exception_int_div_zero 0
	.end_amdhsa_kernel
	.section	.text._ZN2at6native32elementwise_kernel_manual_unrollILi128ELi4EZNS0_15gpu_kernel_implIZZZNS0_18lgamma_kernel_cudaERNS_18TensorIteratorBaseEENKUlvE_clEvENKUlvE2_clEvEUlN3c108BFloat16EE_EEvS4_RKT_EUlibE_EEviT1_,"axG",@progbits,_ZN2at6native32elementwise_kernel_manual_unrollILi128ELi4EZNS0_15gpu_kernel_implIZZZNS0_18lgamma_kernel_cudaERNS_18TensorIteratorBaseEENKUlvE_clEvENKUlvE2_clEvEUlN3c108BFloat16EE_EEvS4_RKT_EUlibE_EEviT1_,comdat
.Lfunc_end163:
	.size	_ZN2at6native32elementwise_kernel_manual_unrollILi128ELi4EZNS0_15gpu_kernel_implIZZZNS0_18lgamma_kernel_cudaERNS_18TensorIteratorBaseEENKUlvE_clEvENKUlvE2_clEvEUlN3c108BFloat16EE_EEvS4_RKT_EUlibE_EEviT1_, .Lfunc_end163-_ZN2at6native32elementwise_kernel_manual_unrollILi128ELi4EZNS0_15gpu_kernel_implIZZZNS0_18lgamma_kernel_cudaERNS_18TensorIteratorBaseEENKUlvE_clEvENKUlvE2_clEvEUlN3c108BFloat16EE_EEvS4_RKT_EUlibE_EEviT1_
                                        ; -- End function
	.set _ZN2at6native32elementwise_kernel_manual_unrollILi128ELi4EZNS0_15gpu_kernel_implIZZZNS0_18lgamma_kernel_cudaERNS_18TensorIteratorBaseEENKUlvE_clEvENKUlvE2_clEvEUlN3c108BFloat16EE_EEvS4_RKT_EUlibE_EEviT1_.num_vgpr, 16
	.set _ZN2at6native32elementwise_kernel_manual_unrollILi128ELi4EZNS0_15gpu_kernel_implIZZZNS0_18lgamma_kernel_cudaERNS_18TensorIteratorBaseEENKUlvE_clEvENKUlvE2_clEvEUlN3c108BFloat16EE_EEvS4_RKT_EUlibE_EEviT1_.num_agpr, 0
	.set _ZN2at6native32elementwise_kernel_manual_unrollILi128ELi4EZNS0_15gpu_kernel_implIZZZNS0_18lgamma_kernel_cudaERNS_18TensorIteratorBaseEENKUlvE_clEvENKUlvE2_clEvEUlN3c108BFloat16EE_EEvS4_RKT_EUlibE_EEviT1_.numbered_sgpr, 26
	.set _ZN2at6native32elementwise_kernel_manual_unrollILi128ELi4EZNS0_15gpu_kernel_implIZZZNS0_18lgamma_kernel_cudaERNS_18TensorIteratorBaseEENKUlvE_clEvENKUlvE2_clEvEUlN3c108BFloat16EE_EEvS4_RKT_EUlibE_EEviT1_.num_named_barrier, 0
	.set _ZN2at6native32elementwise_kernel_manual_unrollILi128ELi4EZNS0_15gpu_kernel_implIZZZNS0_18lgamma_kernel_cudaERNS_18TensorIteratorBaseEENKUlvE_clEvENKUlvE2_clEvEUlN3c108BFloat16EE_EEvS4_RKT_EUlibE_EEviT1_.private_seg_size, 0
	.set _ZN2at6native32elementwise_kernel_manual_unrollILi128ELi4EZNS0_15gpu_kernel_implIZZZNS0_18lgamma_kernel_cudaERNS_18TensorIteratorBaseEENKUlvE_clEvENKUlvE2_clEvEUlN3c108BFloat16EE_EEvS4_RKT_EUlibE_EEviT1_.uses_vcc, 1
	.set _ZN2at6native32elementwise_kernel_manual_unrollILi128ELi4EZNS0_15gpu_kernel_implIZZZNS0_18lgamma_kernel_cudaERNS_18TensorIteratorBaseEENKUlvE_clEvENKUlvE2_clEvEUlN3c108BFloat16EE_EEvS4_RKT_EUlibE_EEviT1_.uses_flat_scratch, 0
	.set _ZN2at6native32elementwise_kernel_manual_unrollILi128ELi4EZNS0_15gpu_kernel_implIZZZNS0_18lgamma_kernel_cudaERNS_18TensorIteratorBaseEENKUlvE_clEvENKUlvE2_clEvEUlN3c108BFloat16EE_EEvS4_RKT_EUlibE_EEviT1_.has_dyn_sized_stack, 0
	.set _ZN2at6native32elementwise_kernel_manual_unrollILi128ELi4EZNS0_15gpu_kernel_implIZZZNS0_18lgamma_kernel_cudaERNS_18TensorIteratorBaseEENKUlvE_clEvENKUlvE2_clEvEUlN3c108BFloat16EE_EEvS4_RKT_EUlibE_EEviT1_.has_recursion, 0
	.set _ZN2at6native32elementwise_kernel_manual_unrollILi128ELi4EZNS0_15gpu_kernel_implIZZZNS0_18lgamma_kernel_cudaERNS_18TensorIteratorBaseEENKUlvE_clEvENKUlvE2_clEvEUlN3c108BFloat16EE_EEvS4_RKT_EUlibE_EEviT1_.has_indirect_call, 0
	.section	.AMDGPU.csdata,"",@progbits
; Kernel info:
; codeLenInByte = 54976
; TotalNumSgprs: 28
; NumVgprs: 16
; ScratchSize: 0
; MemoryBound: 0
; FloatMode: 240
; IeeeMode: 1
; LDSByteSize: 0 bytes/workgroup (compile time only)
; SGPRBlocks: 0
; VGPRBlocks: 1
; NumSGPRsForWavesPerEU: 28
; NumVGPRsForWavesPerEU: 16
; Occupancy: 16
; WaveLimiterHint : 0
; COMPUTE_PGM_RSRC2:SCRATCH_EN: 0
; COMPUTE_PGM_RSRC2:USER_SGPR: 6
; COMPUTE_PGM_RSRC2:TRAP_HANDLER: 0
; COMPUTE_PGM_RSRC2:TGID_X_EN: 1
; COMPUTE_PGM_RSRC2:TGID_Y_EN: 0
; COMPUTE_PGM_RSRC2:TGID_Z_EN: 0
; COMPUTE_PGM_RSRC2:TIDIG_COMP_CNT: 0
	.section	.text._ZN2at6native32elementwise_kernel_manual_unrollILi128ELi4EZNS0_15gpu_kernel_implIZZZNS0_18lgamma_kernel_cudaERNS_18TensorIteratorBaseEENKUlvE_clEvENKUlvE2_clEvEUlN3c108BFloat16EE_EEvS4_RKT_EUlibE0_EEviT1_,"axG",@progbits,_ZN2at6native32elementwise_kernel_manual_unrollILi128ELi4EZNS0_15gpu_kernel_implIZZZNS0_18lgamma_kernel_cudaERNS_18TensorIteratorBaseEENKUlvE_clEvENKUlvE2_clEvEUlN3c108BFloat16EE_EEvS4_RKT_EUlibE0_EEviT1_,comdat
	.globl	_ZN2at6native32elementwise_kernel_manual_unrollILi128ELi4EZNS0_15gpu_kernel_implIZZZNS0_18lgamma_kernel_cudaERNS_18TensorIteratorBaseEENKUlvE_clEvENKUlvE2_clEvEUlN3c108BFloat16EE_EEvS4_RKT_EUlibE0_EEviT1_ ; -- Begin function _ZN2at6native32elementwise_kernel_manual_unrollILi128ELi4EZNS0_15gpu_kernel_implIZZZNS0_18lgamma_kernel_cudaERNS_18TensorIteratorBaseEENKUlvE_clEvENKUlvE2_clEvEUlN3c108BFloat16EE_EEvS4_RKT_EUlibE0_EEviT1_
	.p2align	8
	.type	_ZN2at6native32elementwise_kernel_manual_unrollILi128ELi4EZNS0_15gpu_kernel_implIZZZNS0_18lgamma_kernel_cudaERNS_18TensorIteratorBaseEENKUlvE_clEvENKUlvE2_clEvEUlN3c108BFloat16EE_EEvS4_RKT_EUlibE0_EEviT1_,@function
_ZN2at6native32elementwise_kernel_manual_unrollILi128ELi4EZNS0_15gpu_kernel_implIZZZNS0_18lgamma_kernel_cudaERNS_18TensorIteratorBaseEENKUlvE_clEvENKUlvE2_clEvEUlN3c108BFloat16EE_EEvS4_RKT_EUlibE0_EEviT1_: ; @_ZN2at6native32elementwise_kernel_manual_unrollILi128ELi4EZNS0_15gpu_kernel_implIZZZNS0_18lgamma_kernel_cudaERNS_18TensorIteratorBaseEENKUlvE_clEvENKUlvE2_clEvEUlN3c108BFloat16EE_EEvS4_RKT_EUlibE0_EEviT1_
; %bb.0:
	s_clause 0x1
	s_load_dword s24, s[4:5], 0x8
	s_load_dword s33, s[4:5], 0x0
	v_lshl_or_b32 v8, s6, 9, v0
	s_add_u32 s2, s4, 8
	s_addc_u32 s3, s5, 0
	s_mov_b32 s1, -1
	s_mov_b32 s26, 0
	v_or_b32_e32 v15, 0x180, v8
	s_mov_b32 s12, 0
	s_mov_b32 s0, exec_lo
	s_waitcnt lgkmcnt(0)
	s_add_i32 s25, s24, -1
	s_cmp_gt_u32 s25, 1
	s_cselect_b32 s27, -1, 0
	v_cmpx_le_i32_e64 s33, v15
	s_xor_b32 s28, exec_lo, s0
	s_cbranch_execz .LBB164_1241
; %bb.1:
	v_mov_b32_e32 v0, 0
	s_clause 0x3
	s_load_dwordx4 s[16:19], s[2:3], 0x4
	s_load_dwordx2 s[6:7], s[2:3], 0x14
	s_load_dwordx4 s[12:15], s[2:3], 0xc4
	s_load_dwordx4 s[8:11], s[2:3], 0x148
	s_cmp_lg_u32 s24, 0
	s_mov_b32 s39, 0
	s_cselect_b32 s34, -1, 0
	global_load_ushort v0, v0, s[2:3] offset:345
	s_add_u32 s20, s2, 0xc4
	s_addc_u32 s21, s3, 0
	s_min_u32 s35, s25, 15
	s_cmp_gt_u32 s24, 1
	s_mov_b32 s37, 0
	s_cselect_b32 s31, -1, 0
	s_mov_b32 s36, 0
	s_mov_b32 s38, exec_lo
	s_waitcnt vmcnt(0)
	v_readfirstlane_b32 s29, v0
	s_and_b32 s0, 0xffff, s29
	s_lshr_b32 s30, s0, 8
	v_cmpx_gt_i32_e64 s33, v8
	s_cbranch_execz .LBB164_304
; %bb.2:
	s_andn2_b32 vcc_lo, exec_lo, s27
	s_cbranch_vccnz .LBB164_7
; %bb.3:
	s_andn2_b32 vcc_lo, exec_lo, s34
	s_cbranch_vccnz .LBB164_8
; %bb.4:
	s_add_i32 s37, s35, 1
	s_cmp_eq_u32 s25, 2
	s_cbranch_scc1 .LBB164_9
; %bb.5:
	v_mov_b32_e32 v2, 0
	v_mov_b32_e32 v0, 0
	;; [unrolled: 1-line block ×3, first 2 shown]
	s_and_b32 s36, s37, 28
	s_mov_b32 s40, 0
	s_mov_b64 s[0:1], s[2:3]
	s_mov_b64 s[22:23], s[20:21]
.LBB164_6:                              ; =>This Inner Loop Header: Depth=1
	s_clause 0x1
	s_load_dwordx8 s[44:51], s[0:1], 0x4
	s_load_dwordx4 s[60:63], s[0:1], 0x24
	s_load_dwordx8 s[52:59], s[22:23], 0x0
	s_add_u32 s0, s0, 48
	s_addc_u32 s1, s1, 0
	s_add_i32 s40, s40, 4
	s_add_u32 s22, s22, 32
	s_addc_u32 s23, s23, 0
	s_cmp_lg_u32 s36, s40
	s_waitcnt lgkmcnt(0)
	v_mul_hi_u32 v3, s45, v1
	v_add_nc_u32_e32 v3, v1, v3
	v_lshrrev_b32_e32 v3, s46, v3
	v_mul_hi_u32 v4, s48, v3
	v_mul_lo_u32 v6, v3, s44
	v_add_nc_u32_e32 v4, v3, v4
	v_sub_nc_u32_e32 v1, v1, v6
	v_lshrrev_b32_e32 v4, s49, v4
	v_mul_lo_u32 v6, v1, s52
	v_mul_lo_u32 v9, v1, s53
	v_mul_hi_u32 v5, s51, v4
	v_add_nc_u32_e32 v5, v4, v5
	v_lshrrev_b32_e32 v5, s60, v5
	v_mul_hi_u32 v7, s62, v5
	v_mul_lo_u32 v10, v5, s50
	v_add_nc_u32_e32 v1, v5, v7
	v_mul_lo_u32 v7, v4, s47
	v_sub_nc_u32_e32 v4, v4, v10
	v_lshrrev_b32_e32 v1, s63, v1
	v_mul_lo_u32 v10, v4, s56
	v_mul_lo_u32 v4, v4, s57
	v_sub_nc_u32_e32 v3, v3, v7
	v_mul_lo_u32 v11, v1, s61
	v_mul_lo_u32 v7, v3, s54
	;; [unrolled: 1-line block ×3, first 2 shown]
	v_sub_nc_u32_e32 v5, v5, v11
	v_add3_u32 v0, v6, v0, v7
	v_mul_lo_u32 v11, v5, s58
	v_mul_lo_u32 v5, v5, s59
	v_add3_u32 v2, v9, v2, v3
	v_add3_u32 v0, v10, v0, v11
	;; [unrolled: 1-line block ×3, first 2 shown]
	s_cbranch_scc1 .LBB164_6
	s_branch .LBB164_10
.LBB164_7:
                                        ; implicit-def: $vgpr0
                                        ; implicit-def: $vgpr2
	s_branch .LBB164_14
.LBB164_8:
	v_mov_b32_e32 v0, 0
	v_mov_b32_e32 v2, 0
	s_branch .LBB164_13
.LBB164_9:
	v_mov_b32_e32 v0, 0
	v_mov_b32_e32 v2, 0
	;; [unrolled: 1-line block ×3, first 2 shown]
.LBB164_10:
	s_and_b32 s37, s37, 3
	s_cmp_eq_u32 s37, 0
	s_cbranch_scc1 .LBB164_13
; %bb.11:
	s_lshl_b32 s0, s36, 3
	s_mul_i32 s22, s36, 12
	s_add_u32 s0, s2, s0
	s_addc_u32 s1, s3, 0
	s_add_u32 s0, s0, 0xc4
	s_addc_u32 s1, s1, 0
	;; [unrolled: 2-line block ×3, first 2 shown]
	.p2align	6
.LBB164_12:                             ; =>This Inner Loop Header: Depth=1
	s_clause 0x1
	s_load_dwordx2 s[40:41], s[22:23], 0x4
	s_load_dword s36, s[22:23], 0xc
	s_load_dwordx2 s[42:43], s[0:1], 0x0
	s_add_u32 s22, s22, 12
	s_addc_u32 s23, s23, 0
	s_add_u32 s0, s0, 8
	s_addc_u32 s1, s1, 0
	s_add_i32 s37, s37, -1
	s_cmp_lg_u32 s37, 0
	s_waitcnt lgkmcnt(0)
	v_mul_hi_u32 v3, s41, v1
	v_add_nc_u32_e32 v3, v1, v3
	v_lshrrev_b32_e32 v4, s36, v3
	v_mul_lo_u32 v3, v4, s40
	v_sub_nc_u32_e32 v3, v1, v3
	v_mad_u64_u32 v[0:1], null, v3, s42, v[0:1]
	v_mad_u64_u32 v[2:3], null, v3, s43, v[2:3]
	v_mov_b32_e32 v1, v4
	s_cbranch_scc1 .LBB164_12
.LBB164_13:
	s_cbranch_execnz .LBB164_16
.LBB164_14:
	s_waitcnt lgkmcnt(0)
	v_mul_hi_u32 v0, s17, v8
	s_andn2_b32 vcc_lo, exec_lo, s31
	v_add_nc_u32_e32 v0, v8, v0
	v_lshrrev_b32_e32 v1, s18, v0
	v_mul_lo_u32 v0, v1, s16
	v_sub_nc_u32_e32 v2, v8, v0
	v_mul_lo_u32 v0, v2, s12
	v_mul_lo_u32 v2, v2, s13
	s_cbranch_vccnz .LBB164_16
; %bb.15:
	v_mul_hi_u32 v3, s6, v1
	v_add_nc_u32_e32 v3, v1, v3
	v_lshrrev_b32_e32 v3, s7, v3
	v_mul_lo_u32 v3, v3, s19
	v_sub_nc_u32_e32 v3, v1, v3
	v_mad_u64_u32 v[0:1], null, v3, s14, v[0:1]
	v_mad_u64_u32 v[2:3], null, v3, s15, v[2:3]
.LBB164_16:
	s_waitcnt lgkmcnt(0)
	v_add_co_u32 v1, s0, s10, v2
	v_add_co_ci_u32_e64 v2, null, s11, 0, s0
	s_and_b32 s0, 0xffff, s30
	s_cmp_lt_i32 s0, 11
	s_cbranch_scc1 .LBB164_23
; %bb.17:
	s_cmp_gt_i32 s0, 25
	s_cbranch_scc0 .LBB164_70
; %bb.18:
	s_cmp_gt_i32 s0, 28
	s_cbranch_scc0 .LBB164_73
	;; [unrolled: 3-line block ×4, first 2 shown]
; %bb.21:
	s_cmp_eq_u32 s0, 46
	s_mov_b32 s23, 0
	s_cbranch_scc0 .LBB164_79
; %bb.22:
	global_load_dword v3, v[1:2], off
	s_mov_b32 s1, -1
	s_mov_b32 s22, 0
	s_branch .LBB164_81
.LBB164_23:
	s_mov_b32 s22, 0
	s_mov_b32 s1, 0
                                        ; implicit-def: $vgpr3
	s_cbranch_execnz .LBB164_254
.LBB164_24:
	s_andn2_b32 vcc_lo, exec_lo, s1
	s_cbranch_vccnz .LBB164_301
.LBB164_25:
	s_waitcnt vmcnt(0)
	v_lshlrev_b32_e32 v1, 16, v3
	s_mov_b32 s1, exec_lo
                                        ; implicit-def: $vgpr3
	v_and_b32_e32 v2, 0x7fffffff, v1
	v_cmpx_ngt_f32_e64 0x3c800000, |v1|
	s_xor_b32 s1, exec_lo, s1
	s_cbranch_execz .LBB164_55
; %bb.26:
	s_mov_b32 s23, exec_lo
                                        ; implicit-def: $vgpr3
	v_cmpx_nlt_f32_e64 |v1|, 2.0
	s_xor_b32 s23, exec_lo, s23
	s_cbranch_execz .LBB164_36
; %bb.27:
	v_cmp_ngt_f32_e64 s0, 0x41000000, |v1|
                                        ; implicit-def: $vgpr3
	s_and_saveexec_b32 s36, s0
	s_xor_b32 s0, exec_lo, s36
	s_cbranch_execz .LBB164_33
; %bb.28:
	v_cmp_ngt_f32_e64 s36, 0x5c800000, |v1|
                                        ; implicit-def: $vgpr3
	s_and_saveexec_b32 s37, s36
	s_xor_b32 s36, exec_lo, s37
	s_cbranch_execz .LBB164_30
; %bb.29:
	v_cmp_gt_f32_e64 s37, 0x800000, |v1|
	v_cndmask_b32_e64 v3, 0, 32, s37
	v_ldexp_f32 v3, |v1|, v3
	v_log_f32_e32 v3, v3
	v_mul_f32_e32 v4, 0x3f317217, v3
	v_cmp_gt_f32_e64 vcc_lo, 0x7f800000, |v3|
	v_fma_f32 v5, 0x3f317217, v3, -v4
	v_fmamk_f32 v5, v3, 0x3377d1cf, v5
	v_add_f32_e32 v4, v4, v5
	v_cndmask_b32_e32 v3, v3, v4, vcc_lo
	v_cndmask_b32_e64 v4, 0, 0x41b17218, s37
	v_sub_f32_e32 v3, v3, v4
	v_fma_f32 v3, |v1|, v3, -|v1|
.LBB164_30:
	s_andn2_saveexec_b32 s36, s36
	s_cbranch_execz .LBB164_32
; %bb.31:
	v_cmp_gt_f32_e64 s37, 0x800000, |v1|
	v_rcp_f32_e64 v4, |v1|
	s_mov_b32 s40, 0xbad5c4e8
	v_cndmask_b32_e64 v3, 0, 32, s37
	v_ldexp_f32 v3, |v1|, v3
	v_mul_f32_e32 v5, v4, v4
	v_log_f32_e32 v3, v3
	v_fmaak_f32 v7, s40, v5, 0x3a5b3dd2
	v_fmaak_f32 v7, v5, v7, 0xba1c065c
	v_mul_f32_e32 v6, 0x3f317217, v3
	v_fmaak_f32 v7, v5, v7, 0x3a500cfd
	v_cmp_gt_f32_e64 vcc_lo, 0x7f800000, |v3|
	v_fma_f32 v9, 0x3f317217, v3, -v6
	v_fmaak_f32 v7, v5, v7, 0xbb360b61
	v_fmamk_f32 v9, v3, 0x3377d1cf, v9
	v_fmaak_f32 v5, v5, v7, 0x3daaaaab
	v_add_f32_e32 v6, v6, v9
	v_cndmask_b32_e32 v3, v3, v6, vcc_lo
	v_cndmask_b32_e64 v6, 0, 0x41b17218, s37
	v_sub_f32_e32 v6, v3, v6
	v_fmaak_f32 v3, v4, v5, 0x3ed67f1d
	v_add_f32_e64 v4, |v1|, -0.5
	v_add_f32_e32 v5, -1.0, v6
	v_fmac_f32_e32 v3, v4, v5
.LBB164_32:
	s_or_b32 exec_lo, exec_lo, s36
.LBB164_33:
	s_andn2_saveexec_b32 s36, s0
	s_cbranch_execz .LBB164_35
; %bb.34:
	v_cvt_i32_f32_e32 v3, v2
	s_mov_b32 s0, 0x36f5d7bd
	s_mov_b32 s37, 0x3805ff67
	v_cvt_f32_i32_e32 v4, v3
	v_cmp_lt_i32_e32 vcc_lo, 2, v3
	v_sub_f32_e64 v4, |v1|, v4
	v_add_f32_e32 v5, 2.0, v4
	v_add_f32_e32 v6, 0x40400000, v4
	v_add_f32_e32 v7, 4.0, v4
	v_add_f32_e32 v9, 0x40a00000, v4
	v_cndmask_b32_e32 v5, 1.0, v5, vcc_lo
	v_cmp_lt_i32_e32 vcc_lo, 3, v3
	v_cndmask_b32_e32 v6, 1.0, v6, vcc_lo
	v_cmp_lt_i32_e32 vcc_lo, 4, v3
	v_mul_f32_e32 v5, v5, v6
	v_cndmask_b32_e32 v7, 1.0, v7, vcc_lo
	v_cmp_lt_i32_e32 vcc_lo, 5, v3
	v_add_f32_e32 v6, 0x40c00000, v4
	v_mul_f32_e32 v5, v7, v5
	v_cndmask_b32_e32 v9, 1.0, v9, vcc_lo
	v_cmp_lt_i32_e32 vcc_lo, 6, v3
	v_fmaak_f32 v7, s37, v4, 0x3af135b4
	v_mul_f32_e32 v5, v9, v5
	v_cndmask_b32_e32 v3, 1.0, v6, vcc_lo
	v_mul_f32_e32 v3, v3, v5
	v_fmaak_f32 v5, s0, v4, 0x3a4beed6
	v_cmp_gt_f32_e32 vcc_lo, 0x800000, v3
	v_fmaak_f32 v5, v4, v5, 0x3c98bf54
	v_cndmask_b32_e64 v6, 0, 32, vcc_lo
	v_fmaak_f32 v5, v4, v5, 0x3e300f6e
	v_ldexp_f32 v3, v3, v6
	v_fmaak_f32 v6, v4, v7, 0x3cda40e4
	v_fmaak_f32 v5, v4, v5, 0x3f38d0c5
	v_log_f32_e32 v3, v3
	v_fmaak_f32 v6, v4, v6, 0x3e15dce6
	v_fmaak_f32 v5, v4, v5, 0x3fb22d3b
	;; [unrolled: 1-line block ×3, first 2 shown]
	v_fma_f32 v5, v4, v5, 1.0
	v_mul_f32_e32 v7, 0x3f317217, v3
	v_fmaak_f32 v6, v4, v6, 0x3e5c245a
	v_rcp_f32_e32 v5, v5
	v_cmp_gt_f32_e64 s0, 0x7f800000, |v3|
	v_fma_f32 v9, 0x3f317217, v3, -v7
	v_fmaak_f32 v6, v4, v6, 0xbd9e233f
	v_fmamk_f32 v9, v3, 0x3377d1cf, v9
	v_mul_f32_e32 v6, v4, v6
	v_add_f32_e32 v7, v7, v9
	v_mul_f32_e32 v5, v6, v5
	v_cndmask_b32_e64 v6, 0, 0x41b17218, vcc_lo
	v_cndmask_b32_e64 v3, v3, v7, s0
	v_fmac_f32_e32 v5, 0.5, v4
	v_sub_f32_e32 v3, v3, v6
	v_add_f32_e32 v3, v3, v5
.LBB164_35:
	s_or_b32 exec_lo, exec_lo, s36
.LBB164_36:
	s_andn2_saveexec_b32 s23, s23
	s_cbranch_execz .LBB164_54
; %bb.37:
	s_mov_b32 s36, exec_lo
                                        ; implicit-def: $vgpr3
                                        ; implicit-def: $vgpr5
                                        ; implicit-def: $vgpr4
	v_cmpx_ge_f32_e64 0x3f666666, |v1|
	s_xor_b32 s36, exec_lo, s36
	s_cbranch_execz .LBB164_39
; %bb.38:
	v_cmp_gt_f32_e64 s0, 0x800000, |v1|
	v_sub_f32_e64 v6, 1.0, |v1|
	v_cmp_gt_f32_e64 vcc_lo, 0x3f3b4a23, |v1|
	v_cndmask_b32_e64 v3, 0, 32, s0
	v_cndmask_b32_e64 v7, 0, 0x41b17218, s0
	v_ldexp_f32 v3, |v1|, v3
	v_log_f32_e32 v3, v3
	v_mul_f32_e32 v4, 0x3f317217, v3
	v_cmp_gt_f32_e64 s0, 0x7f800000, |v3|
	v_fma_f32 v5, 0x3f317217, v3, -v4
	v_fmamk_f32 v5, v3, 0x3377d1cf, v5
	v_add_f32_e32 v4, v4, v5
	v_add_f32_e64 v5, 0xbeec5b0c, |v1|
	v_cndmask_b32_e64 v3, v3, v4, s0
	v_cndmask_b32_e32 v4, v6, v5, vcc_lo
	v_cndmask_b32_e64 v5, 0, 1, vcc_lo
	v_cmp_gt_f32_e64 s0, 0x3e6d3309, |v1|
	v_sub_f32_e32 v3, v3, v7
	v_cndmask_b32_e64 v4, v4, |v1|, s0
	v_cndmask_b32_e64 v5, v5, 2, s0
	v_xor_b32_e32 v3, 0x80000000, v3
.LBB164_39:
	s_andn2_saveexec_b32 s0, s36
	s_cbranch_execz .LBB164_41
; %bb.40:
	v_sub_f32_e64 v3, 2.0, |v1|
	v_add_f32_e64 v4, 0xbfbb16c3, |v1|
	v_cmp_gt_f32_e64 vcc_lo, 0x3fdda512, |v1|
	v_add_f32_e64 v5, |v1|, -1.0
	v_cndmask_b32_e32 v4, v3, v4, vcc_lo
	v_cndmask_b32_e64 v3, v3, 1.0, vcc_lo
	v_cmp_gt_f32_e64 vcc_lo, 0x3f9d70a4, |v1|
	v_cvt_i32_f32_e32 v3, v3
	v_cndmask_b32_e32 v4, v4, v5, vcc_lo
	v_cndmask_b32_e64 v5, v3, 2, vcc_lo
	v_mov_b32_e32 v3, 0
.LBB164_41:
	s_or_b32 exec_lo, exec_lo, s0
	s_mov_b32 s0, exec_lo
	v_cmpx_lt_i32_e32 0, v5
	s_xor_b32 s0, exec_lo, s0
	s_cbranch_execz .LBB164_49
; %bb.42:
	s_mov_b32 s36, exec_lo
	v_cmpx_lt_i32_e32 1, v5
	s_xor_b32 s36, exec_lo, s36
	s_cbranch_execz .LBB164_46
; %bb.43:
	s_mov_b32 s37, exec_lo
	v_cmpx_eq_u32_e32 2, v5
	s_cbranch_execz .LBB164_45
; %bb.44:
	s_mov_b32 s40, 0x3b52d5db
	v_fmaak_f32 v5, s40, v4, 0x3dd572af
	s_mov_b32 s40, 0x3c5b3c5e
	v_fmaak_f32 v6, s40, v4, 0x3e6a7578
	v_fmaak_f32 v5, v4, v5, 0x3f44efdf
	;; [unrolled: 1-line block ×7, first 2 shown]
	v_fma_f32 v5, v4, v5, 1.0
	v_fmaak_f32 v6, v4, v6, 0xbd9e233f
	v_rcp_f32_e32 v5, v5
	v_mul_f32_e32 v6, v4, v6
	v_mul_f32_e32 v5, v6, v5
	v_fmac_f32_e32 v5, -0.5, v4
	v_add_f32_e32 v3, v3, v5
.LBB164_45:
	s_or_b32 exec_lo, exec_lo, s37
                                        ; implicit-def: $vgpr4
.LBB164_46:
	s_andn2_saveexec_b32 s36, s36
	s_cbranch_execz .LBB164_48
; %bb.47:
	v_mul_f32_e32 v5, v4, v4
	s_mov_b32 s37, 0xb9a3f927
	s_mov_b32 s40, 0x39afe9f7
	v_mul_f32_e32 v6, v4, v5
	v_fmaak_f32 v7, s37, v6, 0x3a66f867
	v_fmaak_f32 v9, s40, v6, 0xba0d3085
	s_mov_b32 s37, 0x39a57b6b
	v_fmaak_f32 v10, s37, v6, 0xbab7f476
	v_fmaak_f32 v7, v6, v7, 0xbb7177fe
	;; [unrolled: 1-line block ×9, first 2 shown]
	v_fmac_f32_e32 v7, v4, v9
	v_fmaak_f32 v4, v6, v10, 0x3ef7b95e
	v_fma_f32 v6, v6, -v7, 0xa2863e55
	v_fma_f32 v4, v5, v4, -v6
	v_add_f32_e32 v4, 0xbdf8cdce, v4
	v_add_f32_e32 v3, v3, v4
.LBB164_48:
	s_or_b32 exec_lo, exec_lo, s36
                                        ; implicit-def: $vgpr5
                                        ; implicit-def: $vgpr4
.LBB164_49:
	s_andn2_saveexec_b32 s0, s0
	s_cbranch_execz .LBB164_53
; %bb.50:
	s_mov_b32 s36, exec_lo
	v_cmpx_eq_u32_e32 0, v5
	s_cbranch_execz .LBB164_52
; %bb.51:
	v_mul_f32_e32 v5, v4, v4
	s_mov_b32 s37, 0x383c2c75
	v_fmaak_f32 v6, s37, v5, 0x38e28445
	s_mov_b32 s37, 0x37d383a2
	v_fmaak_f32 v7, s37, v5, 0x39679767
	v_fmaak_f32 v6, v5, v6, 0x3a05b634
	;; [unrolled: 1-line block ×9, first 2 shown]
	v_mul_f32_e32 v5, v5, v6
	v_fmac_f32_e32 v5, v4, v7
	v_fmac_f32_e32 v5, -0.5, v4
	v_add_f32_e32 v3, v3, v5
.LBB164_52:
	s_or_b32 exec_lo, exec_lo, s36
.LBB164_53:
	s_or_b32 exec_lo, exec_lo, s0
.LBB164_54:
	s_or_b32 exec_lo, exec_lo, s23
.LBB164_55:
	s_andn2_saveexec_b32 s0, s1
	s_cbranch_execz .LBB164_57
; %bb.56:
	v_cmp_gt_f32_e64 s1, 0x800000, |v1|
	s_mov_b32 s23, 0x3e8a8991
	v_fma_f32 v6, |v1|, s23, 0xbecd26ab
	v_cndmask_b32_e64 v3, 0, 32, s1
	v_ldexp_f32 v3, |v1|, v3
	v_log_f32_e32 v3, v3
	v_mul_f32_e32 v4, 0x3f317217, v3
	v_cmp_gt_f32_e64 vcc_lo, 0x7f800000, |v3|
	v_fma_f32 v5, 0x3f317217, v3, -v4
	v_fmamk_f32 v5, v3, 0x3377d1cf, v5
	v_add_f32_e32 v4, v4, v5
	v_fma_f32 v5, |v1|, v6, 0x3f528d33
	v_cndmask_b32_e32 v3, v3, v4, vcc_lo
	v_cndmask_b32_e64 v4, 0, 0x41b17218, s1
	v_fma_f32 v5, |v1|, v5, 0xbf13c468
	v_sub_f32_e32 v3, v3, v4
	v_fma_f32 v3, |v1|, v5, -v3
.LBB164_57:
	s_or_b32 exec_lo, exec_lo, s0
	v_cmp_le_f32_e32 vcc_lo, 0, v1
	s_mov_b32 s1, exec_lo
	v_cmpx_nle_f32_e32 0, v1
	s_xor_b32 s23, exec_lo, s1
	s_cbranch_execz .LBB164_61
; %bb.58:
	v_cmp_gt_f32_e64 s0, 0x4b000000, |v1|
	v_cmp_lt_f32_e64 s1, 0x35000000, |v1|
	s_and_b32 s0, s0, s1
	s_and_saveexec_b32 s36, s0
	s_cbranch_execz .LBB164_60
; %bb.59:
	v_mul_f32_e64 v4, |v1|, 0.5
	s_mov_b32 s1, 0x3d4be544
	v_floor_f32_e32 v5, v4
	v_cmp_neq_f32_e64 s0, 0x7f800000, v4
	v_sub_f32_e32 v5, v4, v5
	v_min_f32_e32 v5, 0x3f7fffff, v5
	v_add_f32_e32 v5, v5, v5
	v_cndmask_b32_e64 v4, 0, v5, s0
	v_cmp_gt_f32_e64 s0, |v1|, 1.0
	v_cndmask_b32_e64 v4, |v1|, v4, s0
	s_mov_b32 s0, 0x3e75aa41
	v_add_f32_e32 v5, v4, v4
	v_rndne_f32_e32 v5, v5
	v_fmac_f32_e32 v4, -0.5, v5
	v_cvt_i32_f32_e32 v5, v5
	v_mul_f32_e32 v6, v4, v4
	v_fmaak_f32 v7, s0, v6, 0xbf1f24be
	v_fmaak_f32 v9, s1, v6, 0x3e642e9d
	v_mul_f32_e32 v10, v4, v6
	v_fmaak_f32 v7, v6, v7, 0x40234736
	v_fmaak_f32 v9, v6, v9, 0xbfaad1da
	v_fmaak_f32 v7, v6, v7, 0xc0a55e0e
	v_fmaak_f32 v9, v6, v9, 0x4081e0d3
	v_mul_f32_e32 v7, v10, v7
	v_fmaak_f32 v9, v6, v9, 0xc09de9e6
	v_and_b32_e32 v10, 1, v5
	v_lshlrev_b32_e32 v5, 30, v5
	v_fmamk_f32 v4, v4, 0x40490fdb, v7
	v_fma_f32 v6, v6, v9, 1.0
	v_cmp_eq_u32_e64 s0, 0, v10
	v_and_or_b32 v2, 0x80000000, v5, v2
	v_cndmask_b32_e64 v4, v6, v4, s0
	v_xor3_b32 v2, v2, v4, v1
	v_mul_f32_e32 v2, v1, v2
	v_frexp_mant_f32_e64 v4, |v2|
	v_frexp_exp_i32_f32_e32 v2, v2
	v_rcp_f32_e32 v4, v4
	v_sub_nc_u32_e32 v2, 2, v2
	v_mul_f32_e32 v4, 0x3f490fdb, v4
	v_ldexp_f32 v2, v4, v2
	v_cmp_gt_f32_e64 s0, 0x800000, v2
	v_cndmask_b32_e64 v4, 0, 32, s0
	v_ldexp_f32 v2, v2, v4
	v_log_f32_e32 v2, v2
	v_mul_f32_e32 v4, 0x3f317217, v2
	v_cmp_gt_f32_e64 s1, 0x7f800000, |v2|
	v_fma_f32 v5, 0x3f317217, v2, -v4
	v_fmamk_f32 v5, v2, 0x3377d1cf, v5
	v_add_f32_e32 v4, v4, v5
	v_floor_f32_e32 v5, v1
	v_cndmask_b32_e64 v2, v2, v4, s1
	v_cndmask_b32_e64 v4, 0, 0x41b17218, s0
	v_sub_f32_e32 v5, v1, v5
	v_sub_f32_e32 v2, v2, v4
	v_min_f32_e32 v4, 0x3f7fffff, v5
	v_sub_f32_e32 v2, v2, v3
	v_cmp_neq_f32_e64 s0, 0, v4
	v_cndmask_b32_e64 v3, 0x7f800000, v2, s0
.LBB164_60:
	s_or_b32 exec_lo, exec_lo, s36
.LBB164_61:
	s_andn2_saveexec_b32 s23, s23
; %bb.62:
	v_cmp_eq_f32_e64 s0, 1.0, v1
	v_cmp_eq_f32_e64 s1, 2.0, v1
	s_or_b32 s0, s0, s1
	v_cndmask_b32_e64 v3, v3, 0, s0
; %bb.63:
	s_or_b32 exec_lo, exec_lo, s23
	v_cmp_gt_f32_e64 s0, 0x4b000000, |v1|
	s_and_b32 s1, s29, 0xff
	s_or_b32 vcc_lo, vcc_lo, s0
	v_cmp_class_f32_e64 s0, v1, 0x264
	v_cndmask_b32_e32 v2, 0x7f800000, v3, vcc_lo
	v_cmp_u_f32_e32 vcc_lo, v1, v1
	v_mov_b32_e32 v3, 0x7fc0
	s_cmp_lt_i32 s1, 11
	v_cndmask_b32_e64 v2, v2, 0x7f800000, s0
	v_add_co_u32 v0, s0, s8, v0
	v_cndmask_b32_e32 v1, v2, v1, vcc_lo
	v_bfe_u32 v2, v1, 16, 1
	v_cmp_o_f32_e32 vcc_lo, v1, v1
	v_add3_u32 v2, v1, v2, 0x7fff
	v_add_co_ci_u32_e64 v1, null, s9, 0, s0
	v_cndmask_b32_sdwa v2, v3, v2, vcc_lo dst_sel:DWORD dst_unused:UNUSED_PAD src0_sel:DWORD src1_sel:WORD_1
	s_cbranch_scc1 .LBB164_71
; %bb.64:
	s_and_b32 s23, 0xffff, s1
	s_cmp_gt_i32 s23, 25
	s_cbranch_scc0 .LBB164_74
; %bb.65:
	s_cmp_gt_i32 s23, 28
	s_cbranch_scc0 .LBB164_76
; %bb.66:
	;; [unrolled: 3-line block ×4, first 2 shown]
	s_mov_b32 s37, 0
	s_mov_b32 s0, -1
	s_cmp_eq_u32 s23, 46
	s_mov_b32 s36, 0
	s_cbranch_scc0 .LBB164_85
; %bb.69:
	v_and_b32_e32 v3, 0xffff, v2
	s_mov_b32 s36, -1
	s_mov_b32 s0, 0
	global_store_dword v[0:1], v3, off
	s_branch .LBB164_85
.LBB164_70:
	s_mov_b32 s22, 0
	s_mov_b32 s1, 0
                                        ; implicit-def: $vgpr3
	s_cbranch_execnz .LBB164_219
	s_branch .LBB164_253
.LBB164_71:
	s_mov_b32 s0, 0
	s_mov_b32 s36, 0
	s_cbranch_execnz .LBB164_154
.LBB164_72:
	s_andn2_b32 vcc_lo, exec_lo, s36
	s_cbranch_vccz .LBB164_192
	s_branch .LBB164_302
.LBB164_73:
	s_mov_b32 s23, -1
	s_mov_b32 s22, 0
	s_mov_b32 s1, 0
                                        ; implicit-def: $vgpr3
	s_branch .LBB164_200
.LBB164_74:
	s_mov_b32 s37, -1
	s_mov_b32 s0, 0
	s_mov_b32 s36, 0
	s_branch .LBB164_112
.LBB164_75:
	s_mov_b32 s23, -1
	s_mov_b32 s22, 0
	s_mov_b32 s1, 0
                                        ; implicit-def: $vgpr3
	s_branch .LBB164_195
.LBB164_76:
	s_mov_b32 s37, -1
	s_mov_b32 s0, 0
	s_mov_b32 s36, 0
	s_branch .LBB164_95
.LBB164_77:
	s_mov_b32 s23, -1
	s_mov_b32 s22, 0
	s_branch .LBB164_80
.LBB164_78:
	s_mov_b32 s37, -1
	s_mov_b32 s0, 0
	s_mov_b32 s36, 0
	s_branch .LBB164_91
.LBB164_79:
	s_mov_b32 s22, -1
.LBB164_80:
	s_mov_b32 s1, 0
                                        ; implicit-def: $vgpr3
.LBB164_81:
	s_and_b32 vcc_lo, exec_lo, s23
	s_cbranch_vccz .LBB164_194
; %bb.82:
	s_cmp_eq_u32 s0, 44
	s_cbranch_scc0 .LBB164_193
; %bb.83:
	global_load_ubyte v3, v[1:2], off
	s_mov_b32 s22, 0
	s_mov_b32 s1, -1
	s_waitcnt vmcnt(0)
	v_lshlrev_b32_e32 v4, 23, v3
	v_cmp_ne_u32_e32 vcc_lo, 0xff, v3
	v_cndmask_b32_e32 v4, 0x7f800001, v4, vcc_lo
	v_cmp_ne_u32_e32 vcc_lo, 0, v3
	v_cndmask_b32_e32 v3, 0x400000, v4, vcc_lo
	v_mov_b32_e32 v4, 0x7fc0
	v_cmp_o_f32_e32 vcc_lo, v3, v3
	v_add_nc_u32_e32 v3, 0x7fff, v3
	v_cndmask_b32_sdwa v3, v4, v3, vcc_lo dst_sel:DWORD dst_unused:UNUSED_PAD src0_sel:DWORD src1_sel:WORD_1
	s_branch .LBB164_194
.LBB164_84:
	s_mov_b32 s37, -1
	s_mov_b32 s0, 0
	s_mov_b32 s36, 0
.LBB164_85:
	s_and_b32 vcc_lo, exec_lo, s37
	s_cbranch_vccz .LBB164_90
; %bb.86:
	s_cmp_eq_u32 s23, 44
	s_mov_b32 s0, -1
	s_cbranch_scc0 .LBB164_90
; %bb.87:
	v_and_b32_e32 v3, 0xffff, v2
	v_mov_b32_e32 v4, 0xff
	s_mov_b32 s36, exec_lo
	v_bfe_u32 v5, v3, 7, 8
	v_cmpx_ne_u32_e32 0xff, v5
	s_cbranch_execz .LBB164_89
; %bb.88:
	v_lshlrev_b32_e32 v4, 16, v3
	v_and_b32_e32 v6, 64, v3
	v_lshrrev_b32_e32 v3, 7, v3
	v_and_or_b32 v4, 0x3f0000, v4, v5
	v_cmp_ne_u32_e32 vcc_lo, 0, v6
	v_cmp_ne_u32_e64 s0, 0, v4
	s_and_b32 s0, vcc_lo, s0
	v_cndmask_b32_e64 v4, 0, 1, s0
	v_add_nc_u32_e32 v4, v3, v4
.LBB164_89:
	s_or_b32 exec_lo, exec_lo, s36
	s_mov_b32 s36, -1
	s_mov_b32 s0, 0
	global_store_byte v[0:1], v4, off
.LBB164_90:
	s_mov_b32 s37, 0
.LBB164_91:
	s_and_b32 vcc_lo, exec_lo, s37
	s_cbranch_vccz .LBB164_94
; %bb.92:
	s_cmp_eq_u32 s23, 29
	s_mov_b32 s0, -1
	s_cbranch_scc0 .LBB164_94
; %bb.93:
	v_lshlrev_b32_e32 v3, 16, v2
	s_mov_b32 s36, -1
	s_mov_b32 s0, 0
	s_mov_b32 s37, 0
	v_trunc_f32_e32 v3, v3
	v_mul_f32_e32 v4, 0x2f800000, v3
	v_floor_f32_e32 v4, v4
	v_fmamk_f32 v3, v4, 0xcf800000, v3
	v_cvt_u32_f32_e32 v4, v4
	v_cvt_u32_f32_e32 v3, v3
	global_store_dwordx2 v[0:1], v[3:4], off
	s_branch .LBB164_95
.LBB164_94:
	s_mov_b32 s37, 0
.LBB164_95:
	s_and_b32 vcc_lo, exec_lo, s37
	s_cbranch_vccz .LBB164_111
; %bb.96:
	s_cmp_lt_i32 s23, 27
	s_mov_b32 s36, -1
	s_cbranch_scc1 .LBB164_102
; %bb.97:
	s_cmp_gt_i32 s23, 27
	s_cbranch_scc0 .LBB164_99
; %bb.98:
	v_lshlrev_b32_e32 v3, 16, v2
	s_mov_b32 s36, 0
	v_cvt_u32_f32_e32 v3, v3
	global_store_dword v[0:1], v3, off
.LBB164_99:
	s_andn2_b32 vcc_lo, exec_lo, s36
	s_cbranch_vccnz .LBB164_101
; %bb.100:
	v_lshlrev_b32_e32 v3, 16, v2
	v_cvt_u32_f32_e32 v3, v3
	global_store_short v[0:1], v3, off
.LBB164_101:
	s_mov_b32 s36, 0
.LBB164_102:
	s_andn2_b32 vcc_lo, exec_lo, s36
	s_cbranch_vccnz .LBB164_110
; %bb.103:
	v_lshlrev_b32_e32 v5, 16, v2
	v_mov_b32_e32 v6, 0x80
	s_mov_b32 s36, exec_lo
	v_and_b32_e32 v4, 0x7fffffff, v5
	v_cmpx_gt_u32_e32 0x43800000, v4
	s_cbranch_execz .LBB164_109
; %bb.104:
	v_and_b32_e32 v3, 0xffff, v2
	v_cmp_lt_u32_e32 vcc_lo, 0x3bffffff, v4
	s_mov_b32 s37, 0
                                        ; implicit-def: $vgpr4
	s_and_saveexec_b32 s40, vcc_lo
	s_xor_b32 s40, exec_lo, s40
	s_cbranch_execz .LBB164_383
; %bb.105:
	v_bfe_u32 v4, v3, 4, 1
	s_mov_b32 s37, exec_lo
	v_add3_u32 v4, v5, v4, 0x487ffff
                                        ; implicit-def: $vgpr5
	v_lshrrev_b32_e32 v4, 20, v4
	s_andn2_saveexec_b32 s40, s40
	s_cbranch_execnz .LBB164_384
.LBB164_106:
	s_or_b32 exec_lo, exec_lo, s40
	v_mov_b32_e32 v6, 0
	s_and_saveexec_b32 s40, s37
.LBB164_107:
	v_lshrrev_b32_e32 v3, 8, v3
	v_and_or_b32 v6, 0x80, v3, v4
.LBB164_108:
	s_or_b32 exec_lo, exec_lo, s40
.LBB164_109:
	s_or_b32 exec_lo, exec_lo, s36
	global_store_byte v[0:1], v6, off
.LBB164_110:
	s_mov_b32 s36, -1
.LBB164_111:
	s_mov_b32 s37, 0
.LBB164_112:
	s_and_b32 vcc_lo, exec_lo, s37
	s_cbranch_vccz .LBB164_153
; %bb.113:
	s_cmp_gt_i32 s23, 22
	s_mov_b32 s37, -1
	s_cbranch_scc0 .LBB164_145
; %bb.114:
	s_cmp_lt_i32 s23, 24
	s_mov_b32 s36, -1
	s_cbranch_scc1 .LBB164_134
; %bb.115:
	s_cmp_gt_i32 s23, 24
	s_cbranch_scc0 .LBB164_123
; %bb.116:
	v_lshlrev_b32_e32 v5, 16, v2
	v_mov_b32_e32 v6, 0x80
	s_mov_b32 s36, exec_lo
	v_and_b32_e32 v4, 0x7fffffff, v5
	v_cmpx_gt_u32_e32 0x47800000, v4
	s_cbranch_execz .LBB164_122
; %bb.117:
	v_and_b32_e32 v3, 0xffff, v2
	v_cmp_lt_u32_e32 vcc_lo, 0x37ffffff, v4
	s_mov_b32 s37, 0
                                        ; implicit-def: $vgpr4
	s_and_saveexec_b32 s40, vcc_lo
	s_xor_b32 s40, exec_lo, s40
	s_cbranch_execz .LBB164_387
; %bb.118:
	v_bfe_u32 v4, v3, 5, 1
	s_mov_b32 s37, exec_lo
	v_add3_u32 v4, v5, v4, 0x88fffff
                                        ; implicit-def: $vgpr5
	v_lshrrev_b32_e32 v4, 21, v4
	s_andn2_saveexec_b32 s40, s40
	s_cbranch_execnz .LBB164_388
.LBB164_119:
	s_or_b32 exec_lo, exec_lo, s40
	v_mov_b32_e32 v6, 0
	s_and_saveexec_b32 s40, s37
.LBB164_120:
	v_lshrrev_b32_e32 v3, 8, v3
	v_and_or_b32 v6, 0x80, v3, v4
.LBB164_121:
	s_or_b32 exec_lo, exec_lo, s40
.LBB164_122:
	s_or_b32 exec_lo, exec_lo, s36
	s_mov_b32 s36, 0
	global_store_byte v[0:1], v6, off
.LBB164_123:
	s_and_b32 vcc_lo, exec_lo, s36
	s_cbranch_vccz .LBB164_133
; %bb.124:
	v_lshlrev_b32_e32 v5, 16, v2
	v_and_b32_e32 v3, 0xffff, v2
	s_mov_b32 s36, exec_lo
                                        ; implicit-def: $vgpr4
	v_and_b32_e32 v6, 0x7fffffff, v5
	v_cmpx_gt_u32_e32 0x43f00000, v6
	s_xor_b32 s36, exec_lo, s36
	s_cbranch_execz .LBB164_130
; %bb.125:
	s_mov_b32 s37, exec_lo
                                        ; implicit-def: $vgpr4
	v_cmpx_lt_u32_e32 0x3c7fffff, v6
	s_xor_b32 s37, exec_lo, s37
; %bb.126:
	v_bfe_u32 v4, v3, 4, 1
	v_add3_u32 v4, v5, v4, 0x407ffff
	v_and_b32_e32 v5, 0xff00000, v4
	v_lshrrev_b32_e32 v4, 20, v4
	v_cmp_ne_u32_e32 vcc_lo, 0x7f00000, v5
                                        ; implicit-def: $vgpr5
	v_cndmask_b32_e32 v4, 0x7e, v4, vcc_lo
; %bb.127:
	s_andn2_saveexec_b32 s37, s37
; %bb.128:
	v_add_f32_e64 v4, 0x46800000, |v5|
; %bb.129:
	s_or_b32 exec_lo, exec_lo, s37
                                        ; implicit-def: $vgpr6
.LBB164_130:
	s_andn2_saveexec_b32 s36, s36
; %bb.131:
	v_mov_b32_e32 v4, 0x7f
	v_cmp_lt_u32_e32 vcc_lo, 0x7f800000, v6
	v_cndmask_b32_e32 v4, 0x7e, v4, vcc_lo
; %bb.132:
	s_or_b32 exec_lo, exec_lo, s36
	v_lshrrev_b32_e32 v3, 8, v3
	v_and_or_b32 v3, 0x80, v3, v4
	global_store_byte v[0:1], v3, off
.LBB164_133:
	s_mov_b32 s36, 0
.LBB164_134:
	s_andn2_b32 vcc_lo, exec_lo, s36
	s_cbranch_vccnz .LBB164_144
; %bb.135:
	v_lshlrev_b32_e32 v5, 16, v2
	v_and_b32_e32 v3, 0xffff, v2
	s_mov_b32 s36, exec_lo
                                        ; implicit-def: $vgpr4
	v_and_b32_e32 v6, 0x7fffffff, v5
	v_cmpx_gt_u32_e32 0x47800000, v6
	s_xor_b32 s36, exec_lo, s36
	s_cbranch_execz .LBB164_141
; %bb.136:
	s_mov_b32 s37, exec_lo
                                        ; implicit-def: $vgpr4
	v_cmpx_lt_u32_e32 0x387fffff, v6
	s_xor_b32 s37, exec_lo, s37
; %bb.137:
	v_bfe_u32 v4, v3, 5, 1
	v_add3_u32 v4, v5, v4, 0x80fffff
                                        ; implicit-def: $vgpr5
	v_lshrrev_b32_e32 v4, 21, v4
; %bb.138:
	s_andn2_saveexec_b32 s37, s37
; %bb.139:
	v_add_f32_e64 v4, 0x43000000, |v5|
; %bb.140:
	s_or_b32 exec_lo, exec_lo, s37
                                        ; implicit-def: $vgpr6
.LBB164_141:
	s_andn2_saveexec_b32 s36, s36
; %bb.142:
	v_mov_b32_e32 v4, 0x7f
	v_cmp_lt_u32_e32 vcc_lo, 0x7f800000, v6
	v_cndmask_b32_e32 v4, 0x7c, v4, vcc_lo
; %bb.143:
	s_or_b32 exec_lo, exec_lo, s36
	v_lshrrev_b32_e32 v3, 8, v3
	v_and_or_b32 v3, 0x80, v3, v4
	global_store_byte v[0:1], v3, off
.LBB164_144:
	s_mov_b32 s37, 0
	s_mov_b32 s36, -1
.LBB164_145:
	s_andn2_b32 vcc_lo, exec_lo, s37
	s_cbranch_vccnz .LBB164_153
; %bb.146:
	s_cmp_gt_i32 s23, 14
	s_mov_b32 s37, -1
	s_cbranch_scc0 .LBB164_150
; %bb.147:
	s_cmp_eq_u32 s23, 15
	s_mov_b32 s0, -1
	s_cbranch_scc0 .LBB164_149
; %bb.148:
	s_mov_b32 s36, -1
	s_mov_b32 s0, 0
	global_store_short v[0:1], v2, off
.LBB164_149:
	s_mov_b32 s37, 0
.LBB164_150:
	s_and_b32 vcc_lo, exec_lo, s37
	s_cbranch_vccz .LBB164_153
; %bb.151:
	s_cmp_eq_u32 s23, 11
	s_mov_b32 s0, -1
	s_cbranch_scc0 .LBB164_153
; %bb.152:
	v_and_b32_e32 v3, 0x7fff, v2
	s_mov_b32 s0, 0
	s_mov_b32 s36, -1
	v_cmp_ne_u16_e32 vcc_lo, 0, v3
	v_cndmask_b32_e64 v3, 0, 1, vcc_lo
	global_store_byte v[0:1], v3, off
.LBB164_153:
	s_branch .LBB164_72
.LBB164_154:
	s_and_b32 s1, 0xffff, s1
	s_mov_b32 s23, -1
	s_cmp_lt_i32 s1, 5
	s_cbranch_scc1 .LBB164_175
; %bb.155:
	s_cmp_lt_i32 s1, 8
	s_cbranch_scc1 .LBB164_165
; %bb.156:
	;; [unrolled: 3-line block ×3, first 2 shown]
	s_cmp_gt_i32 s1, 9
	s_cbranch_scc0 .LBB164_159
; %bb.158:
	v_lshlrev_b32_e32 v3, 16, v2
	v_mov_b32_e32 v5, 0
	s_mov_b32 s23, 0
	v_cvt_f64_f32_e32 v[3:4], v3
	v_mov_b32_e32 v6, v5
	global_store_dwordx4 v[0:1], v[3:6], off
.LBB164_159:
	s_andn2_b32 vcc_lo, exec_lo, s23
	s_cbranch_vccnz .LBB164_161
; %bb.160:
	v_lshlrev_b32_e32 v3, 16, v2
	v_mov_b32_e32 v4, 0
	global_store_dwordx2 v[0:1], v[3:4], off
.LBB164_161:
	s_mov_b32 s23, 0
.LBB164_162:
	s_andn2_b32 vcc_lo, exec_lo, s23
	s_cbranch_vccnz .LBB164_164
; %bb.163:
	v_lshlrev_b32_e32 v3, 16, v2
	v_cvt_f16_f32_e32 v3, v3
	v_and_b32_e32 v3, 0xffff, v3
	global_store_dword v[0:1], v3, off
.LBB164_164:
	s_mov_b32 s23, 0
.LBB164_165:
	s_andn2_b32 vcc_lo, exec_lo, s23
	s_cbranch_vccnz .LBB164_174
; %bb.166:
	s_cmp_lt_i32 s1, 6
	s_mov_b32 s23, -1
	s_cbranch_scc1 .LBB164_172
; %bb.167:
	s_cmp_gt_i32 s1, 6
	s_cbranch_scc0 .LBB164_169
; %bb.168:
	v_lshlrev_b32_e32 v3, 16, v2
	s_mov_b32 s23, 0
	v_cvt_f64_f32_e32 v[3:4], v3
	global_store_dwordx2 v[0:1], v[3:4], off
.LBB164_169:
	s_andn2_b32 vcc_lo, exec_lo, s23
	s_cbranch_vccnz .LBB164_171
; %bb.170:
	v_lshlrev_b32_e32 v3, 16, v2
	global_store_dword v[0:1], v3, off
.LBB164_171:
	s_mov_b32 s23, 0
.LBB164_172:
	s_andn2_b32 vcc_lo, exec_lo, s23
	s_cbranch_vccnz .LBB164_174
; %bb.173:
	v_lshlrev_b32_e32 v3, 16, v2
	v_cvt_f16_f32_e32 v3, v3
	global_store_short v[0:1], v3, off
.LBB164_174:
	s_mov_b32 s23, 0
.LBB164_175:
	s_andn2_b32 vcc_lo, exec_lo, s23
	s_cbranch_vccnz .LBB164_191
; %bb.176:
	s_cmp_lt_i32 s1, 2
	s_mov_b32 s23, -1
	s_cbranch_scc1 .LBB164_186
; %bb.177:
	s_cmp_lt_i32 s1, 3
	s_cbranch_scc1 .LBB164_183
; %bb.178:
	s_cmp_gt_i32 s1, 3
	s_cbranch_scc0 .LBB164_180
; %bb.179:
	v_lshlrev_b32_e32 v3, 16, v2
	s_mov_b32 s23, 0
	v_trunc_f32_e32 v3, v3
	v_mul_f32_e64 v4, 0x2f800000, |v3|
	v_ashrrev_i32_e32 v6, 31, v3
	v_floor_f32_e32 v4, v4
	v_fma_f32 v5, 0xcf800000, v4, |v3|
	v_cvt_u32_f32_e32 v4, v4
	v_cvt_u32_f32_e32 v3, v5
	v_xor_b32_e32 v4, v4, v6
	v_xor_b32_e32 v3, v3, v6
	v_sub_co_u32 v3, vcc_lo, v3, v6
	v_sub_co_ci_u32_e64 v4, null, v4, v6, vcc_lo
	global_store_dwordx2 v[0:1], v[3:4], off
.LBB164_180:
	s_andn2_b32 vcc_lo, exec_lo, s23
	s_cbranch_vccnz .LBB164_182
; %bb.181:
	v_lshlrev_b32_e32 v3, 16, v2
	v_cvt_i32_f32_e32 v3, v3
	global_store_dword v[0:1], v3, off
.LBB164_182:
	s_mov_b32 s23, 0
.LBB164_183:
	s_andn2_b32 vcc_lo, exec_lo, s23
	s_cbranch_vccnz .LBB164_185
; %bb.184:
	v_lshlrev_b32_e32 v3, 16, v2
	v_cvt_i32_f32_e32 v3, v3
	global_store_short v[0:1], v3, off
.LBB164_185:
	s_mov_b32 s23, 0
.LBB164_186:
	s_andn2_b32 vcc_lo, exec_lo, s23
	s_cbranch_vccnz .LBB164_191
; %bb.187:
	s_cmp_gt_i32 s1, 0
	s_mov_b32 s1, -1
	s_cbranch_scc0 .LBB164_189
; %bb.188:
	v_lshlrev_b32_e32 v3, 16, v2
	s_mov_b32 s1, 0
	v_cvt_i32_f32_e32 v3, v3
	global_store_byte v[0:1], v3, off
.LBB164_189:
	s_andn2_b32 vcc_lo, exec_lo, s1
	s_cbranch_vccnz .LBB164_191
; %bb.190:
	v_lshlrev_b32_e32 v2, 16, v2
	v_trunc_f32_e32 v2, v2
	v_mul_f32_e64 v3, 0x2f800000, |v2|
	v_floor_f32_e32 v3, v3
	v_fma_f32 v3, 0xcf800000, v3, |v2|
	v_ashrrev_i32_e32 v2, 31, v2
	v_cvt_u32_f32_e32 v3, v3
	v_xor_b32_e32 v3, v3, v2
	v_sub_nc_u32_e32 v2, v3, v2
	global_store_byte v[0:1], v2, off
.LBB164_191:
.LBB164_192:
	v_add_nc_u32_e32 v8, 0x80, v8
	s_mov_b32 s1, -1
	s_branch .LBB164_303
.LBB164_193:
	s_mov_b32 s22, -1
                                        ; implicit-def: $vgpr3
.LBB164_194:
	s_mov_b32 s23, 0
.LBB164_195:
	s_and_b32 vcc_lo, exec_lo, s23
	s_cbranch_vccz .LBB164_199
; %bb.196:
	s_cmp_eq_u32 s0, 29
	s_cbranch_scc0 .LBB164_198
; %bb.197:
	global_load_dwordx2 v[3:4], v[1:2], off
	s_mov_b32 s1, -1
	s_mov_b32 s22, 0
	s_mov_b32 s23, 0
	s_waitcnt vmcnt(0)
	v_ffbh_u32_e32 v5, v4
	v_min_u32_e32 v5, 32, v5
	v_lshlrev_b64 v[3:4], v5, v[3:4]
	v_min_u32_e32 v3, 1, v3
	v_or_b32_e32 v3, v4, v3
	v_sub_nc_u32_e32 v4, 32, v5
	v_cvt_f32_u32_e32 v3, v3
	v_ldexp_f32 v3, v3, v4
	v_bfe_u32 v4, v3, 16, 1
	v_add3_u32 v3, v3, v4, 0x7fff
	v_lshrrev_b32_e32 v3, 16, v3
	s_branch .LBB164_200
.LBB164_198:
	s_mov_b32 s22, -1
                                        ; implicit-def: $vgpr3
.LBB164_199:
	s_mov_b32 s23, 0
.LBB164_200:
	s_and_b32 vcc_lo, exec_lo, s23
	s_cbranch_vccz .LBB164_218
; %bb.201:
	s_cmp_lt_i32 s0, 27
	s_cbranch_scc1 .LBB164_204
; %bb.202:
	s_cmp_gt_i32 s0, 27
	s_cbranch_scc0 .LBB164_205
; %bb.203:
	global_load_dword v3, v[1:2], off
	s_mov_b32 s1, 0
	s_waitcnt vmcnt(0)
	v_cvt_f32_u32_e32 v3, v3
	v_bfe_u32 v4, v3, 16, 1
	v_add3_u32 v3, v3, v4, 0x7fff
	v_lshrrev_b32_e32 v3, 16, v3
	s_branch .LBB164_206
.LBB164_204:
	s_mov_b32 s1, -1
                                        ; implicit-def: $vgpr3
	s_branch .LBB164_209
.LBB164_205:
	s_mov_b32 s1, -1
                                        ; implicit-def: $vgpr3
.LBB164_206:
	s_andn2_b32 vcc_lo, exec_lo, s1
	s_cbranch_vccnz .LBB164_208
; %bb.207:
	global_load_ushort v3, v[1:2], off
	s_waitcnt vmcnt(0)
	v_cvt_f32_u32_e32 v3, v3
	v_bfe_u32 v4, v3, 16, 1
	v_add3_u32 v3, v3, v4, 0x7fff
	v_lshrrev_b32_e32 v3, 16, v3
.LBB164_208:
	s_mov_b32 s1, 0
.LBB164_209:
	s_andn2_b32 vcc_lo, exec_lo, s1
	s_cbranch_vccnz .LBB164_217
; %bb.210:
	global_load_ubyte v3, v[1:2], off
	s_mov_b32 s1, 0
	s_mov_b32 s23, exec_lo
	s_waitcnt vmcnt(0)
	v_cmpx_lt_i16_e32 0x7f, v3
	s_xor_b32 s23, exec_lo, s23
	s_cbranch_execz .LBB164_230
; %bb.211:
	s_mov_b32 s1, -1
	s_mov_b32 s36, exec_lo
	v_cmpx_eq_u16_e32 0x80, v3
; %bb.212:
	s_xor_b32 s1, exec_lo, -1
; %bb.213:
	s_or_b32 exec_lo, exec_lo, s36
	s_and_b32 s1, s1, exec_lo
	s_or_saveexec_b32 s23, s23
	v_mov_b32_e32 v4, 0x7f800001
	s_xor_b32 exec_lo, exec_lo, s23
	s_cbranch_execnz .LBB164_231
.LBB164_214:
	s_or_b32 exec_lo, exec_lo, s23
	s_and_saveexec_b32 s23, s1
	s_cbranch_execz .LBB164_216
.LBB164_215:
	v_and_b32_e32 v4, 0xffff, v3
	v_lshlrev_b32_e32 v3, 24, v3
	v_and_b32_e32 v5, 7, v4
	v_bfe_u32 v9, v4, 3, 4
	v_and_b32_e32 v3, 0x80000000, v3
	v_ffbh_u32_e32 v6, v5
	v_cmp_eq_u32_e32 vcc_lo, 0, v9
	v_min_u32_e32 v6, 32, v6
	v_subrev_nc_u32_e32 v7, 28, v6
	v_sub_nc_u32_e32 v6, 29, v6
	v_lshlrev_b32_e32 v4, v7, v4
	v_cndmask_b32_e32 v6, v9, v6, vcc_lo
	v_and_b32_e32 v4, 7, v4
	v_cndmask_b32_e32 v4, v5, v4, vcc_lo
	v_lshl_add_u32 v5, v6, 23, 0x3b800000
	v_lshlrev_b32_e32 v4, 20, v4
	v_or3_b32 v4, v3, v5, v4
.LBB164_216:
	s_or_b32 exec_lo, exec_lo, s23
	v_bfe_u32 v3, v4, 16, 1
	v_cmp_o_f32_e32 vcc_lo, v4, v4
	v_add3_u32 v3, v4, v3, 0x7fff
	v_mov_b32_e32 v4, 0x7fc0
	v_cndmask_b32_sdwa v3, v4, v3, vcc_lo dst_sel:DWORD dst_unused:UNUSED_PAD src0_sel:DWORD src1_sel:WORD_1
.LBB164_217:
	s_mov_b32 s1, -1
.LBB164_218:
	s_branch .LBB164_253
.LBB164_219:
	s_cmp_gt_i32 s0, 22
	s_cbranch_scc0 .LBB164_229
; %bb.220:
	s_cmp_lt_i32 s0, 24
	s_cbranch_scc1 .LBB164_232
; %bb.221:
	s_cmp_gt_i32 s0, 24
	s_cbranch_scc0 .LBB164_233
; %bb.222:
	global_load_ubyte v3, v[1:2], off
	s_mov_b32 s1, 0
	s_mov_b32 s23, exec_lo
	s_waitcnt vmcnt(0)
	v_cmpx_lt_i16_e32 0x7f, v3
	s_xor_b32 s23, exec_lo, s23
	s_cbranch_execz .LBB164_245
; %bb.223:
	s_mov_b32 s1, -1
	s_mov_b32 s36, exec_lo
	v_cmpx_eq_u16_e32 0x80, v3
; %bb.224:
	s_xor_b32 s1, exec_lo, -1
; %bb.225:
	s_or_b32 exec_lo, exec_lo, s36
	s_and_b32 s1, s1, exec_lo
	s_or_saveexec_b32 s23, s23
	v_mov_b32_e32 v4, 0x7f800001
	s_xor_b32 exec_lo, exec_lo, s23
	s_cbranch_execnz .LBB164_246
.LBB164_226:
	s_or_b32 exec_lo, exec_lo, s23
	s_and_saveexec_b32 s23, s1
	s_cbranch_execz .LBB164_228
.LBB164_227:
	v_and_b32_e32 v4, 0xffff, v3
	v_lshlrev_b32_e32 v3, 24, v3
	v_and_b32_e32 v5, 3, v4
	v_bfe_u32 v9, v4, 2, 5
	v_and_b32_e32 v3, 0x80000000, v3
	v_ffbh_u32_e32 v6, v5
	v_cmp_eq_u32_e32 vcc_lo, 0, v9
	v_min_u32_e32 v6, 32, v6
	v_subrev_nc_u32_e32 v7, 29, v6
	v_sub_nc_u32_e32 v6, 30, v6
	v_lshlrev_b32_e32 v4, v7, v4
	v_cndmask_b32_e32 v6, v9, v6, vcc_lo
	v_and_b32_e32 v4, 3, v4
	v_cndmask_b32_e32 v4, v5, v4, vcc_lo
	v_lshl_add_u32 v5, v6, 23, 0x37800000
	v_lshlrev_b32_e32 v4, 21, v4
	v_or3_b32 v4, v3, v5, v4
.LBB164_228:
	s_or_b32 exec_lo, exec_lo, s23
	v_bfe_u32 v3, v4, 16, 1
	v_cmp_o_f32_e32 vcc_lo, v4, v4
	s_mov_b32 s1, 0
	v_add3_u32 v3, v4, v3, 0x7fff
	v_mov_b32_e32 v4, 0x7fc0
	v_cndmask_b32_sdwa v3, v4, v3, vcc_lo dst_sel:DWORD dst_unused:UNUSED_PAD src0_sel:DWORD src1_sel:WORD_1
	s_branch .LBB164_234
.LBB164_229:
	s_mov_b32 s23, -1
                                        ; implicit-def: $vgpr3
	s_branch .LBB164_240
.LBB164_230:
	s_or_saveexec_b32 s23, s23
	v_mov_b32_e32 v4, 0x7f800001
	s_xor_b32 exec_lo, exec_lo, s23
	s_cbranch_execz .LBB164_214
.LBB164_231:
	v_cmp_ne_u16_e32 vcc_lo, 0, v3
	v_mov_b32_e32 v4, 0
	s_andn2_b32 s1, s1, exec_lo
	s_and_b32 s36, vcc_lo, exec_lo
	s_or_b32 s1, s1, s36
	s_or_b32 exec_lo, exec_lo, s23
	s_and_saveexec_b32 s23, s1
	s_cbranch_execnz .LBB164_215
	s_branch .LBB164_216
.LBB164_232:
	s_mov_b32 s1, -1
                                        ; implicit-def: $vgpr3
	s_branch .LBB164_237
.LBB164_233:
	s_mov_b32 s1, -1
                                        ; implicit-def: $vgpr3
.LBB164_234:
	s_and_b32 vcc_lo, exec_lo, s1
	s_cbranch_vccz .LBB164_236
; %bb.235:
	global_load_ubyte v3, v[1:2], off
	s_waitcnt vmcnt(0)
	v_lshlrev_b32_e32 v3, 24, v3
	v_and_b32_e32 v4, 0x7f000000, v3
	v_ffbh_u32_e32 v5, v4
	v_add_nc_u32_e32 v7, 0x1000000, v4
	v_cmp_ne_u32_e32 vcc_lo, 0, v4
	v_min_u32_e32 v5, 32, v5
	v_sub_nc_u32_e64 v5, v5, 4 clamp
	v_lshlrev_b32_e32 v6, v5, v4
	v_lshlrev_b32_e32 v5, 23, v5
	v_lshrrev_b32_e32 v6, 4, v6
	v_sub_nc_u32_e32 v5, v6, v5
	v_ashrrev_i32_e32 v6, 8, v7
	v_add_nc_u32_e32 v5, 0x3c000000, v5
	v_and_or_b32 v5, 0x7f800000, v6, v5
	v_cndmask_b32_e32 v4, 0, v5, vcc_lo
	v_and_or_b32 v3, 0x80000000, v3, v4
	v_bfe_u32 v4, v4, 16, 1
	v_cmp_o_f32_e32 vcc_lo, v3, v3
	v_add3_u32 v3, v3, v4, 0x7fff
	v_mov_b32_e32 v4, 0x7fc0
	v_cndmask_b32_sdwa v3, v4, v3, vcc_lo dst_sel:DWORD dst_unused:UNUSED_PAD src0_sel:DWORD src1_sel:WORD_1
.LBB164_236:
	s_mov_b32 s1, 0
.LBB164_237:
	s_andn2_b32 vcc_lo, exec_lo, s1
	s_cbranch_vccnz .LBB164_239
; %bb.238:
	global_load_ubyte v3, v[1:2], off
	s_waitcnt vmcnt(0)
	v_lshlrev_b32_e32 v4, 25, v3
	v_lshlrev_b16 v3, 8, v3
	v_lshrrev_b32_e32 v5, 4, v4
	v_and_or_b32 v6, 0x7f00, v3, 0.5
	v_cmp_gt_u32_e32 vcc_lo, 0x8000000, v4
	v_bfe_i32 v3, v3, 0, 16
	v_or_b32_e32 v5, 0x70000000, v5
	v_add_f32_e32 v6, -0.5, v6
	v_mul_f32_e32 v5, 0x7800000, v5
	v_cndmask_b32_e32 v4, v5, v6, vcc_lo
	v_and_or_b32 v3, 0x80000000, v3, v4
	v_bfe_u32 v4, v4, 16, 1
	v_cmp_o_f32_e32 vcc_lo, v3, v3
	v_add3_u32 v3, v3, v4, 0x7fff
	v_mov_b32_e32 v4, 0x7fc0
	v_cndmask_b32_sdwa v3, v4, v3, vcc_lo dst_sel:DWORD dst_unused:UNUSED_PAD src0_sel:DWORD src1_sel:WORD_1
.LBB164_239:
	s_mov_b32 s23, 0
	s_mov_b32 s1, -1
.LBB164_240:
	s_andn2_b32 vcc_lo, exec_lo, s23
	s_cbranch_vccnz .LBB164_253
; %bb.241:
	s_cmp_gt_i32 s0, 14
	s_cbranch_scc0 .LBB164_244
; %bb.242:
	s_cmp_eq_u32 s0, 15
	s_cbranch_scc0 .LBB164_247
; %bb.243:
	global_load_ushort v3, v[1:2], off
	s_mov_b32 s1, -1
	s_mov_b32 s22, 0
	s_branch .LBB164_248
.LBB164_244:
	s_mov_b32 s23, -1
                                        ; implicit-def: $vgpr3
	s_branch .LBB164_249
.LBB164_245:
	s_or_saveexec_b32 s23, s23
	v_mov_b32_e32 v4, 0x7f800001
	s_xor_b32 exec_lo, exec_lo, s23
	s_cbranch_execz .LBB164_226
.LBB164_246:
	v_cmp_ne_u16_e32 vcc_lo, 0, v3
	v_mov_b32_e32 v4, 0
	s_andn2_b32 s1, s1, exec_lo
	s_and_b32 s36, vcc_lo, exec_lo
	s_or_b32 s1, s1, s36
	s_or_b32 exec_lo, exec_lo, s23
	s_and_saveexec_b32 s23, s1
	s_cbranch_execnz .LBB164_227
	s_branch .LBB164_228
.LBB164_247:
	s_mov_b32 s22, -1
                                        ; implicit-def: $vgpr3
.LBB164_248:
	s_mov_b32 s23, 0
.LBB164_249:
	s_and_b32 vcc_lo, exec_lo, s23
	s_cbranch_vccz .LBB164_253
; %bb.250:
	s_cmp_eq_u32 s0, 11
	s_cbranch_scc0 .LBB164_252
; %bb.251:
	global_load_ubyte v3, v[1:2], off
	s_mov_b32 s22, 0
	s_mov_b32 s1, -1
	s_waitcnt vmcnt(0)
	v_cmp_ne_u16_e32 vcc_lo, 0, v3
	v_cndmask_b32_e64 v3, 0, 1.0, vcc_lo
	v_lshrrev_b32_e32 v3, 16, v3
	s_branch .LBB164_253
.LBB164_252:
	s_mov_b32 s22, -1
                                        ; implicit-def: $vgpr3
.LBB164_253:
	s_branch .LBB164_24
.LBB164_254:
	s_cmp_lt_i32 s0, 5
	s_cbranch_scc1 .LBB164_259
; %bb.255:
	s_cmp_lt_i32 s0, 8
	s_cbranch_scc1 .LBB164_260
; %bb.256:
	;; [unrolled: 3-line block ×3, first 2 shown]
	s_cmp_gt_i32 s0, 9
	s_cbranch_scc0 .LBB164_262
; %bb.258:
	global_load_dwordx2 v[3:4], v[1:2], off
	s_mov_b32 s1, 0
	s_waitcnt vmcnt(0)
	v_cvt_f32_f64_e32 v3, v[3:4]
	v_bfe_u32 v4, v3, 16, 1
	v_cmp_o_f32_e32 vcc_lo, v3, v3
	v_add3_u32 v3, v3, v4, 0x7fff
	v_mov_b32_e32 v4, 0x7fc0
	v_cndmask_b32_sdwa v3, v4, v3, vcc_lo dst_sel:DWORD dst_unused:UNUSED_PAD src0_sel:DWORD src1_sel:WORD_1
	s_branch .LBB164_263
.LBB164_259:
                                        ; implicit-def: $vgpr3
	s_branch .LBB164_281
.LBB164_260:
	s_mov_b32 s1, -1
                                        ; implicit-def: $vgpr3
	s_branch .LBB164_269
.LBB164_261:
	s_mov_b32 s1, -1
                                        ; implicit-def: $vgpr3
	s_branch .LBB164_266
.LBB164_262:
	s_mov_b32 s1, -1
                                        ; implicit-def: $vgpr3
.LBB164_263:
	s_andn2_b32 vcc_lo, exec_lo, s1
	s_cbranch_vccnz .LBB164_265
; %bb.264:
	global_load_dword v3, v[1:2], off
	s_waitcnt vmcnt(0)
	v_bfe_u32 v4, v3, 16, 1
	v_cmp_o_f32_e32 vcc_lo, v3, v3
	v_add3_u32 v3, v3, v4, 0x7fff
	v_mov_b32_e32 v4, 0x7fc0
	v_cndmask_b32_sdwa v3, v4, v3, vcc_lo dst_sel:DWORD dst_unused:UNUSED_PAD src0_sel:DWORD src1_sel:WORD_1
.LBB164_265:
	s_mov_b32 s1, 0
.LBB164_266:
	s_andn2_b32 vcc_lo, exec_lo, s1
	s_cbranch_vccnz .LBB164_268
; %bb.267:
	global_load_dword v3, v[1:2], off
	s_waitcnt vmcnt(0)
	v_cvt_f32_f16_e32 v4, v3
	v_cmp_o_f16_e32 vcc_lo, v3, v3
	v_bfe_u32 v5, v4, 16, 1
	v_add3_u32 v3, v4, v5, 0x7fff
	v_mov_b32_e32 v4, 0x7fc0
	v_cndmask_b32_sdwa v3, v4, v3, vcc_lo dst_sel:DWORD dst_unused:UNUSED_PAD src0_sel:DWORD src1_sel:WORD_1
.LBB164_268:
	s_mov_b32 s1, 0
.LBB164_269:
	s_andn2_b32 vcc_lo, exec_lo, s1
	s_cbranch_vccnz .LBB164_280
; %bb.270:
	s_cmp_lt_i32 s0, 6
	s_cbranch_scc1 .LBB164_273
; %bb.271:
	s_cmp_gt_i32 s0, 6
	s_cbranch_scc0 .LBB164_274
; %bb.272:
	global_load_dwordx2 v[3:4], v[1:2], off
	s_mov_b32 s1, 0
	s_waitcnt vmcnt(0)
	v_cvt_f32_f64_e32 v3, v[3:4]
	v_bfe_u32 v4, v3, 16, 1
	v_cmp_o_f32_e32 vcc_lo, v3, v3
	v_add3_u32 v3, v3, v4, 0x7fff
	v_mov_b32_e32 v4, 0x7fc0
	v_cndmask_b32_sdwa v3, v4, v3, vcc_lo dst_sel:DWORD dst_unused:UNUSED_PAD src0_sel:DWORD src1_sel:WORD_1
	s_branch .LBB164_275
.LBB164_273:
	s_mov_b32 s1, -1
                                        ; implicit-def: $vgpr3
	s_branch .LBB164_278
.LBB164_274:
	s_mov_b32 s1, -1
                                        ; implicit-def: $vgpr3
.LBB164_275:
	s_andn2_b32 vcc_lo, exec_lo, s1
	s_cbranch_vccnz .LBB164_277
; %bb.276:
	global_load_dword v3, v[1:2], off
	s_waitcnt vmcnt(0)
	v_bfe_u32 v4, v3, 16, 1
	v_cmp_o_f32_e32 vcc_lo, v3, v3
	v_add3_u32 v3, v3, v4, 0x7fff
	v_mov_b32_e32 v4, 0x7fc0
	v_cndmask_b32_sdwa v3, v4, v3, vcc_lo dst_sel:DWORD dst_unused:UNUSED_PAD src0_sel:DWORD src1_sel:WORD_1
.LBB164_277:
	s_mov_b32 s1, 0
.LBB164_278:
	s_andn2_b32 vcc_lo, exec_lo, s1
	s_cbranch_vccnz .LBB164_280
; %bb.279:
	global_load_ushort v3, v[1:2], off
	s_waitcnt vmcnt(0)
	v_cvt_f32_f16_e32 v4, v3
	v_cmp_o_f16_e32 vcc_lo, v3, v3
	v_bfe_u32 v5, v4, 16, 1
	v_add3_u32 v3, v4, v5, 0x7fff
	v_mov_b32_e32 v4, 0x7fc0
	v_cndmask_b32_sdwa v3, v4, v3, vcc_lo dst_sel:DWORD dst_unused:UNUSED_PAD src0_sel:DWORD src1_sel:WORD_1
.LBB164_280:
	s_cbranch_execnz .LBB164_300
.LBB164_281:
	s_cmp_lt_i32 s0, 2
	s_cbranch_scc1 .LBB164_285
; %bb.282:
	s_cmp_lt_i32 s0, 3
	s_cbranch_scc1 .LBB164_286
; %bb.283:
	s_cmp_gt_i32 s0, 3
	s_cbranch_scc0 .LBB164_287
; %bb.284:
	global_load_dwordx2 v[3:4], v[1:2], off
	s_mov_b32 s1, 0
	s_waitcnt vmcnt(0)
	v_xor_b32_e32 v5, v3, v4
	v_ffbh_i32_e32 v6, v4
	v_ashrrev_i32_e32 v5, 31, v5
	v_add_nc_u32_e32 v6, -1, v6
	v_add_nc_u32_e32 v5, 32, v5
	v_min_u32_e32 v5, v6, v5
	v_lshlrev_b64 v[3:4], v5, v[3:4]
	v_min_u32_e32 v3, 1, v3
	v_or_b32_e32 v3, v4, v3
	v_sub_nc_u32_e32 v4, 32, v5
	v_cvt_f32_i32_e32 v3, v3
	v_ldexp_f32 v3, v3, v4
	v_bfe_u32 v4, v3, 16, 1
	v_add3_u32 v3, v3, v4, 0x7fff
	v_lshrrev_b32_e32 v3, 16, v3
	s_branch .LBB164_288
.LBB164_285:
	s_mov_b32 s1, -1
                                        ; implicit-def: $vgpr3
	s_branch .LBB164_294
.LBB164_286:
	s_mov_b32 s1, -1
                                        ; implicit-def: $vgpr3
	s_branch .LBB164_291
.LBB164_287:
	s_mov_b32 s1, -1
                                        ; implicit-def: $vgpr3
.LBB164_288:
	s_andn2_b32 vcc_lo, exec_lo, s1
	s_cbranch_vccnz .LBB164_290
; %bb.289:
	global_load_dword v3, v[1:2], off
	s_waitcnt vmcnt(0)
	v_cvt_f32_i32_e32 v3, v3
	v_bfe_u32 v4, v3, 16, 1
	v_add3_u32 v3, v3, v4, 0x7fff
	v_lshrrev_b32_e32 v3, 16, v3
.LBB164_290:
	s_mov_b32 s1, 0
.LBB164_291:
	s_andn2_b32 vcc_lo, exec_lo, s1
	s_cbranch_vccnz .LBB164_293
; %bb.292:
	global_load_sshort v3, v[1:2], off
	s_waitcnt vmcnt(0)
	v_cvt_f32_i32_e32 v3, v3
	v_bfe_u32 v4, v3, 16, 1
	v_add3_u32 v3, v3, v4, 0x7fff
	v_lshrrev_b32_e32 v3, 16, v3
.LBB164_293:
	s_mov_b32 s1, 0
.LBB164_294:
	s_andn2_b32 vcc_lo, exec_lo, s1
	s_cbranch_vccnz .LBB164_300
; %bb.295:
	s_cmp_gt_i32 s0, 0
	s_mov_b32 s0, 0
	s_cbranch_scc0 .LBB164_297
; %bb.296:
	global_load_sbyte v3, v[1:2], off
	s_waitcnt vmcnt(0)
	v_cvt_f32_i32_e32 v3, v3
	v_bfe_u32 v4, v3, 16, 1
	v_add3_u32 v3, v3, v4, 0x7fff
	v_lshrrev_b32_e32 v3, 16, v3
	s_branch .LBB164_298
.LBB164_297:
	s_mov_b32 s0, -1
                                        ; implicit-def: $vgpr3
.LBB164_298:
	s_andn2_b32 vcc_lo, exec_lo, s0
	s_cbranch_vccnz .LBB164_300
; %bb.299:
	global_load_ubyte v1, v[1:2], off
	s_waitcnt vmcnt(0)
	v_cvt_f32_ubyte0_e32 v1, v1
	v_bfe_u32 v2, v1, 16, 1
	v_add3_u32 v1, v1, v2, 0x7fff
	v_lshrrev_b32_e32 v3, 16, v1
.LBB164_300:
	s_branch .LBB164_25
.LBB164_301:
	s_mov_b32 s0, 0
.LBB164_302:
	s_mov_b32 s1, 0
                                        ; implicit-def: $vgpr8
.LBB164_303:
	s_and_b32 s36, s0, exec_lo
	s_and_b32 s37, s22, exec_lo
	s_orn2_b32 s1, s1, exec_lo
.LBB164_304:
	s_or_b32 exec_lo, exec_lo, s38
	s_mov_b32 s22, 0
	s_mov_b32 s0, 0
                                        ; implicit-def: $vgpr1_vgpr2
                                        ; implicit-def: $vgpr0
                                        ; implicit-def: $vgpr4
	s_and_saveexec_b32 s38, s1
	s_cbranch_execz .LBB164_311
; %bb.305:
	s_mov_b32 s0, -1
	s_mov_b32 s39, s37
	s_mov_b32 s40, s36
	s_mov_b32 s41, exec_lo
	v_cmpx_gt_i32_e64 s33, v8
	s_cbranch_execz .LBB164_619
; %bb.306:
	s_andn2_b32 vcc_lo, exec_lo, s27
	s_cbranch_vccnz .LBB164_314
; %bb.307:
	s_andn2_b32 vcc_lo, exec_lo, s34
	s_cbranch_vccnz .LBB164_315
; %bb.308:
	s_add_i32 s40, s35, 1
	s_cmp_eq_u32 s25, 2
	s_cbranch_scc1 .LBB164_316
; %bb.309:
	v_mov_b32_e32 v2, 0
	v_mov_b32_e32 v0, 0
	;; [unrolled: 1-line block ×3, first 2 shown]
	s_and_b32 s39, s40, 28
	s_mov_b32 s42, 0
	s_mov_b64 s[0:1], s[2:3]
	s_mov_b64 s[22:23], s[20:21]
.LBB164_310:                            ; =>This Inner Loop Header: Depth=1
	s_clause 0x1
	s_load_dwordx8 s[44:51], s[0:1], 0x4
	s_load_dwordx4 s[60:63], s[0:1], 0x24
	s_load_dwordx8 s[52:59], s[22:23], 0x0
	s_add_u32 s0, s0, 48
	s_addc_u32 s1, s1, 0
	s_add_i32 s42, s42, 4
	s_add_u32 s22, s22, 32
	s_addc_u32 s23, s23, 0
	s_cmp_eq_u32 s39, s42
	s_waitcnt vmcnt(0) lgkmcnt(0)
	v_mul_hi_u32 v3, s45, v1
	v_add_nc_u32_e32 v3, v1, v3
	v_lshrrev_b32_e32 v3, s46, v3
	v_mul_hi_u32 v4, s48, v3
	v_mul_lo_u32 v6, v3, s44
	v_add_nc_u32_e32 v4, v3, v4
	v_sub_nc_u32_e32 v1, v1, v6
	v_lshrrev_b32_e32 v4, s49, v4
	v_mul_lo_u32 v6, v1, s52
	v_mul_lo_u32 v9, v1, s53
	v_mul_hi_u32 v5, s51, v4
	v_add_nc_u32_e32 v5, v4, v5
	v_lshrrev_b32_e32 v5, s60, v5
	v_mul_hi_u32 v7, s62, v5
	v_mul_lo_u32 v10, v5, s50
	v_add_nc_u32_e32 v1, v5, v7
	v_mul_lo_u32 v7, v4, s47
	v_sub_nc_u32_e32 v4, v4, v10
	v_lshrrev_b32_e32 v1, s63, v1
	v_mul_lo_u32 v10, v4, s56
	v_mul_lo_u32 v4, v4, s57
	v_sub_nc_u32_e32 v3, v3, v7
	v_mul_lo_u32 v11, v1, s61
	v_mul_lo_u32 v7, v3, s54
	;; [unrolled: 1-line block ×3, first 2 shown]
	v_sub_nc_u32_e32 v5, v5, v11
	v_add3_u32 v0, v6, v0, v7
	v_mul_lo_u32 v11, v5, s58
	v_mul_lo_u32 v5, v5, s59
	v_add3_u32 v2, v9, v2, v3
	v_add3_u32 v0, v10, v0, v11
	;; [unrolled: 1-line block ×3, first 2 shown]
	s_cbranch_scc0 .LBB164_310
	s_branch .LBB164_317
.LBB164_311:
	s_or_b32 exec_lo, exec_lo, s38
	s_waitcnt lgkmcnt(0)
	s_mov_b32 s6, 0
	s_and_saveexec_b32 s1, s37
	s_cbranch_execnz .LBB164_1035
.LBB164_312:
	s_or_b32 exec_lo, exec_lo, s1
	s_and_saveexec_b32 s1, s39
	s_xor_b32 s1, exec_lo, s1
	s_cbranch_execz .LBB164_1036
.LBB164_313:
	global_load_ubyte v3, v[1:2], off
	s_or_b32 s0, s0, exec_lo
	s_waitcnt vmcnt(0)
	v_cmp_ne_u16_e32 vcc_lo, 0, v3
	v_cndmask_b32_e64 v3, 0, 1.0, vcc_lo
	v_lshrrev_b32_e32 v4, 16, v3
	s_or_b32 exec_lo, exec_lo, s1
	s_and_saveexec_b32 s1, s22
	s_cbranch_execz .LBB164_1082
	s_branch .LBB164_1037
.LBB164_314:
                                        ; implicit-def: $vgpr0
                                        ; implicit-def: $vgpr2
	s_andn2_b32 vcc_lo, exec_lo, s0
	s_cbranch_vccz .LBB164_321
	s_branch .LBB164_323
.LBB164_315:
	v_mov_b32_e32 v0, 0
	v_mov_b32_e32 v2, 0
	s_branch .LBB164_320
.LBB164_316:
	v_mov_b32_e32 v0, 0
	v_mov_b32_e32 v2, 0
	;; [unrolled: 1-line block ×3, first 2 shown]
	s_mov_b32 s39, 0
.LBB164_317:
	s_and_b32 s40, s40, 3
	s_cmp_eq_u32 s40, 0
	s_cbranch_scc1 .LBB164_320
; %bb.318:
	s_lshl_b32 s0, s39, 3
	s_mul_i32 s22, s39, 12
	s_add_u32 s0, s2, s0
	s_addc_u32 s1, s3, 0
	s_add_u32 s0, s0, 0xc4
	s_addc_u32 s1, s1, 0
	s_add_u32 s22, s2, s22
	s_addc_u32 s23, s3, 0
	.p2align	6
.LBB164_319:                            ; =>This Inner Loop Header: Depth=1
	s_clause 0x1
	s_load_dwordx2 s[42:43], s[22:23], 0x4
	s_load_dword s39, s[22:23], 0xc
	s_load_dwordx2 s[44:45], s[0:1], 0x0
	s_add_u32 s22, s22, 12
	s_addc_u32 s23, s23, 0
	s_add_u32 s0, s0, 8
	s_addc_u32 s1, s1, 0
	s_add_i32 s40, s40, -1
	s_cmp_lg_u32 s40, 0
	s_waitcnt vmcnt(0) lgkmcnt(0)
	v_mul_hi_u32 v3, s43, v1
	v_add_nc_u32_e32 v3, v1, v3
	v_lshrrev_b32_e32 v4, s39, v3
	v_mul_lo_u32 v3, v4, s42
	v_sub_nc_u32_e32 v3, v1, v3
	v_mad_u64_u32 v[0:1], null, v3, s44, v[0:1]
	v_mad_u64_u32 v[2:3], null, v3, s45, v[2:3]
	v_mov_b32_e32 v1, v4
	s_cbranch_scc1 .LBB164_319
.LBB164_320:
	s_cbranch_execnz .LBB164_323
.LBB164_321:
	s_waitcnt lgkmcnt(0)
	v_mul_hi_u32 v0, s17, v8
	s_andn2_b32 vcc_lo, exec_lo, s31
	v_add_nc_u32_e32 v0, v8, v0
	v_lshrrev_b32_e32 v1, s18, v0
	v_mul_lo_u32 v0, v1, s16
	v_sub_nc_u32_e32 v2, v8, v0
	v_mul_lo_u32 v0, v2, s12
	v_mul_lo_u32 v2, v2, s13
	s_cbranch_vccnz .LBB164_323
; %bb.322:
	s_waitcnt vmcnt(0)
	v_mul_hi_u32 v3, s6, v1
	v_add_nc_u32_e32 v3, v1, v3
	v_lshrrev_b32_e32 v3, s7, v3
	v_mul_lo_u32 v3, v3, s19
	v_sub_nc_u32_e32 v3, v1, v3
	v_mad_u64_u32 v[0:1], null, v3, s14, v[0:1]
	v_mad_u64_u32 v[2:3], null, v3, s15, v[2:3]
.LBB164_323:
	s_waitcnt lgkmcnt(0)
	v_add_co_u32 v1, s0, s10, v2
	v_add_co_ci_u32_e64 v2, null, s11, 0, s0
	s_and_b32 s0, 0xffff, s30
	s_cmp_lt_i32 s0, 11
	s_cbranch_scc1 .LBB164_330
; %bb.324:
	s_cmp_gt_i32 s0, 25
	s_cbranch_scc0 .LBB164_377
; %bb.325:
	s_cmp_gt_i32 s0, 28
	s_cbranch_scc0 .LBB164_379
	;; [unrolled: 3-line block ×4, first 2 shown]
; %bb.328:
	s_cmp_eq_u32 s0, 46
	s_mov_b32 s23, 0
	s_cbranch_scc0 .LBB164_389
; %bb.329:
	global_load_dword v3, v[1:2], off
	s_mov_b32 s1, -1
	s_mov_b32 s22, 0
	s_branch .LBB164_391
.LBB164_330:
	s_mov_b32 s1, 0
	s_mov_b32 s22, s37
                                        ; implicit-def: $vgpr3
	s_cbranch_execnz .LBB164_568
.LBB164_331:
	s_andn2_b32 vcc_lo, exec_lo, s1
	s_cbranch_vccnz .LBB164_616
.LBB164_332:
	s_waitcnt vmcnt(0)
	v_lshlrev_b32_e32 v1, 16, v3
	s_mov_b32 s1, exec_lo
                                        ; implicit-def: $vgpr3
	v_and_b32_e32 v2, 0x7fffffff, v1
	v_cmpx_ngt_f32_e64 0x3c800000, |v1|
	s_xor_b32 s1, exec_lo, s1
	s_cbranch_execz .LBB164_362
; %bb.333:
	s_mov_b32 s23, exec_lo
                                        ; implicit-def: $vgpr3
	v_cmpx_nlt_f32_e64 |v1|, 2.0
	s_xor_b32 s23, exec_lo, s23
	s_cbranch_execz .LBB164_343
; %bb.334:
	v_cmp_ngt_f32_e64 s0, 0x41000000, |v1|
                                        ; implicit-def: $vgpr3
	s_and_saveexec_b32 s39, s0
	s_xor_b32 s0, exec_lo, s39
	s_cbranch_execz .LBB164_340
; %bb.335:
	v_cmp_ngt_f32_e64 s39, 0x5c800000, |v1|
                                        ; implicit-def: $vgpr3
	s_and_saveexec_b32 s40, s39
	s_xor_b32 s39, exec_lo, s40
	s_cbranch_execz .LBB164_337
; %bb.336:
	v_cmp_gt_f32_e64 s40, 0x800000, |v1|
	v_cndmask_b32_e64 v3, 0, 32, s40
	v_ldexp_f32 v3, |v1|, v3
	v_log_f32_e32 v3, v3
	v_mul_f32_e32 v4, 0x3f317217, v3
	v_cmp_gt_f32_e64 vcc_lo, 0x7f800000, |v3|
	v_fma_f32 v5, 0x3f317217, v3, -v4
	v_fmamk_f32 v5, v3, 0x3377d1cf, v5
	v_add_f32_e32 v4, v4, v5
	v_cndmask_b32_e32 v3, v3, v4, vcc_lo
	v_cndmask_b32_e64 v4, 0, 0x41b17218, s40
	v_sub_f32_e32 v3, v3, v4
	v_fma_f32 v3, |v1|, v3, -|v1|
.LBB164_337:
	s_andn2_saveexec_b32 s39, s39
	s_cbranch_execz .LBB164_339
; %bb.338:
	v_cmp_gt_f32_e64 s40, 0x800000, |v1|
	v_rcp_f32_e64 v4, |v1|
	s_mov_b32 s42, 0xbad5c4e8
	v_cndmask_b32_e64 v3, 0, 32, s40
	v_ldexp_f32 v3, |v1|, v3
	v_mul_f32_e32 v5, v4, v4
	v_log_f32_e32 v3, v3
	v_fmaak_f32 v7, s42, v5, 0x3a5b3dd2
	v_fmaak_f32 v7, v5, v7, 0xba1c065c
	v_mul_f32_e32 v6, 0x3f317217, v3
	v_fmaak_f32 v7, v5, v7, 0x3a500cfd
	v_cmp_gt_f32_e64 vcc_lo, 0x7f800000, |v3|
	v_fma_f32 v9, 0x3f317217, v3, -v6
	v_fmaak_f32 v7, v5, v7, 0xbb360b61
	v_fmamk_f32 v9, v3, 0x3377d1cf, v9
	v_fmaak_f32 v5, v5, v7, 0x3daaaaab
	v_add_f32_e32 v6, v6, v9
	v_cndmask_b32_e32 v3, v3, v6, vcc_lo
	v_cndmask_b32_e64 v6, 0, 0x41b17218, s40
	v_sub_f32_e32 v6, v3, v6
	v_fmaak_f32 v3, v4, v5, 0x3ed67f1d
	v_add_f32_e64 v4, |v1|, -0.5
	v_add_f32_e32 v5, -1.0, v6
	v_fmac_f32_e32 v3, v4, v5
.LBB164_339:
	s_or_b32 exec_lo, exec_lo, s39
.LBB164_340:
	s_andn2_saveexec_b32 s39, s0
	s_cbranch_execz .LBB164_342
; %bb.341:
	v_cvt_i32_f32_e32 v3, v2
	s_mov_b32 s0, 0x36f5d7bd
	s_mov_b32 s40, 0x3805ff67
	v_cvt_f32_i32_e32 v4, v3
	v_cmp_lt_i32_e32 vcc_lo, 2, v3
	v_sub_f32_e64 v4, |v1|, v4
	v_add_f32_e32 v5, 2.0, v4
	v_add_f32_e32 v6, 0x40400000, v4
	v_add_f32_e32 v7, 4.0, v4
	v_add_f32_e32 v9, 0x40a00000, v4
	v_cndmask_b32_e32 v5, 1.0, v5, vcc_lo
	v_cmp_lt_i32_e32 vcc_lo, 3, v3
	v_cndmask_b32_e32 v6, 1.0, v6, vcc_lo
	v_cmp_lt_i32_e32 vcc_lo, 4, v3
	v_mul_f32_e32 v5, v5, v6
	v_cndmask_b32_e32 v7, 1.0, v7, vcc_lo
	v_cmp_lt_i32_e32 vcc_lo, 5, v3
	v_add_f32_e32 v6, 0x40c00000, v4
	v_mul_f32_e32 v5, v7, v5
	v_cndmask_b32_e32 v9, 1.0, v9, vcc_lo
	v_cmp_lt_i32_e32 vcc_lo, 6, v3
	v_fmaak_f32 v7, s40, v4, 0x3af135b4
	v_mul_f32_e32 v5, v9, v5
	v_cndmask_b32_e32 v3, 1.0, v6, vcc_lo
	v_mul_f32_e32 v3, v3, v5
	v_fmaak_f32 v5, s0, v4, 0x3a4beed6
	v_cmp_gt_f32_e32 vcc_lo, 0x800000, v3
	v_fmaak_f32 v5, v4, v5, 0x3c98bf54
	v_cndmask_b32_e64 v6, 0, 32, vcc_lo
	v_fmaak_f32 v5, v4, v5, 0x3e300f6e
	v_ldexp_f32 v3, v3, v6
	v_fmaak_f32 v6, v4, v7, 0x3cda40e4
	v_fmaak_f32 v5, v4, v5, 0x3f38d0c5
	v_log_f32_e32 v3, v3
	v_fmaak_f32 v6, v4, v6, 0x3e15dce6
	v_fmaak_f32 v5, v4, v5, 0x3fb22d3b
	;; [unrolled: 1-line block ×3, first 2 shown]
	v_fma_f32 v5, v4, v5, 1.0
	v_mul_f32_e32 v7, 0x3f317217, v3
	v_fmaak_f32 v6, v4, v6, 0x3e5c245a
	v_rcp_f32_e32 v5, v5
	v_cmp_gt_f32_e64 s0, 0x7f800000, |v3|
	v_fma_f32 v9, 0x3f317217, v3, -v7
	v_fmaak_f32 v6, v4, v6, 0xbd9e233f
	v_fmamk_f32 v9, v3, 0x3377d1cf, v9
	v_mul_f32_e32 v6, v4, v6
	v_add_f32_e32 v7, v7, v9
	v_mul_f32_e32 v5, v6, v5
	v_cndmask_b32_e64 v6, 0, 0x41b17218, vcc_lo
	v_cndmask_b32_e64 v3, v3, v7, s0
	v_fmac_f32_e32 v5, 0.5, v4
	v_sub_f32_e32 v3, v3, v6
	v_add_f32_e32 v3, v3, v5
.LBB164_342:
	s_or_b32 exec_lo, exec_lo, s39
.LBB164_343:
	s_andn2_saveexec_b32 s23, s23
	s_cbranch_execz .LBB164_361
; %bb.344:
	s_mov_b32 s39, exec_lo
                                        ; implicit-def: $vgpr3
                                        ; implicit-def: $vgpr5
                                        ; implicit-def: $vgpr4
	v_cmpx_ge_f32_e64 0x3f666666, |v1|
	s_xor_b32 s39, exec_lo, s39
	s_cbranch_execz .LBB164_346
; %bb.345:
	v_cmp_gt_f32_e64 s0, 0x800000, |v1|
	v_sub_f32_e64 v6, 1.0, |v1|
	v_cmp_gt_f32_e64 vcc_lo, 0x3f3b4a23, |v1|
	v_cndmask_b32_e64 v3, 0, 32, s0
	v_cndmask_b32_e64 v7, 0, 0x41b17218, s0
	v_ldexp_f32 v3, |v1|, v3
	v_log_f32_e32 v3, v3
	v_mul_f32_e32 v4, 0x3f317217, v3
	v_cmp_gt_f32_e64 s0, 0x7f800000, |v3|
	v_fma_f32 v5, 0x3f317217, v3, -v4
	v_fmamk_f32 v5, v3, 0x3377d1cf, v5
	v_add_f32_e32 v4, v4, v5
	v_add_f32_e64 v5, 0xbeec5b0c, |v1|
	v_cndmask_b32_e64 v3, v3, v4, s0
	v_cndmask_b32_e32 v4, v6, v5, vcc_lo
	v_cndmask_b32_e64 v5, 0, 1, vcc_lo
	v_cmp_gt_f32_e64 s0, 0x3e6d3309, |v1|
	v_sub_f32_e32 v3, v3, v7
	v_cndmask_b32_e64 v4, v4, |v1|, s0
	v_cndmask_b32_e64 v5, v5, 2, s0
	v_xor_b32_e32 v3, 0x80000000, v3
.LBB164_346:
	s_andn2_saveexec_b32 s0, s39
	s_cbranch_execz .LBB164_348
; %bb.347:
	v_sub_f32_e64 v3, 2.0, |v1|
	v_add_f32_e64 v4, 0xbfbb16c3, |v1|
	v_cmp_gt_f32_e64 vcc_lo, 0x3fdda512, |v1|
	v_add_f32_e64 v5, |v1|, -1.0
	v_cndmask_b32_e32 v4, v3, v4, vcc_lo
	v_cndmask_b32_e64 v3, v3, 1.0, vcc_lo
	v_cmp_gt_f32_e64 vcc_lo, 0x3f9d70a4, |v1|
	v_cvt_i32_f32_e32 v3, v3
	v_cndmask_b32_e32 v4, v4, v5, vcc_lo
	v_cndmask_b32_e64 v5, v3, 2, vcc_lo
	v_mov_b32_e32 v3, 0
.LBB164_348:
	s_or_b32 exec_lo, exec_lo, s0
	s_mov_b32 s0, exec_lo
	v_cmpx_lt_i32_e32 0, v5
	s_xor_b32 s0, exec_lo, s0
	s_cbranch_execz .LBB164_356
; %bb.349:
	s_mov_b32 s39, exec_lo
	v_cmpx_lt_i32_e32 1, v5
	s_xor_b32 s39, exec_lo, s39
	s_cbranch_execz .LBB164_353
; %bb.350:
	s_mov_b32 s40, exec_lo
	v_cmpx_eq_u32_e32 2, v5
	s_cbranch_execz .LBB164_352
; %bb.351:
	s_mov_b32 s42, 0x3b52d5db
	v_fmaak_f32 v5, s42, v4, 0x3dd572af
	s_mov_b32 s42, 0x3c5b3c5e
	v_fmaak_f32 v6, s42, v4, 0x3e6a7578
	v_fmaak_f32 v5, v4, v5, 0x3f44efdf
	;; [unrolled: 1-line block ×7, first 2 shown]
	v_fma_f32 v5, v4, v5, 1.0
	v_fmaak_f32 v6, v4, v6, 0xbd9e233f
	v_rcp_f32_e32 v5, v5
	v_mul_f32_e32 v6, v4, v6
	v_mul_f32_e32 v5, v6, v5
	v_fmac_f32_e32 v5, -0.5, v4
	v_add_f32_e32 v3, v3, v5
.LBB164_352:
	s_or_b32 exec_lo, exec_lo, s40
                                        ; implicit-def: $vgpr4
.LBB164_353:
	s_andn2_saveexec_b32 s39, s39
	s_cbranch_execz .LBB164_355
; %bb.354:
	v_mul_f32_e32 v5, v4, v4
	s_mov_b32 s40, 0xb9a3f927
	s_mov_b32 s42, 0x39afe9f7
	v_mul_f32_e32 v6, v4, v5
	v_fmaak_f32 v7, s40, v6, 0x3a66f867
	v_fmaak_f32 v9, s42, v6, 0xba0d3085
	s_mov_b32 s40, 0x39a57b6b
	v_fmaak_f32 v10, s40, v6, 0xbab7f476
	v_fmaak_f32 v7, v6, v7, 0xbb7177fe
	;; [unrolled: 1-line block ×9, first 2 shown]
	v_fmac_f32_e32 v7, v4, v9
	v_fmaak_f32 v4, v6, v10, 0x3ef7b95e
	v_fma_f32 v6, v6, -v7, 0xa2863e55
	v_fma_f32 v4, v5, v4, -v6
	v_add_f32_e32 v4, 0xbdf8cdce, v4
	v_add_f32_e32 v3, v3, v4
.LBB164_355:
	s_or_b32 exec_lo, exec_lo, s39
                                        ; implicit-def: $vgpr5
                                        ; implicit-def: $vgpr4
.LBB164_356:
	s_andn2_saveexec_b32 s0, s0
	s_cbranch_execz .LBB164_360
; %bb.357:
	s_mov_b32 s39, exec_lo
	v_cmpx_eq_u32_e32 0, v5
	s_cbranch_execz .LBB164_359
; %bb.358:
	v_mul_f32_e32 v5, v4, v4
	s_mov_b32 s40, 0x383c2c75
	v_fmaak_f32 v6, s40, v5, 0x38e28445
	s_mov_b32 s40, 0x37d383a2
	v_fmaak_f32 v7, s40, v5, 0x39679767
	v_fmaak_f32 v6, v5, v6, 0x3a05b634
	;; [unrolled: 1-line block ×9, first 2 shown]
	v_mul_f32_e32 v5, v5, v6
	v_fmac_f32_e32 v5, v4, v7
	v_fmac_f32_e32 v5, -0.5, v4
	v_add_f32_e32 v3, v3, v5
.LBB164_359:
	s_or_b32 exec_lo, exec_lo, s39
.LBB164_360:
	s_or_b32 exec_lo, exec_lo, s0
.LBB164_361:
	s_or_b32 exec_lo, exec_lo, s23
.LBB164_362:
	s_andn2_saveexec_b32 s0, s1
	s_cbranch_execz .LBB164_364
; %bb.363:
	v_cmp_gt_f32_e64 s1, 0x800000, |v1|
	s_mov_b32 s23, 0x3e8a8991
	v_fma_f32 v6, |v1|, s23, 0xbecd26ab
	v_cndmask_b32_e64 v3, 0, 32, s1
	v_ldexp_f32 v3, |v1|, v3
	v_log_f32_e32 v3, v3
	v_mul_f32_e32 v4, 0x3f317217, v3
	v_cmp_gt_f32_e64 vcc_lo, 0x7f800000, |v3|
	v_fma_f32 v5, 0x3f317217, v3, -v4
	v_fmamk_f32 v5, v3, 0x3377d1cf, v5
	v_add_f32_e32 v4, v4, v5
	v_fma_f32 v5, |v1|, v6, 0x3f528d33
	v_cndmask_b32_e32 v3, v3, v4, vcc_lo
	v_cndmask_b32_e64 v4, 0, 0x41b17218, s1
	v_fma_f32 v5, |v1|, v5, 0xbf13c468
	v_sub_f32_e32 v3, v3, v4
	v_fma_f32 v3, |v1|, v5, -v3
.LBB164_364:
	s_or_b32 exec_lo, exec_lo, s0
	v_cmp_le_f32_e32 vcc_lo, 0, v1
	s_mov_b32 s1, exec_lo
	v_cmpx_nle_f32_e32 0, v1
	s_xor_b32 s23, exec_lo, s1
	s_cbranch_execz .LBB164_368
; %bb.365:
	v_cmp_gt_f32_e64 s0, 0x4b000000, |v1|
	v_cmp_lt_f32_e64 s1, 0x35000000, |v1|
	s_and_b32 s0, s0, s1
	s_and_saveexec_b32 s39, s0
	s_cbranch_execz .LBB164_367
; %bb.366:
	v_mul_f32_e64 v4, |v1|, 0.5
	s_mov_b32 s1, 0x3d4be544
	v_floor_f32_e32 v5, v4
	v_cmp_neq_f32_e64 s0, 0x7f800000, v4
	v_sub_f32_e32 v5, v4, v5
	v_min_f32_e32 v5, 0x3f7fffff, v5
	v_add_f32_e32 v5, v5, v5
	v_cndmask_b32_e64 v4, 0, v5, s0
	v_cmp_gt_f32_e64 s0, |v1|, 1.0
	v_cndmask_b32_e64 v4, |v1|, v4, s0
	s_mov_b32 s0, 0x3e75aa41
	v_add_f32_e32 v5, v4, v4
	v_rndne_f32_e32 v5, v5
	v_fmac_f32_e32 v4, -0.5, v5
	v_cvt_i32_f32_e32 v5, v5
	v_mul_f32_e32 v6, v4, v4
	v_fmaak_f32 v7, s0, v6, 0xbf1f24be
	v_fmaak_f32 v9, s1, v6, 0x3e642e9d
	v_mul_f32_e32 v10, v4, v6
	v_fmaak_f32 v7, v6, v7, 0x40234736
	v_fmaak_f32 v9, v6, v9, 0xbfaad1da
	;; [unrolled: 1-line block ×4, first 2 shown]
	v_mul_f32_e32 v7, v10, v7
	v_fmaak_f32 v9, v6, v9, 0xc09de9e6
	v_and_b32_e32 v10, 1, v5
	v_lshlrev_b32_e32 v5, 30, v5
	v_fmamk_f32 v4, v4, 0x40490fdb, v7
	v_fma_f32 v6, v6, v9, 1.0
	v_cmp_eq_u32_e64 s0, 0, v10
	v_and_or_b32 v2, 0x80000000, v5, v2
	v_cndmask_b32_e64 v4, v6, v4, s0
	v_xor3_b32 v2, v2, v4, v1
	v_mul_f32_e32 v2, v1, v2
	v_frexp_mant_f32_e64 v4, |v2|
	v_frexp_exp_i32_f32_e32 v2, v2
	v_rcp_f32_e32 v4, v4
	v_sub_nc_u32_e32 v2, 2, v2
	v_mul_f32_e32 v4, 0x3f490fdb, v4
	v_ldexp_f32 v2, v4, v2
	v_cmp_gt_f32_e64 s0, 0x800000, v2
	v_cndmask_b32_e64 v4, 0, 32, s0
	v_ldexp_f32 v2, v2, v4
	v_log_f32_e32 v2, v2
	v_mul_f32_e32 v4, 0x3f317217, v2
	v_cmp_gt_f32_e64 s1, 0x7f800000, |v2|
	v_fma_f32 v5, 0x3f317217, v2, -v4
	v_fmamk_f32 v5, v2, 0x3377d1cf, v5
	v_add_f32_e32 v4, v4, v5
	v_floor_f32_e32 v5, v1
	v_cndmask_b32_e64 v2, v2, v4, s1
	v_cndmask_b32_e64 v4, 0, 0x41b17218, s0
	v_sub_f32_e32 v5, v1, v5
	v_sub_f32_e32 v2, v2, v4
	v_min_f32_e32 v4, 0x3f7fffff, v5
	v_sub_f32_e32 v2, v2, v3
	v_cmp_neq_f32_e64 s0, 0, v4
	v_cndmask_b32_e64 v3, 0x7f800000, v2, s0
.LBB164_367:
	s_or_b32 exec_lo, exec_lo, s39
.LBB164_368:
	s_andn2_saveexec_b32 s23, s23
; %bb.369:
	v_cmp_eq_f32_e64 s0, 1.0, v1
	v_cmp_eq_f32_e64 s1, 2.0, v1
	s_or_b32 s0, s0, s1
	v_cndmask_b32_e64 v3, v3, 0, s0
; %bb.370:
	s_or_b32 exec_lo, exec_lo, s23
	v_cmp_gt_f32_e64 s0, 0x4b000000, |v1|
	s_and_b32 s1, s29, 0xff
	s_or_b32 vcc_lo, vcc_lo, s0
	v_cmp_class_f32_e64 s0, v1, 0x264
	v_cndmask_b32_e32 v2, 0x7f800000, v3, vcc_lo
	v_cmp_u_f32_e32 vcc_lo, v1, v1
	v_mov_b32_e32 v3, 0x7fc0
	s_cmp_lt_i32 s1, 11
	v_cndmask_b32_e64 v2, v2, 0x7f800000, s0
	v_add_co_u32 v0, s0, s8, v0
	v_cndmask_b32_e32 v1, v2, v1, vcc_lo
	v_bfe_u32 v2, v1, 16, 1
	v_cmp_o_f32_e32 vcc_lo, v1, v1
	v_add3_u32 v2, v1, v2, 0x7fff
	v_add_co_ci_u32_e64 v1, null, s9, 0, s0
	v_cndmask_b32_sdwa v2, v3, v2, vcc_lo dst_sel:DWORD dst_unused:UNUSED_PAD src0_sel:DWORD src1_sel:WORD_1
	s_cbranch_scc1 .LBB164_378
; %bb.371:
	s_and_b32 s23, 0xffff, s1
	s_cmp_gt_i32 s23, 25
	s_cbranch_scc0 .LBB164_380
; %bb.372:
	s_cmp_gt_i32 s23, 28
	s_cbranch_scc0 .LBB164_382
; %bb.373:
	;; [unrolled: 3-line block ×4, first 2 shown]
	s_mov_b32 s40, 0
	s_mov_b32 s0, -1
	s_cmp_eq_u32 s23, 46
	s_mov_b32 s39, 0
	s_cbranch_scc0 .LBB164_395
; %bb.376:
	v_and_b32_e32 v3, 0xffff, v2
	s_mov_b32 s39, -1
	s_mov_b32 s0, 0
	global_store_dword v[0:1], v3, off
	s_branch .LBB164_395
.LBB164_377:
	s_mov_b32 s23, -1
	s_mov_b32 s1, 0
	s_mov_b32 s22, s37
                                        ; implicit-def: $vgpr3
	s_branch .LBB164_532
.LBB164_378:
	s_mov_b32 s23, -1
	s_mov_b32 s39, 0
	s_mov_b32 s0, s36
	s_branch .LBB164_464
.LBB164_379:
	s_mov_b32 s23, -1
	s_mov_b32 s1, 0
	s_mov_b32 s22, s37
                                        ; implicit-def: $vgpr3
	s_branch .LBB164_513
.LBB164_380:
	s_mov_b32 s40, -1
	s_mov_b32 s39, 0
	s_mov_b32 s0, s36
	s_branch .LBB164_422
.LBB164_381:
	s_mov_b32 s23, -1
	s_mov_b32 s1, 0
	s_mov_b32 s22, s37
                                        ; implicit-def: $vgpr3
	s_branch .LBB164_508
.LBB164_382:
	s_mov_b32 s40, -1
	s_mov_b32 s39, 0
	s_mov_b32 s0, s36
	s_branch .LBB164_405
.LBB164_383:
	s_andn2_saveexec_b32 s40, s40
	s_cbranch_execz .LBB164_106
.LBB164_384:
	v_add_f32_e64 v4, 0x46000000, |v5|
	s_andn2_b32 s37, s37, exec_lo
	v_and_b32_e32 v4, 0xff, v4
	v_cmp_ne_u32_e32 vcc_lo, 0, v4
	s_and_b32 s41, vcc_lo, exec_lo
	s_or_b32 s37, s37, s41
	s_or_b32 exec_lo, exec_lo, s40
	v_mov_b32_e32 v6, 0
	s_and_saveexec_b32 s40, s37
	s_cbranch_execnz .LBB164_107
	s_branch .LBB164_108
.LBB164_385:
	s_mov_b32 s23, -1
	s_mov_b32 s1, 0
	s_mov_b32 s22, s37
	s_branch .LBB164_390
.LBB164_386:
	s_mov_b32 s40, -1
	s_mov_b32 s39, 0
	s_mov_b32 s0, s36
	s_branch .LBB164_401
.LBB164_387:
	s_andn2_saveexec_b32 s40, s40
	s_cbranch_execz .LBB164_119
.LBB164_388:
	v_add_f32_e64 v4, 0x42800000, |v5|
	s_andn2_b32 s37, s37, exec_lo
	v_and_b32_e32 v4, 0xff, v4
	v_cmp_ne_u32_e32 vcc_lo, 0, v4
	s_and_b32 s41, vcc_lo, exec_lo
	s_or_b32 s37, s37, s41
	s_or_b32 exec_lo, exec_lo, s40
	v_mov_b32_e32 v6, 0
	s_and_saveexec_b32 s40, s37
	s_cbranch_execnz .LBB164_120
	s_branch .LBB164_121
.LBB164_389:
	s_mov_b32 s22, -1
	s_mov_b32 s1, 0
.LBB164_390:
                                        ; implicit-def: $vgpr3
.LBB164_391:
	s_and_b32 vcc_lo, exec_lo, s23
	s_cbranch_vccz .LBB164_507
; %bb.392:
	s_cmp_eq_u32 s0, 44
	s_cbranch_scc0 .LBB164_506
; %bb.393:
	global_load_ubyte v3, v[1:2], off
	s_mov_b32 s22, 0
	s_mov_b32 s1, -1
	s_waitcnt vmcnt(0)
	v_lshlrev_b32_e32 v4, 23, v3
	v_cmp_ne_u32_e32 vcc_lo, 0xff, v3
	v_cndmask_b32_e32 v4, 0x7f800001, v4, vcc_lo
	v_cmp_ne_u32_e32 vcc_lo, 0, v3
	v_cndmask_b32_e32 v3, 0x400000, v4, vcc_lo
	v_mov_b32_e32 v4, 0x7fc0
	v_cmp_o_f32_e32 vcc_lo, v3, v3
	v_add_nc_u32_e32 v3, 0x7fff, v3
	v_cndmask_b32_sdwa v3, v4, v3, vcc_lo dst_sel:DWORD dst_unused:UNUSED_PAD src0_sel:DWORD src1_sel:WORD_1
	s_branch .LBB164_507
.LBB164_394:
	s_mov_b32 s40, -1
	s_mov_b32 s39, 0
	s_mov_b32 s0, s36
.LBB164_395:
	s_and_b32 vcc_lo, exec_lo, s40
	s_cbranch_vccz .LBB164_400
; %bb.396:
	s_cmp_eq_u32 s23, 44
	s_mov_b32 s0, -1
	s_cbranch_scc0 .LBB164_400
; %bb.397:
	v_and_b32_e32 v3, 0xffff, v2
	v_mov_b32_e32 v4, 0xff
	s_mov_b32 s39, exec_lo
	v_bfe_u32 v5, v3, 7, 8
	v_cmpx_ne_u32_e32 0xff, v5
	s_cbranch_execz .LBB164_399
; %bb.398:
	v_lshlrev_b32_e32 v4, 16, v3
	v_and_b32_e32 v6, 64, v3
	v_lshrrev_b32_e32 v3, 7, v3
	v_and_or_b32 v4, 0x3f0000, v4, v5
	v_cmp_ne_u32_e32 vcc_lo, 0, v6
	v_cmp_ne_u32_e64 s0, 0, v4
	s_and_b32 s0, vcc_lo, s0
	v_cndmask_b32_e64 v4, 0, 1, s0
	v_add_nc_u32_e32 v4, v3, v4
.LBB164_399:
	s_or_b32 exec_lo, exec_lo, s39
	s_mov_b32 s39, -1
	s_mov_b32 s0, 0
	global_store_byte v[0:1], v4, off
.LBB164_400:
	s_mov_b32 s40, 0
.LBB164_401:
	s_and_b32 vcc_lo, exec_lo, s40
	s_cbranch_vccz .LBB164_404
; %bb.402:
	s_cmp_eq_u32 s23, 29
	s_mov_b32 s0, -1
	s_cbranch_scc0 .LBB164_404
; %bb.403:
	v_lshlrev_b32_e32 v3, 16, v2
	s_mov_b32 s39, -1
	s_mov_b32 s0, 0
	s_mov_b32 s40, 0
	v_trunc_f32_e32 v3, v3
	v_mul_f32_e32 v4, 0x2f800000, v3
	v_floor_f32_e32 v4, v4
	v_fmamk_f32 v3, v4, 0xcf800000, v3
	v_cvt_u32_f32_e32 v4, v4
	v_cvt_u32_f32_e32 v3, v3
	global_store_dwordx2 v[0:1], v[3:4], off
	s_branch .LBB164_405
.LBB164_404:
	s_mov_b32 s40, 0
.LBB164_405:
	s_and_b32 vcc_lo, exec_lo, s40
	s_cbranch_vccz .LBB164_421
; %bb.406:
	s_cmp_lt_i32 s23, 27
	s_mov_b32 s39, -1
	s_cbranch_scc1 .LBB164_412
; %bb.407:
	s_cmp_gt_i32 s23, 27
	s_cbranch_scc0 .LBB164_409
; %bb.408:
	v_lshlrev_b32_e32 v3, 16, v2
	s_mov_b32 s39, 0
	v_cvt_u32_f32_e32 v3, v3
	global_store_dword v[0:1], v3, off
.LBB164_409:
	s_andn2_b32 vcc_lo, exec_lo, s39
	s_cbranch_vccnz .LBB164_411
; %bb.410:
	v_lshlrev_b32_e32 v3, 16, v2
	v_cvt_u32_f32_e32 v3, v3
	global_store_short v[0:1], v3, off
.LBB164_411:
	s_mov_b32 s39, 0
.LBB164_412:
	s_andn2_b32 vcc_lo, exec_lo, s39
	s_cbranch_vccnz .LBB164_420
; %bb.413:
	v_lshlrev_b32_e32 v5, 16, v2
	v_mov_b32_e32 v6, 0x80
	s_mov_b32 s39, exec_lo
	v_and_b32_e32 v4, 0x7fffffff, v5
	v_cmpx_gt_u32_e32 0x43800000, v4
	s_cbranch_execz .LBB164_419
; %bb.414:
	v_and_b32_e32 v3, 0xffff, v2
	v_cmp_lt_u32_e32 vcc_lo, 0x3bffffff, v4
	s_mov_b32 s40, 0
                                        ; implicit-def: $vgpr4
	s_and_saveexec_b32 s42, vcc_lo
	s_xor_b32 s42, exec_lo, s42
	s_cbranch_execz .LBB164_647
; %bb.415:
	v_bfe_u32 v4, v3, 4, 1
	s_mov_b32 s40, exec_lo
	v_add3_u32 v4, v5, v4, 0x487ffff
                                        ; implicit-def: $vgpr5
	v_lshrrev_b32_e32 v4, 20, v4
	s_andn2_saveexec_b32 s42, s42
	s_cbranch_execnz .LBB164_648
.LBB164_416:
	s_or_b32 exec_lo, exec_lo, s42
	v_mov_b32_e32 v6, 0
	s_and_saveexec_b32 s42, s40
.LBB164_417:
	v_lshrrev_b32_e32 v3, 8, v3
	v_and_or_b32 v6, 0x80, v3, v4
.LBB164_418:
	s_or_b32 exec_lo, exec_lo, s42
.LBB164_419:
	s_or_b32 exec_lo, exec_lo, s39
	global_store_byte v[0:1], v6, off
.LBB164_420:
	s_mov_b32 s39, -1
.LBB164_421:
	s_mov_b32 s40, 0
.LBB164_422:
	s_and_b32 vcc_lo, exec_lo, s40
	s_cbranch_vccz .LBB164_463
; %bb.423:
	s_cmp_gt_i32 s23, 22
	s_mov_b32 s40, -1
	s_cbranch_scc0 .LBB164_455
; %bb.424:
	s_cmp_lt_i32 s23, 24
	s_mov_b32 s39, -1
	s_cbranch_scc1 .LBB164_444
; %bb.425:
	s_cmp_gt_i32 s23, 24
	s_cbranch_scc0 .LBB164_433
; %bb.426:
	v_lshlrev_b32_e32 v5, 16, v2
	v_mov_b32_e32 v6, 0x80
	s_mov_b32 s39, exec_lo
	v_and_b32_e32 v4, 0x7fffffff, v5
	v_cmpx_gt_u32_e32 0x47800000, v4
	s_cbranch_execz .LBB164_432
; %bb.427:
	v_and_b32_e32 v3, 0xffff, v2
	v_cmp_lt_u32_e32 vcc_lo, 0x37ffffff, v4
	s_mov_b32 s40, 0
                                        ; implicit-def: $vgpr4
	s_and_saveexec_b32 s42, vcc_lo
	s_xor_b32 s42, exec_lo, s42
	s_cbranch_execz .LBB164_650
; %bb.428:
	v_bfe_u32 v4, v3, 5, 1
	s_mov_b32 s40, exec_lo
	v_add3_u32 v4, v5, v4, 0x88fffff
                                        ; implicit-def: $vgpr5
	v_lshrrev_b32_e32 v4, 21, v4
	s_andn2_saveexec_b32 s42, s42
	s_cbranch_execnz .LBB164_651
.LBB164_429:
	s_or_b32 exec_lo, exec_lo, s42
	v_mov_b32_e32 v6, 0
	s_and_saveexec_b32 s42, s40
.LBB164_430:
	v_lshrrev_b32_e32 v3, 8, v3
	v_and_or_b32 v6, 0x80, v3, v4
.LBB164_431:
	s_or_b32 exec_lo, exec_lo, s42
.LBB164_432:
	s_or_b32 exec_lo, exec_lo, s39
	s_mov_b32 s39, 0
	global_store_byte v[0:1], v6, off
.LBB164_433:
	s_and_b32 vcc_lo, exec_lo, s39
	s_cbranch_vccz .LBB164_443
; %bb.434:
	v_lshlrev_b32_e32 v5, 16, v2
	v_and_b32_e32 v3, 0xffff, v2
	s_mov_b32 s39, exec_lo
                                        ; implicit-def: $vgpr4
	v_and_b32_e32 v6, 0x7fffffff, v5
	v_cmpx_gt_u32_e32 0x43f00000, v6
	s_xor_b32 s39, exec_lo, s39
	s_cbranch_execz .LBB164_440
; %bb.435:
	s_mov_b32 s40, exec_lo
                                        ; implicit-def: $vgpr4
	v_cmpx_lt_u32_e32 0x3c7fffff, v6
	s_xor_b32 s40, exec_lo, s40
; %bb.436:
	v_bfe_u32 v4, v3, 4, 1
	v_add3_u32 v4, v5, v4, 0x407ffff
	v_and_b32_e32 v5, 0xff00000, v4
	v_lshrrev_b32_e32 v4, 20, v4
	v_cmp_ne_u32_e32 vcc_lo, 0x7f00000, v5
                                        ; implicit-def: $vgpr5
	v_cndmask_b32_e32 v4, 0x7e, v4, vcc_lo
; %bb.437:
	s_andn2_saveexec_b32 s40, s40
; %bb.438:
	v_add_f32_e64 v4, 0x46800000, |v5|
; %bb.439:
	s_or_b32 exec_lo, exec_lo, s40
                                        ; implicit-def: $vgpr6
.LBB164_440:
	s_andn2_saveexec_b32 s39, s39
; %bb.441:
	v_mov_b32_e32 v4, 0x7f
	v_cmp_lt_u32_e32 vcc_lo, 0x7f800000, v6
	v_cndmask_b32_e32 v4, 0x7e, v4, vcc_lo
; %bb.442:
	s_or_b32 exec_lo, exec_lo, s39
	v_lshrrev_b32_e32 v3, 8, v3
	v_and_or_b32 v3, 0x80, v3, v4
	global_store_byte v[0:1], v3, off
.LBB164_443:
	s_mov_b32 s39, 0
.LBB164_444:
	s_andn2_b32 vcc_lo, exec_lo, s39
	s_cbranch_vccnz .LBB164_454
; %bb.445:
	v_lshlrev_b32_e32 v5, 16, v2
	v_and_b32_e32 v3, 0xffff, v2
	s_mov_b32 s39, exec_lo
                                        ; implicit-def: $vgpr4
	v_and_b32_e32 v6, 0x7fffffff, v5
	v_cmpx_gt_u32_e32 0x47800000, v6
	s_xor_b32 s39, exec_lo, s39
	s_cbranch_execz .LBB164_451
; %bb.446:
	s_mov_b32 s40, exec_lo
                                        ; implicit-def: $vgpr4
	v_cmpx_lt_u32_e32 0x387fffff, v6
	s_xor_b32 s40, exec_lo, s40
; %bb.447:
	v_bfe_u32 v4, v3, 5, 1
	v_add3_u32 v4, v5, v4, 0x80fffff
                                        ; implicit-def: $vgpr5
	v_lshrrev_b32_e32 v4, 21, v4
; %bb.448:
	s_andn2_saveexec_b32 s40, s40
; %bb.449:
	v_add_f32_e64 v4, 0x43000000, |v5|
; %bb.450:
	s_or_b32 exec_lo, exec_lo, s40
                                        ; implicit-def: $vgpr6
.LBB164_451:
	s_andn2_saveexec_b32 s39, s39
; %bb.452:
	v_mov_b32_e32 v4, 0x7f
	v_cmp_lt_u32_e32 vcc_lo, 0x7f800000, v6
	v_cndmask_b32_e32 v4, 0x7c, v4, vcc_lo
; %bb.453:
	s_or_b32 exec_lo, exec_lo, s39
	v_lshrrev_b32_e32 v3, 8, v3
	v_and_or_b32 v3, 0x80, v3, v4
	global_store_byte v[0:1], v3, off
.LBB164_454:
	s_mov_b32 s40, 0
	s_mov_b32 s39, -1
.LBB164_455:
	s_andn2_b32 vcc_lo, exec_lo, s40
	s_cbranch_vccnz .LBB164_463
; %bb.456:
	s_cmp_gt_i32 s23, 14
	s_mov_b32 s40, -1
	s_cbranch_scc0 .LBB164_460
; %bb.457:
	s_cmp_eq_u32 s23, 15
	s_mov_b32 s0, -1
	s_cbranch_scc0 .LBB164_459
; %bb.458:
	s_mov_b32 s39, -1
	s_mov_b32 s0, 0
	global_store_short v[0:1], v2, off
.LBB164_459:
	s_mov_b32 s40, 0
.LBB164_460:
	s_and_b32 vcc_lo, exec_lo, s40
	s_cbranch_vccz .LBB164_463
; %bb.461:
	s_cmp_eq_u32 s23, 11
	s_mov_b32 s0, -1
	s_cbranch_scc0 .LBB164_463
; %bb.462:
	v_and_b32_e32 v3, 0x7fff, v2
	s_mov_b32 s0, 0
	s_mov_b32 s39, -1
	v_cmp_ne_u16_e32 vcc_lo, 0, v3
	v_cndmask_b32_e64 v3, 0, 1, vcc_lo
	global_store_byte v[0:1], v3, off
.LBB164_463:
	s_mov_b32 s23, 0
.LBB164_464:
	s_and_b32 vcc_lo, exec_lo, s23
	s_cbranch_vccz .LBB164_503
; %bb.465:
	s_and_b32 s1, 0xffff, s1
	s_mov_b32 s23, -1
	s_cmp_lt_i32 s1, 5
	s_cbranch_scc1 .LBB164_486
; %bb.466:
	s_cmp_lt_i32 s1, 8
	s_cbranch_scc1 .LBB164_476
; %bb.467:
	;; [unrolled: 3-line block ×3, first 2 shown]
	s_cmp_gt_i32 s1, 9
	s_cbranch_scc0 .LBB164_470
; %bb.469:
	v_lshlrev_b32_e32 v3, 16, v2
	v_mov_b32_e32 v5, 0
	s_mov_b32 s23, 0
	v_cvt_f64_f32_e32 v[3:4], v3
	v_mov_b32_e32 v6, v5
	global_store_dwordx4 v[0:1], v[3:6], off
.LBB164_470:
	s_andn2_b32 vcc_lo, exec_lo, s23
	s_cbranch_vccnz .LBB164_472
; %bb.471:
	v_lshlrev_b32_e32 v3, 16, v2
	v_mov_b32_e32 v4, 0
	global_store_dwordx2 v[0:1], v[3:4], off
.LBB164_472:
	s_mov_b32 s23, 0
.LBB164_473:
	s_andn2_b32 vcc_lo, exec_lo, s23
	s_cbranch_vccnz .LBB164_475
; %bb.474:
	v_lshlrev_b32_e32 v3, 16, v2
	v_cvt_f16_f32_e32 v3, v3
	v_and_b32_e32 v3, 0xffff, v3
	global_store_dword v[0:1], v3, off
.LBB164_475:
	s_mov_b32 s23, 0
.LBB164_476:
	s_andn2_b32 vcc_lo, exec_lo, s23
	s_cbranch_vccnz .LBB164_485
; %bb.477:
	s_cmp_lt_i32 s1, 6
	s_mov_b32 s23, -1
	s_cbranch_scc1 .LBB164_483
; %bb.478:
	s_cmp_gt_i32 s1, 6
	s_cbranch_scc0 .LBB164_480
; %bb.479:
	v_lshlrev_b32_e32 v3, 16, v2
	s_mov_b32 s23, 0
	v_cvt_f64_f32_e32 v[3:4], v3
	global_store_dwordx2 v[0:1], v[3:4], off
.LBB164_480:
	s_andn2_b32 vcc_lo, exec_lo, s23
	s_cbranch_vccnz .LBB164_482
; %bb.481:
	v_lshlrev_b32_e32 v3, 16, v2
	global_store_dword v[0:1], v3, off
.LBB164_482:
	s_mov_b32 s23, 0
.LBB164_483:
	s_andn2_b32 vcc_lo, exec_lo, s23
	s_cbranch_vccnz .LBB164_485
; %bb.484:
	v_lshlrev_b32_e32 v3, 16, v2
	v_cvt_f16_f32_e32 v3, v3
	global_store_short v[0:1], v3, off
.LBB164_485:
	s_mov_b32 s23, 0
.LBB164_486:
	s_andn2_b32 vcc_lo, exec_lo, s23
	s_cbranch_vccnz .LBB164_502
; %bb.487:
	s_cmp_lt_i32 s1, 2
	s_mov_b32 s23, -1
	s_cbranch_scc1 .LBB164_497
; %bb.488:
	s_cmp_lt_i32 s1, 3
	s_cbranch_scc1 .LBB164_494
; %bb.489:
	s_cmp_gt_i32 s1, 3
	s_cbranch_scc0 .LBB164_491
; %bb.490:
	v_lshlrev_b32_e32 v3, 16, v2
	s_mov_b32 s23, 0
	v_trunc_f32_e32 v3, v3
	v_mul_f32_e64 v4, 0x2f800000, |v3|
	v_ashrrev_i32_e32 v6, 31, v3
	v_floor_f32_e32 v4, v4
	v_fma_f32 v5, 0xcf800000, v4, |v3|
	v_cvt_u32_f32_e32 v4, v4
	v_cvt_u32_f32_e32 v3, v5
	v_xor_b32_e32 v4, v4, v6
	v_xor_b32_e32 v3, v3, v6
	v_sub_co_u32 v3, vcc_lo, v3, v6
	v_sub_co_ci_u32_e64 v4, null, v4, v6, vcc_lo
	global_store_dwordx2 v[0:1], v[3:4], off
.LBB164_491:
	s_andn2_b32 vcc_lo, exec_lo, s23
	s_cbranch_vccnz .LBB164_493
; %bb.492:
	v_lshlrev_b32_e32 v3, 16, v2
	v_cvt_i32_f32_e32 v3, v3
	global_store_dword v[0:1], v3, off
.LBB164_493:
	s_mov_b32 s23, 0
.LBB164_494:
	s_andn2_b32 vcc_lo, exec_lo, s23
	s_cbranch_vccnz .LBB164_496
; %bb.495:
	v_lshlrev_b32_e32 v3, 16, v2
	v_cvt_i32_f32_e32 v3, v3
	global_store_short v[0:1], v3, off
.LBB164_496:
	s_mov_b32 s23, 0
.LBB164_497:
	s_andn2_b32 vcc_lo, exec_lo, s23
	s_cbranch_vccnz .LBB164_502
; %bb.498:
	v_lshlrev_b32_e32 v2, 16, v2
	s_cmp_gt_i32 s1, 0
	s_mov_b32 s1, -1
	s_cbranch_scc0 .LBB164_500
; %bb.499:
	v_cvt_i32_f32_e32 v3, v2
	s_mov_b32 s1, 0
	global_store_byte v[0:1], v3, off
.LBB164_500:
	s_andn2_b32 vcc_lo, exec_lo, s1
	s_cbranch_vccnz .LBB164_502
; %bb.501:
	v_trunc_f32_e32 v2, v2
	v_mul_f32_e64 v3, 0x2f800000, |v2|
	v_floor_f32_e32 v3, v3
	v_fma_f32 v3, 0xcf800000, v3, |v2|
	v_ashrrev_i32_e32 v2, 31, v2
	v_cvt_u32_f32_e32 v3, v3
	v_xor_b32_e32 v3, v3, v2
	v_sub_nc_u32_e32 v2, v3, v2
	global_store_byte v[0:1], v2, off
.LBB164_502:
	s_mov_b32 s39, -1
.LBB164_503:
	s_andn2_b32 vcc_lo, exec_lo, s39
	s_cbranch_vccnz .LBB164_505
; %bb.504:
	v_add_nc_u32_e32 v8, 0x80, v8
	s_mov_b32 s1, -1
	s_branch .LBB164_618
.LBB164_505:
	s_mov_b32 s1, 0
	s_branch .LBB164_617
.LBB164_506:
	s_mov_b32 s22, -1
                                        ; implicit-def: $vgpr3
.LBB164_507:
	s_mov_b32 s23, 0
.LBB164_508:
	s_and_b32 vcc_lo, exec_lo, s23
	s_cbranch_vccz .LBB164_512
; %bb.509:
	s_cmp_eq_u32 s0, 29
	s_cbranch_scc0 .LBB164_511
; %bb.510:
	global_load_dwordx2 v[3:4], v[1:2], off
	s_mov_b32 s1, -1
	s_mov_b32 s22, 0
	s_mov_b32 s23, 0
	s_waitcnt vmcnt(0)
	v_ffbh_u32_e32 v5, v4
	v_min_u32_e32 v5, 32, v5
	v_lshlrev_b64 v[3:4], v5, v[3:4]
	v_min_u32_e32 v3, 1, v3
	v_or_b32_e32 v3, v4, v3
	v_sub_nc_u32_e32 v4, 32, v5
	v_cvt_f32_u32_e32 v3, v3
	v_ldexp_f32 v3, v3, v4
	v_bfe_u32 v4, v3, 16, 1
	v_add3_u32 v3, v3, v4, 0x7fff
	v_lshrrev_b32_e32 v3, 16, v3
	s_branch .LBB164_513
.LBB164_511:
	s_mov_b32 s22, -1
                                        ; implicit-def: $vgpr3
.LBB164_512:
	s_mov_b32 s23, 0
.LBB164_513:
	s_and_b32 vcc_lo, exec_lo, s23
	s_cbranch_vccz .LBB164_531
; %bb.514:
	s_cmp_lt_i32 s0, 27
	s_cbranch_scc1 .LBB164_517
; %bb.515:
	s_cmp_gt_i32 s0, 27
	s_cbranch_scc0 .LBB164_518
; %bb.516:
	global_load_dword v3, v[1:2], off
	s_mov_b32 s1, 0
	s_waitcnt vmcnt(0)
	v_cvt_f32_u32_e32 v3, v3
	v_bfe_u32 v4, v3, 16, 1
	v_add3_u32 v3, v3, v4, 0x7fff
	v_lshrrev_b32_e32 v3, 16, v3
	s_branch .LBB164_519
.LBB164_517:
	s_mov_b32 s1, -1
                                        ; implicit-def: $vgpr3
	s_branch .LBB164_522
.LBB164_518:
	s_mov_b32 s1, -1
                                        ; implicit-def: $vgpr3
.LBB164_519:
	s_andn2_b32 vcc_lo, exec_lo, s1
	s_cbranch_vccnz .LBB164_521
; %bb.520:
	global_load_ushort v3, v[1:2], off
	s_waitcnt vmcnt(0)
	v_cvt_f32_u32_e32 v3, v3
	v_bfe_u32 v4, v3, 16, 1
	v_add3_u32 v3, v3, v4, 0x7fff
	v_lshrrev_b32_e32 v3, 16, v3
.LBB164_521:
	s_mov_b32 s1, 0
.LBB164_522:
	s_andn2_b32 vcc_lo, exec_lo, s1
	s_cbranch_vccnz .LBB164_530
; %bb.523:
	global_load_ubyte v3, v[1:2], off
	s_mov_b32 s1, 0
	s_mov_b32 s23, exec_lo
	s_waitcnt vmcnt(0)
	v_cmpx_lt_i16_e32 0x7f, v3
	s_xor_b32 s23, exec_lo, s23
	s_cbranch_execz .LBB164_544
; %bb.524:
	s_mov_b32 s1, -1
	s_mov_b32 s39, exec_lo
	v_cmpx_eq_u16_e32 0x80, v3
; %bb.525:
	s_xor_b32 s1, exec_lo, -1
; %bb.526:
	s_or_b32 exec_lo, exec_lo, s39
	s_and_b32 s1, s1, exec_lo
	s_or_saveexec_b32 s23, s23
	v_mov_b32_e32 v4, 0x7f800001
	s_xor_b32 exec_lo, exec_lo, s23
	s_cbranch_execnz .LBB164_545
.LBB164_527:
	s_or_b32 exec_lo, exec_lo, s23
	s_and_saveexec_b32 s23, s1
	s_cbranch_execz .LBB164_529
.LBB164_528:
	v_and_b32_e32 v4, 0xffff, v3
	v_lshlrev_b32_e32 v3, 24, v3
	v_and_b32_e32 v5, 7, v4
	v_bfe_u32 v9, v4, 3, 4
	v_and_b32_e32 v3, 0x80000000, v3
	v_ffbh_u32_e32 v6, v5
	v_cmp_eq_u32_e32 vcc_lo, 0, v9
	v_min_u32_e32 v6, 32, v6
	v_subrev_nc_u32_e32 v7, 28, v6
	v_sub_nc_u32_e32 v6, 29, v6
	v_lshlrev_b32_e32 v4, v7, v4
	v_cndmask_b32_e32 v6, v9, v6, vcc_lo
	v_and_b32_e32 v4, 7, v4
	v_cndmask_b32_e32 v4, v5, v4, vcc_lo
	v_lshl_add_u32 v5, v6, 23, 0x3b800000
	v_lshlrev_b32_e32 v4, 20, v4
	v_or3_b32 v4, v3, v5, v4
.LBB164_529:
	s_or_b32 exec_lo, exec_lo, s23
	v_bfe_u32 v3, v4, 16, 1
	v_cmp_o_f32_e32 vcc_lo, v4, v4
	v_add3_u32 v3, v4, v3, 0x7fff
	v_mov_b32_e32 v4, 0x7fc0
	v_cndmask_b32_sdwa v3, v4, v3, vcc_lo dst_sel:DWORD dst_unused:UNUSED_PAD src0_sel:DWORD src1_sel:WORD_1
.LBB164_530:
	s_mov_b32 s1, -1
.LBB164_531:
	s_mov_b32 s23, 0
.LBB164_532:
	s_and_b32 vcc_lo, exec_lo, s23
	s_cbranch_vccz .LBB164_567
; %bb.533:
	s_cmp_gt_i32 s0, 22
	s_cbranch_scc0 .LBB164_543
; %bb.534:
	s_cmp_lt_i32 s0, 24
	s_cbranch_scc1 .LBB164_546
; %bb.535:
	s_cmp_gt_i32 s0, 24
	s_cbranch_scc0 .LBB164_547
; %bb.536:
	global_load_ubyte v3, v[1:2], off
	s_mov_b32 s1, 0
	s_mov_b32 s23, exec_lo
	s_waitcnt vmcnt(0)
	v_cmpx_lt_i16_e32 0x7f, v3
	s_xor_b32 s23, exec_lo, s23
	s_cbranch_execz .LBB164_559
; %bb.537:
	s_mov_b32 s1, -1
	s_mov_b32 s39, exec_lo
	v_cmpx_eq_u16_e32 0x80, v3
; %bb.538:
	s_xor_b32 s1, exec_lo, -1
; %bb.539:
	s_or_b32 exec_lo, exec_lo, s39
	s_and_b32 s1, s1, exec_lo
	s_or_saveexec_b32 s23, s23
	v_mov_b32_e32 v4, 0x7f800001
	s_xor_b32 exec_lo, exec_lo, s23
	s_cbranch_execnz .LBB164_560
.LBB164_540:
	s_or_b32 exec_lo, exec_lo, s23
	s_and_saveexec_b32 s23, s1
	s_cbranch_execz .LBB164_542
.LBB164_541:
	v_and_b32_e32 v4, 0xffff, v3
	v_lshlrev_b32_e32 v3, 24, v3
	v_and_b32_e32 v5, 3, v4
	v_bfe_u32 v9, v4, 2, 5
	v_and_b32_e32 v3, 0x80000000, v3
	v_ffbh_u32_e32 v6, v5
	v_cmp_eq_u32_e32 vcc_lo, 0, v9
	v_min_u32_e32 v6, 32, v6
	v_subrev_nc_u32_e32 v7, 29, v6
	v_sub_nc_u32_e32 v6, 30, v6
	v_lshlrev_b32_e32 v4, v7, v4
	v_cndmask_b32_e32 v6, v9, v6, vcc_lo
	v_and_b32_e32 v4, 3, v4
	v_cndmask_b32_e32 v4, v5, v4, vcc_lo
	v_lshl_add_u32 v5, v6, 23, 0x37800000
	v_lshlrev_b32_e32 v4, 21, v4
	v_or3_b32 v4, v3, v5, v4
.LBB164_542:
	s_or_b32 exec_lo, exec_lo, s23
	v_bfe_u32 v3, v4, 16, 1
	v_cmp_o_f32_e32 vcc_lo, v4, v4
	s_mov_b32 s1, 0
	v_add3_u32 v3, v4, v3, 0x7fff
	v_mov_b32_e32 v4, 0x7fc0
	v_cndmask_b32_sdwa v3, v4, v3, vcc_lo dst_sel:DWORD dst_unused:UNUSED_PAD src0_sel:DWORD src1_sel:WORD_1
	s_branch .LBB164_548
.LBB164_543:
	s_mov_b32 s23, -1
                                        ; implicit-def: $vgpr3
	s_branch .LBB164_554
.LBB164_544:
	s_or_saveexec_b32 s23, s23
	v_mov_b32_e32 v4, 0x7f800001
	s_xor_b32 exec_lo, exec_lo, s23
	s_cbranch_execz .LBB164_527
.LBB164_545:
	v_cmp_ne_u16_e32 vcc_lo, 0, v3
	v_mov_b32_e32 v4, 0
	s_andn2_b32 s1, s1, exec_lo
	s_and_b32 s39, vcc_lo, exec_lo
	s_or_b32 s1, s1, s39
	s_or_b32 exec_lo, exec_lo, s23
	s_and_saveexec_b32 s23, s1
	s_cbranch_execnz .LBB164_528
	s_branch .LBB164_529
.LBB164_546:
	s_mov_b32 s1, -1
                                        ; implicit-def: $vgpr3
	s_branch .LBB164_551
.LBB164_547:
	s_mov_b32 s1, -1
                                        ; implicit-def: $vgpr3
.LBB164_548:
	s_and_b32 vcc_lo, exec_lo, s1
	s_cbranch_vccz .LBB164_550
; %bb.549:
	global_load_ubyte v3, v[1:2], off
	s_waitcnt vmcnt(0)
	v_lshlrev_b32_e32 v3, 24, v3
	v_and_b32_e32 v4, 0x7f000000, v3
	v_ffbh_u32_e32 v5, v4
	v_add_nc_u32_e32 v7, 0x1000000, v4
	v_cmp_ne_u32_e32 vcc_lo, 0, v4
	v_min_u32_e32 v5, 32, v5
	v_sub_nc_u32_e64 v5, v5, 4 clamp
	v_lshlrev_b32_e32 v6, v5, v4
	v_lshlrev_b32_e32 v5, 23, v5
	v_lshrrev_b32_e32 v6, 4, v6
	v_sub_nc_u32_e32 v5, v6, v5
	v_ashrrev_i32_e32 v6, 8, v7
	v_add_nc_u32_e32 v5, 0x3c000000, v5
	v_and_or_b32 v5, 0x7f800000, v6, v5
	v_cndmask_b32_e32 v4, 0, v5, vcc_lo
	v_and_or_b32 v3, 0x80000000, v3, v4
	v_bfe_u32 v4, v4, 16, 1
	v_cmp_o_f32_e32 vcc_lo, v3, v3
	v_add3_u32 v3, v3, v4, 0x7fff
	v_mov_b32_e32 v4, 0x7fc0
	v_cndmask_b32_sdwa v3, v4, v3, vcc_lo dst_sel:DWORD dst_unused:UNUSED_PAD src0_sel:DWORD src1_sel:WORD_1
.LBB164_550:
	s_mov_b32 s1, 0
.LBB164_551:
	s_andn2_b32 vcc_lo, exec_lo, s1
	s_cbranch_vccnz .LBB164_553
; %bb.552:
	global_load_ubyte v3, v[1:2], off
	s_waitcnt vmcnt(0)
	v_lshlrev_b32_e32 v4, 25, v3
	v_lshlrev_b16 v3, 8, v3
	v_lshrrev_b32_e32 v5, 4, v4
	v_and_or_b32 v6, 0x7f00, v3, 0.5
	v_cmp_gt_u32_e32 vcc_lo, 0x8000000, v4
	v_bfe_i32 v3, v3, 0, 16
	v_or_b32_e32 v5, 0x70000000, v5
	v_add_f32_e32 v6, -0.5, v6
	v_mul_f32_e32 v5, 0x7800000, v5
	v_cndmask_b32_e32 v4, v5, v6, vcc_lo
	v_and_or_b32 v3, 0x80000000, v3, v4
	v_bfe_u32 v4, v4, 16, 1
	v_cmp_o_f32_e32 vcc_lo, v3, v3
	v_add3_u32 v3, v3, v4, 0x7fff
	v_mov_b32_e32 v4, 0x7fc0
	v_cndmask_b32_sdwa v3, v4, v3, vcc_lo dst_sel:DWORD dst_unused:UNUSED_PAD src0_sel:DWORD src1_sel:WORD_1
.LBB164_553:
	s_mov_b32 s23, 0
	s_mov_b32 s1, -1
.LBB164_554:
	s_andn2_b32 vcc_lo, exec_lo, s23
	s_cbranch_vccnz .LBB164_567
; %bb.555:
	s_cmp_gt_i32 s0, 14
	s_cbranch_scc0 .LBB164_558
; %bb.556:
	s_cmp_eq_u32 s0, 15
	s_cbranch_scc0 .LBB164_561
; %bb.557:
	global_load_ushort v3, v[1:2], off
	s_mov_b32 s1, -1
	s_mov_b32 s22, 0
	s_branch .LBB164_562
.LBB164_558:
	s_mov_b32 s23, -1
                                        ; implicit-def: $vgpr3
	s_branch .LBB164_563
.LBB164_559:
	s_or_saveexec_b32 s23, s23
	v_mov_b32_e32 v4, 0x7f800001
	s_xor_b32 exec_lo, exec_lo, s23
	s_cbranch_execz .LBB164_540
.LBB164_560:
	v_cmp_ne_u16_e32 vcc_lo, 0, v3
	v_mov_b32_e32 v4, 0
	s_andn2_b32 s1, s1, exec_lo
	s_and_b32 s39, vcc_lo, exec_lo
	s_or_b32 s1, s1, s39
	s_or_b32 exec_lo, exec_lo, s23
	s_and_saveexec_b32 s23, s1
	s_cbranch_execnz .LBB164_541
	s_branch .LBB164_542
.LBB164_561:
	s_mov_b32 s22, -1
                                        ; implicit-def: $vgpr3
.LBB164_562:
	s_mov_b32 s23, 0
.LBB164_563:
	s_and_b32 vcc_lo, exec_lo, s23
	s_cbranch_vccz .LBB164_567
; %bb.564:
	s_cmp_eq_u32 s0, 11
	s_cbranch_scc0 .LBB164_566
; %bb.565:
	global_load_ubyte v3, v[1:2], off
	s_mov_b32 s22, 0
	s_mov_b32 s1, -1
	s_waitcnt vmcnt(0)
	v_cmp_ne_u16_e32 vcc_lo, 0, v3
	v_cndmask_b32_e64 v3, 0, 1.0, vcc_lo
	v_lshrrev_b32_e32 v3, 16, v3
	s_branch .LBB164_567
.LBB164_566:
	s_mov_b32 s22, -1
                                        ; implicit-def: $vgpr3
.LBB164_567:
	s_branch .LBB164_331
.LBB164_568:
	s_cmp_lt_i32 s0, 5
	s_cbranch_scc1 .LBB164_573
; %bb.569:
	s_cmp_lt_i32 s0, 8
	s_cbranch_scc1 .LBB164_574
; %bb.570:
	;; [unrolled: 3-line block ×3, first 2 shown]
	s_cmp_gt_i32 s0, 9
	s_cbranch_scc0 .LBB164_576
; %bb.572:
	global_load_dwordx2 v[3:4], v[1:2], off
	s_mov_b32 s1, 0
	s_waitcnt vmcnt(0)
	v_cvt_f32_f64_e32 v3, v[3:4]
	v_bfe_u32 v4, v3, 16, 1
	v_cmp_o_f32_e32 vcc_lo, v3, v3
	v_add3_u32 v3, v3, v4, 0x7fff
	v_mov_b32_e32 v4, 0x7fc0
	v_cndmask_b32_sdwa v3, v4, v3, vcc_lo dst_sel:DWORD dst_unused:UNUSED_PAD src0_sel:DWORD src1_sel:WORD_1
	s_branch .LBB164_577
.LBB164_573:
	s_mov_b32 s1, -1
                                        ; implicit-def: $vgpr3
	s_branch .LBB164_595
.LBB164_574:
	s_mov_b32 s1, -1
                                        ; implicit-def: $vgpr3
	s_branch .LBB164_583
.LBB164_575:
	s_mov_b32 s1, -1
                                        ; implicit-def: $vgpr3
	s_branch .LBB164_580
.LBB164_576:
	s_mov_b32 s1, -1
                                        ; implicit-def: $vgpr3
.LBB164_577:
	s_andn2_b32 vcc_lo, exec_lo, s1
	s_cbranch_vccnz .LBB164_579
; %bb.578:
	global_load_dword v3, v[1:2], off
	s_waitcnt vmcnt(0)
	v_bfe_u32 v4, v3, 16, 1
	v_cmp_o_f32_e32 vcc_lo, v3, v3
	v_add3_u32 v3, v3, v4, 0x7fff
	v_mov_b32_e32 v4, 0x7fc0
	v_cndmask_b32_sdwa v3, v4, v3, vcc_lo dst_sel:DWORD dst_unused:UNUSED_PAD src0_sel:DWORD src1_sel:WORD_1
.LBB164_579:
	s_mov_b32 s1, 0
.LBB164_580:
	s_andn2_b32 vcc_lo, exec_lo, s1
	s_cbranch_vccnz .LBB164_582
; %bb.581:
	global_load_dword v3, v[1:2], off
	s_waitcnt vmcnt(0)
	v_cvt_f32_f16_e32 v4, v3
	v_cmp_o_f16_e32 vcc_lo, v3, v3
	v_bfe_u32 v5, v4, 16, 1
	v_add3_u32 v3, v4, v5, 0x7fff
	v_mov_b32_e32 v4, 0x7fc0
	v_cndmask_b32_sdwa v3, v4, v3, vcc_lo dst_sel:DWORD dst_unused:UNUSED_PAD src0_sel:DWORD src1_sel:WORD_1
.LBB164_582:
	s_mov_b32 s1, 0
.LBB164_583:
	s_andn2_b32 vcc_lo, exec_lo, s1
	s_cbranch_vccnz .LBB164_594
; %bb.584:
	s_cmp_lt_i32 s0, 6
	s_cbranch_scc1 .LBB164_587
; %bb.585:
	s_cmp_gt_i32 s0, 6
	s_cbranch_scc0 .LBB164_588
; %bb.586:
	global_load_dwordx2 v[3:4], v[1:2], off
	s_mov_b32 s1, 0
	s_waitcnt vmcnt(0)
	v_cvt_f32_f64_e32 v3, v[3:4]
	v_bfe_u32 v4, v3, 16, 1
	v_cmp_o_f32_e32 vcc_lo, v3, v3
	v_add3_u32 v3, v3, v4, 0x7fff
	v_mov_b32_e32 v4, 0x7fc0
	v_cndmask_b32_sdwa v3, v4, v3, vcc_lo dst_sel:DWORD dst_unused:UNUSED_PAD src0_sel:DWORD src1_sel:WORD_1
	s_branch .LBB164_589
.LBB164_587:
	s_mov_b32 s1, -1
                                        ; implicit-def: $vgpr3
	s_branch .LBB164_592
.LBB164_588:
	s_mov_b32 s1, -1
                                        ; implicit-def: $vgpr3
.LBB164_589:
	s_andn2_b32 vcc_lo, exec_lo, s1
	s_cbranch_vccnz .LBB164_591
; %bb.590:
	global_load_dword v3, v[1:2], off
	s_waitcnt vmcnt(0)
	v_bfe_u32 v4, v3, 16, 1
	v_cmp_o_f32_e32 vcc_lo, v3, v3
	v_add3_u32 v3, v3, v4, 0x7fff
	v_mov_b32_e32 v4, 0x7fc0
	v_cndmask_b32_sdwa v3, v4, v3, vcc_lo dst_sel:DWORD dst_unused:UNUSED_PAD src0_sel:DWORD src1_sel:WORD_1
.LBB164_591:
	s_mov_b32 s1, 0
.LBB164_592:
	s_andn2_b32 vcc_lo, exec_lo, s1
	s_cbranch_vccnz .LBB164_594
; %bb.593:
	global_load_ushort v3, v[1:2], off
	s_waitcnt vmcnt(0)
	v_cvt_f32_f16_e32 v4, v3
	v_cmp_o_f16_e32 vcc_lo, v3, v3
	v_bfe_u32 v5, v4, 16, 1
	v_add3_u32 v3, v4, v5, 0x7fff
	v_mov_b32_e32 v4, 0x7fc0
	v_cndmask_b32_sdwa v3, v4, v3, vcc_lo dst_sel:DWORD dst_unused:UNUSED_PAD src0_sel:DWORD src1_sel:WORD_1
.LBB164_594:
	s_mov_b32 s1, 0
.LBB164_595:
	s_andn2_b32 vcc_lo, exec_lo, s1
	s_cbranch_vccnz .LBB164_615
; %bb.596:
	s_cmp_lt_i32 s0, 2
	s_cbranch_scc1 .LBB164_600
; %bb.597:
	s_cmp_lt_i32 s0, 3
	s_cbranch_scc1 .LBB164_601
; %bb.598:
	s_cmp_gt_i32 s0, 3
	s_cbranch_scc0 .LBB164_602
; %bb.599:
	global_load_dwordx2 v[3:4], v[1:2], off
	s_mov_b32 s1, 0
	s_waitcnt vmcnt(0)
	v_xor_b32_e32 v5, v3, v4
	v_ffbh_i32_e32 v6, v4
	v_ashrrev_i32_e32 v5, 31, v5
	v_add_nc_u32_e32 v6, -1, v6
	v_add_nc_u32_e32 v5, 32, v5
	v_min_u32_e32 v5, v6, v5
	v_lshlrev_b64 v[3:4], v5, v[3:4]
	v_min_u32_e32 v3, 1, v3
	v_or_b32_e32 v3, v4, v3
	v_sub_nc_u32_e32 v4, 32, v5
	v_cvt_f32_i32_e32 v3, v3
	v_ldexp_f32 v3, v3, v4
	v_bfe_u32 v4, v3, 16, 1
	v_add3_u32 v3, v3, v4, 0x7fff
	v_lshrrev_b32_e32 v3, 16, v3
	s_branch .LBB164_603
.LBB164_600:
	s_mov_b32 s1, -1
                                        ; implicit-def: $vgpr3
	s_branch .LBB164_609
.LBB164_601:
	s_mov_b32 s1, -1
                                        ; implicit-def: $vgpr3
	s_branch .LBB164_606
.LBB164_602:
	s_mov_b32 s1, -1
                                        ; implicit-def: $vgpr3
.LBB164_603:
	s_andn2_b32 vcc_lo, exec_lo, s1
	s_cbranch_vccnz .LBB164_605
; %bb.604:
	global_load_dword v3, v[1:2], off
	s_waitcnt vmcnt(0)
	v_cvt_f32_i32_e32 v3, v3
	v_bfe_u32 v4, v3, 16, 1
	v_add3_u32 v3, v3, v4, 0x7fff
	v_lshrrev_b32_e32 v3, 16, v3
.LBB164_605:
	s_mov_b32 s1, 0
.LBB164_606:
	s_andn2_b32 vcc_lo, exec_lo, s1
	s_cbranch_vccnz .LBB164_608
; %bb.607:
	global_load_sshort v3, v[1:2], off
	s_waitcnt vmcnt(0)
	v_cvt_f32_i32_e32 v3, v3
	v_bfe_u32 v4, v3, 16, 1
	v_add3_u32 v3, v3, v4, 0x7fff
	v_lshrrev_b32_e32 v3, 16, v3
.LBB164_608:
	s_mov_b32 s1, 0
.LBB164_609:
	s_andn2_b32 vcc_lo, exec_lo, s1
	s_cbranch_vccnz .LBB164_615
; %bb.610:
	s_cmp_gt_i32 s0, 0
	s_mov_b32 s0, 0
	s_cbranch_scc0 .LBB164_612
; %bb.611:
	global_load_sbyte v3, v[1:2], off
	s_waitcnt vmcnt(0)
	v_cvt_f32_i32_e32 v3, v3
	v_bfe_u32 v4, v3, 16, 1
	v_add3_u32 v3, v3, v4, 0x7fff
	v_lshrrev_b32_e32 v3, 16, v3
	s_branch .LBB164_613
.LBB164_612:
	s_mov_b32 s0, -1
                                        ; implicit-def: $vgpr3
.LBB164_613:
	s_andn2_b32 vcc_lo, exec_lo, s0
	s_cbranch_vccnz .LBB164_615
; %bb.614:
	global_load_ubyte v1, v[1:2], off
	s_waitcnt vmcnt(0)
	v_cvt_f32_ubyte0_e32 v1, v1
	v_bfe_u32 v2, v1, 16, 1
	v_add3_u32 v1, v1, v2, 0x7fff
	v_lshrrev_b32_e32 v3, 16, v1
.LBB164_615:
	s_branch .LBB164_332
.LBB164_616:
	s_mov_b32 s1, 0
	s_mov_b32 s0, s36
.LBB164_617:
                                        ; implicit-def: $vgpr8
.LBB164_618:
	s_andn2_b32 s23, s36, exec_lo
	s_and_b32 s0, s0, exec_lo
	s_andn2_b32 s39, s37, exec_lo
	s_and_b32 s22, s22, exec_lo
	s_or_b32 s40, s23, s0
	s_or_b32 s39, s39, s22
	s_orn2_b32 s0, s1, exec_lo
.LBB164_619:
	s_or_b32 exec_lo, exec_lo, s41
	s_mov_b32 s1, 0
	s_mov_b32 s23, 0
	;; [unrolled: 1-line block ×3, first 2 shown]
                                        ; implicit-def: $vgpr1_vgpr2
                                        ; implicit-def: $vgpr0
                                        ; implicit-def: $vgpr4
	s_and_saveexec_b32 s41, s0
	s_cbranch_execz .LBB164_1034
; %bb.620:
	s_mov_b32 s44, -1
	s_mov_b32 s22, s39
	s_mov_b32 s23, s40
	s_mov_b32 s42, exec_lo
	v_cmpx_gt_i32_e64 s33, v8
	s_cbranch_execz .LBB164_933
; %bb.621:
	s_andn2_b32 vcc_lo, exec_lo, s27
	s_cbranch_vccnz .LBB164_626
; %bb.622:
	s_andn2_b32 vcc_lo, exec_lo, s34
	s_cbranch_vccnz .LBB164_627
; %bb.623:
	s_add_i32 s44, s35, 1
	s_cmp_eq_u32 s25, 2
	s_cbranch_scc1 .LBB164_628
; %bb.624:
	v_mov_b32_e32 v2, 0
	v_mov_b32_e32 v0, 0
	;; [unrolled: 1-line block ×3, first 2 shown]
	s_and_b32 s43, s44, 28
	s_mov_b32 s45, 0
	s_mov_b64 s[0:1], s[2:3]
	s_mov_b64 s[22:23], s[20:21]
.LBB164_625:                            ; =>This Inner Loop Header: Depth=1
	s_clause 0x1
	s_load_dwordx8 s[48:55], s[0:1], 0x4
	s_load_dwordx4 s[64:67], s[0:1], 0x24
	s_load_dwordx8 s[56:63], s[22:23], 0x0
	s_add_u32 s0, s0, 48
	s_addc_u32 s1, s1, 0
	s_add_i32 s45, s45, 4
	s_add_u32 s22, s22, 32
	s_addc_u32 s23, s23, 0
	s_cmp_eq_u32 s43, s45
	s_waitcnt vmcnt(0) lgkmcnt(0)
	v_mul_hi_u32 v3, s49, v1
	v_add_nc_u32_e32 v3, v1, v3
	v_lshrrev_b32_e32 v3, s50, v3
	v_mul_hi_u32 v4, s52, v3
	v_mul_lo_u32 v6, v3, s48
	v_add_nc_u32_e32 v4, v3, v4
	v_sub_nc_u32_e32 v1, v1, v6
	v_lshrrev_b32_e32 v4, s53, v4
	v_mul_lo_u32 v6, v1, s56
	v_mul_lo_u32 v9, v1, s57
	v_mul_hi_u32 v5, s55, v4
	v_add_nc_u32_e32 v5, v4, v5
	v_lshrrev_b32_e32 v5, s64, v5
	v_mul_hi_u32 v7, s66, v5
	v_mul_lo_u32 v10, v5, s54
	v_add_nc_u32_e32 v1, v5, v7
	v_mul_lo_u32 v7, v4, s51
	v_sub_nc_u32_e32 v4, v4, v10
	v_lshrrev_b32_e32 v1, s67, v1
	v_mul_lo_u32 v10, v4, s60
	v_mul_lo_u32 v4, v4, s61
	v_sub_nc_u32_e32 v3, v3, v7
	v_mul_lo_u32 v11, v1, s65
	v_mul_lo_u32 v7, v3, s58
	;; [unrolled: 1-line block ×3, first 2 shown]
	v_sub_nc_u32_e32 v5, v5, v11
	v_add3_u32 v0, v6, v0, v7
	v_mul_lo_u32 v11, v5, s62
	v_mul_lo_u32 v5, v5, s63
	v_add3_u32 v2, v9, v2, v3
	v_add3_u32 v0, v10, v0, v11
	;; [unrolled: 1-line block ×3, first 2 shown]
	s_cbranch_scc0 .LBB164_625
	s_branch .LBB164_629
.LBB164_626:
	s_mov_b32 s0, -1
                                        ; implicit-def: $vgpr0
                                        ; implicit-def: $vgpr2
	s_branch .LBB164_633
.LBB164_627:
	v_mov_b32_e32 v0, 0
	v_mov_b32_e32 v2, 0
	s_branch .LBB164_632
.LBB164_628:
	v_mov_b32_e32 v0, 0
	v_mov_b32_e32 v2, 0
	;; [unrolled: 1-line block ×3, first 2 shown]
	s_mov_b32 s43, 0
.LBB164_629:
	s_and_b32 s44, s44, 3
	s_cmp_eq_u32 s44, 0
	s_cbranch_scc1 .LBB164_632
; %bb.630:
	s_lshl_b32 s0, s43, 3
	s_mul_i32 s22, s43, 12
	s_add_u32 s0, s2, s0
	s_addc_u32 s1, s3, 0
	s_add_u32 s0, s0, 0xc4
	s_addc_u32 s1, s1, 0
	;; [unrolled: 2-line block ×3, first 2 shown]
	.p2align	6
.LBB164_631:                            ; =>This Inner Loop Header: Depth=1
	s_clause 0x1
	s_load_dwordx2 s[46:47], s[22:23], 0x4
	s_load_dword s43, s[22:23], 0xc
	s_load_dwordx2 s[48:49], s[0:1], 0x0
	s_add_u32 s22, s22, 12
	s_addc_u32 s23, s23, 0
	s_add_u32 s0, s0, 8
	s_addc_u32 s1, s1, 0
	s_add_i32 s44, s44, -1
	s_cmp_lg_u32 s44, 0
	s_waitcnt vmcnt(0) lgkmcnt(0)
	v_mul_hi_u32 v3, s47, v1
	v_add_nc_u32_e32 v3, v1, v3
	v_lshrrev_b32_e32 v4, s43, v3
	v_mul_lo_u32 v3, v4, s46
	v_sub_nc_u32_e32 v3, v1, v3
	v_mad_u64_u32 v[0:1], null, v3, s48, v[0:1]
	v_mad_u64_u32 v[2:3], null, v3, s49, v[2:3]
	v_mov_b32_e32 v1, v4
	s_cbranch_scc1 .LBB164_631
.LBB164_632:
	s_mov_b32 s0, 0
.LBB164_633:
	s_andn2_b32 vcc_lo, exec_lo, s0
	s_cbranch_vccnz .LBB164_636
; %bb.634:
	s_waitcnt lgkmcnt(0)
	v_mul_hi_u32 v0, s17, v8
	s_andn2_b32 vcc_lo, exec_lo, s31
	v_add_nc_u32_e32 v0, v8, v0
	v_lshrrev_b32_e32 v1, s18, v0
	v_mul_lo_u32 v0, v1, s16
	v_sub_nc_u32_e32 v2, v8, v0
	v_mul_lo_u32 v0, v2, s12
	v_mul_lo_u32 v2, v2, s13
	s_cbranch_vccnz .LBB164_636
; %bb.635:
	s_waitcnt vmcnt(0)
	v_mul_hi_u32 v3, s6, v1
	v_add_nc_u32_e32 v3, v1, v3
	v_lshrrev_b32_e32 v3, s7, v3
	v_mul_lo_u32 v3, v3, s19
	v_sub_nc_u32_e32 v3, v1, v3
	v_mad_u64_u32 v[0:1], null, v3, s14, v[0:1]
	v_mad_u64_u32 v[2:3], null, v3, s15, v[2:3]
.LBB164_636:
	s_waitcnt lgkmcnt(0)
	v_add_co_u32 v1, s0, s10, v2
	v_add_co_ci_u32_e64 v2, null, s11, 0, s0
	s_and_b32 s0, 0xffff, s30
	s_cmp_lt_i32 s0, 11
	s_cbranch_scc1 .LBB164_643
; %bb.637:
	s_cmp_gt_i32 s0, 25
	s_cbranch_scc0 .LBB164_644
; %bb.638:
	s_cmp_gt_i32 s0, 28
	s_cbranch_scc0 .LBB164_645
	;; [unrolled: 3-line block ×4, first 2 shown]
; %bb.641:
	s_cmp_eq_u32 s0, 46
	s_mov_b32 s23, 0
	s_cbranch_scc0 .LBB164_652
; %bb.642:
	global_load_dword v3, v[1:2], off
	s_mov_b32 s1, -1
	s_mov_b32 s22, 0
	s_branch .LBB164_654
.LBB164_643:
	s_mov_b32 s23, -1
	s_mov_b32 s1, 0
	s_mov_b32 s22, s39
                                        ; implicit-def: $vgpr3
	s_branch .LBB164_719
.LBB164_644:
	s_mov_b32 s23, -1
	s_mov_b32 s1, 0
	s_mov_b32 s22, s39
                                        ; implicit-def: $vgpr3
	s_branch .LBB164_683
.LBB164_645:
	s_mov_b32 s23, -1
	s_mov_b32 s1, 0
	s_mov_b32 s22, s39
                                        ; implicit-def: $vgpr3
	s_branch .LBB164_664
.LBB164_646:
	s_mov_b32 s23, -1
	s_mov_b32 s1, 0
	s_mov_b32 s22, s39
                                        ; implicit-def: $vgpr3
	s_branch .LBB164_659
.LBB164_647:
	s_andn2_saveexec_b32 s42, s42
	s_cbranch_execz .LBB164_416
.LBB164_648:
	v_add_f32_e64 v4, 0x46000000, |v5|
	s_andn2_b32 s40, s40, exec_lo
	v_and_b32_e32 v4, 0xff, v4
	v_cmp_ne_u32_e32 vcc_lo, 0, v4
	s_and_b32 s43, vcc_lo, exec_lo
	s_or_b32 s40, s40, s43
	s_or_b32 exec_lo, exec_lo, s42
	v_mov_b32_e32 v6, 0
	s_and_saveexec_b32 s42, s40
	s_cbranch_execnz .LBB164_417
	s_branch .LBB164_418
.LBB164_649:
	s_mov_b32 s23, -1
	s_mov_b32 s1, 0
	s_mov_b32 s22, s39
	s_branch .LBB164_653
.LBB164_650:
	s_andn2_saveexec_b32 s42, s42
	s_cbranch_execz .LBB164_429
.LBB164_651:
	v_add_f32_e64 v4, 0x42800000, |v5|
	s_andn2_b32 s40, s40, exec_lo
	v_and_b32_e32 v4, 0xff, v4
	v_cmp_ne_u32_e32 vcc_lo, 0, v4
	s_and_b32 s43, vcc_lo, exec_lo
	s_or_b32 s40, s40, s43
	s_or_b32 exec_lo, exec_lo, s42
	v_mov_b32_e32 v6, 0
	s_and_saveexec_b32 s42, s40
	s_cbranch_execnz .LBB164_430
	s_branch .LBB164_431
.LBB164_652:
	s_mov_b32 s22, -1
	s_mov_b32 s1, 0
.LBB164_653:
                                        ; implicit-def: $vgpr3
.LBB164_654:
	s_and_b32 vcc_lo, exec_lo, s23
	s_cbranch_vccz .LBB164_658
; %bb.655:
	s_cmp_eq_u32 s0, 44
	s_cbranch_scc0 .LBB164_657
; %bb.656:
	global_load_ubyte v3, v[1:2], off
	s_mov_b32 s22, 0
	s_mov_b32 s1, -1
	s_waitcnt vmcnt(0)
	v_lshlrev_b32_e32 v4, 23, v3
	v_cmp_ne_u32_e32 vcc_lo, 0xff, v3
	v_cndmask_b32_e32 v4, 0x7f800001, v4, vcc_lo
	v_cmp_ne_u32_e32 vcc_lo, 0, v3
	v_cndmask_b32_e32 v3, 0x400000, v4, vcc_lo
	v_mov_b32_e32 v4, 0x7fc0
	v_cmp_o_f32_e32 vcc_lo, v3, v3
	v_add_nc_u32_e32 v3, 0x7fff, v3
	v_cndmask_b32_sdwa v3, v4, v3, vcc_lo dst_sel:DWORD dst_unused:UNUSED_PAD src0_sel:DWORD src1_sel:WORD_1
	s_branch .LBB164_658
.LBB164_657:
	s_mov_b32 s22, -1
                                        ; implicit-def: $vgpr3
.LBB164_658:
	s_mov_b32 s23, 0
.LBB164_659:
	s_and_b32 vcc_lo, exec_lo, s23
	s_cbranch_vccz .LBB164_663
; %bb.660:
	s_cmp_eq_u32 s0, 29
	s_cbranch_scc0 .LBB164_662
; %bb.661:
	global_load_dwordx2 v[3:4], v[1:2], off
	s_mov_b32 s1, -1
	s_mov_b32 s22, 0
	s_mov_b32 s23, 0
	s_waitcnt vmcnt(0)
	v_ffbh_u32_e32 v5, v4
	v_min_u32_e32 v5, 32, v5
	v_lshlrev_b64 v[3:4], v5, v[3:4]
	v_min_u32_e32 v3, 1, v3
	v_or_b32_e32 v3, v4, v3
	v_sub_nc_u32_e32 v4, 32, v5
	v_cvt_f32_u32_e32 v3, v3
	v_ldexp_f32 v3, v3, v4
	v_bfe_u32 v4, v3, 16, 1
	v_add3_u32 v3, v3, v4, 0x7fff
	v_lshrrev_b32_e32 v3, 16, v3
	s_branch .LBB164_664
.LBB164_662:
	s_mov_b32 s22, -1
                                        ; implicit-def: $vgpr3
.LBB164_663:
	s_mov_b32 s23, 0
.LBB164_664:
	s_and_b32 vcc_lo, exec_lo, s23
	s_cbranch_vccz .LBB164_682
; %bb.665:
	s_cmp_lt_i32 s0, 27
	s_cbranch_scc1 .LBB164_668
; %bb.666:
	s_cmp_gt_i32 s0, 27
	s_cbranch_scc0 .LBB164_669
; %bb.667:
	global_load_dword v3, v[1:2], off
	s_mov_b32 s1, 0
	s_waitcnt vmcnt(0)
	v_cvt_f32_u32_e32 v3, v3
	v_bfe_u32 v4, v3, 16, 1
	v_add3_u32 v3, v3, v4, 0x7fff
	v_lshrrev_b32_e32 v3, 16, v3
	s_branch .LBB164_670
.LBB164_668:
	s_mov_b32 s1, -1
                                        ; implicit-def: $vgpr3
	s_branch .LBB164_673
.LBB164_669:
	s_mov_b32 s1, -1
                                        ; implicit-def: $vgpr3
.LBB164_670:
	s_andn2_b32 vcc_lo, exec_lo, s1
	s_cbranch_vccnz .LBB164_672
; %bb.671:
	global_load_ushort v3, v[1:2], off
	s_waitcnt vmcnt(0)
	v_cvt_f32_u32_e32 v3, v3
	v_bfe_u32 v4, v3, 16, 1
	v_add3_u32 v3, v3, v4, 0x7fff
	v_lshrrev_b32_e32 v3, 16, v3
.LBB164_672:
	s_mov_b32 s1, 0
.LBB164_673:
	s_andn2_b32 vcc_lo, exec_lo, s1
	s_cbranch_vccnz .LBB164_681
; %bb.674:
	global_load_ubyte v3, v[1:2], off
	s_mov_b32 s1, 0
	s_mov_b32 s23, exec_lo
	s_waitcnt vmcnt(0)
	v_cmpx_lt_i16_e32 0x7f, v3
	s_xor_b32 s23, exec_lo, s23
	s_cbranch_execz .LBB164_695
; %bb.675:
	s_mov_b32 s1, -1
	s_mov_b32 s43, exec_lo
	v_cmpx_eq_u16_e32 0x80, v3
; %bb.676:
	s_xor_b32 s1, exec_lo, -1
; %bb.677:
	s_or_b32 exec_lo, exec_lo, s43
	s_and_b32 s1, s1, exec_lo
	s_or_saveexec_b32 s23, s23
	v_mov_b32_e32 v4, 0x7f800001
	s_xor_b32 exec_lo, exec_lo, s23
	s_cbranch_execnz .LBB164_696
.LBB164_678:
	s_or_b32 exec_lo, exec_lo, s23
	s_and_saveexec_b32 s23, s1
	s_cbranch_execz .LBB164_680
.LBB164_679:
	v_and_b32_e32 v4, 0xffff, v3
	v_lshlrev_b32_e32 v3, 24, v3
	v_and_b32_e32 v5, 7, v4
	v_bfe_u32 v9, v4, 3, 4
	v_and_b32_e32 v3, 0x80000000, v3
	v_ffbh_u32_e32 v6, v5
	v_cmp_eq_u32_e32 vcc_lo, 0, v9
	v_min_u32_e32 v6, 32, v6
	v_subrev_nc_u32_e32 v7, 28, v6
	v_sub_nc_u32_e32 v6, 29, v6
	v_lshlrev_b32_e32 v4, v7, v4
	v_cndmask_b32_e32 v6, v9, v6, vcc_lo
	v_and_b32_e32 v4, 7, v4
	v_cndmask_b32_e32 v4, v5, v4, vcc_lo
	v_lshl_add_u32 v5, v6, 23, 0x3b800000
	v_lshlrev_b32_e32 v4, 20, v4
	v_or3_b32 v4, v3, v5, v4
.LBB164_680:
	s_or_b32 exec_lo, exec_lo, s23
	v_bfe_u32 v3, v4, 16, 1
	v_cmp_o_f32_e32 vcc_lo, v4, v4
	v_add3_u32 v3, v4, v3, 0x7fff
	v_mov_b32_e32 v4, 0x7fc0
	v_cndmask_b32_sdwa v3, v4, v3, vcc_lo dst_sel:DWORD dst_unused:UNUSED_PAD src0_sel:DWORD src1_sel:WORD_1
.LBB164_681:
	s_mov_b32 s1, -1
.LBB164_682:
	s_mov_b32 s23, 0
.LBB164_683:
	s_and_b32 vcc_lo, exec_lo, s23
	s_cbranch_vccz .LBB164_718
; %bb.684:
	s_cmp_gt_i32 s0, 22
	s_cbranch_scc0 .LBB164_694
; %bb.685:
	s_cmp_lt_i32 s0, 24
	s_cbranch_scc1 .LBB164_697
; %bb.686:
	s_cmp_gt_i32 s0, 24
	s_cbranch_scc0 .LBB164_698
; %bb.687:
	global_load_ubyte v3, v[1:2], off
	s_mov_b32 s1, 0
	s_mov_b32 s23, exec_lo
	s_waitcnt vmcnt(0)
	v_cmpx_lt_i16_e32 0x7f, v3
	s_xor_b32 s23, exec_lo, s23
	s_cbranch_execz .LBB164_710
; %bb.688:
	s_mov_b32 s1, -1
	s_mov_b32 s43, exec_lo
	v_cmpx_eq_u16_e32 0x80, v3
; %bb.689:
	s_xor_b32 s1, exec_lo, -1
; %bb.690:
	s_or_b32 exec_lo, exec_lo, s43
	s_and_b32 s1, s1, exec_lo
	s_or_saveexec_b32 s23, s23
	v_mov_b32_e32 v4, 0x7f800001
	s_xor_b32 exec_lo, exec_lo, s23
	s_cbranch_execnz .LBB164_711
.LBB164_691:
	s_or_b32 exec_lo, exec_lo, s23
	s_and_saveexec_b32 s23, s1
	s_cbranch_execz .LBB164_693
.LBB164_692:
	v_and_b32_e32 v4, 0xffff, v3
	v_lshlrev_b32_e32 v3, 24, v3
	v_and_b32_e32 v5, 3, v4
	v_bfe_u32 v9, v4, 2, 5
	v_and_b32_e32 v3, 0x80000000, v3
	v_ffbh_u32_e32 v6, v5
	v_cmp_eq_u32_e32 vcc_lo, 0, v9
	v_min_u32_e32 v6, 32, v6
	v_subrev_nc_u32_e32 v7, 29, v6
	v_sub_nc_u32_e32 v6, 30, v6
	v_lshlrev_b32_e32 v4, v7, v4
	v_cndmask_b32_e32 v6, v9, v6, vcc_lo
	v_and_b32_e32 v4, 3, v4
	v_cndmask_b32_e32 v4, v5, v4, vcc_lo
	v_lshl_add_u32 v5, v6, 23, 0x37800000
	v_lshlrev_b32_e32 v4, 21, v4
	v_or3_b32 v4, v3, v5, v4
.LBB164_693:
	s_or_b32 exec_lo, exec_lo, s23
	v_bfe_u32 v3, v4, 16, 1
	v_cmp_o_f32_e32 vcc_lo, v4, v4
	s_mov_b32 s1, 0
	v_add3_u32 v3, v4, v3, 0x7fff
	v_mov_b32_e32 v4, 0x7fc0
	v_cndmask_b32_sdwa v3, v4, v3, vcc_lo dst_sel:DWORD dst_unused:UNUSED_PAD src0_sel:DWORD src1_sel:WORD_1
	s_branch .LBB164_699
.LBB164_694:
	s_mov_b32 s23, -1
                                        ; implicit-def: $vgpr3
	s_branch .LBB164_705
.LBB164_695:
	s_or_saveexec_b32 s23, s23
	v_mov_b32_e32 v4, 0x7f800001
	s_xor_b32 exec_lo, exec_lo, s23
	s_cbranch_execz .LBB164_678
.LBB164_696:
	v_cmp_ne_u16_e32 vcc_lo, 0, v3
	v_mov_b32_e32 v4, 0
	s_andn2_b32 s1, s1, exec_lo
	s_and_b32 s43, vcc_lo, exec_lo
	s_or_b32 s1, s1, s43
	s_or_b32 exec_lo, exec_lo, s23
	s_and_saveexec_b32 s23, s1
	s_cbranch_execnz .LBB164_679
	s_branch .LBB164_680
.LBB164_697:
	s_mov_b32 s1, -1
                                        ; implicit-def: $vgpr3
	s_branch .LBB164_702
.LBB164_698:
	s_mov_b32 s1, -1
                                        ; implicit-def: $vgpr3
.LBB164_699:
	s_and_b32 vcc_lo, exec_lo, s1
	s_cbranch_vccz .LBB164_701
; %bb.700:
	global_load_ubyte v3, v[1:2], off
	s_waitcnt vmcnt(0)
	v_lshlrev_b32_e32 v3, 24, v3
	v_and_b32_e32 v4, 0x7f000000, v3
	v_ffbh_u32_e32 v5, v4
	v_add_nc_u32_e32 v7, 0x1000000, v4
	v_cmp_ne_u32_e32 vcc_lo, 0, v4
	v_min_u32_e32 v5, 32, v5
	v_sub_nc_u32_e64 v5, v5, 4 clamp
	v_lshlrev_b32_e32 v6, v5, v4
	v_lshlrev_b32_e32 v5, 23, v5
	v_lshrrev_b32_e32 v6, 4, v6
	v_sub_nc_u32_e32 v5, v6, v5
	v_ashrrev_i32_e32 v6, 8, v7
	v_add_nc_u32_e32 v5, 0x3c000000, v5
	v_and_or_b32 v5, 0x7f800000, v6, v5
	v_cndmask_b32_e32 v4, 0, v5, vcc_lo
	v_and_or_b32 v3, 0x80000000, v3, v4
	v_bfe_u32 v4, v4, 16, 1
	v_cmp_o_f32_e32 vcc_lo, v3, v3
	v_add3_u32 v3, v3, v4, 0x7fff
	v_mov_b32_e32 v4, 0x7fc0
	v_cndmask_b32_sdwa v3, v4, v3, vcc_lo dst_sel:DWORD dst_unused:UNUSED_PAD src0_sel:DWORD src1_sel:WORD_1
.LBB164_701:
	s_mov_b32 s1, 0
.LBB164_702:
	s_andn2_b32 vcc_lo, exec_lo, s1
	s_cbranch_vccnz .LBB164_704
; %bb.703:
	global_load_ubyte v3, v[1:2], off
	s_waitcnt vmcnt(0)
	v_lshlrev_b32_e32 v4, 25, v3
	v_lshlrev_b16 v3, 8, v3
	v_lshrrev_b32_e32 v5, 4, v4
	v_and_or_b32 v6, 0x7f00, v3, 0.5
	v_cmp_gt_u32_e32 vcc_lo, 0x8000000, v4
	v_bfe_i32 v3, v3, 0, 16
	v_or_b32_e32 v5, 0x70000000, v5
	v_add_f32_e32 v6, -0.5, v6
	v_mul_f32_e32 v5, 0x7800000, v5
	v_cndmask_b32_e32 v4, v5, v6, vcc_lo
	v_and_or_b32 v3, 0x80000000, v3, v4
	v_bfe_u32 v4, v4, 16, 1
	v_cmp_o_f32_e32 vcc_lo, v3, v3
	v_add3_u32 v3, v3, v4, 0x7fff
	v_mov_b32_e32 v4, 0x7fc0
	v_cndmask_b32_sdwa v3, v4, v3, vcc_lo dst_sel:DWORD dst_unused:UNUSED_PAD src0_sel:DWORD src1_sel:WORD_1
.LBB164_704:
	s_mov_b32 s23, 0
	s_mov_b32 s1, -1
.LBB164_705:
	s_andn2_b32 vcc_lo, exec_lo, s23
	s_cbranch_vccnz .LBB164_718
; %bb.706:
	s_cmp_gt_i32 s0, 14
	s_cbranch_scc0 .LBB164_709
; %bb.707:
	s_cmp_eq_u32 s0, 15
	s_cbranch_scc0 .LBB164_712
; %bb.708:
	global_load_ushort v3, v[1:2], off
	s_mov_b32 s1, -1
	s_mov_b32 s22, 0
	s_branch .LBB164_713
.LBB164_709:
	s_mov_b32 s23, -1
                                        ; implicit-def: $vgpr3
	s_branch .LBB164_714
.LBB164_710:
	s_or_saveexec_b32 s23, s23
	v_mov_b32_e32 v4, 0x7f800001
	s_xor_b32 exec_lo, exec_lo, s23
	s_cbranch_execz .LBB164_691
.LBB164_711:
	v_cmp_ne_u16_e32 vcc_lo, 0, v3
	v_mov_b32_e32 v4, 0
	s_andn2_b32 s1, s1, exec_lo
	s_and_b32 s43, vcc_lo, exec_lo
	s_or_b32 s1, s1, s43
	s_or_b32 exec_lo, exec_lo, s23
	s_and_saveexec_b32 s23, s1
	s_cbranch_execnz .LBB164_692
	s_branch .LBB164_693
.LBB164_712:
	s_mov_b32 s22, -1
                                        ; implicit-def: $vgpr3
.LBB164_713:
	s_mov_b32 s23, 0
.LBB164_714:
	s_and_b32 vcc_lo, exec_lo, s23
	s_cbranch_vccz .LBB164_718
; %bb.715:
	s_cmp_eq_u32 s0, 11
	s_cbranch_scc0 .LBB164_717
; %bb.716:
	global_load_ubyte v3, v[1:2], off
	s_mov_b32 s22, 0
	s_mov_b32 s1, -1
	s_waitcnt vmcnt(0)
	v_cmp_ne_u16_e32 vcc_lo, 0, v3
	v_cndmask_b32_e64 v3, 0, 1.0, vcc_lo
	v_lshrrev_b32_e32 v3, 16, v3
	s_branch .LBB164_718
.LBB164_717:
	s_mov_b32 s22, -1
                                        ; implicit-def: $vgpr3
.LBB164_718:
	s_mov_b32 s23, 0
.LBB164_719:
	s_and_b32 vcc_lo, exec_lo, s23
	s_cbranch_vccz .LBB164_768
; %bb.720:
	s_cmp_lt_i32 s0, 5
	s_cbranch_scc1 .LBB164_725
; %bb.721:
	s_cmp_lt_i32 s0, 8
	s_cbranch_scc1 .LBB164_726
	;; [unrolled: 3-line block ×3, first 2 shown]
; %bb.723:
	s_cmp_gt_i32 s0, 9
	s_cbranch_scc0 .LBB164_728
; %bb.724:
	global_load_dwordx2 v[3:4], v[1:2], off
	s_mov_b32 s1, 0
	s_waitcnt vmcnt(0)
	v_cvt_f32_f64_e32 v3, v[3:4]
	v_bfe_u32 v4, v3, 16, 1
	v_cmp_o_f32_e32 vcc_lo, v3, v3
	v_add3_u32 v3, v3, v4, 0x7fff
	v_mov_b32_e32 v4, 0x7fc0
	v_cndmask_b32_sdwa v3, v4, v3, vcc_lo dst_sel:DWORD dst_unused:UNUSED_PAD src0_sel:DWORD src1_sel:WORD_1
	s_branch .LBB164_729
.LBB164_725:
	s_mov_b32 s1, -1
                                        ; implicit-def: $vgpr3
	s_branch .LBB164_747
.LBB164_726:
	s_mov_b32 s1, -1
                                        ; implicit-def: $vgpr3
	s_branch .LBB164_735
.LBB164_727:
	s_mov_b32 s1, -1
                                        ; implicit-def: $vgpr3
	s_branch .LBB164_732
.LBB164_728:
	s_mov_b32 s1, -1
                                        ; implicit-def: $vgpr3
.LBB164_729:
	s_andn2_b32 vcc_lo, exec_lo, s1
	s_cbranch_vccnz .LBB164_731
; %bb.730:
	global_load_dword v3, v[1:2], off
	s_waitcnt vmcnt(0)
	v_bfe_u32 v4, v3, 16, 1
	v_cmp_o_f32_e32 vcc_lo, v3, v3
	v_add3_u32 v3, v3, v4, 0x7fff
	v_mov_b32_e32 v4, 0x7fc0
	v_cndmask_b32_sdwa v3, v4, v3, vcc_lo dst_sel:DWORD dst_unused:UNUSED_PAD src0_sel:DWORD src1_sel:WORD_1
.LBB164_731:
	s_mov_b32 s1, 0
.LBB164_732:
	s_andn2_b32 vcc_lo, exec_lo, s1
	s_cbranch_vccnz .LBB164_734
; %bb.733:
	global_load_dword v3, v[1:2], off
	s_waitcnt vmcnt(0)
	v_cvt_f32_f16_e32 v4, v3
	v_cmp_o_f16_e32 vcc_lo, v3, v3
	v_bfe_u32 v5, v4, 16, 1
	v_add3_u32 v3, v4, v5, 0x7fff
	v_mov_b32_e32 v4, 0x7fc0
	v_cndmask_b32_sdwa v3, v4, v3, vcc_lo dst_sel:DWORD dst_unused:UNUSED_PAD src0_sel:DWORD src1_sel:WORD_1
.LBB164_734:
	s_mov_b32 s1, 0
.LBB164_735:
	s_andn2_b32 vcc_lo, exec_lo, s1
	s_cbranch_vccnz .LBB164_746
; %bb.736:
	s_cmp_lt_i32 s0, 6
	s_cbranch_scc1 .LBB164_739
; %bb.737:
	s_cmp_gt_i32 s0, 6
	s_cbranch_scc0 .LBB164_740
; %bb.738:
	global_load_dwordx2 v[3:4], v[1:2], off
	s_mov_b32 s1, 0
	s_waitcnt vmcnt(0)
	v_cvt_f32_f64_e32 v3, v[3:4]
	v_bfe_u32 v4, v3, 16, 1
	v_cmp_o_f32_e32 vcc_lo, v3, v3
	v_add3_u32 v3, v3, v4, 0x7fff
	v_mov_b32_e32 v4, 0x7fc0
	v_cndmask_b32_sdwa v3, v4, v3, vcc_lo dst_sel:DWORD dst_unused:UNUSED_PAD src0_sel:DWORD src1_sel:WORD_1
	s_branch .LBB164_741
.LBB164_739:
	s_mov_b32 s1, -1
                                        ; implicit-def: $vgpr3
	s_branch .LBB164_744
.LBB164_740:
	s_mov_b32 s1, -1
                                        ; implicit-def: $vgpr3
.LBB164_741:
	s_andn2_b32 vcc_lo, exec_lo, s1
	s_cbranch_vccnz .LBB164_743
; %bb.742:
	global_load_dword v3, v[1:2], off
	s_waitcnt vmcnt(0)
	v_bfe_u32 v4, v3, 16, 1
	v_cmp_o_f32_e32 vcc_lo, v3, v3
	v_add3_u32 v3, v3, v4, 0x7fff
	v_mov_b32_e32 v4, 0x7fc0
	v_cndmask_b32_sdwa v3, v4, v3, vcc_lo dst_sel:DWORD dst_unused:UNUSED_PAD src0_sel:DWORD src1_sel:WORD_1
.LBB164_743:
	s_mov_b32 s1, 0
.LBB164_744:
	s_andn2_b32 vcc_lo, exec_lo, s1
	s_cbranch_vccnz .LBB164_746
; %bb.745:
	global_load_ushort v3, v[1:2], off
	s_waitcnt vmcnt(0)
	v_cvt_f32_f16_e32 v4, v3
	v_cmp_o_f16_e32 vcc_lo, v3, v3
	v_bfe_u32 v5, v4, 16, 1
	v_add3_u32 v3, v4, v5, 0x7fff
	v_mov_b32_e32 v4, 0x7fc0
	v_cndmask_b32_sdwa v3, v4, v3, vcc_lo dst_sel:DWORD dst_unused:UNUSED_PAD src0_sel:DWORD src1_sel:WORD_1
.LBB164_746:
	s_mov_b32 s1, 0
.LBB164_747:
	s_andn2_b32 vcc_lo, exec_lo, s1
	s_cbranch_vccnz .LBB164_767
; %bb.748:
	s_cmp_lt_i32 s0, 2
	s_cbranch_scc1 .LBB164_752
; %bb.749:
	s_cmp_lt_i32 s0, 3
	s_cbranch_scc1 .LBB164_753
; %bb.750:
	s_cmp_gt_i32 s0, 3
	s_cbranch_scc0 .LBB164_754
; %bb.751:
	global_load_dwordx2 v[3:4], v[1:2], off
	s_mov_b32 s1, 0
	s_waitcnt vmcnt(0)
	v_xor_b32_e32 v5, v3, v4
	v_ffbh_i32_e32 v6, v4
	v_ashrrev_i32_e32 v5, 31, v5
	v_add_nc_u32_e32 v6, -1, v6
	v_add_nc_u32_e32 v5, 32, v5
	v_min_u32_e32 v5, v6, v5
	v_lshlrev_b64 v[3:4], v5, v[3:4]
	v_min_u32_e32 v3, 1, v3
	v_or_b32_e32 v3, v4, v3
	v_sub_nc_u32_e32 v4, 32, v5
	v_cvt_f32_i32_e32 v3, v3
	v_ldexp_f32 v3, v3, v4
	v_bfe_u32 v4, v3, 16, 1
	v_add3_u32 v3, v3, v4, 0x7fff
	v_lshrrev_b32_e32 v3, 16, v3
	s_branch .LBB164_755
.LBB164_752:
	s_mov_b32 s1, -1
                                        ; implicit-def: $vgpr3
	s_branch .LBB164_761
.LBB164_753:
	s_mov_b32 s1, -1
                                        ; implicit-def: $vgpr3
	s_branch .LBB164_758
.LBB164_754:
	s_mov_b32 s1, -1
                                        ; implicit-def: $vgpr3
.LBB164_755:
	s_andn2_b32 vcc_lo, exec_lo, s1
	s_cbranch_vccnz .LBB164_757
; %bb.756:
	global_load_dword v3, v[1:2], off
	s_waitcnt vmcnt(0)
	v_cvt_f32_i32_e32 v3, v3
	v_bfe_u32 v4, v3, 16, 1
	v_add3_u32 v3, v3, v4, 0x7fff
	v_lshrrev_b32_e32 v3, 16, v3
.LBB164_757:
	s_mov_b32 s1, 0
.LBB164_758:
	s_andn2_b32 vcc_lo, exec_lo, s1
	s_cbranch_vccnz .LBB164_760
; %bb.759:
	global_load_sshort v3, v[1:2], off
	s_waitcnt vmcnt(0)
	v_cvt_f32_i32_e32 v3, v3
	v_bfe_u32 v4, v3, 16, 1
	v_add3_u32 v3, v3, v4, 0x7fff
	v_lshrrev_b32_e32 v3, 16, v3
.LBB164_760:
	s_mov_b32 s1, 0
.LBB164_761:
	s_andn2_b32 vcc_lo, exec_lo, s1
	s_cbranch_vccnz .LBB164_767
; %bb.762:
	s_cmp_gt_i32 s0, 0
	s_mov_b32 s0, 0
	s_cbranch_scc0 .LBB164_764
; %bb.763:
	global_load_sbyte v3, v[1:2], off
	s_waitcnt vmcnt(0)
	v_cvt_f32_i32_e32 v3, v3
	v_bfe_u32 v4, v3, 16, 1
	v_add3_u32 v3, v3, v4, 0x7fff
	v_lshrrev_b32_e32 v3, 16, v3
	s_branch .LBB164_765
.LBB164_764:
	s_mov_b32 s0, -1
                                        ; implicit-def: $vgpr3
.LBB164_765:
	s_andn2_b32 vcc_lo, exec_lo, s0
	s_cbranch_vccnz .LBB164_767
; %bb.766:
	global_load_ubyte v1, v[1:2], off
	s_waitcnt vmcnt(0)
	v_cvt_f32_ubyte0_e32 v1, v1
	v_bfe_u32 v2, v1, 16, 1
	v_add3_u32 v1, v1, v2, 0x7fff
	v_lshrrev_b32_e32 v3, 16, v1
.LBB164_767:
	s_mov_b32 s1, -1
.LBB164_768:
	s_andn2_b32 vcc_lo, exec_lo, s1
	s_cbranch_vccnz .LBB164_814
; %bb.769:
	s_waitcnt vmcnt(0)
	v_lshlrev_b32_e32 v1, 16, v3
	s_mov_b32 s1, exec_lo
                                        ; implicit-def: $vgpr3
	v_and_b32_e32 v2, 0x7fffffff, v1
	v_cmpx_ngt_f32_e64 0x3c800000, |v1|
	s_xor_b32 s1, exec_lo, s1
	s_cbranch_execz .LBB164_799
; %bb.770:
	s_mov_b32 s23, exec_lo
                                        ; implicit-def: $vgpr3
	v_cmpx_nlt_f32_e64 |v1|, 2.0
	s_xor_b32 s23, exec_lo, s23
	s_cbranch_execz .LBB164_780
; %bb.771:
	v_cmp_ngt_f32_e64 s0, 0x41000000, |v1|
                                        ; implicit-def: $vgpr3
	s_and_saveexec_b32 s43, s0
	s_xor_b32 s0, exec_lo, s43
	s_cbranch_execz .LBB164_777
; %bb.772:
	v_cmp_ngt_f32_e64 s43, 0x5c800000, |v1|
                                        ; implicit-def: $vgpr3
	s_and_saveexec_b32 s44, s43
	s_xor_b32 s43, exec_lo, s44
	s_cbranch_execz .LBB164_774
; %bb.773:
	v_cmp_gt_f32_e64 s44, 0x800000, |v1|
	v_cndmask_b32_e64 v3, 0, 32, s44
	v_ldexp_f32 v3, |v1|, v3
	v_log_f32_e32 v3, v3
	v_mul_f32_e32 v4, 0x3f317217, v3
	v_cmp_gt_f32_e64 vcc_lo, 0x7f800000, |v3|
	v_fma_f32 v5, 0x3f317217, v3, -v4
	v_fmamk_f32 v5, v3, 0x3377d1cf, v5
	v_add_f32_e32 v4, v4, v5
	v_cndmask_b32_e32 v3, v3, v4, vcc_lo
	v_cndmask_b32_e64 v4, 0, 0x41b17218, s44
	v_sub_f32_e32 v3, v3, v4
	v_fma_f32 v3, |v1|, v3, -|v1|
.LBB164_774:
	s_andn2_saveexec_b32 s43, s43
	s_cbranch_execz .LBB164_776
; %bb.775:
	v_cmp_gt_f32_e64 s44, 0x800000, |v1|
	v_rcp_f32_e64 v4, |v1|
	s_mov_b32 s45, 0xbad5c4e8
	v_cndmask_b32_e64 v3, 0, 32, s44
	v_ldexp_f32 v3, |v1|, v3
	v_mul_f32_e32 v5, v4, v4
	v_log_f32_e32 v3, v3
	v_fmaak_f32 v7, s45, v5, 0x3a5b3dd2
	v_fmaak_f32 v7, v5, v7, 0xba1c065c
	v_mul_f32_e32 v6, 0x3f317217, v3
	v_fmaak_f32 v7, v5, v7, 0x3a500cfd
	v_cmp_gt_f32_e64 vcc_lo, 0x7f800000, |v3|
	v_fma_f32 v9, 0x3f317217, v3, -v6
	v_fmaak_f32 v7, v5, v7, 0xbb360b61
	v_fmamk_f32 v9, v3, 0x3377d1cf, v9
	v_fmaak_f32 v5, v5, v7, 0x3daaaaab
	v_add_f32_e32 v6, v6, v9
	v_cndmask_b32_e32 v3, v3, v6, vcc_lo
	v_cndmask_b32_e64 v6, 0, 0x41b17218, s44
	v_sub_f32_e32 v6, v3, v6
	v_fmaak_f32 v3, v4, v5, 0x3ed67f1d
	v_add_f32_e64 v4, |v1|, -0.5
	v_add_f32_e32 v5, -1.0, v6
	v_fmac_f32_e32 v3, v4, v5
.LBB164_776:
	s_or_b32 exec_lo, exec_lo, s43
.LBB164_777:
	s_andn2_saveexec_b32 s43, s0
	s_cbranch_execz .LBB164_779
; %bb.778:
	v_cvt_i32_f32_e32 v3, v2
	s_mov_b32 s0, 0x36f5d7bd
	s_mov_b32 s44, 0x3805ff67
	v_cvt_f32_i32_e32 v4, v3
	v_cmp_lt_i32_e32 vcc_lo, 2, v3
	v_sub_f32_e64 v4, |v1|, v4
	v_add_f32_e32 v5, 2.0, v4
	v_add_f32_e32 v6, 0x40400000, v4
	v_add_f32_e32 v7, 4.0, v4
	v_add_f32_e32 v9, 0x40a00000, v4
	v_cndmask_b32_e32 v5, 1.0, v5, vcc_lo
	v_cmp_lt_i32_e32 vcc_lo, 3, v3
	v_cndmask_b32_e32 v6, 1.0, v6, vcc_lo
	v_cmp_lt_i32_e32 vcc_lo, 4, v3
	v_mul_f32_e32 v5, v5, v6
	v_cndmask_b32_e32 v7, 1.0, v7, vcc_lo
	v_cmp_lt_i32_e32 vcc_lo, 5, v3
	v_add_f32_e32 v6, 0x40c00000, v4
	v_mul_f32_e32 v5, v7, v5
	v_cndmask_b32_e32 v9, 1.0, v9, vcc_lo
	v_cmp_lt_i32_e32 vcc_lo, 6, v3
	v_fmaak_f32 v7, s44, v4, 0x3af135b4
	v_mul_f32_e32 v5, v9, v5
	v_cndmask_b32_e32 v3, 1.0, v6, vcc_lo
	v_mul_f32_e32 v3, v3, v5
	v_fmaak_f32 v5, s0, v4, 0x3a4beed6
	v_cmp_gt_f32_e32 vcc_lo, 0x800000, v3
	v_fmaak_f32 v5, v4, v5, 0x3c98bf54
	v_cndmask_b32_e64 v6, 0, 32, vcc_lo
	v_fmaak_f32 v5, v4, v5, 0x3e300f6e
	v_ldexp_f32 v3, v3, v6
	v_fmaak_f32 v6, v4, v7, 0x3cda40e4
	v_fmaak_f32 v5, v4, v5, 0x3f38d0c5
	v_log_f32_e32 v3, v3
	v_fmaak_f32 v6, v4, v6, 0x3e15dce6
	v_fmaak_f32 v5, v4, v5, 0x3fb22d3b
	;; [unrolled: 1-line block ×3, first 2 shown]
	v_fma_f32 v5, v4, v5, 1.0
	v_mul_f32_e32 v7, 0x3f317217, v3
	v_fmaak_f32 v6, v4, v6, 0x3e5c245a
	v_rcp_f32_e32 v5, v5
	v_cmp_gt_f32_e64 s0, 0x7f800000, |v3|
	v_fma_f32 v9, 0x3f317217, v3, -v7
	v_fmaak_f32 v6, v4, v6, 0xbd9e233f
	v_fmamk_f32 v9, v3, 0x3377d1cf, v9
	v_mul_f32_e32 v6, v4, v6
	v_add_f32_e32 v7, v7, v9
	v_mul_f32_e32 v5, v6, v5
	v_cndmask_b32_e64 v6, 0, 0x41b17218, vcc_lo
	v_cndmask_b32_e64 v3, v3, v7, s0
	v_fmac_f32_e32 v5, 0.5, v4
	v_sub_f32_e32 v3, v3, v6
	v_add_f32_e32 v3, v3, v5
.LBB164_779:
	s_or_b32 exec_lo, exec_lo, s43
.LBB164_780:
	s_andn2_saveexec_b32 s23, s23
	s_cbranch_execz .LBB164_798
; %bb.781:
	s_mov_b32 s43, exec_lo
                                        ; implicit-def: $vgpr3
                                        ; implicit-def: $vgpr5
                                        ; implicit-def: $vgpr4
	v_cmpx_ge_f32_e64 0x3f666666, |v1|
	s_xor_b32 s43, exec_lo, s43
	s_cbranch_execz .LBB164_783
; %bb.782:
	v_cmp_gt_f32_e64 s0, 0x800000, |v1|
	v_sub_f32_e64 v6, 1.0, |v1|
	v_cmp_gt_f32_e64 vcc_lo, 0x3f3b4a23, |v1|
	v_cndmask_b32_e64 v3, 0, 32, s0
	v_cndmask_b32_e64 v7, 0, 0x41b17218, s0
	v_ldexp_f32 v3, |v1|, v3
	v_log_f32_e32 v3, v3
	v_mul_f32_e32 v4, 0x3f317217, v3
	v_cmp_gt_f32_e64 s0, 0x7f800000, |v3|
	v_fma_f32 v5, 0x3f317217, v3, -v4
	v_fmamk_f32 v5, v3, 0x3377d1cf, v5
	v_add_f32_e32 v4, v4, v5
	v_add_f32_e64 v5, 0xbeec5b0c, |v1|
	v_cndmask_b32_e64 v3, v3, v4, s0
	v_cndmask_b32_e32 v4, v6, v5, vcc_lo
	v_cndmask_b32_e64 v5, 0, 1, vcc_lo
	v_cmp_gt_f32_e64 s0, 0x3e6d3309, |v1|
	v_sub_f32_e32 v3, v3, v7
	v_cndmask_b32_e64 v4, v4, |v1|, s0
	v_cndmask_b32_e64 v5, v5, 2, s0
	v_xor_b32_e32 v3, 0x80000000, v3
.LBB164_783:
	s_andn2_saveexec_b32 s0, s43
	s_cbranch_execz .LBB164_785
; %bb.784:
	v_sub_f32_e64 v3, 2.0, |v1|
	v_add_f32_e64 v4, 0xbfbb16c3, |v1|
	v_cmp_gt_f32_e64 vcc_lo, 0x3fdda512, |v1|
	v_add_f32_e64 v5, |v1|, -1.0
	v_cndmask_b32_e32 v4, v3, v4, vcc_lo
	v_cndmask_b32_e64 v3, v3, 1.0, vcc_lo
	v_cmp_gt_f32_e64 vcc_lo, 0x3f9d70a4, |v1|
	v_cvt_i32_f32_e32 v3, v3
	v_cndmask_b32_e32 v4, v4, v5, vcc_lo
	v_cndmask_b32_e64 v5, v3, 2, vcc_lo
	v_mov_b32_e32 v3, 0
.LBB164_785:
	s_or_b32 exec_lo, exec_lo, s0
	s_mov_b32 s0, exec_lo
	v_cmpx_lt_i32_e32 0, v5
	s_xor_b32 s0, exec_lo, s0
	s_cbranch_execz .LBB164_793
; %bb.786:
	s_mov_b32 s43, exec_lo
	v_cmpx_lt_i32_e32 1, v5
	s_xor_b32 s43, exec_lo, s43
	s_cbranch_execz .LBB164_790
; %bb.787:
	s_mov_b32 s44, exec_lo
	v_cmpx_eq_u32_e32 2, v5
	s_cbranch_execz .LBB164_789
; %bb.788:
	s_mov_b32 s45, 0x3b52d5db
	v_fmaak_f32 v5, s45, v4, 0x3dd572af
	s_mov_b32 s45, 0x3c5b3c5e
	v_fmaak_f32 v6, s45, v4, 0x3e6a7578
	v_fmaak_f32 v5, v4, v5, 0x3f44efdf
	;; [unrolled: 1-line block ×7, first 2 shown]
	v_fma_f32 v5, v4, v5, 1.0
	v_fmaak_f32 v6, v4, v6, 0xbd9e233f
	v_rcp_f32_e32 v5, v5
	v_mul_f32_e32 v6, v4, v6
	v_mul_f32_e32 v5, v6, v5
	v_fmac_f32_e32 v5, -0.5, v4
	v_add_f32_e32 v3, v3, v5
.LBB164_789:
	s_or_b32 exec_lo, exec_lo, s44
                                        ; implicit-def: $vgpr4
.LBB164_790:
	s_andn2_saveexec_b32 s43, s43
	s_cbranch_execz .LBB164_792
; %bb.791:
	v_mul_f32_e32 v5, v4, v4
	s_mov_b32 s44, 0xb9a3f927
	s_mov_b32 s45, 0x39afe9f7
	v_mul_f32_e32 v6, v4, v5
	v_fmaak_f32 v7, s44, v6, 0x3a66f867
	v_fmaak_f32 v9, s45, v6, 0xba0d3085
	s_mov_b32 s44, 0x39a57b6b
	v_fmaak_f32 v10, s44, v6, 0xbab7f476
	v_fmaak_f32 v7, v6, v7, 0xbb7177fe
	;; [unrolled: 1-line block ×9, first 2 shown]
	v_fmac_f32_e32 v7, v4, v9
	v_fmaak_f32 v4, v6, v10, 0x3ef7b95e
	v_fma_f32 v6, v6, -v7, 0xa2863e55
	v_fma_f32 v4, v5, v4, -v6
	v_add_f32_e32 v4, 0xbdf8cdce, v4
	v_add_f32_e32 v3, v3, v4
.LBB164_792:
	s_or_b32 exec_lo, exec_lo, s43
                                        ; implicit-def: $vgpr5
                                        ; implicit-def: $vgpr4
.LBB164_793:
	s_andn2_saveexec_b32 s0, s0
	s_cbranch_execz .LBB164_797
; %bb.794:
	s_mov_b32 s43, exec_lo
	v_cmpx_eq_u32_e32 0, v5
	s_cbranch_execz .LBB164_796
; %bb.795:
	v_mul_f32_e32 v5, v4, v4
	s_mov_b32 s44, 0x383c2c75
	v_fmaak_f32 v6, s44, v5, 0x38e28445
	s_mov_b32 s44, 0x37d383a2
	v_fmaak_f32 v7, s44, v5, 0x39679767
	v_fmaak_f32 v6, v5, v6, 0x3a05b634
	;; [unrolled: 1-line block ×9, first 2 shown]
	v_mul_f32_e32 v5, v5, v6
	v_fmac_f32_e32 v5, v4, v7
	v_fmac_f32_e32 v5, -0.5, v4
	v_add_f32_e32 v3, v3, v5
.LBB164_796:
	s_or_b32 exec_lo, exec_lo, s43
.LBB164_797:
	s_or_b32 exec_lo, exec_lo, s0
.LBB164_798:
	s_or_b32 exec_lo, exec_lo, s23
.LBB164_799:
	s_andn2_saveexec_b32 s0, s1
	s_cbranch_execz .LBB164_801
; %bb.800:
	v_cmp_gt_f32_e64 s1, 0x800000, |v1|
	s_mov_b32 s23, 0x3e8a8991
	v_fma_f32 v6, |v1|, s23, 0xbecd26ab
	v_cndmask_b32_e64 v3, 0, 32, s1
	v_ldexp_f32 v3, |v1|, v3
	v_log_f32_e32 v3, v3
	v_mul_f32_e32 v4, 0x3f317217, v3
	v_cmp_gt_f32_e64 vcc_lo, 0x7f800000, |v3|
	v_fma_f32 v5, 0x3f317217, v3, -v4
	v_fmamk_f32 v5, v3, 0x3377d1cf, v5
	v_add_f32_e32 v4, v4, v5
	v_fma_f32 v5, |v1|, v6, 0x3f528d33
	v_cndmask_b32_e32 v3, v3, v4, vcc_lo
	v_cndmask_b32_e64 v4, 0, 0x41b17218, s1
	v_fma_f32 v5, |v1|, v5, 0xbf13c468
	v_sub_f32_e32 v3, v3, v4
	v_fma_f32 v3, |v1|, v5, -v3
.LBB164_801:
	s_or_b32 exec_lo, exec_lo, s0
	v_cmp_le_f32_e32 vcc_lo, 0, v1
	s_mov_b32 s1, exec_lo
	v_cmpx_nle_f32_e32 0, v1
	s_xor_b32 s23, exec_lo, s1
	s_cbranch_execz .LBB164_805
; %bb.802:
	v_cmp_gt_f32_e64 s0, 0x4b000000, |v1|
	v_cmp_lt_f32_e64 s1, 0x35000000, |v1|
	s_and_b32 s0, s0, s1
	s_and_saveexec_b32 s43, s0
	s_cbranch_execz .LBB164_804
; %bb.803:
	v_mul_f32_e64 v4, |v1|, 0.5
	s_mov_b32 s1, 0x3d4be544
	v_floor_f32_e32 v5, v4
	v_cmp_neq_f32_e64 s0, 0x7f800000, v4
	v_sub_f32_e32 v5, v4, v5
	v_min_f32_e32 v5, 0x3f7fffff, v5
	v_add_f32_e32 v5, v5, v5
	v_cndmask_b32_e64 v4, 0, v5, s0
	v_cmp_gt_f32_e64 s0, |v1|, 1.0
	v_cndmask_b32_e64 v4, |v1|, v4, s0
	s_mov_b32 s0, 0x3e75aa41
	v_add_f32_e32 v5, v4, v4
	v_rndne_f32_e32 v5, v5
	v_fmac_f32_e32 v4, -0.5, v5
	v_cvt_i32_f32_e32 v5, v5
	v_mul_f32_e32 v6, v4, v4
	v_fmaak_f32 v7, s0, v6, 0xbf1f24be
	v_fmaak_f32 v9, s1, v6, 0x3e642e9d
	v_mul_f32_e32 v10, v4, v6
	v_fmaak_f32 v7, v6, v7, 0x40234736
	v_fmaak_f32 v9, v6, v9, 0xbfaad1da
	;; [unrolled: 1-line block ×4, first 2 shown]
	v_mul_f32_e32 v7, v10, v7
	v_fmaak_f32 v9, v6, v9, 0xc09de9e6
	v_and_b32_e32 v10, 1, v5
	v_lshlrev_b32_e32 v5, 30, v5
	v_fmamk_f32 v4, v4, 0x40490fdb, v7
	v_fma_f32 v6, v6, v9, 1.0
	v_cmp_eq_u32_e64 s0, 0, v10
	v_and_or_b32 v2, 0x80000000, v5, v2
	v_cndmask_b32_e64 v4, v6, v4, s0
	v_xor3_b32 v2, v2, v4, v1
	v_mul_f32_e32 v2, v1, v2
	v_frexp_mant_f32_e64 v4, |v2|
	v_frexp_exp_i32_f32_e32 v2, v2
	v_rcp_f32_e32 v4, v4
	v_sub_nc_u32_e32 v2, 2, v2
	v_mul_f32_e32 v4, 0x3f490fdb, v4
	v_ldexp_f32 v2, v4, v2
	v_cmp_gt_f32_e64 s0, 0x800000, v2
	v_cndmask_b32_e64 v4, 0, 32, s0
	v_ldexp_f32 v2, v2, v4
	v_log_f32_e32 v2, v2
	v_mul_f32_e32 v4, 0x3f317217, v2
	v_cmp_gt_f32_e64 s1, 0x7f800000, |v2|
	v_fma_f32 v5, 0x3f317217, v2, -v4
	v_fmamk_f32 v5, v2, 0x3377d1cf, v5
	v_add_f32_e32 v4, v4, v5
	v_floor_f32_e32 v5, v1
	v_cndmask_b32_e64 v2, v2, v4, s1
	v_cndmask_b32_e64 v4, 0, 0x41b17218, s0
	v_sub_f32_e32 v5, v1, v5
	v_sub_f32_e32 v2, v2, v4
	v_min_f32_e32 v4, 0x3f7fffff, v5
	v_sub_f32_e32 v2, v2, v3
	v_cmp_neq_f32_e64 s0, 0, v4
	v_cndmask_b32_e64 v3, 0x7f800000, v2, s0
.LBB164_804:
	s_or_b32 exec_lo, exec_lo, s43
.LBB164_805:
	s_andn2_saveexec_b32 s23, s23
; %bb.806:
	v_cmp_eq_f32_e64 s0, 1.0, v1
	v_cmp_eq_f32_e64 s1, 2.0, v1
	s_or_b32 s0, s0, s1
	v_cndmask_b32_e64 v3, v3, 0, s0
; %bb.807:
	s_or_b32 exec_lo, exec_lo, s23
	v_cmp_gt_f32_e64 s0, 0x4b000000, |v1|
	s_and_b32 s1, s29, 0xff
	s_or_b32 vcc_lo, vcc_lo, s0
	v_cmp_class_f32_e64 s0, v1, 0x264
	v_cndmask_b32_e32 v2, 0x7f800000, v3, vcc_lo
	v_cmp_u_f32_e32 vcc_lo, v1, v1
	v_mov_b32_e32 v3, 0x7fc0
	s_cmp_lt_i32 s1, 11
	v_cndmask_b32_e64 v2, v2, 0x7f800000, s0
	v_add_co_u32 v0, s0, s8, v0
	v_cndmask_b32_e32 v1, v2, v1, vcc_lo
	v_bfe_u32 v2, v1, 16, 1
	v_cmp_o_f32_e32 vcc_lo, v1, v1
	v_add3_u32 v2, v1, v2, 0x7fff
	v_add_co_ci_u32_e64 v1, null, s9, 0, s0
	v_cndmask_b32_sdwa v2, v3, v2, vcc_lo dst_sel:DWORD dst_unused:UNUSED_PAD src0_sel:DWORD src1_sel:WORD_1
	s_cbranch_scc1 .LBB164_815
; %bb.808:
	s_and_b32 s23, 0xffff, s1
	s_cmp_gt_i32 s23, 25
	s_cbranch_scc0 .LBB164_816
; %bb.809:
	s_cmp_gt_i32 s23, 28
	s_cbranch_scc0 .LBB164_817
; %bb.810:
	;; [unrolled: 3-line block ×4, first 2 shown]
	s_mov_b32 s44, 0
	s_mov_b32 s0, -1
	s_cmp_eq_u32 s23, 46
	s_mov_b32 s43, 0
	s_cbranch_scc0 .LBB164_820
; %bb.813:
	v_and_b32_e32 v3, 0xffff, v2
	s_mov_b32 s43, -1
	s_mov_b32 s0, 0
	global_store_dword v[0:1], v3, off
	s_branch .LBB164_820
.LBB164_814:
	s_mov_b32 s1, 0
	s_mov_b32 s0, s40
	s_branch .LBB164_931
.LBB164_815:
	s_mov_b32 s23, -1
	s_mov_b32 s43, 0
	s_mov_b32 s0, s40
	s_branch .LBB164_889
.LBB164_816:
	s_mov_b32 s44, -1
	s_mov_b32 s43, 0
	s_mov_b32 s0, s40
	s_branch .LBB164_847
.LBB164_817:
	s_mov_b32 s44, -1
	s_mov_b32 s43, 0
	s_mov_b32 s0, s40
	s_branch .LBB164_830
.LBB164_818:
	s_mov_b32 s44, -1
	s_mov_b32 s43, 0
	s_mov_b32 s0, s40
	s_branch .LBB164_826
.LBB164_819:
	s_mov_b32 s44, -1
	s_mov_b32 s43, 0
	s_mov_b32 s0, s40
.LBB164_820:
	s_and_b32 vcc_lo, exec_lo, s44
	s_cbranch_vccz .LBB164_825
; %bb.821:
	s_cmp_eq_u32 s23, 44
	s_mov_b32 s0, -1
	s_cbranch_scc0 .LBB164_825
; %bb.822:
	v_and_b32_e32 v3, 0xffff, v2
	v_mov_b32_e32 v4, 0xff
	s_mov_b32 s43, exec_lo
	v_bfe_u32 v5, v3, 7, 8
	v_cmpx_ne_u32_e32 0xff, v5
	s_cbranch_execz .LBB164_824
; %bb.823:
	v_lshlrev_b32_e32 v4, 16, v3
	v_and_b32_e32 v6, 64, v3
	v_lshrrev_b32_e32 v3, 7, v3
	v_and_or_b32 v4, 0x3f0000, v4, v5
	v_cmp_ne_u32_e32 vcc_lo, 0, v6
	v_cmp_ne_u32_e64 s0, 0, v4
	s_and_b32 s0, vcc_lo, s0
	v_cndmask_b32_e64 v4, 0, 1, s0
	v_add_nc_u32_e32 v4, v3, v4
.LBB164_824:
	s_or_b32 exec_lo, exec_lo, s43
	s_mov_b32 s43, -1
	s_mov_b32 s0, 0
	global_store_byte v[0:1], v4, off
.LBB164_825:
	s_mov_b32 s44, 0
.LBB164_826:
	s_and_b32 vcc_lo, exec_lo, s44
	s_cbranch_vccz .LBB164_829
; %bb.827:
	s_cmp_eq_u32 s23, 29
	s_mov_b32 s0, -1
	s_cbranch_scc0 .LBB164_829
; %bb.828:
	v_lshlrev_b32_e32 v3, 16, v2
	s_mov_b32 s43, -1
	s_mov_b32 s0, 0
	s_mov_b32 s44, 0
	v_trunc_f32_e32 v3, v3
	v_mul_f32_e32 v4, 0x2f800000, v3
	v_floor_f32_e32 v4, v4
	v_fmamk_f32 v3, v4, 0xcf800000, v3
	v_cvt_u32_f32_e32 v4, v4
	v_cvt_u32_f32_e32 v3, v3
	global_store_dwordx2 v[0:1], v[3:4], off
	s_branch .LBB164_830
.LBB164_829:
	s_mov_b32 s44, 0
.LBB164_830:
	s_and_b32 vcc_lo, exec_lo, s44
	s_cbranch_vccz .LBB164_846
; %bb.831:
	s_cmp_lt_i32 s23, 27
	s_mov_b32 s43, -1
	s_cbranch_scc1 .LBB164_837
; %bb.832:
	s_cmp_gt_i32 s23, 27
	s_cbranch_scc0 .LBB164_834
; %bb.833:
	v_lshlrev_b32_e32 v3, 16, v2
	s_mov_b32 s43, 0
	v_cvt_u32_f32_e32 v3, v3
	global_store_dword v[0:1], v3, off
.LBB164_834:
	s_andn2_b32 vcc_lo, exec_lo, s43
	s_cbranch_vccnz .LBB164_836
; %bb.835:
	v_lshlrev_b32_e32 v3, 16, v2
	v_cvt_u32_f32_e32 v3, v3
	global_store_short v[0:1], v3, off
.LBB164_836:
	s_mov_b32 s43, 0
.LBB164_837:
	s_andn2_b32 vcc_lo, exec_lo, s43
	s_cbranch_vccnz .LBB164_845
; %bb.838:
	v_lshlrev_b32_e32 v5, 16, v2
	v_mov_b32_e32 v6, 0x80
	s_mov_b32 s43, exec_lo
	v_and_b32_e32 v4, 0x7fffffff, v5
	v_cmpx_gt_u32_e32 0x43800000, v4
	s_cbranch_execz .LBB164_844
; %bb.839:
	v_and_b32_e32 v3, 0xffff, v2
	v_cmp_lt_u32_e32 vcc_lo, 0x3bffffff, v4
	s_mov_b32 s44, 0
                                        ; implicit-def: $vgpr4
	s_and_saveexec_b32 s45, vcc_lo
	s_xor_b32 s45, exec_lo, s45
	s_cbranch_execz .LBB164_961
; %bb.840:
	v_bfe_u32 v4, v3, 4, 1
	s_mov_b32 s44, exec_lo
	v_add3_u32 v4, v5, v4, 0x487ffff
                                        ; implicit-def: $vgpr5
	v_lshrrev_b32_e32 v4, 20, v4
	s_andn2_saveexec_b32 s45, s45
	s_cbranch_execnz .LBB164_962
.LBB164_841:
	s_or_b32 exec_lo, exec_lo, s45
	v_mov_b32_e32 v6, 0
	s_and_saveexec_b32 s45, s44
.LBB164_842:
	v_lshrrev_b32_e32 v3, 8, v3
	v_and_or_b32 v6, 0x80, v3, v4
.LBB164_843:
	s_or_b32 exec_lo, exec_lo, s45
.LBB164_844:
	s_or_b32 exec_lo, exec_lo, s43
	global_store_byte v[0:1], v6, off
.LBB164_845:
	s_mov_b32 s43, -1
.LBB164_846:
	s_mov_b32 s44, 0
.LBB164_847:
	s_and_b32 vcc_lo, exec_lo, s44
	s_cbranch_vccz .LBB164_888
; %bb.848:
	s_cmp_gt_i32 s23, 22
	s_mov_b32 s44, -1
	s_cbranch_scc0 .LBB164_880
; %bb.849:
	s_cmp_lt_i32 s23, 24
	s_mov_b32 s43, -1
	s_cbranch_scc1 .LBB164_869
; %bb.850:
	s_cmp_gt_i32 s23, 24
	s_cbranch_scc0 .LBB164_858
; %bb.851:
	v_lshlrev_b32_e32 v5, 16, v2
	v_mov_b32_e32 v6, 0x80
	s_mov_b32 s43, exec_lo
	v_and_b32_e32 v4, 0x7fffffff, v5
	v_cmpx_gt_u32_e32 0x47800000, v4
	s_cbranch_execz .LBB164_857
; %bb.852:
	v_and_b32_e32 v3, 0xffff, v2
	v_cmp_lt_u32_e32 vcc_lo, 0x37ffffff, v4
	s_mov_b32 s44, 0
                                        ; implicit-def: $vgpr4
	s_and_saveexec_b32 s45, vcc_lo
	s_xor_b32 s45, exec_lo, s45
	s_cbranch_execz .LBB164_964
; %bb.853:
	v_bfe_u32 v4, v3, 5, 1
	s_mov_b32 s44, exec_lo
	v_add3_u32 v4, v5, v4, 0x88fffff
                                        ; implicit-def: $vgpr5
	v_lshrrev_b32_e32 v4, 21, v4
	s_andn2_saveexec_b32 s45, s45
	s_cbranch_execnz .LBB164_965
.LBB164_854:
	s_or_b32 exec_lo, exec_lo, s45
	v_mov_b32_e32 v6, 0
	s_and_saveexec_b32 s45, s44
.LBB164_855:
	v_lshrrev_b32_e32 v3, 8, v3
	v_and_or_b32 v6, 0x80, v3, v4
.LBB164_856:
	s_or_b32 exec_lo, exec_lo, s45
.LBB164_857:
	s_or_b32 exec_lo, exec_lo, s43
	s_mov_b32 s43, 0
	global_store_byte v[0:1], v6, off
.LBB164_858:
	s_and_b32 vcc_lo, exec_lo, s43
	s_cbranch_vccz .LBB164_868
; %bb.859:
	v_lshlrev_b32_e32 v5, 16, v2
	v_and_b32_e32 v3, 0xffff, v2
	s_mov_b32 s43, exec_lo
                                        ; implicit-def: $vgpr4
	v_and_b32_e32 v6, 0x7fffffff, v5
	v_cmpx_gt_u32_e32 0x43f00000, v6
	s_xor_b32 s43, exec_lo, s43
	s_cbranch_execz .LBB164_865
; %bb.860:
	s_mov_b32 s44, exec_lo
                                        ; implicit-def: $vgpr4
	v_cmpx_lt_u32_e32 0x3c7fffff, v6
	s_xor_b32 s44, exec_lo, s44
; %bb.861:
	v_bfe_u32 v4, v3, 4, 1
	v_add3_u32 v4, v5, v4, 0x407ffff
	v_and_b32_e32 v5, 0xff00000, v4
	v_lshrrev_b32_e32 v4, 20, v4
	v_cmp_ne_u32_e32 vcc_lo, 0x7f00000, v5
                                        ; implicit-def: $vgpr5
	v_cndmask_b32_e32 v4, 0x7e, v4, vcc_lo
; %bb.862:
	s_andn2_saveexec_b32 s44, s44
; %bb.863:
	v_add_f32_e64 v4, 0x46800000, |v5|
; %bb.864:
	s_or_b32 exec_lo, exec_lo, s44
                                        ; implicit-def: $vgpr6
.LBB164_865:
	s_andn2_saveexec_b32 s43, s43
; %bb.866:
	v_mov_b32_e32 v4, 0x7f
	v_cmp_lt_u32_e32 vcc_lo, 0x7f800000, v6
	v_cndmask_b32_e32 v4, 0x7e, v4, vcc_lo
; %bb.867:
	s_or_b32 exec_lo, exec_lo, s43
	v_lshrrev_b32_e32 v3, 8, v3
	v_and_or_b32 v3, 0x80, v3, v4
	global_store_byte v[0:1], v3, off
.LBB164_868:
	s_mov_b32 s43, 0
.LBB164_869:
	s_andn2_b32 vcc_lo, exec_lo, s43
	s_cbranch_vccnz .LBB164_879
; %bb.870:
	v_lshlrev_b32_e32 v5, 16, v2
	v_and_b32_e32 v3, 0xffff, v2
	s_mov_b32 s43, exec_lo
                                        ; implicit-def: $vgpr4
	v_and_b32_e32 v6, 0x7fffffff, v5
	v_cmpx_gt_u32_e32 0x47800000, v6
	s_xor_b32 s43, exec_lo, s43
	s_cbranch_execz .LBB164_876
; %bb.871:
	s_mov_b32 s44, exec_lo
                                        ; implicit-def: $vgpr4
	v_cmpx_lt_u32_e32 0x387fffff, v6
	s_xor_b32 s44, exec_lo, s44
; %bb.872:
	v_bfe_u32 v4, v3, 5, 1
	v_add3_u32 v4, v5, v4, 0x80fffff
                                        ; implicit-def: $vgpr5
	v_lshrrev_b32_e32 v4, 21, v4
; %bb.873:
	s_andn2_saveexec_b32 s44, s44
; %bb.874:
	v_add_f32_e64 v4, 0x43000000, |v5|
; %bb.875:
	s_or_b32 exec_lo, exec_lo, s44
                                        ; implicit-def: $vgpr6
.LBB164_876:
	s_andn2_saveexec_b32 s43, s43
; %bb.877:
	v_mov_b32_e32 v4, 0x7f
	v_cmp_lt_u32_e32 vcc_lo, 0x7f800000, v6
	v_cndmask_b32_e32 v4, 0x7c, v4, vcc_lo
; %bb.878:
	s_or_b32 exec_lo, exec_lo, s43
	v_lshrrev_b32_e32 v3, 8, v3
	v_and_or_b32 v3, 0x80, v3, v4
	global_store_byte v[0:1], v3, off
.LBB164_879:
	s_mov_b32 s44, 0
	s_mov_b32 s43, -1
.LBB164_880:
	s_andn2_b32 vcc_lo, exec_lo, s44
	s_cbranch_vccnz .LBB164_888
; %bb.881:
	s_cmp_gt_i32 s23, 14
	s_mov_b32 s44, -1
	s_cbranch_scc0 .LBB164_885
; %bb.882:
	s_cmp_eq_u32 s23, 15
	s_mov_b32 s0, -1
	s_cbranch_scc0 .LBB164_884
; %bb.883:
	s_mov_b32 s43, -1
	s_mov_b32 s0, 0
	global_store_short v[0:1], v2, off
.LBB164_884:
	s_mov_b32 s44, 0
.LBB164_885:
	s_and_b32 vcc_lo, exec_lo, s44
	s_cbranch_vccz .LBB164_888
; %bb.886:
	s_cmp_eq_u32 s23, 11
	s_mov_b32 s0, -1
	s_cbranch_scc0 .LBB164_888
; %bb.887:
	v_and_b32_e32 v3, 0x7fff, v2
	s_mov_b32 s0, 0
	s_mov_b32 s43, -1
	v_cmp_ne_u16_e32 vcc_lo, 0, v3
	v_cndmask_b32_e64 v3, 0, 1, vcc_lo
	global_store_byte v[0:1], v3, off
.LBB164_888:
	s_mov_b32 s23, 0
.LBB164_889:
	s_and_b32 vcc_lo, exec_lo, s23
	s_cbranch_vccz .LBB164_928
; %bb.890:
	s_and_b32 s1, 0xffff, s1
	s_mov_b32 s23, -1
	s_cmp_lt_i32 s1, 5
	s_cbranch_scc1 .LBB164_911
; %bb.891:
	s_cmp_lt_i32 s1, 8
	s_cbranch_scc1 .LBB164_901
; %bb.892:
	;; [unrolled: 3-line block ×3, first 2 shown]
	s_cmp_gt_i32 s1, 9
	s_cbranch_scc0 .LBB164_895
; %bb.894:
	v_lshlrev_b32_e32 v3, 16, v2
	v_mov_b32_e32 v5, 0
	s_mov_b32 s23, 0
	v_cvt_f64_f32_e32 v[3:4], v3
	v_mov_b32_e32 v6, v5
	global_store_dwordx4 v[0:1], v[3:6], off
.LBB164_895:
	s_andn2_b32 vcc_lo, exec_lo, s23
	s_cbranch_vccnz .LBB164_897
; %bb.896:
	v_lshlrev_b32_e32 v3, 16, v2
	v_mov_b32_e32 v4, 0
	global_store_dwordx2 v[0:1], v[3:4], off
.LBB164_897:
	s_mov_b32 s23, 0
.LBB164_898:
	s_andn2_b32 vcc_lo, exec_lo, s23
	s_cbranch_vccnz .LBB164_900
; %bb.899:
	v_lshlrev_b32_e32 v3, 16, v2
	v_cvt_f16_f32_e32 v3, v3
	v_and_b32_e32 v3, 0xffff, v3
	global_store_dword v[0:1], v3, off
.LBB164_900:
	s_mov_b32 s23, 0
.LBB164_901:
	s_andn2_b32 vcc_lo, exec_lo, s23
	s_cbranch_vccnz .LBB164_910
; %bb.902:
	s_cmp_lt_i32 s1, 6
	s_mov_b32 s23, -1
	s_cbranch_scc1 .LBB164_908
; %bb.903:
	s_cmp_gt_i32 s1, 6
	s_cbranch_scc0 .LBB164_905
; %bb.904:
	v_lshlrev_b32_e32 v3, 16, v2
	s_mov_b32 s23, 0
	v_cvt_f64_f32_e32 v[3:4], v3
	global_store_dwordx2 v[0:1], v[3:4], off
.LBB164_905:
	s_andn2_b32 vcc_lo, exec_lo, s23
	s_cbranch_vccnz .LBB164_907
; %bb.906:
	v_lshlrev_b32_e32 v3, 16, v2
	global_store_dword v[0:1], v3, off
.LBB164_907:
	s_mov_b32 s23, 0
.LBB164_908:
	s_andn2_b32 vcc_lo, exec_lo, s23
	s_cbranch_vccnz .LBB164_910
; %bb.909:
	v_lshlrev_b32_e32 v3, 16, v2
	v_cvt_f16_f32_e32 v3, v3
	global_store_short v[0:1], v3, off
.LBB164_910:
	s_mov_b32 s23, 0
.LBB164_911:
	s_andn2_b32 vcc_lo, exec_lo, s23
	s_cbranch_vccnz .LBB164_927
; %bb.912:
	s_cmp_lt_i32 s1, 2
	s_mov_b32 s23, -1
	s_cbranch_scc1 .LBB164_922
; %bb.913:
	s_cmp_lt_i32 s1, 3
	s_cbranch_scc1 .LBB164_919
; %bb.914:
	s_cmp_gt_i32 s1, 3
	s_cbranch_scc0 .LBB164_916
; %bb.915:
	v_lshlrev_b32_e32 v3, 16, v2
	s_mov_b32 s23, 0
	v_trunc_f32_e32 v3, v3
	v_mul_f32_e64 v4, 0x2f800000, |v3|
	v_ashrrev_i32_e32 v6, 31, v3
	v_floor_f32_e32 v4, v4
	v_fma_f32 v5, 0xcf800000, v4, |v3|
	v_cvt_u32_f32_e32 v4, v4
	v_cvt_u32_f32_e32 v3, v5
	v_xor_b32_e32 v4, v4, v6
	v_xor_b32_e32 v3, v3, v6
	v_sub_co_u32 v3, vcc_lo, v3, v6
	v_sub_co_ci_u32_e64 v4, null, v4, v6, vcc_lo
	global_store_dwordx2 v[0:1], v[3:4], off
.LBB164_916:
	s_andn2_b32 vcc_lo, exec_lo, s23
	s_cbranch_vccnz .LBB164_918
; %bb.917:
	v_lshlrev_b32_e32 v3, 16, v2
	v_cvt_i32_f32_e32 v3, v3
	global_store_dword v[0:1], v3, off
.LBB164_918:
	s_mov_b32 s23, 0
.LBB164_919:
	s_andn2_b32 vcc_lo, exec_lo, s23
	s_cbranch_vccnz .LBB164_921
; %bb.920:
	v_lshlrev_b32_e32 v3, 16, v2
	v_cvt_i32_f32_e32 v3, v3
	global_store_short v[0:1], v3, off
.LBB164_921:
	s_mov_b32 s23, 0
.LBB164_922:
	s_andn2_b32 vcc_lo, exec_lo, s23
	s_cbranch_vccnz .LBB164_927
; %bb.923:
	v_lshlrev_b32_e32 v2, 16, v2
	s_cmp_gt_i32 s1, 0
	s_mov_b32 s1, -1
	s_cbranch_scc0 .LBB164_925
; %bb.924:
	v_cvt_i32_f32_e32 v3, v2
	s_mov_b32 s1, 0
	global_store_byte v[0:1], v3, off
.LBB164_925:
	s_andn2_b32 vcc_lo, exec_lo, s1
	s_cbranch_vccnz .LBB164_927
; %bb.926:
	v_trunc_f32_e32 v2, v2
	v_mul_f32_e64 v3, 0x2f800000, |v2|
	v_floor_f32_e32 v3, v3
	v_fma_f32 v3, 0xcf800000, v3, |v2|
	v_ashrrev_i32_e32 v2, 31, v2
	v_cvt_u32_f32_e32 v3, v3
	v_xor_b32_e32 v3, v3, v2
	v_sub_nc_u32_e32 v2, v3, v2
	global_store_byte v[0:1], v2, off
.LBB164_927:
	s_mov_b32 s43, -1
.LBB164_928:
	s_andn2_b32 vcc_lo, exec_lo, s43
	s_cbranch_vccnz .LBB164_930
; %bb.929:
	v_add_nc_u32_e32 v8, 0x80, v8
	s_mov_b32 s1, -1
	s_branch .LBB164_932
.LBB164_930:
	s_mov_b32 s1, 0
.LBB164_931:
                                        ; implicit-def: $vgpr8
.LBB164_932:
	s_andn2_b32 s23, s40, exec_lo
	s_and_b32 s0, s0, exec_lo
	s_andn2_b32 s43, s39, exec_lo
	s_and_b32 s22, s22, exec_lo
	s_or_b32 s23, s23, s0
	s_or_b32 s22, s43, s22
	s_orn2_b32 s44, s1, exec_lo
.LBB164_933:
	s_or_b32 exec_lo, exec_lo, s42
	s_mov_b32 s0, 0
	s_mov_b32 s1, 0
	s_mov_b32 s43, 0
                                        ; implicit-def: $vgpr1_vgpr2
                                        ; implicit-def: $vgpr0
                                        ; implicit-def: $vgpr4
	s_and_saveexec_b32 s42, s44
	s_cbranch_execz .LBB164_1033
; %bb.934:
	v_cmp_gt_i32_e32 vcc_lo, s33, v8
	s_mov_b32 s45, s22
	s_mov_b32 s44, 0
                                        ; implicit-def: $vgpr1_vgpr2
                                        ; implicit-def: $vgpr0
                                        ; implicit-def: $vgpr4
	s_and_saveexec_b32 s33, vcc_lo
	s_cbranch_execz .LBB164_1032
; %bb.935:
	s_andn2_b32 vcc_lo, exec_lo, s27
	s_cbranch_vccnz .LBB164_940
; %bb.936:
	s_andn2_b32 vcc_lo, exec_lo, s34
	s_cbranch_vccnz .LBB164_941
; %bb.937:
	s_add_i32 s35, s35, 1
	s_cmp_eq_u32 s25, 2
	s_cbranch_scc1 .LBB164_942
; %bb.938:
	v_mov_b32_e32 v2, 0
	v_mov_b32_e32 v0, 0
	;; [unrolled: 1-line block ×3, first 2 shown]
	s_and_b32 s34, s35, 28
	s_mov_b64 s[0:1], s[2:3]
.LBB164_939:                            ; =>This Inner Loop Header: Depth=1
	s_clause 0x1
	s_load_dwordx8 s[44:51], s[0:1], 0x4
	s_load_dwordx4 s[60:63], s[0:1], 0x24
	s_load_dwordx8 s[52:59], s[20:21], 0x0
	s_add_u32 s0, s0, 48
	s_addc_u32 s1, s1, 0
	s_add_i32 s43, s43, 4
	s_add_u32 s20, s20, 32
	s_addc_u32 s21, s21, 0
	s_cmp_eq_u32 s34, s43
	s_waitcnt vmcnt(0) lgkmcnt(0)
	v_mul_hi_u32 v3, s45, v1
	v_add_nc_u32_e32 v3, v1, v3
	v_lshrrev_b32_e32 v3, s46, v3
	v_mul_hi_u32 v4, s48, v3
	v_mul_lo_u32 v6, v3, s44
	v_add_nc_u32_e32 v4, v3, v4
	v_sub_nc_u32_e32 v1, v1, v6
	v_lshrrev_b32_e32 v4, s49, v4
	v_mul_lo_u32 v6, v1, s52
	v_mul_lo_u32 v9, v1, s53
	v_mul_hi_u32 v5, s51, v4
	v_add_nc_u32_e32 v5, v4, v5
	v_lshrrev_b32_e32 v5, s60, v5
	v_mul_hi_u32 v7, s62, v5
	v_mul_lo_u32 v10, v5, s50
	v_add_nc_u32_e32 v1, v5, v7
	v_mul_lo_u32 v7, v4, s47
	v_sub_nc_u32_e32 v4, v4, v10
	v_lshrrev_b32_e32 v1, s63, v1
	v_mul_lo_u32 v10, v4, s56
	v_mul_lo_u32 v4, v4, s57
	v_sub_nc_u32_e32 v3, v3, v7
	v_mul_lo_u32 v11, v1, s61
	v_mul_lo_u32 v7, v3, s54
	;; [unrolled: 1-line block ×3, first 2 shown]
	v_sub_nc_u32_e32 v5, v5, v11
	v_add3_u32 v0, v6, v0, v7
	v_mul_lo_u32 v11, v5, s58
	v_mul_lo_u32 v5, v5, s59
	v_add3_u32 v2, v9, v2, v3
	v_add3_u32 v0, v10, v0, v11
	;; [unrolled: 1-line block ×3, first 2 shown]
	s_cbranch_scc0 .LBB164_939
	s_branch .LBB164_943
.LBB164_940:
	s_mov_b32 s0, -1
                                        ; implicit-def: $vgpr0
                                        ; implicit-def: $vgpr2
	s_branch .LBB164_947
.LBB164_941:
	v_mov_b32_e32 v0, 0
	v_mov_b32_e32 v2, 0
	s_branch .LBB164_946
.LBB164_942:
	v_mov_b32_e32 v0, 0
	v_mov_b32_e32 v2, 0
	;; [unrolled: 1-line block ×3, first 2 shown]
	s_mov_b32 s34, 0
.LBB164_943:
	s_and_b32 s35, s35, 3
	s_cmp_eq_u32 s35, 0
	s_cbranch_scc1 .LBB164_946
; %bb.944:
	s_lshl_b32 s0, s34, 3
	s_mul_i32 s20, s34, 12
	s_add_u32 s0, s2, s0
	s_addc_u32 s1, s3, 0
	s_add_u32 s0, s0, 0xc4
	s_addc_u32 s1, s1, 0
	;; [unrolled: 2-line block ×3, first 2 shown]
.LBB164_945:                            ; =>This Inner Loop Header: Depth=1
	s_clause 0x1
	s_load_dwordx2 s[44:45], s[20:21], 0x4
	s_load_dword s34, s[20:21], 0xc
	s_load_dwordx2 s[46:47], s[0:1], 0x0
	s_add_u32 s20, s20, 12
	s_addc_u32 s21, s21, 0
	s_add_u32 s0, s0, 8
	s_addc_u32 s1, s1, 0
	s_add_i32 s35, s35, -1
	s_cmp_lg_u32 s35, 0
	s_waitcnt vmcnt(0) lgkmcnt(0)
	v_mul_hi_u32 v3, s45, v1
	v_add_nc_u32_e32 v3, v1, v3
	v_lshrrev_b32_e32 v4, s34, v3
	v_mul_lo_u32 v3, v4, s44
	v_sub_nc_u32_e32 v3, v1, v3
	v_mad_u64_u32 v[0:1], null, v3, s46, v[0:1]
	v_mad_u64_u32 v[2:3], null, v3, s47, v[2:3]
	v_mov_b32_e32 v1, v4
	s_cbranch_scc1 .LBB164_945
.LBB164_946:
	s_mov_b32 s0, 0
.LBB164_947:
	s_andn2_b32 vcc_lo, exec_lo, s0
	s_cbranch_vccnz .LBB164_950
; %bb.948:
	s_waitcnt lgkmcnt(0)
	v_mul_hi_u32 v0, s17, v8
	s_andn2_b32 vcc_lo, exec_lo, s31
	v_add_nc_u32_e32 v0, v8, v0
	v_lshrrev_b32_e32 v1, s18, v0
	v_mul_lo_u32 v0, v1, s16
	v_sub_nc_u32_e32 v2, v8, v0
	v_mul_lo_u32 v0, v2, s12
	v_mul_lo_u32 v2, v2, s13
	s_cbranch_vccnz .LBB164_950
; %bb.949:
	s_waitcnt vmcnt(0)
	v_mul_hi_u32 v3, s6, v1
	v_add_nc_u32_e32 v3, v1, v3
	v_lshrrev_b32_e32 v3, s7, v3
	v_mul_lo_u32 v3, v3, s19
	v_sub_nc_u32_e32 v3, v1, v3
	v_mad_u64_u32 v[0:1], null, v3, s14, v[0:1]
	v_mad_u64_u32 v[2:3], null, v3, s15, v[2:3]
.LBB164_950:
	s_waitcnt lgkmcnt(0)
	v_add_co_u32 v1, s0, s10, v2
	v_add_co_ci_u32_e64 v2, null, s11, 0, s0
	s_and_b32 s0, 0xffff, s30
	s_cmp_lt_i32 s0, 11
	s_cbranch_scc1 .LBB164_957
; %bb.951:
	s_cmp_gt_i32 s0, 25
	s_mov_b32 s6, 0
	s_cbranch_scc0 .LBB164_958
; %bb.952:
	s_cmp_gt_i32 s0, 28
	s_cbranch_scc0 .LBB164_959
; %bb.953:
	s_cmp_gt_i32 s0, 43
	;; [unrolled: 3-line block ×3, first 2 shown]
	s_cbranch_scc0 .LBB164_963
; %bb.955:
	s_cmp_eq_u32 s0, 46
	s_mov_b32 s10, 0
	s_cbranch_scc0 .LBB164_966
; %bb.956:
	global_load_dword v4, v[1:2], off
	s_mov_b32 s1, 0
	s_mov_b32 s7, -1
	s_branch .LBB164_968
.LBB164_957:
	s_mov_b32 s0, -1
	s_mov_b32 s7, 0
	s_mov_b32 s6, 0
	;; [unrolled: 1-line block ×3, first 2 shown]
                                        ; implicit-def: $vgpr4
	s_branch .LBB164_1031
.LBB164_958:
	s_mov_b32 s10, -1
	s_mov_b32 s7, 0
	s_mov_b32 s1, s22
                                        ; implicit-def: $vgpr4
	s_branch .LBB164_997
.LBB164_959:
	s_mov_b32 s10, -1
	s_mov_b32 s7, 0
	s_mov_b32 s1, s22
                                        ; implicit-def: $vgpr4
	s_branch .LBB164_978
.LBB164_960:
	s_mov_b32 s10, -1
	s_mov_b32 s7, 0
	s_mov_b32 s1, s22
                                        ; implicit-def: $vgpr4
	s_branch .LBB164_973
.LBB164_961:
	s_andn2_saveexec_b32 s45, s45
	s_cbranch_execz .LBB164_841
.LBB164_962:
	v_add_f32_e64 v4, 0x46000000, |v5|
	s_andn2_b32 s44, s44, exec_lo
	v_and_b32_e32 v4, 0xff, v4
	v_cmp_ne_u32_e32 vcc_lo, 0, v4
	s_and_b32 s46, vcc_lo, exec_lo
	s_or_b32 s44, s44, s46
	s_or_b32 exec_lo, exec_lo, s45
	v_mov_b32_e32 v6, 0
	s_and_saveexec_b32 s45, s44
	s_cbranch_execnz .LBB164_842
	s_branch .LBB164_843
.LBB164_963:
	s_mov_b32 s10, -1
	s_mov_b32 s7, 0
	s_mov_b32 s1, s22
	s_branch .LBB164_967
.LBB164_964:
	s_andn2_saveexec_b32 s45, s45
	s_cbranch_execz .LBB164_854
.LBB164_965:
	v_add_f32_e64 v4, 0x42800000, |v5|
	s_andn2_b32 s44, s44, exec_lo
	v_and_b32_e32 v4, 0xff, v4
	v_cmp_ne_u32_e32 vcc_lo, 0, v4
	s_and_b32 s46, vcc_lo, exec_lo
	s_or_b32 s44, s44, s46
	s_or_b32 exec_lo, exec_lo, s45
	v_mov_b32_e32 v6, 0
	s_and_saveexec_b32 s45, s44
	s_cbranch_execnz .LBB164_855
	s_branch .LBB164_856
.LBB164_966:
	s_mov_b32 s1, -1
	s_mov_b32 s7, 0
.LBB164_967:
                                        ; implicit-def: $vgpr4
.LBB164_968:
	s_and_b32 vcc_lo, exec_lo, s10
	s_cbranch_vccz .LBB164_972
; %bb.969:
	s_cmp_eq_u32 s0, 44
	s_cbranch_scc0 .LBB164_971
; %bb.970:
	global_load_ubyte v3, v[1:2], off
	s_mov_b32 s1, 0
	s_mov_b32 s7, -1
	s_waitcnt vmcnt(0)
	v_lshlrev_b32_e32 v4, 23, v3
	v_cmp_ne_u32_e32 vcc_lo, 0xff, v3
	v_cndmask_b32_e32 v4, 0x7f800001, v4, vcc_lo
	v_cmp_ne_u32_e32 vcc_lo, 0, v3
	v_cndmask_b32_e32 v3, 0x400000, v4, vcc_lo
	v_mov_b32_e32 v4, 0x7fc0
	v_cmp_o_f32_e32 vcc_lo, v3, v3
	v_add_nc_u32_e32 v3, 0x7fff, v3
	v_cndmask_b32_sdwa v4, v4, v3, vcc_lo dst_sel:DWORD dst_unused:UNUSED_PAD src0_sel:DWORD src1_sel:WORD_1
	s_branch .LBB164_972
.LBB164_971:
	s_mov_b32 s1, -1
                                        ; implicit-def: $vgpr4
.LBB164_972:
	s_mov_b32 s10, 0
.LBB164_973:
	s_and_b32 vcc_lo, exec_lo, s10
	s_cbranch_vccz .LBB164_977
; %bb.974:
	s_cmp_eq_u32 s0, 29
	s_cbranch_scc0 .LBB164_976
; %bb.975:
	global_load_dwordx2 v[3:4], v[1:2], off
	s_mov_b32 s1, 0
	s_mov_b32 s7, -1
	s_mov_b32 s10, 0
	s_waitcnt vmcnt(0)
	v_ffbh_u32_e32 v5, v4
	v_min_u32_e32 v5, 32, v5
	v_lshlrev_b64 v[3:4], v5, v[3:4]
	v_min_u32_e32 v3, 1, v3
	v_or_b32_e32 v3, v4, v3
	v_sub_nc_u32_e32 v4, 32, v5
	v_cvt_f32_u32_e32 v3, v3
	v_ldexp_f32 v3, v3, v4
	v_bfe_u32 v4, v3, 16, 1
	v_add3_u32 v3, v3, v4, 0x7fff
	v_lshrrev_b32_e32 v4, 16, v3
	s_branch .LBB164_978
.LBB164_976:
	s_mov_b32 s1, -1
                                        ; implicit-def: $vgpr4
.LBB164_977:
	s_mov_b32 s10, 0
.LBB164_978:
	s_and_b32 vcc_lo, exec_lo, s10
	s_cbranch_vccz .LBB164_996
; %bb.979:
	s_cmp_lt_i32 s0, 27
	s_cbranch_scc1 .LBB164_982
; %bb.980:
	s_cmp_gt_i32 s0, 27
	s_cbranch_scc0 .LBB164_983
; %bb.981:
	global_load_dword v3, v[1:2], off
	s_mov_b32 s7, 0
	s_waitcnt vmcnt(0)
	v_cvt_f32_u32_e32 v3, v3
	v_bfe_u32 v4, v3, 16, 1
	v_add3_u32 v3, v3, v4, 0x7fff
	v_lshrrev_b32_e32 v4, 16, v3
	s_branch .LBB164_984
.LBB164_982:
	s_mov_b32 s7, -1
                                        ; implicit-def: $vgpr4
	s_branch .LBB164_987
.LBB164_983:
	s_mov_b32 s7, -1
                                        ; implicit-def: $vgpr4
.LBB164_984:
	s_andn2_b32 vcc_lo, exec_lo, s7
	s_cbranch_vccnz .LBB164_986
; %bb.985:
	global_load_ushort v3, v[1:2], off
	s_waitcnt vmcnt(0)
	v_cvt_f32_u32_e32 v3, v3
	v_bfe_u32 v4, v3, 16, 1
	v_add3_u32 v3, v3, v4, 0x7fff
	v_lshrrev_b32_e32 v4, 16, v3
.LBB164_986:
	s_mov_b32 s7, 0
.LBB164_987:
	s_andn2_b32 vcc_lo, exec_lo, s7
	s_cbranch_vccnz .LBB164_995
; %bb.988:
	global_load_ubyte v3, v[1:2], off
	s_mov_b32 s7, 0
	s_mov_b32 s10, exec_lo
	s_waitcnt vmcnt(0)
	v_cmpx_lt_i16_e32 0x7f, v3
	s_xor_b32 s10, exec_lo, s10
	s_cbranch_execz .LBB164_1009
; %bb.989:
	s_mov_b32 s7, -1
	s_mov_b32 s11, exec_lo
	v_cmpx_eq_u16_e32 0x80, v3
; %bb.990:
	s_xor_b32 s7, exec_lo, -1
; %bb.991:
	s_or_b32 exec_lo, exec_lo, s11
	s_and_b32 s7, s7, exec_lo
	s_or_saveexec_b32 s10, s10
	v_mov_b32_e32 v4, 0x7f800001
	s_xor_b32 exec_lo, exec_lo, s10
	s_cbranch_execnz .LBB164_1010
.LBB164_992:
	s_or_b32 exec_lo, exec_lo, s10
	s_and_saveexec_b32 s10, s7
	s_cbranch_execz .LBB164_994
.LBB164_993:
	v_and_b32_e32 v4, 0xffff, v3
	v_lshlrev_b32_e32 v3, 24, v3
	v_and_b32_e32 v5, 7, v4
	v_bfe_u32 v8, v4, 3, 4
	v_and_b32_e32 v3, 0x80000000, v3
	v_ffbh_u32_e32 v6, v5
	v_cmp_eq_u32_e32 vcc_lo, 0, v8
	v_min_u32_e32 v6, 32, v6
	v_subrev_nc_u32_e32 v7, 28, v6
	v_sub_nc_u32_e32 v6, 29, v6
	v_lshlrev_b32_e32 v4, v7, v4
	v_cndmask_b32_e32 v6, v8, v6, vcc_lo
	v_and_b32_e32 v4, 7, v4
	v_cndmask_b32_e32 v4, v5, v4, vcc_lo
	v_lshl_add_u32 v5, v6, 23, 0x3b800000
	v_lshlrev_b32_e32 v4, 20, v4
	v_or3_b32 v4, v3, v5, v4
.LBB164_994:
	s_or_b32 exec_lo, exec_lo, s10
	v_bfe_u32 v3, v4, 16, 1
	v_cmp_o_f32_e32 vcc_lo, v4, v4
	v_add3_u32 v3, v4, v3, 0x7fff
	v_mov_b32_e32 v4, 0x7fc0
	v_cndmask_b32_sdwa v4, v4, v3, vcc_lo dst_sel:DWORD dst_unused:UNUSED_PAD src0_sel:DWORD src1_sel:WORD_1
.LBB164_995:
	s_mov_b32 s7, -1
.LBB164_996:
	s_mov_b32 s10, 0
.LBB164_997:
	s_and_b32 vcc_lo, exec_lo, s10
	s_cbranch_vccz .LBB164_1030
; %bb.998:
	s_cmp_gt_i32 s0, 22
	s_cbranch_scc0 .LBB164_1008
; %bb.999:
	s_cmp_lt_i32 s0, 24
	s_cbranch_scc1 .LBB164_1011
; %bb.1000:
	s_cmp_gt_i32 s0, 24
	s_cbranch_scc0 .LBB164_1012
; %bb.1001:
	global_load_ubyte v3, v[1:2], off
	s_mov_b32 s7, exec_lo
	s_waitcnt vmcnt(0)
	v_cmpx_lt_i16_e32 0x7f, v3
	s_xor_b32 s7, exec_lo, s7
	s_cbranch_execz .LBB164_1024
; %bb.1002:
	s_mov_b32 s6, -1
	s_mov_b32 s10, exec_lo
	v_cmpx_eq_u16_e32 0x80, v3
; %bb.1003:
	s_xor_b32 s6, exec_lo, -1
; %bb.1004:
	s_or_b32 exec_lo, exec_lo, s10
	s_and_b32 s6, s6, exec_lo
	s_or_saveexec_b32 s7, s7
	v_mov_b32_e32 v4, 0x7f800001
	s_xor_b32 exec_lo, exec_lo, s7
	s_cbranch_execnz .LBB164_1025
.LBB164_1005:
	s_or_b32 exec_lo, exec_lo, s7
	s_and_saveexec_b32 s7, s6
	s_cbranch_execz .LBB164_1007
.LBB164_1006:
	v_and_b32_e32 v4, 0xffff, v3
	v_lshlrev_b32_e32 v3, 24, v3
	v_and_b32_e32 v5, 3, v4
	v_bfe_u32 v8, v4, 2, 5
	v_and_b32_e32 v3, 0x80000000, v3
	v_ffbh_u32_e32 v6, v5
	v_cmp_eq_u32_e32 vcc_lo, 0, v8
	v_min_u32_e32 v6, 32, v6
	v_subrev_nc_u32_e32 v7, 29, v6
	v_sub_nc_u32_e32 v6, 30, v6
	v_lshlrev_b32_e32 v4, v7, v4
	v_cndmask_b32_e32 v6, v8, v6, vcc_lo
	v_and_b32_e32 v4, 3, v4
	v_cndmask_b32_e32 v4, v5, v4, vcc_lo
	v_lshl_add_u32 v5, v6, 23, 0x37800000
	v_lshlrev_b32_e32 v4, 21, v4
	v_or3_b32 v4, v3, v5, v4
.LBB164_1007:
	s_or_b32 exec_lo, exec_lo, s7
	v_bfe_u32 v3, v4, 16, 1
	v_cmp_o_f32_e32 vcc_lo, v4, v4
	s_mov_b32 s6, 0
	v_add3_u32 v3, v4, v3, 0x7fff
	v_mov_b32_e32 v4, 0x7fc0
	v_cndmask_b32_sdwa v4, v4, v3, vcc_lo dst_sel:DWORD dst_unused:UNUSED_PAD src0_sel:DWORD src1_sel:WORD_1
	s_branch .LBB164_1013
.LBB164_1008:
	s_mov_b32 s6, -1
                                        ; implicit-def: $vgpr4
	s_branch .LBB164_1019
.LBB164_1009:
	s_or_saveexec_b32 s10, s10
	v_mov_b32_e32 v4, 0x7f800001
	s_xor_b32 exec_lo, exec_lo, s10
	s_cbranch_execz .LBB164_992
.LBB164_1010:
	v_cmp_ne_u16_e32 vcc_lo, 0, v3
	v_mov_b32_e32 v4, 0
	s_andn2_b32 s7, s7, exec_lo
	s_and_b32 s11, vcc_lo, exec_lo
	s_or_b32 s7, s7, s11
	s_or_b32 exec_lo, exec_lo, s10
	s_and_saveexec_b32 s10, s7
	s_cbranch_execnz .LBB164_993
	s_branch .LBB164_994
.LBB164_1011:
	s_mov_b32 s6, -1
                                        ; implicit-def: $vgpr4
	s_branch .LBB164_1016
.LBB164_1012:
	s_mov_b32 s6, -1
                                        ; implicit-def: $vgpr4
.LBB164_1013:
	s_and_b32 vcc_lo, exec_lo, s6
	s_cbranch_vccz .LBB164_1015
; %bb.1014:
	global_load_ubyte v3, v[1:2], off
	s_waitcnt vmcnt(0)
	v_lshlrev_b32_e32 v3, 24, v3
	v_and_b32_e32 v4, 0x7f000000, v3
	v_ffbh_u32_e32 v5, v4
	v_add_nc_u32_e32 v7, 0x1000000, v4
	v_cmp_ne_u32_e32 vcc_lo, 0, v4
	v_min_u32_e32 v5, 32, v5
	v_sub_nc_u32_e64 v5, v5, 4 clamp
	v_lshlrev_b32_e32 v6, v5, v4
	v_lshlrev_b32_e32 v5, 23, v5
	v_lshrrev_b32_e32 v6, 4, v6
	v_sub_nc_u32_e32 v5, v6, v5
	v_ashrrev_i32_e32 v6, 8, v7
	v_add_nc_u32_e32 v5, 0x3c000000, v5
	v_and_or_b32 v5, 0x7f800000, v6, v5
	v_cndmask_b32_e32 v4, 0, v5, vcc_lo
	v_and_or_b32 v3, 0x80000000, v3, v4
	v_bfe_u32 v4, v4, 16, 1
	v_cmp_o_f32_e32 vcc_lo, v3, v3
	v_add3_u32 v3, v3, v4, 0x7fff
	v_mov_b32_e32 v4, 0x7fc0
	v_cndmask_b32_sdwa v4, v4, v3, vcc_lo dst_sel:DWORD dst_unused:UNUSED_PAD src0_sel:DWORD src1_sel:WORD_1
.LBB164_1015:
	s_mov_b32 s6, 0
.LBB164_1016:
	s_andn2_b32 vcc_lo, exec_lo, s6
	s_cbranch_vccnz .LBB164_1018
; %bb.1017:
	global_load_ubyte v3, v[1:2], off
	s_waitcnt vmcnt(0)
	v_lshlrev_b32_e32 v4, 25, v3
	v_lshlrev_b16 v3, 8, v3
	v_lshrrev_b32_e32 v5, 4, v4
	v_and_or_b32 v6, 0x7f00, v3, 0.5
	v_cmp_gt_u32_e32 vcc_lo, 0x8000000, v4
	v_bfe_i32 v3, v3, 0, 16
	v_or_b32_e32 v5, 0x70000000, v5
	v_add_f32_e32 v6, -0.5, v6
	v_mul_f32_e32 v5, 0x7800000, v5
	v_cndmask_b32_e32 v4, v5, v6, vcc_lo
	v_and_or_b32 v3, 0x80000000, v3, v4
	v_bfe_u32 v4, v4, 16, 1
	v_cmp_o_f32_e32 vcc_lo, v3, v3
	v_add3_u32 v3, v3, v4, 0x7fff
	v_mov_b32_e32 v4, 0x7fc0
	v_cndmask_b32_sdwa v4, v4, v3, vcc_lo dst_sel:DWORD dst_unused:UNUSED_PAD src0_sel:DWORD src1_sel:WORD_1
.LBB164_1018:
	s_mov_b32 s6, 0
	s_mov_b32 s7, -1
.LBB164_1019:
	s_andn2_b32 vcc_lo, exec_lo, s6
	s_mov_b32 s6, 0
	s_cbranch_vccnz .LBB164_1030
; %bb.1020:
	s_cmp_gt_i32 s0, 14
	s_cbranch_scc0 .LBB164_1023
; %bb.1021:
	s_cmp_eq_u32 s0, 15
	s_cbranch_scc0 .LBB164_1026
; %bb.1022:
	global_load_ushort v4, v[1:2], off
	s_mov_b32 s1, 0
	s_mov_b32 s7, -1
	s_branch .LBB164_1028
.LBB164_1023:
	s_mov_b32 s6, -1
	s_branch .LBB164_1027
.LBB164_1024:
	s_or_saveexec_b32 s7, s7
	v_mov_b32_e32 v4, 0x7f800001
	s_xor_b32 exec_lo, exec_lo, s7
	s_cbranch_execz .LBB164_1005
.LBB164_1025:
	v_cmp_ne_u16_e32 vcc_lo, 0, v3
	v_mov_b32_e32 v4, 0
	s_andn2_b32 s6, s6, exec_lo
	s_and_b32 s10, vcc_lo, exec_lo
	s_or_b32 s6, s6, s10
	s_or_b32 exec_lo, exec_lo, s7
	s_and_saveexec_b32 s7, s6
	s_cbranch_execnz .LBB164_1006
	s_branch .LBB164_1007
.LBB164_1026:
	s_mov_b32 s1, -1
.LBB164_1027:
                                        ; implicit-def: $vgpr4
.LBB164_1028:
	s_and_b32 vcc_lo, exec_lo, s6
	s_mov_b32 s6, 0
	s_cbranch_vccz .LBB164_1030
; %bb.1029:
	s_cmp_lg_u32 s0, 11
	s_mov_b32 s6, -1
	s_cselect_b32 s0, -1, 0
	s_andn2_b32 s1, s1, exec_lo
	s_and_b32 s0, s0, exec_lo
	s_or_b32 s1, s1, s0
.LBB164_1030:
	s_mov_b32 s0, 0
.LBB164_1031:
	s_and_b32 s43, s7, exec_lo
	s_andn2_b32 s7, s22, exec_lo
	s_and_b32 s1, s1, exec_lo
	s_and_b32 s44, s0, exec_lo
	;; [unrolled: 1-line block ×3, first 2 shown]
	s_or_b32 s45, s7, s1
.LBB164_1032:
	s_or_b32 exec_lo, exec_lo, s33
	s_waitcnt lgkmcnt(0)
	s_andn2_b32 s6, s22, exec_lo
	s_and_b32 s7, s45, exec_lo
	s_and_b32 s43, s43, exec_lo
	;; [unrolled: 1-line block ×4, first 2 shown]
	s_or_b32 s22, s6, s7
.LBB164_1033:
	s_or_b32 exec_lo, exec_lo, s42
	s_waitcnt lgkmcnt(0)
	s_andn2_b32 s6, s40, exec_lo
	s_and_b32 s7, s23, exec_lo
	s_and_b32 s42, s43, exec_lo
	s_or_b32 s40, s6, s7
	s_andn2_b32 s6, s39, exec_lo
	s_and_b32 s7, s22, exec_lo
	s_and_b32 s23, s1, exec_lo
	;; [unrolled: 1-line block ×3, first 2 shown]
	s_or_b32 s39, s6, s7
.LBB164_1034:
	s_or_b32 exec_lo, exec_lo, s41
	s_andn2_b32 s0, s36, exec_lo
	s_waitcnt lgkmcnt(0)
	s_and_b32 s6, s40, exec_lo
	s_and_b32 s7, s39, exec_lo
	s_or_b32 s36, s0, s6
	s_andn2_b32 s6, s37, exec_lo
	s_and_b32 s0, s42, exec_lo
	s_and_b32 s22, s23, exec_lo
	;; [unrolled: 1-line block ×3, first 2 shown]
	s_or_b32 s37, s6, s7
	s_or_b32 exec_lo, exec_lo, s38
	s_mov_b32 s6, 0
	s_and_saveexec_b32 s1, s37
	s_cbranch_execz .LBB164_312
.LBB164_1035:
	s_mov_b32 s6, exec_lo
	s_andn2_b32 s39, s39, exec_lo
	s_trap 2
	s_or_b32 exec_lo, exec_lo, s1
	s_and_saveexec_b32 s1, s39
	s_xor_b32 s1, exec_lo, s1
	s_cbranch_execnz .LBB164_313
.LBB164_1036:
	s_or_b32 exec_lo, exec_lo, s1
	s_and_saveexec_b32 s1, s22
	s_cbranch_execz .LBB164_1082
.LBB164_1037:
	s_sext_i32_i16 s7, s30
	s_cmp_lt_i32 s7, 5
	s_cbranch_scc1 .LBB164_1042
; %bb.1038:
	s_cmp_lt_i32 s7, 8
	s_cbranch_scc1 .LBB164_1043
; %bb.1039:
	;; [unrolled: 3-line block ×3, first 2 shown]
	s_cmp_gt_i32 s7, 9
	s_cbranch_scc0 .LBB164_1045
; %bb.1041:
	global_load_dwordx2 v[3:4], v[1:2], off
	s_mov_b32 s7, 0
	s_waitcnt vmcnt(0)
	v_cvt_f32_f64_e32 v3, v[3:4]
	v_bfe_u32 v4, v3, 16, 1
	v_cmp_o_f32_e32 vcc_lo, v3, v3
	v_add3_u32 v3, v3, v4, 0x7fff
	v_mov_b32_e32 v4, 0x7fc0
	v_cndmask_b32_sdwa v4, v4, v3, vcc_lo dst_sel:DWORD dst_unused:UNUSED_PAD src0_sel:DWORD src1_sel:WORD_1
	s_branch .LBB164_1046
.LBB164_1042:
                                        ; implicit-def: $vgpr4
	s_branch .LBB164_1063
.LBB164_1043:
                                        ; implicit-def: $vgpr4
	s_branch .LBB164_1052
.LBB164_1044:
	s_mov_b32 s7, -1
                                        ; implicit-def: $vgpr4
	s_branch .LBB164_1049
.LBB164_1045:
	s_mov_b32 s7, -1
                                        ; implicit-def: $vgpr4
.LBB164_1046:
	s_andn2_b32 vcc_lo, exec_lo, s7
	s_cbranch_vccnz .LBB164_1048
; %bb.1047:
	global_load_dword v3, v[1:2], off
	s_waitcnt vmcnt(0)
	v_bfe_u32 v4, v3, 16, 1
	v_cmp_o_f32_e32 vcc_lo, v3, v3
	v_add3_u32 v3, v3, v4, 0x7fff
	v_mov_b32_e32 v4, 0x7fc0
	v_cndmask_b32_sdwa v4, v4, v3, vcc_lo dst_sel:DWORD dst_unused:UNUSED_PAD src0_sel:DWORD src1_sel:WORD_1
.LBB164_1048:
	s_mov_b32 s7, 0
.LBB164_1049:
	s_andn2_b32 vcc_lo, exec_lo, s7
	s_cbranch_vccnz .LBB164_1051
; %bb.1050:
	global_load_dword v3, v[1:2], off
	s_waitcnt vmcnt(0)
	v_cvt_f32_f16_e32 v4, v3
	v_cmp_o_f16_e32 vcc_lo, v3, v3
	v_bfe_u32 v5, v4, 16, 1
	v_add3_u32 v3, v4, v5, 0x7fff
	v_mov_b32_e32 v4, 0x7fc0
	v_cndmask_b32_sdwa v4, v4, v3, vcc_lo dst_sel:DWORD dst_unused:UNUSED_PAD src0_sel:DWORD src1_sel:WORD_1
.LBB164_1051:
	s_cbranch_execnz .LBB164_1062
.LBB164_1052:
	s_sext_i32_i16 s7, s30
	s_cmp_lt_i32 s7, 6
	s_cbranch_scc1 .LBB164_1055
; %bb.1053:
	s_cmp_gt_i32 s7, 6
	s_cbranch_scc0 .LBB164_1056
; %bb.1054:
	global_load_dwordx2 v[3:4], v[1:2], off
	s_mov_b32 s7, 0
	s_waitcnt vmcnt(0)
	v_cvt_f32_f64_e32 v3, v[3:4]
	v_bfe_u32 v4, v3, 16, 1
	v_cmp_o_f32_e32 vcc_lo, v3, v3
	v_add3_u32 v3, v3, v4, 0x7fff
	v_mov_b32_e32 v4, 0x7fc0
	v_cndmask_b32_sdwa v4, v4, v3, vcc_lo dst_sel:DWORD dst_unused:UNUSED_PAD src0_sel:DWORD src1_sel:WORD_1
	s_branch .LBB164_1057
.LBB164_1055:
	s_mov_b32 s7, -1
                                        ; implicit-def: $vgpr4
	s_branch .LBB164_1060
.LBB164_1056:
	s_mov_b32 s7, -1
                                        ; implicit-def: $vgpr4
.LBB164_1057:
	s_andn2_b32 vcc_lo, exec_lo, s7
	s_cbranch_vccnz .LBB164_1059
; %bb.1058:
	global_load_dword v3, v[1:2], off
	s_waitcnt vmcnt(0)
	v_bfe_u32 v4, v3, 16, 1
	v_cmp_o_f32_e32 vcc_lo, v3, v3
	v_add3_u32 v3, v3, v4, 0x7fff
	v_mov_b32_e32 v4, 0x7fc0
	v_cndmask_b32_sdwa v4, v4, v3, vcc_lo dst_sel:DWORD dst_unused:UNUSED_PAD src0_sel:DWORD src1_sel:WORD_1
.LBB164_1059:
	s_mov_b32 s7, 0
.LBB164_1060:
	s_andn2_b32 vcc_lo, exec_lo, s7
	s_cbranch_vccnz .LBB164_1062
; %bb.1061:
	global_load_ushort v3, v[1:2], off
	s_waitcnt vmcnt(0)
	v_cvt_f32_f16_e32 v4, v3
	v_cmp_o_f16_e32 vcc_lo, v3, v3
	v_bfe_u32 v5, v4, 16, 1
	v_add3_u32 v3, v4, v5, 0x7fff
	v_mov_b32_e32 v4, 0x7fc0
	v_cndmask_b32_sdwa v4, v4, v3, vcc_lo dst_sel:DWORD dst_unused:UNUSED_PAD src0_sel:DWORD src1_sel:WORD_1
.LBB164_1062:
	s_cbranch_execnz .LBB164_1081
.LBB164_1063:
	s_sext_i32_i16 s7, s30
	s_cmp_lt_i32 s7, 2
	s_cbranch_scc1 .LBB164_1067
; %bb.1064:
	s_cmp_lt_i32 s7, 3
	s_cbranch_scc1 .LBB164_1068
; %bb.1065:
	s_cmp_gt_i32 s7, 3
	s_cbranch_scc0 .LBB164_1069
; %bb.1066:
	global_load_dwordx2 v[3:4], v[1:2], off
	s_mov_b32 s7, 0
	s_waitcnt vmcnt(0)
	v_xor_b32_e32 v5, v3, v4
	v_ffbh_i32_e32 v6, v4
	v_ashrrev_i32_e32 v5, 31, v5
	v_add_nc_u32_e32 v6, -1, v6
	v_add_nc_u32_e32 v5, 32, v5
	v_min_u32_e32 v5, v6, v5
	v_lshlrev_b64 v[3:4], v5, v[3:4]
	v_min_u32_e32 v3, 1, v3
	v_or_b32_e32 v3, v4, v3
	v_sub_nc_u32_e32 v4, 32, v5
	v_cvt_f32_i32_e32 v3, v3
	v_ldexp_f32 v3, v3, v4
	v_bfe_u32 v4, v3, 16, 1
	v_add3_u32 v3, v3, v4, 0x7fff
	v_lshrrev_b32_e32 v4, 16, v3
	s_branch .LBB164_1070
.LBB164_1067:
                                        ; implicit-def: $vgpr4
	s_branch .LBB164_1076
.LBB164_1068:
	s_mov_b32 s7, -1
                                        ; implicit-def: $vgpr4
	s_branch .LBB164_1073
.LBB164_1069:
	s_mov_b32 s7, -1
                                        ; implicit-def: $vgpr4
.LBB164_1070:
	s_andn2_b32 vcc_lo, exec_lo, s7
	s_cbranch_vccnz .LBB164_1072
; %bb.1071:
	global_load_dword v3, v[1:2], off
	s_waitcnt vmcnt(0)
	v_cvt_f32_i32_e32 v3, v3
	v_bfe_u32 v4, v3, 16, 1
	v_add3_u32 v3, v3, v4, 0x7fff
	v_lshrrev_b32_e32 v4, 16, v3
.LBB164_1072:
	s_mov_b32 s7, 0
.LBB164_1073:
	s_andn2_b32 vcc_lo, exec_lo, s7
	s_cbranch_vccnz .LBB164_1075
; %bb.1074:
	global_load_sshort v3, v[1:2], off
	s_waitcnt vmcnt(0)
	v_cvt_f32_i32_e32 v3, v3
	v_bfe_u32 v4, v3, 16, 1
	v_add3_u32 v3, v3, v4, 0x7fff
	v_lshrrev_b32_e32 v4, 16, v3
.LBB164_1075:
	s_cbranch_execnz .LBB164_1081
.LBB164_1076:
	s_sext_i32_i16 s7, s30
	s_cmp_gt_i32 s7, 0
	s_mov_b32 s7, 0
	s_cbranch_scc0 .LBB164_1078
; %bb.1077:
	global_load_sbyte v3, v[1:2], off
	s_waitcnt vmcnt(0)
	v_cvt_f32_i32_e32 v3, v3
	v_bfe_u32 v4, v3, 16, 1
	v_add3_u32 v3, v3, v4, 0x7fff
	v_lshrrev_b32_e32 v4, 16, v3
	s_branch .LBB164_1079
.LBB164_1078:
	s_mov_b32 s7, -1
                                        ; implicit-def: $vgpr4
.LBB164_1079:
	s_andn2_b32 vcc_lo, exec_lo, s7
	s_cbranch_vccnz .LBB164_1081
; %bb.1080:
	global_load_ubyte v1, v[1:2], off
	s_waitcnt vmcnt(0)
	v_cvt_f32_ubyte0_e32 v1, v1
	v_bfe_u32 v2, v1, 16, 1
	v_add3_u32 v1, v1, v2, 0x7fff
	v_lshrrev_b32_e32 v4, 16, v1
.LBB164_1081:
	s_or_b32 s0, s0, exec_lo
.LBB164_1082:
	s_or_b32 exec_lo, exec_lo, s1
	s_mov_b32 s11, 0
	s_mov_b32 s10, 0
                                        ; implicit-def: $sgpr1
                                        ; implicit-def: $vgpr1_vgpr2
                                        ; implicit-def: $vgpr3
	s_and_saveexec_b32 s7, s0
	s_cbranch_execz .LBB164_1128
; %bb.1083:
	s_waitcnt vmcnt(0)
	v_lshlrev_b32_e32 v1, 16, v4
	s_mov_b32 s1, exec_lo
                                        ; implicit-def: $vgpr3
	v_and_b32_e32 v2, 0x7fffffff, v1
	v_cmpx_ngt_f32_e64 0x3c800000, |v1|
	s_xor_b32 s1, exec_lo, s1
	s_cbranch_execz .LBB164_1113
; %bb.1084:
	s_mov_b32 s10, exec_lo
                                        ; implicit-def: $vgpr3
	v_cmpx_nlt_f32_e64 |v1|, 2.0
	s_xor_b32 s10, exec_lo, s10
	s_cbranch_execz .LBB164_1094
; %bb.1085:
	v_cmp_ngt_f32_e64 s0, 0x41000000, |v1|
                                        ; implicit-def: $vgpr3
	s_and_saveexec_b32 s11, s0
	s_xor_b32 s0, exec_lo, s11
	s_cbranch_execz .LBB164_1091
; %bb.1086:
	v_cmp_ngt_f32_e64 s11, 0x5c800000, |v1|
                                        ; implicit-def: $vgpr3
	s_and_saveexec_b32 s12, s11
	s_xor_b32 s11, exec_lo, s12
	s_cbranch_execz .LBB164_1088
; %bb.1087:
	v_cmp_gt_f32_e64 s12, 0x800000, |v1|
	v_cndmask_b32_e64 v3, 0, 32, s12
	v_ldexp_f32 v3, |v1|, v3
	v_log_f32_e32 v3, v3
	v_mul_f32_e32 v4, 0x3f317217, v3
	v_cmp_gt_f32_e64 vcc_lo, 0x7f800000, |v3|
	v_fma_f32 v5, 0x3f317217, v3, -v4
	v_fmamk_f32 v5, v3, 0x3377d1cf, v5
	v_add_f32_e32 v4, v4, v5
	v_cndmask_b32_e32 v3, v3, v4, vcc_lo
	v_cndmask_b32_e64 v4, 0, 0x41b17218, s12
	v_sub_f32_e32 v3, v3, v4
	v_fma_f32 v3, |v1|, v3, -|v1|
.LBB164_1088:
	s_andn2_saveexec_b32 s11, s11
	s_cbranch_execz .LBB164_1090
; %bb.1089:
	v_cmp_gt_f32_e64 s12, 0x800000, |v1|
	v_rcp_f32_e64 v4, |v1|
	s_mov_b32 s13, 0xbad5c4e8
	v_cndmask_b32_e64 v3, 0, 32, s12
	v_ldexp_f32 v3, |v1|, v3
	v_mul_f32_e32 v5, v4, v4
	v_log_f32_e32 v3, v3
	v_fmaak_f32 v7, s13, v5, 0x3a5b3dd2
	v_fmaak_f32 v7, v5, v7, 0xba1c065c
	v_mul_f32_e32 v6, 0x3f317217, v3
	v_fmaak_f32 v7, v5, v7, 0x3a500cfd
	v_cmp_gt_f32_e64 vcc_lo, 0x7f800000, |v3|
	v_fma_f32 v8, 0x3f317217, v3, -v6
	v_fmaak_f32 v7, v5, v7, 0xbb360b61
	v_fmamk_f32 v8, v3, 0x3377d1cf, v8
	v_fmaak_f32 v5, v5, v7, 0x3daaaaab
	v_add_f32_e32 v6, v6, v8
	v_cndmask_b32_e32 v3, v3, v6, vcc_lo
	v_cndmask_b32_e64 v6, 0, 0x41b17218, s12
	v_sub_f32_e32 v6, v3, v6
	v_fmaak_f32 v3, v4, v5, 0x3ed67f1d
	v_add_f32_e64 v4, |v1|, -0.5
	v_add_f32_e32 v5, -1.0, v6
	v_fmac_f32_e32 v3, v4, v5
.LBB164_1090:
	s_or_b32 exec_lo, exec_lo, s11
.LBB164_1091:
	s_andn2_saveexec_b32 s11, s0
	s_cbranch_execz .LBB164_1093
; %bb.1092:
	v_cvt_i32_f32_e32 v3, v2
	s_mov_b32 s0, 0x36f5d7bd
	s_mov_b32 s12, 0x3805ff67
	v_cvt_f32_i32_e32 v4, v3
	v_cmp_lt_i32_e32 vcc_lo, 2, v3
	v_sub_f32_e64 v4, |v1|, v4
	v_add_f32_e32 v5, 2.0, v4
	v_add_f32_e32 v6, 0x40400000, v4
	v_add_f32_e32 v7, 4.0, v4
	v_add_f32_e32 v8, 0x40a00000, v4
	v_cndmask_b32_e32 v5, 1.0, v5, vcc_lo
	v_cmp_lt_i32_e32 vcc_lo, 3, v3
	v_cndmask_b32_e32 v6, 1.0, v6, vcc_lo
	v_cmp_lt_i32_e32 vcc_lo, 4, v3
	v_mul_f32_e32 v5, v5, v6
	v_cndmask_b32_e32 v7, 1.0, v7, vcc_lo
	v_cmp_lt_i32_e32 vcc_lo, 5, v3
	v_add_f32_e32 v6, 0x40c00000, v4
	v_mul_f32_e32 v5, v7, v5
	v_cndmask_b32_e32 v8, 1.0, v8, vcc_lo
	v_cmp_lt_i32_e32 vcc_lo, 6, v3
	v_fmaak_f32 v7, s12, v4, 0x3af135b4
	v_mul_f32_e32 v5, v8, v5
	v_cndmask_b32_e32 v3, 1.0, v6, vcc_lo
	v_mul_f32_e32 v3, v3, v5
	v_fmaak_f32 v5, s0, v4, 0x3a4beed6
	v_cmp_gt_f32_e32 vcc_lo, 0x800000, v3
	v_fmaak_f32 v5, v4, v5, 0x3c98bf54
	v_cndmask_b32_e64 v6, 0, 32, vcc_lo
	v_fmaak_f32 v5, v4, v5, 0x3e300f6e
	v_ldexp_f32 v3, v3, v6
	v_fmaak_f32 v6, v4, v7, 0x3cda40e4
	v_fmaak_f32 v5, v4, v5, 0x3f38d0c5
	v_log_f32_e32 v3, v3
	v_fmaak_f32 v6, v4, v6, 0x3e15dce6
	v_fmaak_f32 v5, v4, v5, 0x3fb22d3b
	;; [unrolled: 1-line block ×3, first 2 shown]
	v_fma_f32 v5, v4, v5, 1.0
	v_mul_f32_e32 v7, 0x3f317217, v3
	v_fmaak_f32 v6, v4, v6, 0x3e5c245a
	v_rcp_f32_e32 v5, v5
	v_cmp_gt_f32_e64 s0, 0x7f800000, |v3|
	v_fma_f32 v8, 0x3f317217, v3, -v7
	v_fmaak_f32 v6, v4, v6, 0xbd9e233f
	v_fmamk_f32 v8, v3, 0x3377d1cf, v8
	v_mul_f32_e32 v6, v4, v6
	v_add_f32_e32 v7, v7, v8
	v_mul_f32_e32 v5, v6, v5
	v_cndmask_b32_e64 v6, 0, 0x41b17218, vcc_lo
	v_cndmask_b32_e64 v3, v3, v7, s0
	v_fmac_f32_e32 v5, 0.5, v4
	v_sub_f32_e32 v3, v3, v6
	v_add_f32_e32 v3, v3, v5
.LBB164_1093:
	s_or_b32 exec_lo, exec_lo, s11
.LBB164_1094:
	s_andn2_saveexec_b32 s10, s10
	s_cbranch_execz .LBB164_1112
; %bb.1095:
	s_mov_b32 s11, exec_lo
                                        ; implicit-def: $vgpr3
                                        ; implicit-def: $vgpr5
                                        ; implicit-def: $vgpr4
	v_cmpx_ge_f32_e64 0x3f666666, |v1|
	s_xor_b32 s11, exec_lo, s11
	s_cbranch_execz .LBB164_1097
; %bb.1096:
	v_cmp_gt_f32_e64 s0, 0x800000, |v1|
	v_sub_f32_e64 v6, 1.0, |v1|
	v_cmp_gt_f32_e64 vcc_lo, 0x3f3b4a23, |v1|
	v_cndmask_b32_e64 v3, 0, 32, s0
	v_cndmask_b32_e64 v7, 0, 0x41b17218, s0
	v_ldexp_f32 v3, |v1|, v3
	v_log_f32_e32 v3, v3
	v_mul_f32_e32 v4, 0x3f317217, v3
	v_cmp_gt_f32_e64 s0, 0x7f800000, |v3|
	v_fma_f32 v5, 0x3f317217, v3, -v4
	v_fmamk_f32 v5, v3, 0x3377d1cf, v5
	v_add_f32_e32 v4, v4, v5
	v_add_f32_e64 v5, 0xbeec5b0c, |v1|
	v_cndmask_b32_e64 v3, v3, v4, s0
	v_cndmask_b32_e32 v4, v6, v5, vcc_lo
	v_cndmask_b32_e64 v5, 0, 1, vcc_lo
	v_cmp_gt_f32_e64 s0, 0x3e6d3309, |v1|
	v_sub_f32_e32 v3, v3, v7
	v_cndmask_b32_e64 v4, v4, |v1|, s0
	v_cndmask_b32_e64 v5, v5, 2, s0
	v_xor_b32_e32 v3, 0x80000000, v3
.LBB164_1097:
	s_andn2_saveexec_b32 s0, s11
	s_cbranch_execz .LBB164_1099
; %bb.1098:
	v_sub_f32_e64 v3, 2.0, |v1|
	v_add_f32_e64 v4, 0xbfbb16c3, |v1|
	v_cmp_gt_f32_e64 vcc_lo, 0x3fdda512, |v1|
	v_add_f32_e64 v5, |v1|, -1.0
	v_cndmask_b32_e32 v4, v3, v4, vcc_lo
	v_cndmask_b32_e64 v3, v3, 1.0, vcc_lo
	v_cmp_gt_f32_e64 vcc_lo, 0x3f9d70a4, |v1|
	v_cvt_i32_f32_e32 v3, v3
	v_cndmask_b32_e32 v4, v4, v5, vcc_lo
	v_cndmask_b32_e64 v5, v3, 2, vcc_lo
	v_mov_b32_e32 v3, 0
.LBB164_1099:
	s_or_b32 exec_lo, exec_lo, s0
	s_mov_b32 s0, exec_lo
	v_cmpx_lt_i32_e32 0, v5
	s_xor_b32 s0, exec_lo, s0
	s_cbranch_execz .LBB164_1107
; %bb.1100:
	s_mov_b32 s11, exec_lo
	v_cmpx_lt_i32_e32 1, v5
	s_xor_b32 s11, exec_lo, s11
	s_cbranch_execz .LBB164_1104
; %bb.1101:
	s_mov_b32 s12, exec_lo
	v_cmpx_eq_u32_e32 2, v5
	s_cbranch_execz .LBB164_1103
; %bb.1102:
	s_mov_b32 s13, 0x3b52d5db
	v_fmaak_f32 v5, s13, v4, 0x3dd572af
	s_mov_b32 s13, 0x3c5b3c5e
	v_fmaak_f32 v6, s13, v4, 0x3e6a7578
	v_fmaak_f32 v5, v4, v5, 0x3f44efdf
	;; [unrolled: 1-line block ×7, first 2 shown]
	v_fma_f32 v5, v4, v5, 1.0
	v_fmaak_f32 v6, v4, v6, 0xbd9e233f
	v_rcp_f32_e32 v5, v5
	v_mul_f32_e32 v6, v4, v6
	v_mul_f32_e32 v5, v6, v5
	v_fmac_f32_e32 v5, -0.5, v4
	v_add_f32_e32 v3, v3, v5
.LBB164_1103:
	s_or_b32 exec_lo, exec_lo, s12
                                        ; implicit-def: $vgpr4
.LBB164_1104:
	s_andn2_saveexec_b32 s11, s11
	s_cbranch_execz .LBB164_1106
; %bb.1105:
	v_mul_f32_e32 v5, v4, v4
	s_mov_b32 s12, 0xb9a3f927
	s_mov_b32 s13, 0x39afe9f7
	v_mul_f32_e32 v6, v4, v5
	v_fmaak_f32 v7, s12, v6, 0x3a66f867
	v_fmaak_f32 v8, s13, v6, 0xba0d3085
	s_mov_b32 s12, 0x39a57b6b
	v_fmaak_f32 v9, s12, v6, 0xbab7f476
	v_fmaak_f32 v7, v6, v7, 0xbb7177fe
	;; [unrolled: 1-line block ×9, first 2 shown]
	v_fmac_f32_e32 v7, v4, v8
	v_fmaak_f32 v4, v6, v9, 0x3ef7b95e
	v_fma_f32 v6, v6, -v7, 0xa2863e55
	v_fma_f32 v4, v5, v4, -v6
	v_add_f32_e32 v4, 0xbdf8cdce, v4
	v_add_f32_e32 v3, v3, v4
.LBB164_1106:
	s_or_b32 exec_lo, exec_lo, s11
                                        ; implicit-def: $vgpr5
                                        ; implicit-def: $vgpr4
.LBB164_1107:
	s_andn2_saveexec_b32 s0, s0
	s_cbranch_execz .LBB164_1111
; %bb.1108:
	s_mov_b32 s11, exec_lo
	v_cmpx_eq_u32_e32 0, v5
	s_cbranch_execz .LBB164_1110
; %bb.1109:
	v_mul_f32_e32 v5, v4, v4
	s_mov_b32 s12, 0x383c2c75
	v_fmaak_f32 v6, s12, v5, 0x38e28445
	s_mov_b32 s12, 0x37d383a2
	v_fmaak_f32 v7, s12, v5, 0x39679767
	v_fmaak_f32 v6, v5, v6, 0x3a05b634
	v_fmaak_f32 v7, v5, v7, 0x3a9c54a1
	v_fmaak_f32 v6, v5, v6, 0x3b3d6ec6
	v_fmaak_f32 v7, v5, v7, 0x3bf2027e
	v_fmaak_f32 v6, v5, v6, 0x3ca89915
	v_fmaak_f32 v7, v5, v7, 0x3d89f001
	v_fmaak_f32 v6, v5, v6, 0x3ea51a66
	v_fmaak_f32 v7, v5, v7, 0x3d9e233f
	v_mul_f32_e32 v5, v5, v6
	v_fmac_f32_e32 v5, v4, v7
	v_fmac_f32_e32 v5, -0.5, v4
	v_add_f32_e32 v3, v3, v5
.LBB164_1110:
	s_or_b32 exec_lo, exec_lo, s11
.LBB164_1111:
	s_or_b32 exec_lo, exec_lo, s0
.LBB164_1112:
	s_or_b32 exec_lo, exec_lo, s10
.LBB164_1113:
	s_andn2_saveexec_b32 s0, s1
	s_cbranch_execz .LBB164_1115
; %bb.1114:
	v_cmp_gt_f32_e64 s1, 0x800000, |v1|
	s_mov_b32 s10, 0x3e8a8991
	v_fma_f32 v6, |v1|, s10, 0xbecd26ab
	v_cndmask_b32_e64 v3, 0, 32, s1
	v_ldexp_f32 v3, |v1|, v3
	v_log_f32_e32 v3, v3
	v_mul_f32_e32 v4, 0x3f317217, v3
	v_cmp_gt_f32_e64 vcc_lo, 0x7f800000, |v3|
	v_fma_f32 v5, 0x3f317217, v3, -v4
	v_fmamk_f32 v5, v3, 0x3377d1cf, v5
	v_add_f32_e32 v4, v4, v5
	v_fma_f32 v5, |v1|, v6, 0x3f528d33
	v_cndmask_b32_e32 v3, v3, v4, vcc_lo
	v_cndmask_b32_e64 v4, 0, 0x41b17218, s1
	v_fma_f32 v5, |v1|, v5, 0xbf13c468
	v_sub_f32_e32 v3, v3, v4
	v_fma_f32 v3, |v1|, v5, -v3
.LBB164_1115:
	s_or_b32 exec_lo, exec_lo, s0
	v_cmp_le_f32_e32 vcc_lo, 0, v1
	s_mov_b32 s1, exec_lo
	v_cmpx_nle_f32_e32 0, v1
	s_xor_b32 s10, exec_lo, s1
	s_cbranch_execz .LBB164_1119
; %bb.1116:
	v_cmp_gt_f32_e64 s0, 0x4b000000, |v1|
	v_cmp_lt_f32_e64 s1, 0x35000000, |v1|
	s_and_b32 s0, s0, s1
	s_and_saveexec_b32 s11, s0
	s_cbranch_execz .LBB164_1118
; %bb.1117:
	v_mul_f32_e64 v4, |v1|, 0.5
	s_mov_b32 s1, 0x3d4be544
	v_floor_f32_e32 v5, v4
	v_cmp_neq_f32_e64 s0, 0x7f800000, v4
	v_sub_f32_e32 v5, v4, v5
	v_min_f32_e32 v5, 0x3f7fffff, v5
	v_add_f32_e32 v5, v5, v5
	v_cndmask_b32_e64 v4, 0, v5, s0
	v_cmp_gt_f32_e64 s0, |v1|, 1.0
	v_cndmask_b32_e64 v4, |v1|, v4, s0
	s_mov_b32 s0, 0x3e75aa41
	v_add_f32_e32 v5, v4, v4
	v_rndne_f32_e32 v5, v5
	v_fmac_f32_e32 v4, -0.5, v5
	v_cvt_i32_f32_e32 v5, v5
	v_mul_f32_e32 v6, v4, v4
	v_fmaak_f32 v7, s0, v6, 0xbf1f24be
	v_fmaak_f32 v8, s1, v6, 0x3e642e9d
	v_mul_f32_e32 v9, v4, v6
	v_fmaak_f32 v7, v6, v7, 0x40234736
	v_fmaak_f32 v8, v6, v8, 0xbfaad1da
	;; [unrolled: 1-line block ×4, first 2 shown]
	v_mul_f32_e32 v7, v9, v7
	v_fmaak_f32 v8, v6, v8, 0xc09de9e6
	v_and_b32_e32 v9, 1, v5
	v_lshlrev_b32_e32 v5, 30, v5
	v_fmamk_f32 v4, v4, 0x40490fdb, v7
	v_fma_f32 v6, v6, v8, 1.0
	v_cmp_eq_u32_e64 s0, 0, v9
	v_and_or_b32 v2, 0x80000000, v5, v2
	v_cndmask_b32_e64 v4, v6, v4, s0
	v_xor3_b32 v2, v2, v4, v1
	v_mul_f32_e32 v2, v1, v2
	v_frexp_mant_f32_e64 v4, |v2|
	v_frexp_exp_i32_f32_e32 v2, v2
	v_rcp_f32_e32 v4, v4
	v_sub_nc_u32_e32 v2, 2, v2
	v_mul_f32_e32 v4, 0x3f490fdb, v4
	v_ldexp_f32 v2, v4, v2
	v_cmp_gt_f32_e64 s0, 0x800000, v2
	v_cndmask_b32_e64 v4, 0, 32, s0
	v_ldexp_f32 v2, v2, v4
	v_log_f32_e32 v2, v2
	v_mul_f32_e32 v4, 0x3f317217, v2
	v_cmp_gt_f32_e64 s1, 0x7f800000, |v2|
	v_fma_f32 v5, 0x3f317217, v2, -v4
	v_fmamk_f32 v5, v2, 0x3377d1cf, v5
	v_add_f32_e32 v4, v4, v5
	v_floor_f32_e32 v5, v1
	v_cndmask_b32_e64 v2, v2, v4, s1
	v_cndmask_b32_e64 v4, 0, 0x41b17218, s0
	v_sub_f32_e32 v5, v1, v5
	v_sub_f32_e32 v2, v2, v4
	v_min_f32_e32 v4, 0x3f7fffff, v5
	v_sub_f32_e32 v2, v2, v3
	v_cmp_neq_f32_e64 s0, 0, v4
	v_cndmask_b32_e64 v3, 0x7f800000, v2, s0
.LBB164_1118:
	s_or_b32 exec_lo, exec_lo, s11
.LBB164_1119:
	s_andn2_saveexec_b32 s10, s10
; %bb.1120:
	v_cmp_eq_f32_e64 s0, 1.0, v1
	v_cmp_eq_f32_e64 s1, 2.0, v1
	s_or_b32 s0, s0, s1
	v_cndmask_b32_e64 v3, v3, 0, s0
; %bb.1121:
	s_or_b32 exec_lo, exec_lo, s10
	v_cmp_gt_f32_e64 s0, 0x4b000000, |v1|
	s_and_b32 s1, s29, 0xff
	s_or_b32 vcc_lo, vcc_lo, s0
	v_cmp_class_f32_e64 s0, v1, 0x264
	v_cndmask_b32_e32 v2, 0x7f800000, v3, vcc_lo
	v_cmp_u_f32_e32 vcc_lo, v1, v1
	v_mov_b32_e32 v3, 0x7fc0
	s_cmp_lt_i32 s1, 11
	v_cndmask_b32_e64 v2, v2, 0x7f800000, s0
	v_cndmask_b32_e32 v1, v2, v1, vcc_lo
	v_bfe_u32 v2, v1, 16, 1
	v_cmp_o_f32_e32 vcc_lo, v1, v1
	v_add3_u32 v4, v1, v2, 0x7fff
	v_add_co_u32 v1, s0, s8, v0
	v_add_co_ci_u32_e64 v2, null, s9, 0, s0
	v_cndmask_b32_sdwa v3, v3, v4, vcc_lo dst_sel:DWORD dst_unused:UNUSED_PAD src0_sel:DWORD src1_sel:WORD_1
	s_cbranch_scc1 .LBB164_1131
; %bb.1122:
	s_and_b32 s8, 0xffff, s1
	s_mov_b32 s9, -1
	s_cmp_gt_i32 s8, 25
	s_mov_b32 s0, s36
	s_cbranch_scc0 .LBB164_1159
; %bb.1123:
	s_cmp_gt_i32 s8, 28
	s_mov_b32 s0, s36
	s_cbranch_scc0 .LBB164_1143
; %bb.1124:
	;; [unrolled: 4-line block ×4, first 2 shown]
	s_cmp_eq_u32 s8, 46
	s_mov_b32 s0, -1
	s_cbranch_scc0 .LBB164_1132
; %bb.1127:
	v_and_b32_e32 v0, 0xffff, v3
	s_mov_b32 s0, 0
	s_mov_b32 s9, 0
	global_store_dword v[1:2], v0, off
	s_branch .LBB164_1133
.LBB164_1128:
	s_or_b32 exec_lo, exec_lo, s7
	s_and_saveexec_b32 s0, s36
	s_cbranch_execnz .LBB164_1201
.LBB164_1129:
	s_or_b32 exec_lo, exec_lo, s0
	s_and_saveexec_b32 s0, s11
	s_xor_b32 s0, exec_lo, s0
	s_cbranch_execz .LBB164_1202
.LBB164_1130:
	s_waitcnt vmcnt(0)
	v_and_b32_e32 v0, 0x7fff, v3
	v_cmp_ne_u16_e32 vcc_lo, 0, v0
	v_cndmask_b32_e64 v0, 0, 1, vcc_lo
	global_store_byte v[1:2], v0, off
	s_or_b32 exec_lo, exec_lo, s0
	s_and_saveexec_b32 s0, s10
	s_xor_b32 s0, exec_lo, s0
	s_cbranch_execz .LBB164_1240
	s_branch .LBB164_1203
.LBB164_1131:
	s_mov_b32 s11, 0
	s_mov_b32 s9, -1
	s_mov_b32 s0, s36
	s_branch .LBB164_1200
.LBB164_1132:
	s_mov_b32 s9, 0
.LBB164_1133:
	s_and_b32 vcc_lo, exec_lo, s9
	s_cbranch_vccz .LBB164_1138
; %bb.1134:
	s_cmp_eq_u32 s8, 44
	s_mov_b32 s0, -1
	s_cbranch_scc0 .LBB164_1138
; %bb.1135:
	v_and_b32_e32 v0, 0xffff, v3
	v_mov_b32_e32 v4, 0xff
	s_mov_b32 s9, exec_lo
	v_bfe_u32 v5, v0, 7, 8
	v_cmpx_ne_u32_e32 0xff, v5
	s_cbranch_execz .LBB164_1137
; %bb.1136:
	v_lshlrev_b32_e32 v4, 16, v0
	v_and_b32_e32 v6, 64, v0
	v_lshrrev_b32_e32 v0, 7, v0
	v_and_or_b32 v4, 0x3f0000, v4, v5
	v_cmp_ne_u32_e32 vcc_lo, 0, v6
	v_cmp_ne_u32_e64 s0, 0, v4
	s_and_b32 s0, vcc_lo, s0
	v_cndmask_b32_e64 v4, 0, 1, s0
	v_add_nc_u32_e32 v4, v0, v4
.LBB164_1137:
	s_or_b32 exec_lo, exec_lo, s9
	s_mov_b32 s0, 0
	global_store_byte v[1:2], v4, off
.LBB164_1138:
	s_mov_b32 s9, 0
.LBB164_1139:
	s_and_b32 vcc_lo, exec_lo, s9
	s_cbranch_vccz .LBB164_1142
; %bb.1140:
	s_cmp_eq_u32 s8, 29
	s_mov_b32 s0, -1
	s_cbranch_scc0 .LBB164_1142
; %bb.1141:
	v_lshlrev_b32_e32 v0, 16, v3
	s_mov_b32 s0, 0
	s_mov_b32 s9, 0
	v_trunc_f32_e32 v0, v0
	v_mul_f32_e32 v4, 0x2f800000, v0
	v_floor_f32_e32 v4, v4
	v_fmamk_f32 v0, v4, 0xcf800000, v0
	v_cvt_u32_f32_e32 v5, v4
	v_cvt_u32_f32_e32 v4, v0
	global_store_dwordx2 v[1:2], v[4:5], off
	s_branch .LBB164_1143
.LBB164_1142:
	s_mov_b32 s9, 0
.LBB164_1143:
	s_and_b32 vcc_lo, exec_lo, s9
	s_cbranch_vccz .LBB164_1158
; %bb.1144:
	s_cmp_lt_i32 s8, 27
	s_mov_b32 s9, -1
	s_cbranch_scc1 .LBB164_1150
; %bb.1145:
	s_cmp_gt_i32 s8, 27
	s_cbranch_scc0 .LBB164_1147
; %bb.1146:
	v_lshlrev_b32_e32 v0, 16, v3
	s_mov_b32 s9, 0
	v_cvt_u32_f32_e32 v0, v0
	global_store_dword v[1:2], v0, off
.LBB164_1147:
	s_andn2_b32 vcc_lo, exec_lo, s9
	s_cbranch_vccnz .LBB164_1149
; %bb.1148:
	v_lshlrev_b32_e32 v0, 16, v3
	v_cvt_u32_f32_e32 v0, v0
	global_store_short v[1:2], v0, off
.LBB164_1149:
	s_mov_b32 s9, 0
.LBB164_1150:
	s_andn2_b32 vcc_lo, exec_lo, s9
	s_cbranch_vccnz .LBB164_1158
; %bb.1151:
	v_lshlrev_b32_e32 v5, 16, v3
	v_mov_b32_e32 v6, 0x80
	s_mov_b32 s9, exec_lo
	v_and_b32_e32 v4, 0x7fffffff, v5
	v_cmpx_gt_u32_e32 0x43800000, v4
	s_cbranch_execz .LBB164_1157
; %bb.1152:
	v_and_b32_e32 v0, 0xffff, v3
	v_cmp_lt_u32_e32 vcc_lo, 0x3bffffff, v4
	s_mov_b32 s10, 0
                                        ; implicit-def: $vgpr4
	s_and_saveexec_b32 s11, vcc_lo
	s_xor_b32 s11, exec_lo, s11
	s_cbranch_execz .LBB164_1311
; %bb.1153:
	v_bfe_u32 v4, v0, 4, 1
	s_mov_b32 s10, exec_lo
	v_add3_u32 v4, v5, v4, 0x487ffff
                                        ; implicit-def: $vgpr5
	v_lshrrev_b32_e32 v4, 20, v4
	s_andn2_saveexec_b32 s11, s11
	s_cbranch_execnz .LBB164_1312
.LBB164_1154:
	s_or_b32 exec_lo, exec_lo, s11
	v_mov_b32_e32 v6, 0
	s_and_saveexec_b32 s11, s10
.LBB164_1155:
	v_lshrrev_b32_e32 v0, 8, v0
	v_and_or_b32 v6, 0x80, v0, v4
.LBB164_1156:
	s_or_b32 exec_lo, exec_lo, s11
.LBB164_1157:
	s_or_b32 exec_lo, exec_lo, s9
	global_store_byte v[1:2], v6, off
.LBB164_1158:
	s_mov_b32 s9, 0
.LBB164_1159:
	s_and_b32 vcc_lo, exec_lo, s9
	s_mov_b32 s9, 0
	s_cbranch_vccz .LBB164_1199
; %bb.1160:
	s_cmp_gt_i32 s8, 22
	s_mov_b32 s10, -1
	s_cbranch_scc0 .LBB164_1192
; %bb.1161:
	s_cmp_lt_i32 s8, 24
	s_cbranch_scc1 .LBB164_1181
; %bb.1162:
	s_cmp_gt_i32 s8, 24
	s_cbranch_scc0 .LBB164_1170
; %bb.1163:
	v_lshlrev_b32_e32 v5, 16, v3
	v_mov_b32_e32 v6, 0x80
	s_mov_b32 s10, exec_lo
	v_and_b32_e32 v4, 0x7fffffff, v5
	v_cmpx_gt_u32_e32 0x47800000, v4
	s_cbranch_execz .LBB164_1169
; %bb.1164:
	v_and_b32_e32 v0, 0xffff, v3
	v_cmp_lt_u32_e32 vcc_lo, 0x37ffffff, v4
	s_mov_b32 s11, 0
                                        ; implicit-def: $vgpr4
	s_and_saveexec_b32 s12, vcc_lo
	s_xor_b32 s12, exec_lo, s12
	s_cbranch_execz .LBB164_1475
; %bb.1165:
	v_bfe_u32 v4, v0, 5, 1
	s_mov_b32 s11, exec_lo
	v_add3_u32 v4, v5, v4, 0x88fffff
                                        ; implicit-def: $vgpr5
	v_lshrrev_b32_e32 v4, 21, v4
	s_andn2_saveexec_b32 s12, s12
	s_cbranch_execnz .LBB164_1476
.LBB164_1166:
	s_or_b32 exec_lo, exec_lo, s12
	v_mov_b32_e32 v6, 0
	s_and_saveexec_b32 s12, s11
.LBB164_1167:
	v_lshrrev_b32_e32 v0, 8, v0
	v_and_or_b32 v6, 0x80, v0, v4
.LBB164_1168:
	s_or_b32 exec_lo, exec_lo, s12
.LBB164_1169:
	s_or_b32 exec_lo, exec_lo, s10
	s_mov_b32 s10, 0
	global_store_byte v[1:2], v6, off
.LBB164_1170:
	s_and_b32 vcc_lo, exec_lo, s10
	s_cbranch_vccz .LBB164_1180
; %bb.1171:
	v_lshlrev_b32_e32 v5, 16, v3
	v_and_b32_e32 v0, 0xffff, v3
	s_mov_b32 s10, exec_lo
                                        ; implicit-def: $vgpr4
	v_and_b32_e32 v6, 0x7fffffff, v5
	v_cmpx_gt_u32_e32 0x43f00000, v6
	s_xor_b32 s10, exec_lo, s10
	s_cbranch_execz .LBB164_1177
; %bb.1172:
	s_mov_b32 s11, exec_lo
                                        ; implicit-def: $vgpr4
	v_cmpx_lt_u32_e32 0x3c7fffff, v6
	s_xor_b32 s11, exec_lo, s11
; %bb.1173:
	v_bfe_u32 v4, v0, 4, 1
	v_add3_u32 v4, v5, v4, 0x407ffff
	v_and_b32_e32 v5, 0xff00000, v4
	v_lshrrev_b32_e32 v4, 20, v4
	v_cmp_ne_u32_e32 vcc_lo, 0x7f00000, v5
                                        ; implicit-def: $vgpr5
	v_cndmask_b32_e32 v4, 0x7e, v4, vcc_lo
; %bb.1174:
	s_andn2_saveexec_b32 s11, s11
; %bb.1175:
	v_add_f32_e64 v4, 0x46800000, |v5|
; %bb.1176:
	s_or_b32 exec_lo, exec_lo, s11
                                        ; implicit-def: $vgpr6
.LBB164_1177:
	s_andn2_saveexec_b32 s10, s10
; %bb.1178:
	v_mov_b32_e32 v4, 0x7f
	v_cmp_lt_u32_e32 vcc_lo, 0x7f800000, v6
	v_cndmask_b32_e32 v4, 0x7e, v4, vcc_lo
; %bb.1179:
	s_or_b32 exec_lo, exec_lo, s10
	v_lshrrev_b32_e32 v0, 8, v0
	v_and_or_b32 v0, 0x80, v0, v4
	global_store_byte v[1:2], v0, off
.LBB164_1180:
	s_mov_b32 s10, 0
.LBB164_1181:
	s_andn2_b32 vcc_lo, exec_lo, s10
	s_cbranch_vccnz .LBB164_1191
; %bb.1182:
	v_lshlrev_b32_e32 v5, 16, v3
	v_and_b32_e32 v0, 0xffff, v3
	s_mov_b32 s10, exec_lo
                                        ; implicit-def: $vgpr4
	v_and_b32_e32 v6, 0x7fffffff, v5
	v_cmpx_gt_u32_e32 0x47800000, v6
	s_xor_b32 s10, exec_lo, s10
	s_cbranch_execz .LBB164_1188
; %bb.1183:
	s_mov_b32 s11, exec_lo
                                        ; implicit-def: $vgpr4
	v_cmpx_lt_u32_e32 0x387fffff, v6
	s_xor_b32 s11, exec_lo, s11
; %bb.1184:
	v_bfe_u32 v4, v0, 5, 1
	v_add3_u32 v4, v5, v4, 0x80fffff
                                        ; implicit-def: $vgpr5
	v_lshrrev_b32_e32 v4, 21, v4
; %bb.1185:
	s_andn2_saveexec_b32 s11, s11
; %bb.1186:
	v_add_f32_e64 v4, 0x43000000, |v5|
; %bb.1187:
	s_or_b32 exec_lo, exec_lo, s11
                                        ; implicit-def: $vgpr6
.LBB164_1188:
	s_andn2_saveexec_b32 s10, s10
; %bb.1189:
	v_mov_b32_e32 v4, 0x7f
	v_cmp_lt_u32_e32 vcc_lo, 0x7f800000, v6
	v_cndmask_b32_e32 v4, 0x7c, v4, vcc_lo
; %bb.1190:
	s_or_b32 exec_lo, exec_lo, s10
	v_lshrrev_b32_e32 v0, 8, v0
	v_and_or_b32 v0, 0x80, v0, v4
	global_store_byte v[1:2], v0, off
.LBB164_1191:
	s_mov_b32 s10, 0
.LBB164_1192:
	s_andn2_b32 vcc_lo, exec_lo, s10
	s_mov_b32 s11, 0
	s_cbranch_vccnz .LBB164_1200
; %bb.1193:
	s_cmp_gt_i32 s8, 14
	s_mov_b32 s10, -1
	s_cbranch_scc0 .LBB164_1197
; %bb.1194:
	s_cmp_eq_u32 s8, 15
	s_mov_b32 s0, -1
	s_cbranch_scc0 .LBB164_1196
; %bb.1195:
	s_mov_b32 s0, 0
	global_store_short v[1:2], v3, off
.LBB164_1196:
	s_mov_b32 s10, 0
.LBB164_1197:
	s_and_b32 vcc_lo, exec_lo, s10
	s_cbranch_vccz .LBB164_1200
; %bb.1198:
	s_cmp_lg_u32 s8, 11
	s_mov_b32 s11, -1
	s_cselect_b32 s8, -1, 0
	s_andn2_b32 s0, s0, exec_lo
	s_and_b32 s8, s8, exec_lo
	s_or_b32 s0, s0, s8
	s_branch .LBB164_1200
.LBB164_1199:
	s_mov_b32 s11, 0
.LBB164_1200:
	s_andn2_b32 s8, s36, exec_lo
	s_and_b32 s0, s0, exec_lo
	s_and_b32 s10, s9, exec_lo
	;; [unrolled: 1-line block ×3, first 2 shown]
	s_or_b32 s36, s8, s0
	s_or_b32 exec_lo, exec_lo, s7
	s_and_saveexec_b32 s0, s36
	s_cbranch_execz .LBB164_1129
.LBB164_1201:
	s_or_b32 s6, s6, exec_lo
	s_andn2_b32 s11, s11, exec_lo
	s_trap 2
	s_or_b32 exec_lo, exec_lo, s0
	s_and_saveexec_b32 s0, s11
	s_xor_b32 s0, exec_lo, s0
	s_cbranch_execnz .LBB164_1130
.LBB164_1202:
	s_or_b32 exec_lo, exec_lo, s0
	s_and_saveexec_b32 s0, s10
	s_xor_b32 s0, exec_lo, s0
	s_cbranch_execz .LBB164_1240
.LBB164_1203:
	s_sext_i32_i16 s8, s1
	s_mov_b32 s7, -1
	s_cmp_lt_i32 s8, 5
	s_cbranch_scc1 .LBB164_1224
; %bb.1204:
	s_cmp_lt_i32 s8, 8
	s_cbranch_scc1 .LBB164_1214
; %bb.1205:
	;; [unrolled: 3-line block ×3, first 2 shown]
	s_cmp_gt_i32 s8, 9
	s_cbranch_scc0 .LBB164_1208
; %bb.1207:
	s_waitcnt vmcnt(0)
	v_lshlrev_b32_e32 v0, 16, v3
	v_mov_b32_e32 v6, 0
	s_mov_b32 s7, 0
	v_cvt_f64_f32_e32 v[4:5], v0
	v_mov_b32_e32 v7, v6
	global_store_dwordx4 v[1:2], v[4:7], off
.LBB164_1208:
	s_andn2_b32 vcc_lo, exec_lo, s7
	s_cbranch_vccnz .LBB164_1210
; %bb.1209:
	s_waitcnt vmcnt(0)
	v_lshlrev_b32_e32 v4, 16, v3
	v_mov_b32_e32 v5, 0
	global_store_dwordx2 v[1:2], v[4:5], off
.LBB164_1210:
	s_mov_b32 s7, 0
.LBB164_1211:
	s_andn2_b32 vcc_lo, exec_lo, s7
	s_cbranch_vccnz .LBB164_1213
; %bb.1212:
	s_waitcnt vmcnt(0)
	v_lshlrev_b32_e32 v0, 16, v3
	v_cvt_f16_f32_e32 v0, v0
	v_and_b32_e32 v0, 0xffff, v0
	global_store_dword v[1:2], v0, off
.LBB164_1213:
	s_mov_b32 s7, 0
.LBB164_1214:
	s_andn2_b32 vcc_lo, exec_lo, s7
	s_cbranch_vccnz .LBB164_1223
; %bb.1215:
	s_sext_i32_i16 s8, s1
	s_mov_b32 s7, -1
	s_cmp_lt_i32 s8, 6
	s_cbranch_scc1 .LBB164_1221
; %bb.1216:
	s_cmp_gt_i32 s8, 6
	s_cbranch_scc0 .LBB164_1218
; %bb.1217:
	s_waitcnt vmcnt(0)
	v_lshlrev_b32_e32 v0, 16, v3
	s_mov_b32 s7, 0
	v_cvt_f64_f32_e32 v[4:5], v0
	global_store_dwordx2 v[1:2], v[4:5], off
.LBB164_1218:
	s_andn2_b32 vcc_lo, exec_lo, s7
	s_cbranch_vccnz .LBB164_1220
; %bb.1219:
	s_waitcnt vmcnt(0)
	v_lshlrev_b32_e32 v0, 16, v3
	global_store_dword v[1:2], v0, off
.LBB164_1220:
	s_mov_b32 s7, 0
.LBB164_1221:
	s_andn2_b32 vcc_lo, exec_lo, s7
	s_cbranch_vccnz .LBB164_1223
; %bb.1222:
	s_waitcnt vmcnt(0)
	v_lshlrev_b32_e32 v0, 16, v3
	v_cvt_f16_f32_e32 v0, v0
	global_store_short v[1:2], v0, off
.LBB164_1223:
	s_mov_b32 s7, 0
.LBB164_1224:
	s_andn2_b32 vcc_lo, exec_lo, s7
	s_cbranch_vccnz .LBB164_1240
; %bb.1225:
	s_sext_i32_i16 s8, s1
	s_mov_b32 s7, -1
	s_cmp_lt_i32 s8, 2
	s_cbranch_scc1 .LBB164_1235
; %bb.1226:
	s_cmp_lt_i32 s8, 3
	s_cbranch_scc1 .LBB164_1232
; %bb.1227:
	s_cmp_gt_i32 s8, 3
	s_cbranch_scc0 .LBB164_1229
; %bb.1228:
	s_waitcnt vmcnt(0)
	v_lshlrev_b32_e32 v0, 16, v3
	s_mov_b32 s7, 0
	v_trunc_f32_e32 v0, v0
	v_mul_f32_e64 v4, 0x2f800000, |v0|
	v_floor_f32_e32 v4, v4
	v_fma_f32 v5, 0xcf800000, v4, |v0|
	v_ashrrev_i32_e32 v0, 31, v0
	v_cvt_u32_f32_e32 v4, v4
	v_cvt_u32_f32_e32 v5, v5
	v_xor_b32_e32 v6, v4, v0
	v_xor_b32_e32 v5, v5, v0
	v_sub_co_u32 v4, vcc_lo, v5, v0
	v_sub_co_ci_u32_e64 v5, null, v6, v0, vcc_lo
	global_store_dwordx2 v[1:2], v[4:5], off
.LBB164_1229:
	s_andn2_b32 vcc_lo, exec_lo, s7
	s_cbranch_vccnz .LBB164_1231
; %bb.1230:
	s_waitcnt vmcnt(0)
	v_lshlrev_b32_e32 v0, 16, v3
	v_cvt_i32_f32_e32 v0, v0
	global_store_dword v[1:2], v0, off
.LBB164_1231:
	s_mov_b32 s7, 0
.LBB164_1232:
	s_andn2_b32 vcc_lo, exec_lo, s7
	s_cbranch_vccnz .LBB164_1234
; %bb.1233:
	s_waitcnt vmcnt(0)
	v_lshlrev_b32_e32 v0, 16, v3
	v_cvt_i32_f32_e32 v0, v0
	global_store_short v[1:2], v0, off
.LBB164_1234:
	s_mov_b32 s7, 0
.LBB164_1235:
	s_andn2_b32 vcc_lo, exec_lo, s7
	s_cbranch_vccnz .LBB164_1240
; %bb.1236:
	s_sext_i32_i16 s1, s1
	s_cmp_gt_i32 s1, 0
	s_mov_b32 s1, -1
	s_cbranch_scc0 .LBB164_1238
; %bb.1237:
	s_waitcnt vmcnt(0)
	v_lshlrev_b32_e32 v0, 16, v3
	s_mov_b32 s1, 0
	v_cvt_i32_f32_e32 v0, v0
	global_store_byte v[1:2], v0, off
.LBB164_1238:
	s_andn2_b32 vcc_lo, exec_lo, s1
	s_cbranch_vccnz .LBB164_1240
; %bb.1239:
	s_waitcnt vmcnt(0)
	v_lshlrev_b32_e32 v0, 16, v3
	v_trunc_f32_e32 v0, v0
	v_mul_f32_e64 v3, 0x2f800000, |v0|
	v_floor_f32_e32 v3, v3
	v_fma_f32 v3, 0xcf800000, v3, |v0|
	v_ashrrev_i32_e32 v0, 31, v0
	v_cvt_u32_f32_e32 v3, v3
	v_xor_b32_e32 v3, v3, v0
	v_sub_nc_u32_e32 v0, v3, v0
	global_store_byte v[1:2], v0, off
.LBB164_1240:
	s_or_b32 exec_lo, exec_lo, s0
	s_and_b32 s12, s6, exec_lo
                                        ; implicit-def: $vgpr15
                                        ; implicit-def: $vgpr8
.LBB164_1241:
	s_or_saveexec_b32 s13, s28
	s_mov_b32 s0, 0
                                        ; implicit-def: $vgpr0_vgpr1
                                        ; implicit-def: $sgpr1
                                        ; implicit-def: $vgpr2
	s_xor_b32 exec_lo, exec_lo, s13
	s_cbranch_execz .LBB164_2401
; %bb.1242:
	v_cndmask_b32_e64 v0, 0, 1, s27
	s_andn2_b32 vcc_lo, exec_lo, s27
	s_cbranch_vccnz .LBB164_1248
; %bb.1243:
	s_cmp_lg_u32 s24, 0
	s_mov_b32 s8, 0
	s_cbranch_scc0 .LBB164_1249
; %bb.1244:
	s_min_u32 s10, s25, 15
	s_add_i32 s10, s10, 1
	s_cmp_eq_u32 s25, 2
	s_cbranch_scc1 .LBB164_1250
; %bb.1245:
	v_mov_b32_e32 v13, 0
	v_mov_b32_e32 v6, 0
	;; [unrolled: 1-line block ×3, first 2 shown]
	s_and_b32 s9, s10, 28
	s_add_u32 s0, s2, 0xc4
	s_addc_u32 s1, s3, 0
	s_mov_b32 s11, 0
	s_mov_b64 s[6:7], s[2:3]
.LBB164_1246:                           ; =>This Inner Loop Header: Depth=1
	s_clause 0x1
	s_load_dwordx8 s[16:23], s[6:7], 0x4
	s_load_dwordx4 s[28:31], s[6:7], 0x24
	s_load_dwordx8 s[36:43], s[0:1], 0x0
	s_add_u32 s6, s6, 48
	s_addc_u32 s7, s7, 0
	s_add_i32 s11, s11, 4
	s_add_u32 s0, s0, 32
	s_addc_u32 s1, s1, 0
	s_cmp_lg_u32 s9, s11
	s_waitcnt lgkmcnt(0)
	v_mul_hi_u32 v2, s17, v1
	v_add_nc_u32_e32 v2, v1, v2
	v_lshrrev_b32_e32 v2, s18, v2
	s_waitcnt vmcnt(0)
	v_mul_hi_u32 v3, s20, v2
	v_mul_lo_u32 v5, v2, s16
	v_add_nc_u32_e32 v3, v2, v3
	v_sub_nc_u32_e32 v1, v1, v5
	v_lshrrev_b32_e32 v3, s21, v3
	v_mul_lo_u32 v5, v1, s36
	v_mul_lo_u32 v9, v1, s37
	v_mul_hi_u32 v4, s23, v3
	v_add_nc_u32_e32 v4, v3, v4
	v_lshrrev_b32_e32 v4, s28, v4
	v_mul_hi_u32 v7, s30, v4
	v_mul_lo_u32 v10, v4, s22
	v_add_nc_u32_e32 v1, v4, v7
	v_mul_lo_u32 v7, v3, s19
	v_sub_nc_u32_e32 v3, v3, v10
	v_lshrrev_b32_e32 v1, s31, v1
	v_mul_lo_u32 v10, v3, s40
	v_mul_lo_u32 v3, v3, s41
	v_sub_nc_u32_e32 v2, v2, v7
	v_mul_lo_u32 v11, v1, s29
	v_mul_lo_u32 v7, v2, s38
	;; [unrolled: 1-line block ×3, first 2 shown]
	v_sub_nc_u32_e32 v4, v4, v11
	v_add3_u32 v5, v5, v6, v7
	v_mul_lo_u32 v11, v4, s42
	v_mul_lo_u32 v4, v4, s43
	v_add3_u32 v2, v9, v13, v2
	v_add3_u32 v6, v10, v5, v11
	;; [unrolled: 1-line block ×3, first 2 shown]
	s_cbranch_scc1 .LBB164_1246
; %bb.1247:
	s_and_b32 s10, s10, 3
	s_cmp_eq_u32 s10, 0
	s_cbranch_scc0 .LBB164_1251
	s_branch .LBB164_1253
.LBB164_1248:
	s_mov_b32 s8, -1
                                        ; implicit-def: $vgpr6
                                        ; implicit-def: $vgpr13
	s_branch .LBB164_1253
.LBB164_1249:
	v_mov_b32_e32 v6, 0
	v_mov_b32_e32 v13, 0
	s_branch .LBB164_1253
.LBB164_1250:
	v_mov_b32_e32 v6, 0
	v_mov_b32_e32 v13, 0
	;; [unrolled: 1-line block ×3, first 2 shown]
	s_mov_b32 s9, 0
	s_and_b32 s10, s10, 3
	s_cmp_eq_u32 s10, 0
	s_cbranch_scc1 .LBB164_1253
.LBB164_1251:
	s_lshl_b32 s0, s9, 3
	s_mul_i32 s6, s9, 12
	s_add_u32 s0, s2, s0
	s_addc_u32 s1, s3, 0
	s_add_u32 s0, s0, 0xc4
	s_addc_u32 s1, s1, 0
	;; [unrolled: 2-line block ×3, first 2 shown]
	.p2align	6
.LBB164_1252:                           ; =>This Inner Loop Header: Depth=1
	s_clause 0x1
	s_load_dwordx2 s[14:15], s[6:7], 0x4
	s_load_dword s9, s[6:7], 0xc
	s_load_dwordx2 s[16:17], s[0:1], 0x0
	s_add_u32 s6, s6, 12
	s_addc_u32 s7, s7, 0
	s_add_u32 s0, s0, 8
	s_addc_u32 s1, s1, 0
	s_add_i32 s10, s10, -1
	s_cmp_lg_u32 s10, 0
	s_waitcnt lgkmcnt(0)
	v_mul_hi_u32 v2, s15, v1
	v_add_nc_u32_e32 v2, v1, v2
	v_lshrrev_b32_e32 v2, s9, v2
	s_waitcnt vmcnt(0)
	v_mul_lo_u32 v3, v2, s14
	v_sub_nc_u32_e32 v1, v1, v3
	v_mad_u64_u32 v[6:7], null, v1, s16, v[6:7]
	v_mad_u64_u32 v[13:14], null, v1, s17, v[13:14]
	v_mov_b32_e32 v1, v2
	s_cbranch_scc1 .LBB164_1252
.LBB164_1253:
	s_andn2_b32 vcc_lo, exec_lo, s8
	s_cbranch_vccnz .LBB164_1256
; %bb.1254:
	s_clause 0x1
	s_load_dwordx4 s[8:11], s[2:3], 0x4
	s_load_dwordx2 s[0:1], s[2:3], 0xc4
	s_cmp_lt_u32 s24, 2
	s_waitcnt lgkmcnt(0)
	v_mul_hi_u32 v1, s9, v8
	v_add_nc_u32_e32 v1, v8, v1
	v_lshrrev_b32_e32 v1, s10, v1
	v_mul_lo_u32 v2, v1, s8
	v_sub_nc_u32_e32 v2, v8, v2
	v_mul_lo_u32 v6, v2, s0
	v_mul_lo_u32 v13, v2, s1
	s_cbranch_scc1 .LBB164_1256
; %bb.1255:
	s_clause 0x1
	s_load_dwordx4 s[8:11], s[2:3], 0x10
	s_load_dwordx2 s[0:1], s[2:3], 0xcc
	s_waitcnt lgkmcnt(0)
	v_mul_hi_u32 v2, s9, v1
	v_add_nc_u32_e32 v2, v1, v2
	v_lshrrev_b32_e32 v2, s10, v2
	v_mul_lo_u32 v2, v2, s8
	v_sub_nc_u32_e32 v1, v1, v2
	v_mad_u64_u32 v[6:7], null, v1, s0, v[6:7]
	v_mad_u64_u32 v[13:14], null, v1, s1, v[13:14]
.LBB164_1256:
	v_cmp_ne_u32_e32 vcc_lo, 1, v0
	v_add_nc_u32_e32 v1, 0x80, v8
	s_cbranch_vccnz .LBB164_1262
; %bb.1257:
	s_cmp_lg_u32 s24, 0
	s_mov_b32 s8, 0
	s_cbranch_scc0 .LBB164_1263
; %bb.1258:
	s_min_u32 s10, s25, 15
	s_add_i32 s10, s10, 1
	s_cmp_eq_u32 s25, 2
	s_cbranch_scc1 .LBB164_1264
; %bb.1259:
	v_mov_b32_e32 v11, 0
	s_waitcnt vmcnt(0)
	v_mov_b32_e32 v4, 0
	v_mov_b32_e32 v2, v1
	s_and_b32 s9, s10, 28
	s_add_u32 s0, s2, 0xc4
	s_addc_u32 s1, s3, 0
	s_mov_b32 s11, 0
	s_mov_b64 s[6:7], s[2:3]
.LBB164_1260:                           ; =>This Inner Loop Header: Depth=1
	s_clause 0x1
	s_load_dwordx8 s[16:23], s[6:7], 0x4
	s_load_dwordx4 s[28:31], s[6:7], 0x24
	s_load_dwordx8 s[36:43], s[0:1], 0x0
	s_add_u32 s6, s6, 48
	s_addc_u32 s7, s7, 0
	s_add_i32 s11, s11, 4
	s_add_u32 s0, s0, 32
	s_addc_u32 s1, s1, 0
	s_cmp_lg_u32 s9, s11
	s_waitcnt lgkmcnt(0)
	v_mul_hi_u32 v3, s17, v2
	v_add_nc_u32_e32 v3, v2, v3
	v_lshrrev_b32_e32 v3, s18, v3
	v_mul_hi_u32 v5, s20, v3
	v_mul_lo_u32 v9, v3, s16
	v_add_nc_u32_e32 v5, v3, v5
	v_sub_nc_u32_e32 v2, v2, v9
	v_lshrrev_b32_e32 v5, s21, v5
	v_mul_lo_u32 v9, v2, s36
	v_mul_lo_u32 v12, v2, s37
	v_mul_hi_u32 v7, s23, v5
	v_add_nc_u32_e32 v7, v5, v7
	v_lshrrev_b32_e32 v7, s28, v7
	v_mul_hi_u32 v10, s30, v7
	v_mul_lo_u32 v14, v7, s22
	v_add_nc_u32_e32 v2, v7, v10
	v_mul_lo_u32 v10, v5, s19
	v_sub_nc_u32_e32 v5, v5, v14
	v_lshrrev_b32_e32 v2, s31, v2
	v_mul_lo_u32 v14, v5, s40
	v_mul_lo_u32 v5, v5, s41
	v_sub_nc_u32_e32 v3, v3, v10
	v_mul_lo_u32 v16, v2, s29
	v_mul_lo_u32 v10, v3, s38
	;; [unrolled: 1-line block ×3, first 2 shown]
	v_sub_nc_u32_e32 v7, v7, v16
	v_add3_u32 v4, v9, v4, v10
	v_mul_lo_u32 v16, v7, s42
	v_mul_lo_u32 v7, v7, s43
	v_add3_u32 v3, v12, v11, v3
	v_add3_u32 v4, v14, v4, v16
	;; [unrolled: 1-line block ×3, first 2 shown]
	s_cbranch_scc1 .LBB164_1260
; %bb.1261:
	s_and_b32 s10, s10, 3
	s_cmp_eq_u32 s10, 0
	s_cbranch_scc0 .LBB164_1265
	s_branch .LBB164_1267
.LBB164_1262:
	s_mov_b32 s8, -1
                                        ; implicit-def: $vgpr4
                                        ; implicit-def: $vgpr11
	s_branch .LBB164_1267
.LBB164_1263:
	s_waitcnt vmcnt(0)
	v_mov_b32_e32 v4, 0
	v_mov_b32_e32 v11, 0
	s_branch .LBB164_1267
.LBB164_1264:
	s_waitcnt vmcnt(0)
	v_mov_b32_e32 v4, 0
	v_mov_b32_e32 v11, 0
	;; [unrolled: 1-line block ×3, first 2 shown]
	s_mov_b32 s9, 0
	s_and_b32 s10, s10, 3
	s_cmp_eq_u32 s10, 0
	s_cbranch_scc1 .LBB164_1267
.LBB164_1265:
	s_lshl_b32 s0, s9, 3
	s_mul_i32 s6, s9, 12
	s_add_u32 s0, s2, s0
	s_addc_u32 s1, s3, 0
	s_add_u32 s0, s0, 0xc4
	s_addc_u32 s1, s1, 0
	;; [unrolled: 2-line block ×3, first 2 shown]
	.p2align	6
.LBB164_1266:                           ; =>This Inner Loop Header: Depth=1
	s_clause 0x1
	s_load_dwordx2 s[14:15], s[6:7], 0x4
	s_load_dword s9, s[6:7], 0xc
	s_load_dwordx2 s[16:17], s[0:1], 0x0
	s_add_u32 s6, s6, 12
	s_addc_u32 s7, s7, 0
	s_add_u32 s0, s0, 8
	s_addc_u32 s1, s1, 0
	s_add_i32 s10, s10, -1
	s_cmp_lg_u32 s10, 0
	s_waitcnt lgkmcnt(0)
	v_mul_hi_u32 v3, s15, v2
	v_add_nc_u32_e32 v3, v2, v3
	v_lshrrev_b32_e32 v3, s9, v3
	v_mul_lo_u32 v5, v3, s14
	v_sub_nc_u32_e32 v2, v2, v5
	v_mad_u64_u32 v[4:5], null, v2, s16, v[4:5]
	v_mad_u64_u32 v[11:12], null, v2, s17, v[11:12]
	v_mov_b32_e32 v2, v3
	s_cbranch_scc1 .LBB164_1266
.LBB164_1267:
	s_andn2_b32 vcc_lo, exec_lo, s8
	s_cbranch_vccnz .LBB164_1270
; %bb.1268:
	s_clause 0x1
	s_load_dwordx4 s[8:11], s[2:3], 0x4
	s_load_dwordx2 s[0:1], s[2:3], 0xc4
	s_cmp_lt_u32 s24, 2
	s_waitcnt lgkmcnt(0)
	v_mul_hi_u32 v2, s9, v1
	v_add_nc_u32_e32 v2, v1, v2
	v_lshrrev_b32_e32 v2, s10, v2
	s_waitcnt vmcnt(0)
	v_mul_lo_u32 v3, v2, s8
	v_sub_nc_u32_e32 v1, v1, v3
	v_mul_lo_u32 v4, v1, s0
	v_mul_lo_u32 v11, v1, s1
	s_cbranch_scc1 .LBB164_1270
; %bb.1269:
	s_clause 0x1
	s_load_dwordx4 s[8:11], s[2:3], 0x10
	s_load_dwordx2 s[0:1], s[2:3], 0xcc
	s_waitcnt lgkmcnt(0)
	v_mul_hi_u32 v1, s9, v2
	v_add_nc_u32_e32 v1, v2, v1
	v_lshrrev_b32_e32 v1, s10, v1
	v_mul_lo_u32 v1, v1, s8
	v_sub_nc_u32_e32 v1, v2, v1
	v_mad_u64_u32 v[4:5], null, v1, s0, v[4:5]
	v_mad_u64_u32 v[11:12], null, v1, s1, v[11:12]
.LBB164_1270:
	v_cmp_ne_u32_e32 vcc_lo, 1, v0
	v_add_nc_u32_e32 v1, 0x100, v8
	s_cbranch_vccnz .LBB164_1276
; %bb.1271:
	s_cmp_lg_u32 s24, 0
	s_mov_b32 s8, 0
	s_cbranch_scc0 .LBB164_1277
; %bb.1272:
	s_min_u32 s10, s25, 15
	s_add_i32 s10, s10, 1
	s_cmp_eq_u32 s25, 2
	s_cbranch_scc1 .LBB164_1278
; %bb.1273:
	v_mov_b32_e32 v9, 0
	v_mov_b32_e32 v2, 0
	s_waitcnt vmcnt(0)
	v_mov_b32_e32 v3, v1
	s_and_b32 s9, s10, 28
	s_add_u32 s0, s2, 0xc4
	s_addc_u32 s1, s3, 0
	s_mov_b32 s11, 0
	s_mov_b64 s[6:7], s[2:3]
.LBB164_1274:                           ; =>This Inner Loop Header: Depth=1
	s_clause 0x1
	s_load_dwordx8 s[16:23], s[6:7], 0x4
	s_load_dwordx4 s[28:31], s[6:7], 0x24
	s_load_dwordx8 s[36:43], s[0:1], 0x0
	s_add_u32 s6, s6, 48
	s_addc_u32 s7, s7, 0
	s_add_i32 s11, s11, 4
	s_add_u32 s0, s0, 32
	s_addc_u32 s1, s1, 0
	s_cmp_lg_u32 s9, s11
	s_waitcnt lgkmcnt(0)
	v_mul_hi_u32 v5, s17, v3
	v_add_nc_u32_e32 v5, v3, v5
	v_lshrrev_b32_e32 v5, s18, v5
	v_mul_hi_u32 v7, s20, v5
	v_mul_lo_u32 v10, v5, s16
	v_add_nc_u32_e32 v7, v5, v7
	v_sub_nc_u32_e32 v3, v3, v10
	v_lshrrev_b32_e32 v7, s21, v7
	v_mul_lo_u32 v10, v3, s36
	v_mul_lo_u32 v14, v3, s37
	v_mul_hi_u32 v8, s23, v7
	v_add_nc_u32_e32 v8, v7, v8
	v_lshrrev_b32_e32 v8, s28, v8
	v_mul_hi_u32 v12, s30, v8
	v_mul_lo_u32 v16, v8, s22
	v_add_nc_u32_e32 v3, v8, v12
	v_mul_lo_u32 v12, v7, s19
	v_sub_nc_u32_e32 v7, v7, v16
	v_lshrrev_b32_e32 v3, s31, v3
	v_mul_lo_u32 v16, v7, s40
	v_mul_lo_u32 v7, v7, s41
	v_sub_nc_u32_e32 v5, v5, v12
	v_mul_lo_u32 v17, v3, s29
	v_mul_lo_u32 v12, v5, s38
	;; [unrolled: 1-line block ×3, first 2 shown]
	v_sub_nc_u32_e32 v8, v8, v17
	v_add3_u32 v2, v10, v2, v12
	v_mul_lo_u32 v17, v8, s42
	v_mul_lo_u32 v8, v8, s43
	v_add3_u32 v5, v14, v9, v5
	v_add3_u32 v2, v16, v2, v17
	;; [unrolled: 1-line block ×3, first 2 shown]
	s_cbranch_scc1 .LBB164_1274
; %bb.1275:
	s_and_b32 s10, s10, 3
	s_cmp_eq_u32 s10, 0
	s_cbranch_scc0 .LBB164_1279
	s_branch .LBB164_1281
.LBB164_1276:
	s_mov_b32 s8, -1
                                        ; implicit-def: $vgpr2
                                        ; implicit-def: $vgpr9
	s_branch .LBB164_1281
.LBB164_1277:
	v_mov_b32_e32 v2, 0
	v_mov_b32_e32 v9, 0
	s_branch .LBB164_1281
.LBB164_1278:
	v_mov_b32_e32 v2, 0
	v_mov_b32_e32 v9, 0
	s_waitcnt vmcnt(0)
	v_mov_b32_e32 v3, v1
	s_mov_b32 s9, 0
	s_and_b32 s10, s10, 3
	s_cmp_eq_u32 s10, 0
	s_cbranch_scc1 .LBB164_1281
.LBB164_1279:
	s_lshl_b32 s0, s9, 3
	s_mul_i32 s6, s9, 12
	s_add_u32 s0, s2, s0
	s_addc_u32 s1, s3, 0
	s_add_u32 s0, s0, 0xc4
	s_addc_u32 s1, s1, 0
	;; [unrolled: 2-line block ×3, first 2 shown]
	.p2align	6
.LBB164_1280:                           ; =>This Inner Loop Header: Depth=1
	s_clause 0x1
	s_load_dwordx2 s[14:15], s[6:7], 0x4
	s_load_dword s9, s[6:7], 0xc
	s_load_dwordx2 s[16:17], s[0:1], 0x0
	s_add_u32 s6, s6, 12
	s_addc_u32 s7, s7, 0
	s_add_u32 s0, s0, 8
	s_addc_u32 s1, s1, 0
	s_add_i32 s10, s10, -1
	s_cmp_lg_u32 s10, 0
	s_waitcnt lgkmcnt(0)
	v_mul_hi_u32 v5, s15, v3
	v_add_nc_u32_e32 v5, v3, v5
	v_lshrrev_b32_e32 v5, s9, v5
	v_mul_lo_u32 v7, v5, s14
	v_sub_nc_u32_e32 v7, v3, v7
	v_mad_u64_u32 v[2:3], null, v7, s16, v[2:3]
	v_mad_u64_u32 v[9:10], null, v7, s17, v[9:10]
	v_mov_b32_e32 v3, v5
	s_cbranch_scc1 .LBB164_1280
.LBB164_1281:
	s_andn2_b32 vcc_lo, exec_lo, s8
	s_cbranch_vccnz .LBB164_1284
; %bb.1282:
	s_clause 0x1
	s_load_dwordx4 s[8:11], s[2:3], 0x4
	s_load_dwordx2 s[0:1], s[2:3], 0xc4
	s_cmp_lt_u32 s24, 2
	s_waitcnt lgkmcnt(0)
	v_mul_hi_u32 v2, s9, v1
	v_add_nc_u32_e32 v2, v1, v2
	s_waitcnt vmcnt(0)
	v_lshrrev_b32_e32 v3, s10, v2
	v_mul_lo_u32 v2, v3, s8
	v_sub_nc_u32_e32 v1, v1, v2
	v_mul_lo_u32 v2, v1, s0
	v_mul_lo_u32 v9, v1, s1
	s_cbranch_scc1 .LBB164_1284
; %bb.1283:
	s_clause 0x1
	s_load_dwordx4 s[8:11], s[2:3], 0x10
	s_load_dwordx2 s[0:1], s[2:3], 0xcc
	s_waitcnt lgkmcnt(0)
	v_mul_hi_u32 v1, s9, v3
	v_add_nc_u32_e32 v1, v3, v1
	v_lshrrev_b32_e32 v1, s10, v1
	v_mul_lo_u32 v1, v1, s8
	v_sub_nc_u32_e32 v1, v3, v1
	v_mad_u64_u32 v[2:3], null, v1, s0, v[2:3]
	v_mad_u64_u32 v[9:10], null, v1, s1, v[9:10]
.LBB164_1284:
	v_cmp_ne_u32_e32 vcc_lo, 1, v0
	s_cbranch_vccnz .LBB164_1290
; %bb.1285:
	s_cmp_lg_u32 s24, 0
	s_mov_b32 s8, 0
	s_cbranch_scc0 .LBB164_1291
; %bb.1286:
	s_min_u32 s10, s25, 15
	s_add_i32 s10, s10, 1
	s_cmp_eq_u32 s25, 2
	s_cbranch_scc1 .LBB164_1292
; %bb.1287:
	v_mov_b32_e32 v7, 0
	v_mov_b32_e32 v0, 0
	;; [unrolled: 1-line block ×3, first 2 shown]
	s_and_b32 s9, s10, 28
	s_add_u32 s0, s2, 0xc4
	s_addc_u32 s1, s3, 0
	s_mov_b32 s11, 0
	s_mov_b64 s[6:7], s[2:3]
.LBB164_1288:                           ; =>This Inner Loop Header: Depth=1
	s_clause 0x1
	s_load_dwordx8 s[16:23], s[6:7], 0x4
	s_load_dwordx4 s[28:31], s[6:7], 0x24
	s_load_dwordx8 s[36:43], s[0:1], 0x0
	s_add_u32 s6, s6, 48
	s_addc_u32 s7, s7, 0
	s_add_i32 s11, s11, 4
	s_add_u32 s0, s0, 32
	s_addc_u32 s1, s1, 0
	s_cmp_lg_u32 s9, s11
	s_waitcnt vmcnt(0) lgkmcnt(0)
	v_mul_hi_u32 v3, s17, v1
	v_add_nc_u32_e32 v3, v1, v3
	v_lshrrev_b32_e32 v3, s18, v3
	v_mul_hi_u32 v5, s20, v3
	v_mul_lo_u32 v10, v3, s16
	v_add_nc_u32_e32 v5, v3, v5
	v_sub_nc_u32_e32 v1, v1, v10
	v_lshrrev_b32_e32 v5, s21, v5
	v_mul_lo_u32 v10, v1, s36
	v_mul_lo_u32 v14, v1, s37
	v_mul_hi_u32 v8, s23, v5
	v_add_nc_u32_e32 v8, v5, v8
	v_lshrrev_b32_e32 v8, s28, v8
	v_mul_hi_u32 v12, s30, v8
	v_mul_lo_u32 v16, v8, s22
	v_add_nc_u32_e32 v1, v8, v12
	v_mul_lo_u32 v12, v5, s19
	v_sub_nc_u32_e32 v5, v5, v16
	v_lshrrev_b32_e32 v1, s31, v1
	v_mul_lo_u32 v16, v5, s40
	v_mul_lo_u32 v5, v5, s41
	v_sub_nc_u32_e32 v3, v3, v12
	v_mul_lo_u32 v17, v1, s29
	v_mul_lo_u32 v12, v3, s38
	;; [unrolled: 1-line block ×3, first 2 shown]
	v_sub_nc_u32_e32 v8, v8, v17
	v_add3_u32 v0, v10, v0, v12
	v_mul_lo_u32 v17, v8, s42
	v_mul_lo_u32 v8, v8, s43
	v_add3_u32 v3, v14, v7, v3
	v_add3_u32 v0, v16, v0, v17
	;; [unrolled: 1-line block ×3, first 2 shown]
	s_cbranch_scc1 .LBB164_1288
; %bb.1289:
	s_and_b32 s10, s10, 3
	s_cmp_eq_u32 s10, 0
	s_cbranch_scc0 .LBB164_1293
	s_branch .LBB164_1295
.LBB164_1290:
	s_mov_b32 s8, -1
                                        ; implicit-def: $vgpr0
                                        ; implicit-def: $vgpr7
	s_branch .LBB164_1295
.LBB164_1291:
	v_mov_b32_e32 v0, 0
	v_mov_b32_e32 v7, 0
	s_branch .LBB164_1295
.LBB164_1292:
	v_mov_b32_e32 v0, 0
	v_mov_b32_e32 v7, 0
	;; [unrolled: 1-line block ×3, first 2 shown]
	s_mov_b32 s9, 0
	s_and_b32 s10, s10, 3
	s_cmp_eq_u32 s10, 0
	s_cbranch_scc1 .LBB164_1295
.LBB164_1293:
	s_lshl_b32 s0, s9, 3
	s_mul_i32 s6, s9, 12
	s_add_u32 s0, s2, s0
	s_addc_u32 s1, s3, 0
	s_add_u32 s0, s0, 0xc4
	s_addc_u32 s1, s1, 0
	;; [unrolled: 2-line block ×3, first 2 shown]
	.p2align	6
.LBB164_1294:                           ; =>This Inner Loop Header: Depth=1
	s_clause 0x1
	s_load_dwordx2 s[14:15], s[6:7], 0x4
	s_load_dword s9, s[6:7], 0xc
	s_load_dwordx2 s[16:17], s[0:1], 0x0
	s_add_u32 s6, s6, 12
	s_addc_u32 s7, s7, 0
	s_add_u32 s0, s0, 8
	s_addc_u32 s1, s1, 0
	s_add_i32 s10, s10, -1
	s_cmp_lg_u32 s10, 0
	s_waitcnt vmcnt(0) lgkmcnt(0)
	v_mul_hi_u32 v3, s15, v1
	v_add_nc_u32_e32 v3, v1, v3
	v_lshrrev_b32_e32 v3, s9, v3
	v_mul_lo_u32 v5, v3, s14
	v_sub_nc_u32_e32 v5, v1, v5
	v_mad_u64_u32 v[0:1], null, v5, s16, v[0:1]
	v_mad_u64_u32 v[7:8], null, v5, s17, v[7:8]
	v_mov_b32_e32 v1, v3
	s_cbranch_scc1 .LBB164_1294
.LBB164_1295:
	s_andn2_b32 vcc_lo, exec_lo, s8
	s_cbranch_vccnz .LBB164_1298
; %bb.1296:
	s_clause 0x1
	s_load_dwordx4 s[8:11], s[2:3], 0x4
	s_load_dwordx2 s[0:1], s[2:3], 0xc4
	s_cmp_lt_u32 s24, 2
	s_waitcnt lgkmcnt(0)
	v_mul_hi_u32 v0, s9, v15
	v_add_nc_u32_e32 v0, v15, v0
	v_lshrrev_b32_e32 v1, s10, v0
	v_mul_lo_u32 v0, v1, s8
	s_waitcnt vmcnt(0)
	v_sub_nc_u32_e32 v3, v15, v0
	v_mul_lo_u32 v0, v3, s0
	v_mul_lo_u32 v7, v3, s1
	s_cbranch_scc1 .LBB164_1298
; %bb.1297:
	s_clause 0x1
	s_load_dwordx4 s[8:11], s[2:3], 0x10
	s_load_dwordx2 s[0:1], s[2:3], 0xcc
	s_waitcnt lgkmcnt(0)
	v_mul_hi_u32 v3, s9, v1
	v_add_nc_u32_e32 v3, v1, v3
	v_lshrrev_b32_e32 v3, s10, v3
	v_mul_lo_u32 v3, v3, s8
	v_sub_nc_u32_e32 v3, v1, v3
	v_mad_u64_u32 v[0:1], null, v3, s0, v[0:1]
	v_mad_u64_u32 v[7:8], null, v3, s1, v[7:8]
.LBB164_1298:
	s_clause 0x1
	s_load_dwordx4 s[8:11], s[2:3], 0x148
	s_load_dword s6, s[4:5], 0x160
	s_waitcnt lgkmcnt(0)
	v_add_co_u32 v12, s0, s10, v13
	v_add_co_ci_u32_e64 v13, null, s11, 0, s0
	s_bfe_u32 s0, s6, 0x80010
	s_cmp_lt_i32 s0, 11
	s_cbranch_scc1 .LBB164_1305
; %bb.1299:
	s_and_b32 s1, 0xffff, s0
	s_mov_b32 s3, 0
	s_cmp_gt_i32 s1, 25
	s_cbranch_scc0 .LBB164_1307
; %bb.1300:
	s_cmp_gt_i32 s1, 28
	s_cbranch_scc0 .LBB164_1308
; %bb.1301:
	;; [unrolled: 3-line block ×4, first 2 shown]
	s_cmp_eq_u32 s1, 46
	s_mov_b32 s5, 0
	s_cbranch_scc0 .LBB164_1313
; %bb.1304:
	global_load_dword v1, v[12:13], off
	s_mov_b32 s2, 0
	s_mov_b32 s4, -1
	s_branch .LBB164_1315
.LBB164_1305:
	s_mov_b32 s4, 0
	s_mov_b32 s5, s12
                                        ; implicit-def: $vgpr1
	s_cbranch_execnz .LBB164_1378
.LBB164_1306:
	s_andn2_b32 vcc_lo, exec_lo, s4
	s_cbranch_vccz .LBB164_1423
	s_branch .LBB164_2399
.LBB164_1307:
	s_mov_b32 s4, 0
	s_mov_b32 s2, 0
                                        ; implicit-def: $vgpr1
	s_cbranch_execnz .LBB164_1343
	s_branch .LBB164_1374
.LBB164_1308:
	s_mov_b32 s5, -1
	s_mov_b32 s4, 0
	s_mov_b32 s2, 0
                                        ; implicit-def: $vgpr1
	s_branch .LBB164_1324
.LBB164_1309:
	s_mov_b32 s4, 0
	s_mov_b32 s2, 0
                                        ; implicit-def: $vgpr1
	s_cbranch_execnz .LBB164_1320
	s_branch .LBB164_1323
.LBB164_1310:
	s_mov_b32 s5, -1
	s_mov_b32 s4, 0
	s_mov_b32 s2, 0
	s_branch .LBB164_1314
.LBB164_1311:
	s_andn2_saveexec_b32 s11, s11
	s_cbranch_execz .LBB164_1154
.LBB164_1312:
	v_add_f32_e64 v4, 0x46000000, |v5|
	s_andn2_b32 s10, s10, exec_lo
	v_and_b32_e32 v4, 0xff, v4
	v_cmp_ne_u32_e32 vcc_lo, 0, v4
	s_and_b32 s12, vcc_lo, exec_lo
	s_or_b32 s10, s10, s12
	s_or_b32 exec_lo, exec_lo, s11
	v_mov_b32_e32 v6, 0
	s_and_saveexec_b32 s11, s10
	s_cbranch_execnz .LBB164_1155
	s_branch .LBB164_1156
.LBB164_1313:
	s_mov_b32 s2, -1
	s_mov_b32 s4, 0
.LBB164_1314:
                                        ; implicit-def: $vgpr1
.LBB164_1315:
	s_and_b32 vcc_lo, exec_lo, s5
	s_cbranch_vccz .LBB164_1318
; %bb.1316:
	s_cmp_eq_u32 s1, 44
	s_cbranch_scc0 .LBB164_1319
; %bb.1317:
	global_load_ubyte v1, v[12:13], off
	s_mov_b32 s2, 0
	s_mov_b32 s4, -1
	s_waitcnt vmcnt(0)
	v_lshlrev_b32_e32 v3, 23, v1
	v_cmp_ne_u32_e32 vcc_lo, 0xff, v1
	v_cndmask_b32_e32 v3, 0x7f800001, v3, vcc_lo
	v_cmp_ne_u32_e32 vcc_lo, 0, v1
	v_cndmask_b32_e32 v1, 0x400000, v3, vcc_lo
	v_mov_b32_e32 v3, 0x7fc0
	v_cmp_o_f32_e32 vcc_lo, v1, v1
	v_add_nc_u32_e32 v1, 0x7fff, v1
	v_cndmask_b32_sdwa v1, v3, v1, vcc_lo dst_sel:DWORD dst_unused:UNUSED_PAD src0_sel:DWORD src1_sel:WORD_1
.LBB164_1318:
	s_branch .LBB164_1323
.LBB164_1319:
	s_mov_b32 s2, -1
                                        ; implicit-def: $vgpr1
	s_branch .LBB164_1323
.LBB164_1320:
	s_cmp_eq_u32 s1, 29
	s_cbranch_scc0 .LBB164_1322
; %bb.1321:
	global_load_dwordx2 v[14:15], v[12:13], off
	s_mov_b32 s2, 0
	s_mov_b32 s4, -1
	s_mov_b32 s5, 0
	s_waitcnt vmcnt(0)
	v_ffbh_u32_e32 v1, v15
	v_min_u32_e32 v1, 32, v1
	v_lshlrev_b64 v[14:15], v1, v[14:15]
	v_sub_nc_u32_e32 v1, 32, v1
	v_min_u32_e32 v3, 1, v14
	v_or_b32_e32 v3, v15, v3
	v_cvt_f32_u32_e32 v3, v3
	v_ldexp_f32 v1, v3, v1
	v_bfe_u32 v3, v1, 16, 1
	v_add3_u32 v1, v1, v3, 0x7fff
	v_lshrrev_b32_e32 v1, 16, v1
	s_branch .LBB164_1324
.LBB164_1322:
	s_mov_b32 s2, -1
                                        ; implicit-def: $vgpr1
.LBB164_1323:
	s_mov_b32 s5, 0
.LBB164_1324:
	s_and_b32 vcc_lo, exec_lo, s5
	s_cbranch_vccz .LBB164_1342
; %bb.1325:
	s_cmp_lt_i32 s1, 27
	s_cbranch_scc1 .LBB164_1328
; %bb.1326:
	s_cmp_gt_i32 s1, 27
	s_cbranch_scc0 .LBB164_1329
; %bb.1327:
	global_load_dword v1, v[12:13], off
	s_mov_b32 s4, 0
	s_waitcnt vmcnt(0)
	v_cvt_f32_u32_e32 v1, v1
	v_bfe_u32 v3, v1, 16, 1
	v_add3_u32 v1, v1, v3, 0x7fff
	v_lshrrev_b32_e32 v1, 16, v1
	s_branch .LBB164_1330
.LBB164_1328:
	s_mov_b32 s4, -1
                                        ; implicit-def: $vgpr1
	s_branch .LBB164_1333
.LBB164_1329:
	s_mov_b32 s4, -1
                                        ; implicit-def: $vgpr1
.LBB164_1330:
	s_andn2_b32 vcc_lo, exec_lo, s4
	s_cbranch_vccnz .LBB164_1332
; %bb.1331:
	global_load_ushort v1, v[12:13], off
	s_waitcnt vmcnt(0)
	v_cvt_f32_u32_e32 v1, v1
	v_bfe_u32 v3, v1, 16, 1
	v_add3_u32 v1, v1, v3, 0x7fff
	v_lshrrev_b32_e32 v1, 16, v1
.LBB164_1332:
	s_mov_b32 s4, 0
.LBB164_1333:
	s_andn2_b32 vcc_lo, exec_lo, s4
	s_cbranch_vccnz .LBB164_1341
; %bb.1334:
	global_load_ubyte v1, v[12:13], off
	s_mov_b32 s4, 0
	s_mov_b32 s5, exec_lo
	s_waitcnt vmcnt(0)
	v_cmpx_lt_i16_e32 0x7f, v1
	s_xor_b32 s5, exec_lo, s5
	s_cbranch_execz .LBB164_1354
; %bb.1335:
	s_mov_b32 s4, -1
	s_mov_b32 s7, exec_lo
	v_cmpx_eq_u16_e32 0x80, v1
; %bb.1336:
	s_xor_b32 s4, exec_lo, -1
; %bb.1337:
	s_or_b32 exec_lo, exec_lo, s7
	s_and_b32 s4, s4, exec_lo
	s_or_saveexec_b32 s5, s5
	v_mov_b32_e32 v3, 0x7f800001
	s_xor_b32 exec_lo, exec_lo, s5
	s_cbranch_execnz .LBB164_1355
.LBB164_1338:
	s_or_b32 exec_lo, exec_lo, s5
	s_and_saveexec_b32 s5, s4
	s_cbranch_execz .LBB164_1340
.LBB164_1339:
	v_and_b32_e32 v3, 0xffff, v1
	v_lshlrev_b32_e32 v1, 24, v1
	v_and_b32_e32 v5, 7, v3
	v_bfe_u32 v14, v3, 3, 4
	v_and_b32_e32 v1, 0x80000000, v1
	v_ffbh_u32_e32 v8, v5
	v_cmp_eq_u32_e32 vcc_lo, 0, v14
	v_min_u32_e32 v8, 32, v8
	v_subrev_nc_u32_e32 v10, 28, v8
	v_sub_nc_u32_e32 v8, 29, v8
	v_lshlrev_b32_e32 v3, v10, v3
	v_cndmask_b32_e32 v8, v14, v8, vcc_lo
	v_and_b32_e32 v3, 7, v3
	v_cndmask_b32_e32 v3, v5, v3, vcc_lo
	v_lshl_add_u32 v5, v8, 23, 0x3b800000
	v_lshlrev_b32_e32 v3, 20, v3
	v_or3_b32 v3, v1, v5, v3
.LBB164_1340:
	s_or_b32 exec_lo, exec_lo, s5
	v_bfe_u32 v1, v3, 16, 1
	v_cmp_o_f32_e32 vcc_lo, v3, v3
	v_add3_u32 v1, v3, v1, 0x7fff
	v_mov_b32_e32 v3, 0x7fc0
	v_cndmask_b32_sdwa v1, v3, v1, vcc_lo dst_sel:DWORD dst_unused:UNUSED_PAD src0_sel:DWORD src1_sel:WORD_1
.LBB164_1341:
	s_mov_b32 s4, -1
.LBB164_1342:
	s_branch .LBB164_1374
.LBB164_1343:
	s_cmp_gt_i32 s1, 22
	s_cbranch_scc0 .LBB164_1353
; %bb.1344:
	s_cmp_lt_i32 s1, 24
	s_cbranch_scc1 .LBB164_1356
; %bb.1345:
	s_cmp_gt_i32 s1, 24
	s_cbranch_scc0 .LBB164_1357
; %bb.1346:
	global_load_ubyte v1, v[12:13], off
	s_mov_b32 s4, exec_lo
	s_waitcnt vmcnt(0)
	v_cmpx_lt_i16_e32 0x7f, v1
	s_xor_b32 s4, exec_lo, s4
	s_cbranch_execz .LBB164_1368
; %bb.1347:
	s_mov_b32 s3, -1
	s_mov_b32 s5, exec_lo
	v_cmpx_eq_u16_e32 0x80, v1
; %bb.1348:
	s_xor_b32 s3, exec_lo, -1
; %bb.1349:
	s_or_b32 exec_lo, exec_lo, s5
	s_and_b32 s3, s3, exec_lo
	s_or_saveexec_b32 s4, s4
	v_mov_b32_e32 v3, 0x7f800001
	s_xor_b32 exec_lo, exec_lo, s4
	s_cbranch_execnz .LBB164_1369
.LBB164_1350:
	s_or_b32 exec_lo, exec_lo, s4
	s_and_saveexec_b32 s4, s3
	s_cbranch_execz .LBB164_1352
.LBB164_1351:
	v_and_b32_e32 v3, 0xffff, v1
	v_lshlrev_b32_e32 v1, 24, v1
	v_and_b32_e32 v5, 3, v3
	v_bfe_u32 v14, v3, 2, 5
	v_and_b32_e32 v1, 0x80000000, v1
	v_ffbh_u32_e32 v8, v5
	v_cmp_eq_u32_e32 vcc_lo, 0, v14
	v_min_u32_e32 v8, 32, v8
	v_subrev_nc_u32_e32 v10, 29, v8
	v_sub_nc_u32_e32 v8, 30, v8
	v_lshlrev_b32_e32 v3, v10, v3
	v_cndmask_b32_e32 v8, v14, v8, vcc_lo
	v_and_b32_e32 v3, 3, v3
	v_cndmask_b32_e32 v3, v5, v3, vcc_lo
	v_lshl_add_u32 v5, v8, 23, 0x37800000
	v_lshlrev_b32_e32 v3, 21, v3
	v_or3_b32 v3, v1, v5, v3
.LBB164_1352:
	s_or_b32 exec_lo, exec_lo, s4
	v_bfe_u32 v1, v3, 16, 1
	v_cmp_o_f32_e32 vcc_lo, v3, v3
	s_mov_b32 s3, 0
	v_add3_u32 v1, v3, v1, 0x7fff
	v_mov_b32_e32 v3, 0x7fc0
	v_cndmask_b32_sdwa v1, v3, v1, vcc_lo dst_sel:DWORD dst_unused:UNUSED_PAD src0_sel:DWORD src1_sel:WORD_1
	s_branch .LBB164_1358
.LBB164_1353:
                                        ; implicit-def: $vgpr1
	s_mov_b32 s3, 0
	s_branch .LBB164_1364
.LBB164_1354:
	s_or_saveexec_b32 s5, s5
	v_mov_b32_e32 v3, 0x7f800001
	s_xor_b32 exec_lo, exec_lo, s5
	s_cbranch_execz .LBB164_1338
.LBB164_1355:
	v_cmp_ne_u16_e32 vcc_lo, 0, v1
	v_mov_b32_e32 v3, 0
	s_andn2_b32 s4, s4, exec_lo
	s_and_b32 s7, vcc_lo, exec_lo
	s_or_b32 s4, s4, s7
	s_or_b32 exec_lo, exec_lo, s5
	s_and_saveexec_b32 s5, s4
	s_cbranch_execnz .LBB164_1339
	s_branch .LBB164_1340
.LBB164_1356:
	s_mov_b32 s3, -1
                                        ; implicit-def: $vgpr1
	s_branch .LBB164_1361
.LBB164_1357:
	s_mov_b32 s3, -1
                                        ; implicit-def: $vgpr1
.LBB164_1358:
	s_and_b32 vcc_lo, exec_lo, s3
	s_cbranch_vccz .LBB164_1360
; %bb.1359:
	global_load_ubyte v1, v[12:13], off
	s_waitcnt vmcnt(0)
	v_lshlrev_b32_e32 v1, 24, v1
	v_and_b32_e32 v3, 0x7f000000, v1
	v_ffbh_u32_e32 v5, v3
	v_add_nc_u32_e32 v10, 0x1000000, v3
	v_cmp_ne_u32_e32 vcc_lo, 0, v3
	v_min_u32_e32 v5, 32, v5
	v_sub_nc_u32_e64 v5, v5, 4 clamp
	v_lshlrev_b32_e32 v8, v5, v3
	v_lshlrev_b32_e32 v5, 23, v5
	v_lshrrev_b32_e32 v8, 4, v8
	v_sub_nc_u32_e32 v5, v8, v5
	v_ashrrev_i32_e32 v8, 8, v10
	v_add_nc_u32_e32 v5, 0x3c000000, v5
	v_and_or_b32 v5, 0x7f800000, v8, v5
	v_cndmask_b32_e32 v3, 0, v5, vcc_lo
	v_and_or_b32 v1, 0x80000000, v1, v3
	v_bfe_u32 v3, v3, 16, 1
	v_cmp_o_f32_e32 vcc_lo, v1, v1
	v_add3_u32 v1, v1, v3, 0x7fff
	v_mov_b32_e32 v3, 0x7fc0
	v_cndmask_b32_sdwa v1, v3, v1, vcc_lo dst_sel:DWORD dst_unused:UNUSED_PAD src0_sel:DWORD src1_sel:WORD_1
.LBB164_1360:
	s_mov_b32 s3, 0
.LBB164_1361:
	s_andn2_b32 vcc_lo, exec_lo, s3
	s_cbranch_vccnz .LBB164_1363
; %bb.1362:
	global_load_ubyte v1, v[12:13], off
	s_waitcnt vmcnt(0)
	v_lshlrev_b32_e32 v3, 25, v1
	v_lshlrev_b16 v1, 8, v1
	v_lshrrev_b32_e32 v5, 4, v3
	v_and_or_b32 v8, 0x7f00, v1, 0.5
	v_cmp_gt_u32_e32 vcc_lo, 0x8000000, v3
	v_bfe_i32 v1, v1, 0, 16
	v_or_b32_e32 v5, 0x70000000, v5
	v_add_f32_e32 v8, -0.5, v8
	v_mul_f32_e32 v5, 0x7800000, v5
	v_cndmask_b32_e32 v3, v5, v8, vcc_lo
	v_and_or_b32 v1, 0x80000000, v1, v3
	v_bfe_u32 v3, v3, 16, 1
	v_cmp_o_f32_e32 vcc_lo, v1, v1
	v_add3_u32 v1, v1, v3, 0x7fff
	v_mov_b32_e32 v3, 0x7fc0
	v_cndmask_b32_sdwa v1, v3, v1, vcc_lo dst_sel:DWORD dst_unused:UNUSED_PAD src0_sel:DWORD src1_sel:WORD_1
.LBB164_1363:
	s_mov_b32 s4, -1
	s_mov_b32 s3, 0
	s_cbranch_execnz .LBB164_1374
.LBB164_1364:
	s_cmp_gt_i32 s1, 14
	s_cbranch_scc0 .LBB164_1367
; %bb.1365:
	s_cmp_eq_u32 s1, 15
	s_cbranch_scc0 .LBB164_1370
; %bb.1366:
	global_load_ushort v1, v[12:13], off
	s_mov_b32 s2, 0
	s_mov_b32 s4, -1
	s_branch .LBB164_1372
.LBB164_1367:
	s_mov_b32 s3, -1
	s_branch .LBB164_1371
.LBB164_1368:
	s_or_saveexec_b32 s4, s4
	v_mov_b32_e32 v3, 0x7f800001
	s_xor_b32 exec_lo, exec_lo, s4
	s_cbranch_execz .LBB164_1350
.LBB164_1369:
	v_cmp_ne_u16_e32 vcc_lo, 0, v1
	v_mov_b32_e32 v3, 0
	s_andn2_b32 s3, s3, exec_lo
	s_and_b32 s5, vcc_lo, exec_lo
	s_or_b32 s3, s3, s5
	s_or_b32 exec_lo, exec_lo, s4
	s_and_saveexec_b32 s4, s3
	s_cbranch_execnz .LBB164_1351
	s_branch .LBB164_1352
.LBB164_1370:
	s_mov_b32 s2, -1
.LBB164_1371:
                                        ; implicit-def: $vgpr1
.LBB164_1372:
	s_and_b32 vcc_lo, exec_lo, s3
	s_mov_b32 s3, 0
	s_cbranch_vccz .LBB164_1374
; %bb.1373:
	s_cmp_lg_u32 s1, 11
	s_mov_b32 s3, -1
	s_cselect_b32 s2, -1, 0
.LBB164_1374:
	s_and_b32 vcc_lo, exec_lo, s2
	s_mov_b32 s5, s12
	s_cbranch_vccnz .LBB164_1473
; %bb.1375:
	s_andn2_b32 vcc_lo, exec_lo, s3
	s_cbranch_vccnz .LBB164_1377
.LBB164_1376:
	global_load_ubyte v1, v[12:13], off
	s_mov_b32 s4, -1
	s_waitcnt vmcnt(0)
	v_cmp_ne_u16_e32 vcc_lo, 0, v1
	v_cndmask_b32_e64 v1, 0, 1.0, vcc_lo
	v_lshrrev_b32_e32 v1, 16, v1
.LBB164_1377:
	s_branch .LBB164_1306
.LBB164_1378:
	s_and_b32 s0, 0xffff, s0
	s_cmp_lt_i32 s0, 5
	s_cbranch_scc1 .LBB164_1383
; %bb.1379:
	s_cmp_lt_i32 s0, 8
	s_cbranch_scc1 .LBB164_1384
; %bb.1380:
	;; [unrolled: 3-line block ×3, first 2 shown]
	s_cmp_gt_i32 s0, 9
	s_cbranch_scc0 .LBB164_1386
; %bb.1382:
	global_load_dwordx2 v[14:15], v[12:13], off
	s_mov_b32 s1, 0
	s_waitcnt vmcnt(0)
	v_cvt_f32_f64_e32 v1, v[14:15]
	v_bfe_u32 v3, v1, 16, 1
	v_cmp_o_f32_e32 vcc_lo, v1, v1
	v_add3_u32 v1, v1, v3, 0x7fff
	v_mov_b32_e32 v3, 0x7fc0
	v_cndmask_b32_sdwa v1, v3, v1, vcc_lo dst_sel:DWORD dst_unused:UNUSED_PAD src0_sel:DWORD src1_sel:WORD_1
	s_branch .LBB164_1387
.LBB164_1383:
                                        ; implicit-def: $vgpr1
	s_branch .LBB164_1404
.LBB164_1384:
                                        ; implicit-def: $vgpr1
	s_branch .LBB164_1393
.LBB164_1385:
	s_mov_b32 s1, -1
                                        ; implicit-def: $vgpr1
	s_branch .LBB164_1390
.LBB164_1386:
	s_mov_b32 s1, -1
                                        ; implicit-def: $vgpr1
.LBB164_1387:
	s_andn2_b32 vcc_lo, exec_lo, s1
	s_cbranch_vccnz .LBB164_1389
; %bb.1388:
	global_load_dword v1, v[12:13], off
	s_waitcnt vmcnt(0)
	v_bfe_u32 v3, v1, 16, 1
	v_cmp_o_f32_e32 vcc_lo, v1, v1
	v_add3_u32 v1, v1, v3, 0x7fff
	v_mov_b32_e32 v3, 0x7fc0
	v_cndmask_b32_sdwa v1, v3, v1, vcc_lo dst_sel:DWORD dst_unused:UNUSED_PAD src0_sel:DWORD src1_sel:WORD_1
.LBB164_1389:
	s_mov_b32 s1, 0
.LBB164_1390:
	s_andn2_b32 vcc_lo, exec_lo, s1
	s_cbranch_vccnz .LBB164_1392
; %bb.1391:
	global_load_dword v1, v[12:13], off
	s_waitcnt vmcnt(0)
	v_cvt_f32_f16_e32 v3, v1
	v_cmp_o_f16_e32 vcc_lo, v1, v1
	v_bfe_u32 v5, v3, 16, 1
	v_add3_u32 v1, v3, v5, 0x7fff
	v_mov_b32_e32 v3, 0x7fc0
	v_cndmask_b32_sdwa v1, v3, v1, vcc_lo dst_sel:DWORD dst_unused:UNUSED_PAD src0_sel:DWORD src1_sel:WORD_1
.LBB164_1392:
	s_cbranch_execnz .LBB164_1403
.LBB164_1393:
	s_cmp_lt_i32 s0, 6
	s_cbranch_scc1 .LBB164_1396
; %bb.1394:
	s_cmp_gt_i32 s0, 6
	s_cbranch_scc0 .LBB164_1397
; %bb.1395:
	global_load_dwordx2 v[14:15], v[12:13], off
	s_mov_b32 s1, 0
	s_waitcnt vmcnt(0)
	v_cvt_f32_f64_e32 v1, v[14:15]
	v_bfe_u32 v3, v1, 16, 1
	v_cmp_o_f32_e32 vcc_lo, v1, v1
	v_add3_u32 v1, v1, v3, 0x7fff
	v_mov_b32_e32 v3, 0x7fc0
	v_cndmask_b32_sdwa v1, v3, v1, vcc_lo dst_sel:DWORD dst_unused:UNUSED_PAD src0_sel:DWORD src1_sel:WORD_1
	s_branch .LBB164_1398
.LBB164_1396:
	s_mov_b32 s1, -1
                                        ; implicit-def: $vgpr1
	s_branch .LBB164_1401
.LBB164_1397:
	s_mov_b32 s1, -1
                                        ; implicit-def: $vgpr1
.LBB164_1398:
	s_andn2_b32 vcc_lo, exec_lo, s1
	s_cbranch_vccnz .LBB164_1400
; %bb.1399:
	global_load_dword v1, v[12:13], off
	s_waitcnt vmcnt(0)
	v_bfe_u32 v3, v1, 16, 1
	v_cmp_o_f32_e32 vcc_lo, v1, v1
	v_add3_u32 v1, v1, v3, 0x7fff
	v_mov_b32_e32 v3, 0x7fc0
	v_cndmask_b32_sdwa v1, v3, v1, vcc_lo dst_sel:DWORD dst_unused:UNUSED_PAD src0_sel:DWORD src1_sel:WORD_1
.LBB164_1400:
	s_mov_b32 s1, 0
.LBB164_1401:
	s_andn2_b32 vcc_lo, exec_lo, s1
	s_cbranch_vccnz .LBB164_1403
; %bb.1402:
	global_load_ushort v1, v[12:13], off
	s_waitcnt vmcnt(0)
	v_cvt_f32_f16_e32 v3, v1
	v_cmp_o_f16_e32 vcc_lo, v1, v1
	v_bfe_u32 v5, v3, 16, 1
	v_add3_u32 v1, v3, v5, 0x7fff
	v_mov_b32_e32 v3, 0x7fc0
	v_cndmask_b32_sdwa v1, v3, v1, vcc_lo dst_sel:DWORD dst_unused:UNUSED_PAD src0_sel:DWORD src1_sel:WORD_1
.LBB164_1403:
	s_cbranch_execnz .LBB164_1422
.LBB164_1404:
	s_cmp_lt_i32 s0, 2
	s_cbranch_scc1 .LBB164_1408
; %bb.1405:
	s_cmp_lt_i32 s0, 3
	s_cbranch_scc1 .LBB164_1409
; %bb.1406:
	s_cmp_gt_i32 s0, 3
	s_cbranch_scc0 .LBB164_1410
; %bb.1407:
	global_load_dwordx2 v[14:15], v[12:13], off
	s_mov_b32 s1, 0
	s_waitcnt vmcnt(0)
	v_xor_b32_e32 v1, v14, v15
	v_ffbh_i32_e32 v3, v15
	v_ashrrev_i32_e32 v1, 31, v1
	v_add_nc_u32_e32 v3, -1, v3
	v_add_nc_u32_e32 v1, 32, v1
	v_min_u32_e32 v1, v3, v1
	v_lshlrev_b64 v[14:15], v1, v[14:15]
	v_sub_nc_u32_e32 v1, 32, v1
	v_min_u32_e32 v3, 1, v14
	v_or_b32_e32 v3, v15, v3
	v_cvt_f32_i32_e32 v3, v3
	v_ldexp_f32 v1, v3, v1
	v_bfe_u32 v3, v1, 16, 1
	v_add3_u32 v1, v1, v3, 0x7fff
	v_lshrrev_b32_e32 v1, 16, v1
	s_branch .LBB164_1411
.LBB164_1408:
                                        ; implicit-def: $vgpr1
	s_branch .LBB164_1417
.LBB164_1409:
	s_mov_b32 s1, -1
                                        ; implicit-def: $vgpr1
	s_branch .LBB164_1414
.LBB164_1410:
	s_mov_b32 s1, -1
                                        ; implicit-def: $vgpr1
.LBB164_1411:
	s_andn2_b32 vcc_lo, exec_lo, s1
	s_cbranch_vccnz .LBB164_1413
; %bb.1412:
	global_load_dword v1, v[12:13], off
	s_waitcnt vmcnt(0)
	v_cvt_f32_i32_e32 v1, v1
	v_bfe_u32 v3, v1, 16, 1
	v_add3_u32 v1, v1, v3, 0x7fff
	v_lshrrev_b32_e32 v1, 16, v1
.LBB164_1413:
	s_mov_b32 s1, 0
.LBB164_1414:
	s_andn2_b32 vcc_lo, exec_lo, s1
	s_cbranch_vccnz .LBB164_1416
; %bb.1415:
	global_load_sshort v1, v[12:13], off
	s_waitcnt vmcnt(0)
	v_cvt_f32_i32_e32 v1, v1
	v_bfe_u32 v3, v1, 16, 1
	v_add3_u32 v1, v1, v3, 0x7fff
	v_lshrrev_b32_e32 v1, 16, v1
.LBB164_1416:
	s_cbranch_execnz .LBB164_1422
.LBB164_1417:
	s_cmp_gt_i32 s0, 0
	s_mov_b32 s0, 0
	s_cbranch_scc0 .LBB164_1419
; %bb.1418:
	global_load_sbyte v1, v[12:13], off
	s_waitcnt vmcnt(0)
	v_cvt_f32_i32_e32 v1, v1
	v_bfe_u32 v3, v1, 16, 1
	v_add3_u32 v1, v1, v3, 0x7fff
	v_lshrrev_b32_e32 v1, 16, v1
	s_branch .LBB164_1420
.LBB164_1419:
	s_mov_b32 s0, -1
                                        ; implicit-def: $vgpr1
.LBB164_1420:
	s_andn2_b32 vcc_lo, exec_lo, s0
	s_cbranch_vccnz .LBB164_1422
; %bb.1421:
	global_load_ubyte v1, v[12:13], off
	s_waitcnt vmcnt(0)
	v_cvt_f32_ubyte0_e32 v1, v1
	v_bfe_u32 v3, v1, 16, 1
	v_add3_u32 v1, v1, v3, 0x7fff
	v_lshrrev_b32_e32 v1, 16, v1
.LBB164_1422:
.LBB164_1423:
	s_waitcnt vmcnt(0)
	v_lshlrev_b32_e32 v1, 16, v1
	s_mov_b32 s1, exec_lo
                                        ; implicit-def: $vgpr3
	v_and_b32_e32 v5, 0x7fffffff, v1
	v_cmpx_ngt_f32_e64 0x3c800000, |v1|
	s_xor_b32 s1, exec_lo, s1
	s_cbranch_execz .LBB164_1453
; %bb.1424:
	s_mov_b32 s2, exec_lo
                                        ; implicit-def: $vgpr3
	v_cmpx_nlt_f32_e64 |v1|, 2.0
	s_xor_b32 s2, exec_lo, s2
	s_cbranch_execz .LBB164_1434
; %bb.1425:
	v_cmp_ngt_f32_e64 s0, 0x41000000, |v1|
                                        ; implicit-def: $vgpr3
	s_and_saveexec_b32 s3, s0
	s_xor_b32 s0, exec_lo, s3
	s_cbranch_execz .LBB164_1431
; %bb.1426:
	v_cmp_ngt_f32_e64 s3, 0x5c800000, |v1|
                                        ; implicit-def: $vgpr3
	s_and_saveexec_b32 s4, s3
	s_xor_b32 s3, exec_lo, s4
	s_cbranch_execz .LBB164_1428
; %bb.1427:
	v_cmp_gt_f32_e64 s4, 0x800000, |v1|
	v_cndmask_b32_e64 v3, 0, 32, s4
	v_ldexp_f32 v3, |v1|, v3
	v_log_f32_e32 v3, v3
	v_mul_f32_e32 v8, 0x3f317217, v3
	v_cmp_gt_f32_e64 vcc_lo, 0x7f800000, |v3|
	v_fma_f32 v10, 0x3f317217, v3, -v8
	v_fmamk_f32 v10, v3, 0x3377d1cf, v10
	v_add_f32_e32 v8, v8, v10
	v_cndmask_b32_e32 v3, v3, v8, vcc_lo
	v_cndmask_b32_e64 v8, 0, 0x41b17218, s4
	v_sub_f32_e32 v3, v3, v8
	v_fma_f32 v3, |v1|, v3, -|v1|
.LBB164_1428:
	s_andn2_saveexec_b32 s3, s3
	s_cbranch_execz .LBB164_1430
; %bb.1429:
	v_cmp_gt_f32_e64 s4, 0x800000, |v1|
	v_rcp_f32_e64 v8, |v1|
	s_mov_b32 s7, 0xbad5c4e8
	v_cndmask_b32_e64 v3, 0, 32, s4
	v_ldexp_f32 v3, |v1|, v3
	v_mul_f32_e32 v10, v8, v8
	v_log_f32_e32 v3, v3
	v_fmaak_f32 v13, s7, v10, 0x3a5b3dd2
	v_fmaak_f32 v13, v10, v13, 0xba1c065c
	v_mul_f32_e32 v12, 0x3f317217, v3
	v_fmaak_f32 v13, v10, v13, 0x3a500cfd
	v_cmp_gt_f32_e64 vcc_lo, 0x7f800000, |v3|
	v_fma_f32 v14, 0x3f317217, v3, -v12
	v_fmaak_f32 v13, v10, v13, 0xbb360b61
	v_fmamk_f32 v14, v3, 0x3377d1cf, v14
	v_fmaak_f32 v10, v10, v13, 0x3daaaaab
	v_add_f32_e32 v12, v12, v14
	v_cndmask_b32_e32 v3, v3, v12, vcc_lo
	v_cndmask_b32_e64 v12, 0, 0x41b17218, s4
	v_sub_f32_e32 v12, v3, v12
	v_fmaak_f32 v3, v8, v10, 0x3ed67f1d
	v_add_f32_e64 v8, |v1|, -0.5
	v_add_f32_e32 v10, -1.0, v12
	v_fmac_f32_e32 v3, v8, v10
.LBB164_1430:
	s_or_b32 exec_lo, exec_lo, s3
.LBB164_1431:
	s_andn2_saveexec_b32 s3, s0
	s_cbranch_execz .LBB164_1433
; %bb.1432:
	v_cvt_i32_f32_e32 v3, v5
	s_mov_b32 s0, 0x36f5d7bd
	s_mov_b32 s4, 0x3805ff67
	v_cvt_f32_i32_e32 v8, v3
	v_cmp_lt_i32_e32 vcc_lo, 2, v3
	v_sub_f32_e64 v8, |v1|, v8
	v_add_f32_e32 v10, 2.0, v8
	v_add_f32_e32 v12, 0x40400000, v8
	v_add_f32_e32 v13, 4.0, v8
	v_add_f32_e32 v14, 0x40a00000, v8
	v_cndmask_b32_e32 v10, 1.0, v10, vcc_lo
	v_cmp_lt_i32_e32 vcc_lo, 3, v3
	v_cndmask_b32_e32 v12, 1.0, v12, vcc_lo
	v_cmp_lt_i32_e32 vcc_lo, 4, v3
	v_mul_f32_e32 v10, v10, v12
	v_cndmask_b32_e32 v13, 1.0, v13, vcc_lo
	v_cmp_lt_i32_e32 vcc_lo, 5, v3
	v_add_f32_e32 v12, 0x40c00000, v8
	v_mul_f32_e32 v10, v13, v10
	v_cndmask_b32_e32 v14, 1.0, v14, vcc_lo
	v_cmp_lt_i32_e32 vcc_lo, 6, v3
	v_fmaak_f32 v13, s4, v8, 0x3af135b4
	v_mul_f32_e32 v10, v14, v10
	v_cndmask_b32_e32 v3, 1.0, v12, vcc_lo
	v_mul_f32_e32 v3, v3, v10
	v_fmaak_f32 v10, s0, v8, 0x3a4beed6
	v_cmp_gt_f32_e32 vcc_lo, 0x800000, v3
	v_fmaak_f32 v10, v8, v10, 0x3c98bf54
	v_cndmask_b32_e64 v12, 0, 32, vcc_lo
	v_fmaak_f32 v10, v8, v10, 0x3e300f6e
	v_ldexp_f32 v3, v3, v12
	v_fmaak_f32 v12, v8, v13, 0x3cda40e4
	v_fmaak_f32 v10, v8, v10, 0x3f38d0c5
	v_log_f32_e32 v3, v3
	v_fmaak_f32 v12, v8, v12, 0x3e15dce6
	v_fmaak_f32 v10, v8, v10, 0x3fb22d3b
	;; [unrolled: 1-line block ×3, first 2 shown]
	v_fma_f32 v10, v8, v10, 1.0
	v_mul_f32_e32 v13, 0x3f317217, v3
	v_fmaak_f32 v12, v8, v12, 0x3e5c245a
	v_rcp_f32_e32 v10, v10
	v_cmp_gt_f32_e64 s0, 0x7f800000, |v3|
	v_fma_f32 v14, 0x3f317217, v3, -v13
	v_fmaak_f32 v12, v8, v12, 0xbd9e233f
	v_fmamk_f32 v14, v3, 0x3377d1cf, v14
	v_mul_f32_e32 v12, v8, v12
	v_add_f32_e32 v13, v13, v14
	v_mul_f32_e32 v10, v12, v10
	v_cndmask_b32_e64 v12, 0, 0x41b17218, vcc_lo
	v_cndmask_b32_e64 v3, v3, v13, s0
	v_fmac_f32_e32 v10, 0.5, v8
	v_sub_f32_e32 v3, v3, v12
	v_add_f32_e32 v3, v3, v10
.LBB164_1433:
	s_or_b32 exec_lo, exec_lo, s3
.LBB164_1434:
	s_andn2_saveexec_b32 s2, s2
	s_cbranch_execz .LBB164_1452
; %bb.1435:
	s_mov_b32 s3, exec_lo
                                        ; implicit-def: $vgpr3
                                        ; implicit-def: $vgpr10
                                        ; implicit-def: $vgpr8
	v_cmpx_ge_f32_e64 0x3f666666, |v1|
	s_xor_b32 s3, exec_lo, s3
	s_cbranch_execz .LBB164_1437
; %bb.1436:
	v_cmp_gt_f32_e64 s0, 0x800000, |v1|
	v_sub_f32_e64 v12, 1.0, |v1|
	v_cmp_gt_f32_e64 vcc_lo, 0x3f3b4a23, |v1|
	v_cndmask_b32_e64 v3, 0, 32, s0
	v_cndmask_b32_e64 v13, 0, 0x41b17218, s0
	v_ldexp_f32 v3, |v1|, v3
	v_log_f32_e32 v3, v3
	v_mul_f32_e32 v8, 0x3f317217, v3
	v_cmp_gt_f32_e64 s0, 0x7f800000, |v3|
	v_fma_f32 v10, 0x3f317217, v3, -v8
	v_fmamk_f32 v10, v3, 0x3377d1cf, v10
	v_add_f32_e32 v8, v8, v10
	v_add_f32_e64 v10, 0xbeec5b0c, |v1|
	v_cndmask_b32_e64 v3, v3, v8, s0
	v_cndmask_b32_e32 v8, v12, v10, vcc_lo
	v_cndmask_b32_e64 v10, 0, 1, vcc_lo
	v_cmp_gt_f32_e64 s0, 0x3e6d3309, |v1|
	v_sub_f32_e32 v3, v3, v13
	v_cndmask_b32_e64 v8, v8, |v1|, s0
	v_cndmask_b32_e64 v10, v10, 2, s0
	v_xor_b32_e32 v3, 0x80000000, v3
.LBB164_1437:
	s_andn2_saveexec_b32 s0, s3
	s_cbranch_execz .LBB164_1439
; %bb.1438:
	v_sub_f32_e64 v3, 2.0, |v1|
	v_add_f32_e64 v8, 0xbfbb16c3, |v1|
	v_cmp_gt_f32_e64 vcc_lo, 0x3fdda512, |v1|
	v_add_f32_e64 v10, |v1|, -1.0
	v_cndmask_b32_e32 v8, v3, v8, vcc_lo
	v_cndmask_b32_e64 v3, v3, 1.0, vcc_lo
	v_cmp_gt_f32_e64 vcc_lo, 0x3f9d70a4, |v1|
	v_cvt_i32_f32_e32 v3, v3
	v_cndmask_b32_e32 v8, v8, v10, vcc_lo
	v_cndmask_b32_e64 v10, v3, 2, vcc_lo
	v_mov_b32_e32 v3, 0
.LBB164_1439:
	s_or_b32 exec_lo, exec_lo, s0
	s_mov_b32 s0, exec_lo
	v_cmpx_lt_i32_e32 0, v10
	s_xor_b32 s0, exec_lo, s0
	s_cbranch_execz .LBB164_1447
; %bb.1440:
	s_mov_b32 s3, exec_lo
	v_cmpx_lt_i32_e32 1, v10
	s_xor_b32 s3, exec_lo, s3
	s_cbranch_execz .LBB164_1444
; %bb.1441:
	s_mov_b32 s4, exec_lo
	v_cmpx_eq_u32_e32 2, v10
	s_cbranch_execz .LBB164_1443
; %bb.1442:
	s_mov_b32 s7, 0x3b52d5db
	v_fmaak_f32 v10, s7, v8, 0x3dd572af
	s_mov_b32 s7, 0x3c5b3c5e
	v_fmaak_f32 v12, s7, v8, 0x3e6a7578
	v_fmaak_f32 v10, v8, v10, 0x3f44efdf
	;; [unrolled: 1-line block ×7, first 2 shown]
	v_fma_f32 v10, v8, v10, 1.0
	v_fmaak_f32 v12, v8, v12, 0xbd9e233f
	v_rcp_f32_e32 v10, v10
	v_mul_f32_e32 v12, v8, v12
	v_mul_f32_e32 v10, v12, v10
	v_fmac_f32_e32 v10, -0.5, v8
	v_add_f32_e32 v3, v3, v10
.LBB164_1443:
	s_or_b32 exec_lo, exec_lo, s4
                                        ; implicit-def: $vgpr8
.LBB164_1444:
	s_andn2_saveexec_b32 s3, s3
	s_cbranch_execz .LBB164_1446
; %bb.1445:
	v_mul_f32_e32 v10, v8, v8
	s_mov_b32 s4, 0xb9a3f927
	s_mov_b32 s7, 0x39afe9f7
	v_mul_f32_e32 v12, v8, v10
	v_fmaak_f32 v13, s4, v12, 0x3a66f867
	v_fmaak_f32 v14, s7, v12, 0xba0d3085
	s_mov_b32 s4, 0x39a57b6b
	v_fmaak_f32 v15, s4, v12, 0xbab7f476
	v_fmaak_f32 v13, v12, v13, 0xbb7177fe
	;; [unrolled: 1-line block ×9, first 2 shown]
	v_fmac_f32_e32 v13, v8, v14
	v_fmaak_f32 v8, v12, v15, 0x3ef7b95e
	v_fma_f32 v12, v12, -v13, 0xa2863e55
	v_fma_f32 v8, v10, v8, -v12
	v_add_f32_e32 v8, 0xbdf8cdce, v8
	v_add_f32_e32 v3, v3, v8
.LBB164_1446:
	s_or_b32 exec_lo, exec_lo, s3
                                        ; implicit-def: $vgpr10
                                        ; implicit-def: $vgpr8
.LBB164_1447:
	s_andn2_saveexec_b32 s0, s0
	s_cbranch_execz .LBB164_1451
; %bb.1448:
	s_mov_b32 s3, exec_lo
	v_cmpx_eq_u32_e32 0, v10
	s_cbranch_execz .LBB164_1450
; %bb.1449:
	v_mul_f32_e32 v10, v8, v8
	s_mov_b32 s4, 0x383c2c75
	v_fmaak_f32 v12, s4, v10, 0x38e28445
	s_mov_b32 s4, 0x37d383a2
	v_fmaak_f32 v13, s4, v10, 0x39679767
	v_fmaak_f32 v12, v10, v12, 0x3a05b634
	;; [unrolled: 1-line block ×9, first 2 shown]
	v_mul_f32_e32 v10, v10, v12
	v_fmac_f32_e32 v10, v8, v13
	v_fmac_f32_e32 v10, -0.5, v8
	v_add_f32_e32 v3, v3, v10
.LBB164_1450:
	s_or_b32 exec_lo, exec_lo, s3
.LBB164_1451:
	s_or_b32 exec_lo, exec_lo, s0
.LBB164_1452:
	s_or_b32 exec_lo, exec_lo, s2
.LBB164_1453:
	s_andn2_saveexec_b32 s0, s1
	s_cbranch_execz .LBB164_1455
; %bb.1454:
	v_cmp_gt_f32_e64 s1, 0x800000, |v1|
	s_mov_b32 s2, 0x3e8a8991
	v_fma_f32 v12, |v1|, s2, 0xbecd26ab
	v_cndmask_b32_e64 v3, 0, 32, s1
	v_ldexp_f32 v3, |v1|, v3
	v_log_f32_e32 v3, v3
	v_mul_f32_e32 v8, 0x3f317217, v3
	v_cmp_gt_f32_e64 vcc_lo, 0x7f800000, |v3|
	v_fma_f32 v10, 0x3f317217, v3, -v8
	v_fmamk_f32 v10, v3, 0x3377d1cf, v10
	v_add_f32_e32 v8, v8, v10
	v_fma_f32 v10, |v1|, v12, 0x3f528d33
	v_cndmask_b32_e32 v3, v3, v8, vcc_lo
	v_cndmask_b32_e64 v8, 0, 0x41b17218, s1
	v_fma_f32 v10, |v1|, v10, 0xbf13c468
	v_sub_f32_e32 v3, v3, v8
	v_fma_f32 v3, |v1|, v10, -v3
.LBB164_1455:
	s_or_b32 exec_lo, exec_lo, s0
	v_cmp_le_f32_e64 s0, 0, v1
	s_mov_b32 s1, exec_lo
	v_cmpx_nle_f32_e32 0, v1
	s_xor_b32 s2, exec_lo, s1
	s_cbranch_execz .LBB164_1459
; %bb.1456:
	v_cmp_gt_f32_e64 s1, 0x4b000000, |v1|
	v_cmp_lt_f32_e64 s3, 0x35000000, |v1|
	s_and_b32 s1, s1, s3
	s_and_saveexec_b32 s3, s1
	s_cbranch_execz .LBB164_1458
; %bb.1457:
	v_mul_f32_e64 v8, |v1|, 0.5
	v_cmp_gt_f32_e64 s1, |v1|, 1.0
	s_mov_b32 s4, 0x3d4be544
	v_floor_f32_e32 v10, v8
	v_cmp_neq_f32_e32 vcc_lo, 0x7f800000, v8
	v_sub_f32_e32 v10, v8, v10
	v_min_f32_e32 v10, 0x3f7fffff, v10
	v_add_f32_e32 v10, v10, v10
	v_cndmask_b32_e32 v8, 0, v10, vcc_lo
	v_cndmask_b32_e64 v8, |v1|, v8, s1
	s_mov_b32 s1, 0x3e75aa41
	v_add_f32_e32 v10, v8, v8
	v_rndne_f32_e32 v10, v10
	v_fmac_f32_e32 v8, -0.5, v10
	v_cvt_i32_f32_e32 v10, v10
	v_mul_f32_e32 v12, v8, v8
	v_fmaak_f32 v13, s1, v12, 0xbf1f24be
	v_fmaak_f32 v14, s4, v12, 0x3e642e9d
	v_mul_f32_e32 v15, v8, v12
	v_fmaak_f32 v13, v12, v13, 0x40234736
	v_fmaak_f32 v14, v12, v14, 0xbfaad1da
	;; [unrolled: 1-line block ×4, first 2 shown]
	v_mul_f32_e32 v13, v15, v13
	v_fmaak_f32 v14, v12, v14, 0xc09de9e6
	v_and_b32_e32 v15, 1, v10
	v_lshlrev_b32_e32 v10, 30, v10
	v_fmamk_f32 v8, v8, 0x40490fdb, v13
	v_fma_f32 v12, v12, v14, 1.0
	v_cmp_eq_u32_e32 vcc_lo, 0, v15
	v_and_or_b32 v5, 0x80000000, v10, v5
	v_cndmask_b32_e32 v8, v12, v8, vcc_lo
	v_xor3_b32 v5, v5, v8, v1
	v_mul_f32_e32 v5, v1, v5
	v_frexp_mant_f32_e64 v8, |v5|
	v_frexp_exp_i32_f32_e32 v5, v5
	v_rcp_f32_e32 v8, v8
	v_sub_nc_u32_e32 v5, 2, v5
	v_mul_f32_e32 v8, 0x3f490fdb, v8
	v_ldexp_f32 v5, v8, v5
	v_cmp_gt_f32_e32 vcc_lo, 0x800000, v5
	v_cndmask_b32_e64 v8, 0, 32, vcc_lo
	v_ldexp_f32 v5, v5, v8
	v_log_f32_e32 v5, v5
	v_mul_f32_e32 v8, 0x3f317217, v5
	v_cmp_gt_f32_e64 s1, 0x7f800000, |v5|
	v_fma_f32 v10, 0x3f317217, v5, -v8
	v_fmamk_f32 v10, v5, 0x3377d1cf, v10
	v_add_f32_e32 v8, v8, v10
	v_floor_f32_e32 v10, v1
	v_cndmask_b32_e64 v5, v5, v8, s1
	v_cndmask_b32_e64 v8, 0, 0x41b17218, vcc_lo
	v_sub_f32_e32 v10, v1, v10
	v_sub_f32_e32 v5, v5, v8
	v_min_f32_e32 v8, 0x3f7fffff, v10
	v_sub_f32_e32 v3, v5, v3
	v_cmp_neq_f32_e32 vcc_lo, 0, v8
	v_cndmask_b32_e32 v3, 0x7f800000, v3, vcc_lo
.LBB164_1458:
	s_or_b32 exec_lo, exec_lo, s3
.LBB164_1459:
	s_andn2_saveexec_b32 s2, s2
; %bb.1460:
	v_cmp_eq_f32_e32 vcc_lo, 1.0, v1
	v_cmp_eq_f32_e64 s1, 2.0, v1
	s_or_b32 s1, vcc_lo, s1
	v_cndmask_b32_e64 v3, v3, 0, s1
; %bb.1461:
	s_or_b32 exec_lo, exec_lo, s2
	v_add_co_u32 v10, s2, s10, v11
	s_lshr_b32 s1, s6, 16
	v_add_co_ci_u32_e64 v11, null, s11, 0, s2
	s_and_b32 s4, s1, 0xff
	s_cmp_lt_i32 s4, 11
	s_cbranch_scc1 .LBB164_1468
; %bb.1462:
	s_and_b32 s1, 0xffff, s4
	s_mov_b32 s3, 0
	s_cmp_gt_i32 s1, 25
	s_cbranch_scc0 .LBB164_1470
; %bb.1463:
	s_cmp_gt_i32 s1, 28
	s_cbranch_scc0 .LBB164_1471
; %bb.1464:
	;; [unrolled: 3-line block ×4, first 2 shown]
	s_cmp_eq_u32 s1, 46
	s_mov_b32 s14, 0
	s_cbranch_scc0 .LBB164_1477
; %bb.1467:
	global_load_dword v5, v[10:11], off
	s_mov_b32 s2, 0
	s_mov_b32 s7, -1
	s_branch .LBB164_1479
.LBB164_1468:
	s_mov_b32 s7, 0
                                        ; implicit-def: $vgpr5
	s_cbranch_execnz .LBB164_1544
.LBB164_1469:
	s_andn2_b32 vcc_lo, exec_lo, s7
	s_cbranch_vccnz .LBB164_2399
	s_branch .LBB164_1591
.LBB164_1470:
	s_mov_b32 s7, 0
	s_mov_b32 s2, 0
                                        ; implicit-def: $vgpr5
	s_cbranch_execnz .LBB164_1508
	s_branch .LBB164_1540
.LBB164_1471:
	s_mov_b32 s14, -1
	s_mov_b32 s7, 0
	s_mov_b32 s2, 0
                                        ; implicit-def: $vgpr5
	s_branch .LBB164_1489
.LBB164_1472:
	s_mov_b32 s14, -1
	s_mov_b32 s7, 0
	s_mov_b32 s2, 0
                                        ; implicit-def: $vgpr5
	s_branch .LBB164_1484
.LBB164_1473:
	s_or_b32 s5, s12, exec_lo
	s_trap 2
	s_cbranch_execz .LBB164_1376
	s_branch .LBB164_1377
.LBB164_1474:
	s_mov_b32 s14, -1
	s_mov_b32 s7, 0
	s_mov_b32 s2, 0
	s_branch .LBB164_1478
.LBB164_1475:
	s_andn2_saveexec_b32 s12, s12
	s_cbranch_execz .LBB164_1166
.LBB164_1476:
	v_add_f32_e64 v4, 0x42800000, |v5|
	s_andn2_b32 s11, s11, exec_lo
	v_and_b32_e32 v4, 0xff, v4
	v_cmp_ne_u32_e32 vcc_lo, 0, v4
	s_and_b32 s13, vcc_lo, exec_lo
	s_or_b32 s11, s11, s13
	s_or_b32 exec_lo, exec_lo, s12
	v_mov_b32_e32 v6, 0
	s_and_saveexec_b32 s12, s11
	s_cbranch_execnz .LBB164_1167
	s_branch .LBB164_1168
.LBB164_1477:
	s_mov_b32 s2, -1
	s_mov_b32 s7, 0
.LBB164_1478:
                                        ; implicit-def: $vgpr5
.LBB164_1479:
	s_and_b32 vcc_lo, exec_lo, s14
	s_cbranch_vccz .LBB164_1483
; %bb.1480:
	s_cmp_eq_u32 s1, 44
	s_cbranch_scc0 .LBB164_1482
; %bb.1481:
	global_load_ubyte v5, v[10:11], off
	s_mov_b32 s2, 0
	s_mov_b32 s7, -1
	s_waitcnt vmcnt(0)
	v_lshlrev_b32_e32 v8, 23, v5
	v_cmp_ne_u32_e32 vcc_lo, 0xff, v5
	v_cndmask_b32_e32 v8, 0x7f800001, v8, vcc_lo
	v_cmp_ne_u32_e32 vcc_lo, 0, v5
	v_cndmask_b32_e32 v5, 0x400000, v8, vcc_lo
	v_mov_b32_e32 v8, 0x7fc0
	v_cmp_o_f32_e32 vcc_lo, v5, v5
	v_add_nc_u32_e32 v5, 0x7fff, v5
	v_cndmask_b32_sdwa v5, v8, v5, vcc_lo dst_sel:DWORD dst_unused:UNUSED_PAD src0_sel:DWORD src1_sel:WORD_1
	s_branch .LBB164_1483
.LBB164_1482:
	s_mov_b32 s2, -1
                                        ; implicit-def: $vgpr5
.LBB164_1483:
	s_mov_b32 s14, 0
.LBB164_1484:
	s_and_b32 vcc_lo, exec_lo, s14
	s_cbranch_vccz .LBB164_1488
; %bb.1485:
	s_cmp_eq_u32 s1, 29
	s_cbranch_scc0 .LBB164_1487
; %bb.1486:
	global_load_dwordx2 v[12:13], v[10:11], off
	s_mov_b32 s2, 0
	s_mov_b32 s7, -1
	s_mov_b32 s14, 0
	s_waitcnt vmcnt(0)
	v_ffbh_u32_e32 v5, v13
	v_min_u32_e32 v5, 32, v5
	v_lshlrev_b64 v[12:13], v5, v[12:13]
	v_sub_nc_u32_e32 v5, 32, v5
	v_min_u32_e32 v8, 1, v12
	v_or_b32_e32 v8, v13, v8
	v_cvt_f32_u32_e32 v8, v8
	v_ldexp_f32 v5, v8, v5
	v_bfe_u32 v8, v5, 16, 1
	v_add3_u32 v5, v5, v8, 0x7fff
	v_lshrrev_b32_e32 v5, 16, v5
	s_branch .LBB164_1489
.LBB164_1487:
	s_mov_b32 s2, -1
                                        ; implicit-def: $vgpr5
.LBB164_1488:
	s_mov_b32 s14, 0
.LBB164_1489:
	s_and_b32 vcc_lo, exec_lo, s14
	s_cbranch_vccz .LBB164_1507
; %bb.1490:
	s_cmp_lt_i32 s1, 27
	s_cbranch_scc1 .LBB164_1493
; %bb.1491:
	s_cmp_gt_i32 s1, 27
	s_cbranch_scc0 .LBB164_1494
; %bb.1492:
	global_load_dword v5, v[10:11], off
	s_mov_b32 s7, 0
	s_waitcnt vmcnt(0)
	v_cvt_f32_u32_e32 v5, v5
	v_bfe_u32 v8, v5, 16, 1
	v_add3_u32 v5, v5, v8, 0x7fff
	v_lshrrev_b32_e32 v5, 16, v5
	s_branch .LBB164_1495
.LBB164_1493:
	s_mov_b32 s7, -1
                                        ; implicit-def: $vgpr5
	s_branch .LBB164_1498
.LBB164_1494:
	s_mov_b32 s7, -1
                                        ; implicit-def: $vgpr5
.LBB164_1495:
	s_andn2_b32 vcc_lo, exec_lo, s7
	s_cbranch_vccnz .LBB164_1497
; %bb.1496:
	global_load_ushort v5, v[10:11], off
	s_waitcnt vmcnt(0)
	v_cvt_f32_u32_e32 v5, v5
	v_bfe_u32 v8, v5, 16, 1
	v_add3_u32 v5, v5, v8, 0x7fff
	v_lshrrev_b32_e32 v5, 16, v5
.LBB164_1497:
	s_mov_b32 s7, 0
.LBB164_1498:
	s_andn2_b32 vcc_lo, exec_lo, s7
	s_cbranch_vccnz .LBB164_1506
; %bb.1499:
	global_load_ubyte v5, v[10:11], off
	s_mov_b32 s7, 0
	s_mov_b32 s14, exec_lo
	s_waitcnt vmcnt(0)
	v_cmpx_lt_i16_e32 0x7f, v5
	s_xor_b32 s14, exec_lo, s14
	s_cbranch_execz .LBB164_1519
; %bb.1500:
	s_mov_b32 s7, -1
	s_mov_b32 s15, exec_lo
	v_cmpx_eq_u16_e32 0x80, v5
; %bb.1501:
	s_xor_b32 s7, exec_lo, -1
; %bb.1502:
	s_or_b32 exec_lo, exec_lo, s15
	s_and_b32 s7, s7, exec_lo
	s_or_saveexec_b32 s14, s14
	v_mov_b32_e32 v8, 0x7f800001
	s_xor_b32 exec_lo, exec_lo, s14
	s_cbranch_execnz .LBB164_1520
.LBB164_1503:
	s_or_b32 exec_lo, exec_lo, s14
	s_and_saveexec_b32 s14, s7
	s_cbranch_execz .LBB164_1505
.LBB164_1504:
	v_and_b32_e32 v8, 0xffff, v5
	v_lshlrev_b32_e32 v5, 24, v5
	v_and_b32_e32 v12, 7, v8
	v_bfe_u32 v15, v8, 3, 4
	v_and_b32_e32 v5, 0x80000000, v5
	v_ffbh_u32_e32 v13, v12
	v_cmp_eq_u32_e32 vcc_lo, 0, v15
	v_min_u32_e32 v13, 32, v13
	v_subrev_nc_u32_e32 v14, 28, v13
	v_sub_nc_u32_e32 v13, 29, v13
	v_lshlrev_b32_e32 v8, v14, v8
	v_cndmask_b32_e32 v13, v15, v13, vcc_lo
	v_and_b32_e32 v8, 7, v8
	v_cndmask_b32_e32 v8, v12, v8, vcc_lo
	v_lshl_add_u32 v12, v13, 23, 0x3b800000
	v_lshlrev_b32_e32 v8, 20, v8
	v_or3_b32 v8, v5, v12, v8
.LBB164_1505:
	s_or_b32 exec_lo, exec_lo, s14
	v_bfe_u32 v5, v8, 16, 1
	v_cmp_o_f32_e32 vcc_lo, v8, v8
	v_add3_u32 v5, v8, v5, 0x7fff
	v_mov_b32_e32 v8, 0x7fc0
	v_cndmask_b32_sdwa v5, v8, v5, vcc_lo dst_sel:DWORD dst_unused:UNUSED_PAD src0_sel:DWORD src1_sel:WORD_1
.LBB164_1506:
	s_mov_b32 s7, -1
.LBB164_1507:
	s_branch .LBB164_1540
.LBB164_1508:
	s_cmp_gt_i32 s1, 22
	s_cbranch_scc0 .LBB164_1518
; %bb.1509:
	s_cmp_lt_i32 s1, 24
	s_cbranch_scc1 .LBB164_1521
; %bb.1510:
	s_cmp_gt_i32 s1, 24
	s_cbranch_scc0 .LBB164_1522
; %bb.1511:
	global_load_ubyte v5, v[10:11], off
	s_mov_b32 s7, exec_lo
	s_waitcnt vmcnt(0)
	v_cmpx_lt_i16_e32 0x7f, v5
	s_xor_b32 s7, exec_lo, s7
	s_cbranch_execz .LBB164_1534
; %bb.1512:
	s_mov_b32 s3, -1
	s_mov_b32 s14, exec_lo
	v_cmpx_eq_u16_e32 0x80, v5
; %bb.1513:
	s_xor_b32 s3, exec_lo, -1
; %bb.1514:
	s_or_b32 exec_lo, exec_lo, s14
	s_and_b32 s3, s3, exec_lo
	s_or_saveexec_b32 s7, s7
	v_mov_b32_e32 v8, 0x7f800001
	s_xor_b32 exec_lo, exec_lo, s7
	s_cbranch_execnz .LBB164_1535
.LBB164_1515:
	s_or_b32 exec_lo, exec_lo, s7
	s_and_saveexec_b32 s7, s3
	s_cbranch_execz .LBB164_1517
.LBB164_1516:
	v_and_b32_e32 v8, 0xffff, v5
	v_lshlrev_b32_e32 v5, 24, v5
	v_and_b32_e32 v12, 3, v8
	v_bfe_u32 v15, v8, 2, 5
	v_and_b32_e32 v5, 0x80000000, v5
	v_ffbh_u32_e32 v13, v12
	v_cmp_eq_u32_e32 vcc_lo, 0, v15
	v_min_u32_e32 v13, 32, v13
	v_subrev_nc_u32_e32 v14, 29, v13
	v_sub_nc_u32_e32 v13, 30, v13
	v_lshlrev_b32_e32 v8, v14, v8
	v_cndmask_b32_e32 v13, v15, v13, vcc_lo
	v_and_b32_e32 v8, 3, v8
	v_cndmask_b32_e32 v8, v12, v8, vcc_lo
	v_lshl_add_u32 v12, v13, 23, 0x37800000
	v_lshlrev_b32_e32 v8, 21, v8
	v_or3_b32 v8, v5, v12, v8
.LBB164_1517:
	s_or_b32 exec_lo, exec_lo, s7
	v_bfe_u32 v5, v8, 16, 1
	v_cmp_o_f32_e32 vcc_lo, v8, v8
	s_mov_b32 s3, 0
	v_add3_u32 v5, v8, v5, 0x7fff
	v_mov_b32_e32 v8, 0x7fc0
	v_cndmask_b32_sdwa v5, v8, v5, vcc_lo dst_sel:DWORD dst_unused:UNUSED_PAD src0_sel:DWORD src1_sel:WORD_1
	s_branch .LBB164_1523
.LBB164_1518:
	s_mov_b32 s3, -1
                                        ; implicit-def: $vgpr5
	s_branch .LBB164_1529
.LBB164_1519:
	s_or_saveexec_b32 s14, s14
	v_mov_b32_e32 v8, 0x7f800001
	s_xor_b32 exec_lo, exec_lo, s14
	s_cbranch_execz .LBB164_1503
.LBB164_1520:
	v_cmp_ne_u16_e32 vcc_lo, 0, v5
	v_mov_b32_e32 v8, 0
	s_andn2_b32 s7, s7, exec_lo
	s_and_b32 s15, vcc_lo, exec_lo
	s_or_b32 s7, s7, s15
	s_or_b32 exec_lo, exec_lo, s14
	s_and_saveexec_b32 s14, s7
	s_cbranch_execnz .LBB164_1504
	s_branch .LBB164_1505
.LBB164_1521:
	s_mov_b32 s3, -1
                                        ; implicit-def: $vgpr5
	s_branch .LBB164_1526
.LBB164_1522:
	s_mov_b32 s3, -1
                                        ; implicit-def: $vgpr5
.LBB164_1523:
	s_and_b32 vcc_lo, exec_lo, s3
	s_cbranch_vccz .LBB164_1525
; %bb.1524:
	global_load_ubyte v5, v[10:11], off
	s_waitcnt vmcnt(0)
	v_lshlrev_b32_e32 v5, 24, v5
	v_and_b32_e32 v8, 0x7f000000, v5
	v_ffbh_u32_e32 v12, v8
	v_add_nc_u32_e32 v14, 0x1000000, v8
	v_cmp_ne_u32_e32 vcc_lo, 0, v8
	v_min_u32_e32 v12, 32, v12
	v_sub_nc_u32_e64 v12, v12, 4 clamp
	v_lshlrev_b32_e32 v13, v12, v8
	v_lshlrev_b32_e32 v12, 23, v12
	v_lshrrev_b32_e32 v13, 4, v13
	v_sub_nc_u32_e32 v12, v13, v12
	v_ashrrev_i32_e32 v13, 8, v14
	v_add_nc_u32_e32 v12, 0x3c000000, v12
	v_and_or_b32 v12, 0x7f800000, v13, v12
	v_cndmask_b32_e32 v8, 0, v12, vcc_lo
	v_and_or_b32 v5, 0x80000000, v5, v8
	v_bfe_u32 v8, v8, 16, 1
	v_cmp_o_f32_e32 vcc_lo, v5, v5
	v_add3_u32 v5, v5, v8, 0x7fff
	v_mov_b32_e32 v8, 0x7fc0
	v_cndmask_b32_sdwa v5, v8, v5, vcc_lo dst_sel:DWORD dst_unused:UNUSED_PAD src0_sel:DWORD src1_sel:WORD_1
.LBB164_1525:
	s_mov_b32 s3, 0
.LBB164_1526:
	s_andn2_b32 vcc_lo, exec_lo, s3
	s_cbranch_vccnz .LBB164_1528
; %bb.1527:
	global_load_ubyte v5, v[10:11], off
	s_waitcnt vmcnt(0)
	v_lshlrev_b32_e32 v8, 25, v5
	v_lshlrev_b16 v5, 8, v5
	v_lshrrev_b32_e32 v12, 4, v8
	v_and_or_b32 v13, 0x7f00, v5, 0.5
	v_cmp_gt_u32_e32 vcc_lo, 0x8000000, v8
	v_bfe_i32 v5, v5, 0, 16
	v_or_b32_e32 v12, 0x70000000, v12
	v_add_f32_e32 v13, -0.5, v13
	v_mul_f32_e32 v12, 0x7800000, v12
	v_cndmask_b32_e32 v8, v12, v13, vcc_lo
	v_and_or_b32 v5, 0x80000000, v5, v8
	v_bfe_u32 v8, v8, 16, 1
	v_cmp_o_f32_e32 vcc_lo, v5, v5
	v_add3_u32 v5, v5, v8, 0x7fff
	v_mov_b32_e32 v8, 0x7fc0
	v_cndmask_b32_sdwa v5, v8, v5, vcc_lo dst_sel:DWORD dst_unused:UNUSED_PAD src0_sel:DWORD src1_sel:WORD_1
.LBB164_1528:
	s_mov_b32 s3, 0
	s_mov_b32 s7, -1
.LBB164_1529:
	s_andn2_b32 vcc_lo, exec_lo, s3
	s_mov_b32 s3, 0
	s_cbranch_vccnz .LBB164_1540
; %bb.1530:
	s_cmp_gt_i32 s1, 14
	s_cbranch_scc0 .LBB164_1533
; %bb.1531:
	s_cmp_eq_u32 s1, 15
	s_cbranch_scc0 .LBB164_1536
; %bb.1532:
	global_load_ushort v5, v[10:11], off
	s_mov_b32 s2, 0
	s_mov_b32 s7, -1
	s_branch .LBB164_1538
.LBB164_1533:
	s_mov_b32 s3, -1
	s_branch .LBB164_1537
.LBB164_1534:
	s_or_saveexec_b32 s7, s7
	v_mov_b32_e32 v8, 0x7f800001
	s_xor_b32 exec_lo, exec_lo, s7
	s_cbranch_execz .LBB164_1515
.LBB164_1535:
	v_cmp_ne_u16_e32 vcc_lo, 0, v5
	v_mov_b32_e32 v8, 0
	s_andn2_b32 s3, s3, exec_lo
	s_and_b32 s14, vcc_lo, exec_lo
	s_or_b32 s3, s3, s14
	s_or_b32 exec_lo, exec_lo, s7
	s_and_saveexec_b32 s7, s3
	s_cbranch_execnz .LBB164_1516
	s_branch .LBB164_1517
.LBB164_1536:
	s_mov_b32 s2, -1
.LBB164_1537:
                                        ; implicit-def: $vgpr5
.LBB164_1538:
	s_and_b32 vcc_lo, exec_lo, s3
	s_mov_b32 s3, 0
	s_cbranch_vccz .LBB164_1540
; %bb.1539:
	s_cmp_lg_u32 s1, 11
	s_mov_b32 s3, -1
	s_cselect_b32 s2, -1, 0
.LBB164_1540:
	s_and_b32 vcc_lo, exec_lo, s2
	s_cbranch_vccnz .LBB164_1641
; %bb.1541:
	s_andn2_b32 vcc_lo, exec_lo, s3
	s_cbranch_vccnz .LBB164_1543
.LBB164_1542:
	global_load_ubyte v5, v[10:11], off
	s_mov_b32 s7, -1
	s_waitcnt vmcnt(0)
	v_cmp_ne_u16_e32 vcc_lo, 0, v5
	v_cndmask_b32_e64 v5, 0, 1.0, vcc_lo
	v_lshrrev_b32_e32 v5, 16, v5
.LBB164_1543:
	s_branch .LBB164_1469
.LBB164_1544:
	s_and_b32 s1, 0xffff, s4
	s_cmp_lt_i32 s1, 5
	s_cbranch_scc1 .LBB164_1549
; %bb.1545:
	s_cmp_lt_i32 s1, 8
	s_cbranch_scc1 .LBB164_1550
; %bb.1546:
	;; [unrolled: 3-line block ×3, first 2 shown]
	s_cmp_gt_i32 s1, 9
	s_cbranch_scc0 .LBB164_1552
; %bb.1548:
	global_load_dwordx2 v[12:13], v[10:11], off
	s_mov_b32 s2, 0
	s_waitcnt vmcnt(0)
	v_cvt_f32_f64_e32 v5, v[12:13]
	v_bfe_u32 v8, v5, 16, 1
	v_cmp_o_f32_e32 vcc_lo, v5, v5
	v_add3_u32 v5, v5, v8, 0x7fff
	v_mov_b32_e32 v8, 0x7fc0
	v_cndmask_b32_sdwa v5, v8, v5, vcc_lo dst_sel:DWORD dst_unused:UNUSED_PAD src0_sel:DWORD src1_sel:WORD_1
	s_branch .LBB164_1553
.LBB164_1549:
                                        ; implicit-def: $vgpr5
	s_branch .LBB164_1571
.LBB164_1550:
	s_mov_b32 s2, -1
                                        ; implicit-def: $vgpr5
	s_branch .LBB164_1559
.LBB164_1551:
	s_mov_b32 s2, -1
                                        ; implicit-def: $vgpr5
	s_branch .LBB164_1556
.LBB164_1552:
	s_mov_b32 s2, -1
                                        ; implicit-def: $vgpr5
.LBB164_1553:
	s_andn2_b32 vcc_lo, exec_lo, s2
	s_cbranch_vccnz .LBB164_1555
; %bb.1554:
	global_load_dword v5, v[10:11], off
	s_waitcnt vmcnt(0)
	v_bfe_u32 v8, v5, 16, 1
	v_cmp_o_f32_e32 vcc_lo, v5, v5
	v_add3_u32 v5, v5, v8, 0x7fff
	v_mov_b32_e32 v8, 0x7fc0
	v_cndmask_b32_sdwa v5, v8, v5, vcc_lo dst_sel:DWORD dst_unused:UNUSED_PAD src0_sel:DWORD src1_sel:WORD_1
.LBB164_1555:
	s_mov_b32 s2, 0
.LBB164_1556:
	s_andn2_b32 vcc_lo, exec_lo, s2
	s_cbranch_vccnz .LBB164_1558
; %bb.1557:
	global_load_dword v5, v[10:11], off
	s_waitcnt vmcnt(0)
	v_cvt_f32_f16_e32 v8, v5
	v_cmp_o_f16_e32 vcc_lo, v5, v5
	v_bfe_u32 v12, v8, 16, 1
	v_add3_u32 v5, v8, v12, 0x7fff
	v_mov_b32_e32 v8, 0x7fc0
	v_cndmask_b32_sdwa v5, v8, v5, vcc_lo dst_sel:DWORD dst_unused:UNUSED_PAD src0_sel:DWORD src1_sel:WORD_1
.LBB164_1558:
	s_mov_b32 s2, 0
.LBB164_1559:
	s_andn2_b32 vcc_lo, exec_lo, s2
	s_cbranch_vccnz .LBB164_1570
; %bb.1560:
	s_cmp_lt_i32 s1, 6
	s_cbranch_scc1 .LBB164_1563
; %bb.1561:
	s_cmp_gt_i32 s1, 6
	s_cbranch_scc0 .LBB164_1564
; %bb.1562:
	global_load_dwordx2 v[12:13], v[10:11], off
	s_mov_b32 s2, 0
	s_waitcnt vmcnt(0)
	v_cvt_f32_f64_e32 v5, v[12:13]
	v_bfe_u32 v8, v5, 16, 1
	v_cmp_o_f32_e32 vcc_lo, v5, v5
	v_add3_u32 v5, v5, v8, 0x7fff
	v_mov_b32_e32 v8, 0x7fc0
	v_cndmask_b32_sdwa v5, v8, v5, vcc_lo dst_sel:DWORD dst_unused:UNUSED_PAD src0_sel:DWORD src1_sel:WORD_1
	s_branch .LBB164_1565
.LBB164_1563:
	s_mov_b32 s2, -1
                                        ; implicit-def: $vgpr5
	s_branch .LBB164_1568
.LBB164_1564:
	s_mov_b32 s2, -1
                                        ; implicit-def: $vgpr5
.LBB164_1565:
	s_andn2_b32 vcc_lo, exec_lo, s2
	s_cbranch_vccnz .LBB164_1567
; %bb.1566:
	global_load_dword v5, v[10:11], off
	s_waitcnt vmcnt(0)
	v_bfe_u32 v8, v5, 16, 1
	v_cmp_o_f32_e32 vcc_lo, v5, v5
	v_add3_u32 v5, v5, v8, 0x7fff
	v_mov_b32_e32 v8, 0x7fc0
	v_cndmask_b32_sdwa v5, v8, v5, vcc_lo dst_sel:DWORD dst_unused:UNUSED_PAD src0_sel:DWORD src1_sel:WORD_1
.LBB164_1567:
	s_mov_b32 s2, 0
.LBB164_1568:
	s_andn2_b32 vcc_lo, exec_lo, s2
	s_cbranch_vccnz .LBB164_1570
; %bb.1569:
	global_load_ushort v5, v[10:11], off
	s_waitcnt vmcnt(0)
	v_cvt_f32_f16_e32 v8, v5
	v_cmp_o_f16_e32 vcc_lo, v5, v5
	v_bfe_u32 v12, v8, 16, 1
	v_add3_u32 v5, v8, v12, 0x7fff
	v_mov_b32_e32 v8, 0x7fc0
	v_cndmask_b32_sdwa v5, v8, v5, vcc_lo dst_sel:DWORD dst_unused:UNUSED_PAD src0_sel:DWORD src1_sel:WORD_1
.LBB164_1570:
	s_cbranch_execnz .LBB164_1590
.LBB164_1571:
	s_cmp_lt_i32 s1, 2
	s_cbranch_scc1 .LBB164_1575
; %bb.1572:
	s_cmp_lt_i32 s1, 3
	s_cbranch_scc1 .LBB164_1576
; %bb.1573:
	s_cmp_gt_i32 s1, 3
	s_cbranch_scc0 .LBB164_1577
; %bb.1574:
	global_load_dwordx2 v[12:13], v[10:11], off
	s_mov_b32 s2, 0
	s_waitcnt vmcnt(0)
	v_xor_b32_e32 v5, v12, v13
	v_ffbh_i32_e32 v8, v13
	v_ashrrev_i32_e32 v5, 31, v5
	v_add_nc_u32_e32 v8, -1, v8
	v_add_nc_u32_e32 v5, 32, v5
	v_min_u32_e32 v5, v8, v5
	v_lshlrev_b64 v[12:13], v5, v[12:13]
	v_sub_nc_u32_e32 v5, 32, v5
	v_min_u32_e32 v8, 1, v12
	v_or_b32_e32 v8, v13, v8
	v_cvt_f32_i32_e32 v8, v8
	v_ldexp_f32 v5, v8, v5
	v_bfe_u32 v8, v5, 16, 1
	v_add3_u32 v5, v5, v8, 0x7fff
	v_lshrrev_b32_e32 v5, 16, v5
	s_branch .LBB164_1578
.LBB164_1575:
	s_mov_b32 s2, -1
                                        ; implicit-def: $vgpr5
	s_branch .LBB164_1584
.LBB164_1576:
	s_mov_b32 s2, -1
                                        ; implicit-def: $vgpr5
	s_branch .LBB164_1581
.LBB164_1577:
	s_mov_b32 s2, -1
                                        ; implicit-def: $vgpr5
.LBB164_1578:
	s_andn2_b32 vcc_lo, exec_lo, s2
	s_cbranch_vccnz .LBB164_1580
; %bb.1579:
	global_load_dword v5, v[10:11], off
	s_waitcnt vmcnt(0)
	v_cvt_f32_i32_e32 v5, v5
	v_bfe_u32 v8, v5, 16, 1
	v_add3_u32 v5, v5, v8, 0x7fff
	v_lshrrev_b32_e32 v5, 16, v5
.LBB164_1580:
	s_mov_b32 s2, 0
.LBB164_1581:
	s_andn2_b32 vcc_lo, exec_lo, s2
	s_cbranch_vccnz .LBB164_1583
; %bb.1582:
	global_load_sshort v5, v[10:11], off
	s_waitcnt vmcnt(0)
	v_cvt_f32_i32_e32 v5, v5
	v_bfe_u32 v8, v5, 16, 1
	v_add3_u32 v5, v5, v8, 0x7fff
	v_lshrrev_b32_e32 v5, 16, v5
.LBB164_1583:
	s_mov_b32 s2, 0
.LBB164_1584:
	s_andn2_b32 vcc_lo, exec_lo, s2
	s_cbranch_vccnz .LBB164_1590
; %bb.1585:
	s_cmp_gt_i32 s1, 0
	s_mov_b32 s1, 0
	s_cbranch_scc0 .LBB164_1587
; %bb.1586:
	global_load_sbyte v5, v[10:11], off
	s_waitcnt vmcnt(0)
	v_cvt_f32_i32_e32 v5, v5
	v_bfe_u32 v8, v5, 16, 1
	v_add3_u32 v5, v5, v8, 0x7fff
	v_lshrrev_b32_e32 v5, 16, v5
	s_branch .LBB164_1588
.LBB164_1587:
	s_mov_b32 s1, -1
                                        ; implicit-def: $vgpr5
.LBB164_1588:
	s_andn2_b32 vcc_lo, exec_lo, s1
	s_cbranch_vccnz .LBB164_1590
; %bb.1589:
	global_load_ubyte v5, v[10:11], off
	s_waitcnt vmcnt(0)
	v_cvt_f32_ubyte0_e32 v5, v5
	v_bfe_u32 v8, v5, 16, 1
	v_add3_u32 v5, v5, v8, 0x7fff
	v_lshrrev_b32_e32 v5, 16, v5
.LBB164_1590:
.LBB164_1591:
	s_waitcnt vmcnt(0)
	v_lshlrev_b32_e32 v10, 16, v5
	s_mov_b32 s2, exec_lo
                                        ; implicit-def: $vgpr11
	v_and_b32_e32 v5, 0x7fffffff, v10
	v_cmpx_ngt_f32_e64 0x3c800000, |v10|
	s_xor_b32 s2, exec_lo, s2
	s_cbranch_execz .LBB164_1621
; %bb.1592:
	s_mov_b32 s3, exec_lo
                                        ; implicit-def: $vgpr11
	v_cmpx_nlt_f32_e64 |v10|, 2.0
	s_xor_b32 s3, exec_lo, s3
	s_cbranch_execz .LBB164_1602
; %bb.1593:
	v_cmp_ngt_f32_e64 s1, 0x41000000, |v10|
                                        ; implicit-def: $vgpr11
	s_and_saveexec_b32 s7, s1
	s_xor_b32 s1, exec_lo, s7
	s_cbranch_execz .LBB164_1599
; %bb.1594:
	v_cmp_ngt_f32_e64 s7, 0x5c800000, |v10|
                                        ; implicit-def: $vgpr11
	s_and_saveexec_b32 s14, s7
	s_xor_b32 s7, exec_lo, s14
	s_cbranch_execz .LBB164_1596
; %bb.1595:
	v_cmp_gt_f32_e64 s14, 0x800000, |v10|
	v_cndmask_b32_e64 v8, 0, 32, s14
	v_ldexp_f32 v8, |v10|, v8
	v_log_f32_e32 v8, v8
	v_mul_f32_e32 v11, 0x3f317217, v8
	v_cmp_gt_f32_e64 vcc_lo, 0x7f800000, |v8|
	v_fma_f32 v12, 0x3f317217, v8, -v11
	v_fmamk_f32 v12, v8, 0x3377d1cf, v12
	v_add_f32_e32 v11, v11, v12
	v_cndmask_b32_e32 v8, v8, v11, vcc_lo
	v_cndmask_b32_e64 v11, 0, 0x41b17218, s14
	v_sub_f32_e32 v8, v8, v11
	v_fma_f32 v11, |v10|, v8, -|v10|
.LBB164_1596:
	s_andn2_saveexec_b32 s7, s7
	s_cbranch_execz .LBB164_1598
; %bb.1597:
	v_cmp_gt_f32_e64 s14, 0x800000, |v10|
	v_rcp_f32_e64 v11, |v10|
	s_mov_b32 s15, 0xbad5c4e8
	v_cndmask_b32_e64 v8, 0, 32, s14
	v_ldexp_f32 v8, |v10|, v8
	v_mul_f32_e32 v12, v11, v11
	v_log_f32_e32 v8, v8
	v_fmaak_f32 v14, s15, v12, 0x3a5b3dd2
	v_fmaak_f32 v14, v12, v14, 0xba1c065c
	v_mul_f32_e32 v13, 0x3f317217, v8
	v_fmaak_f32 v14, v12, v14, 0x3a500cfd
	v_cmp_gt_f32_e64 vcc_lo, 0x7f800000, |v8|
	v_fma_f32 v15, 0x3f317217, v8, -v13
	v_fmaak_f32 v14, v12, v14, 0xbb360b61
	v_fmamk_f32 v15, v8, 0x3377d1cf, v15
	v_fmaak_f32 v12, v12, v14, 0x3daaaaab
	v_add_f32_e32 v13, v13, v15
	v_fmaak_f32 v11, v11, v12, 0x3ed67f1d
	v_add_f32_e64 v12, |v10|, -0.5
	v_cndmask_b32_e32 v8, v8, v13, vcc_lo
	v_cndmask_b32_e64 v13, 0, 0x41b17218, s14
	v_sub_f32_e32 v8, v8, v13
	v_add_f32_e32 v8, -1.0, v8
	v_fmac_f32_e32 v11, v12, v8
.LBB164_1598:
	s_or_b32 exec_lo, exec_lo, s7
.LBB164_1599:
	s_andn2_saveexec_b32 s7, s1
	s_cbranch_execz .LBB164_1601
; %bb.1600:
	v_cvt_i32_f32_e32 v8, v5
	s_mov_b32 s1, 0x36f5d7bd
	s_mov_b32 s14, 0x3805ff67
	v_cvt_f32_i32_e32 v11, v8
	v_cmp_lt_i32_e32 vcc_lo, 2, v8
	v_sub_f32_e64 v11, |v10|, v11
	v_add_f32_e32 v12, 2.0, v11
	v_add_f32_e32 v13, 0x40400000, v11
	v_add_f32_e32 v14, 4.0, v11
	v_add_f32_e32 v15, 0x40a00000, v11
	v_cndmask_b32_e32 v12, 1.0, v12, vcc_lo
	v_cmp_lt_i32_e32 vcc_lo, 3, v8
	v_cndmask_b32_e32 v13, 1.0, v13, vcc_lo
	v_cmp_lt_i32_e32 vcc_lo, 4, v8
	v_mul_f32_e32 v12, v12, v13
	v_cndmask_b32_e32 v14, 1.0, v14, vcc_lo
	v_cmp_lt_i32_e32 vcc_lo, 5, v8
	v_add_f32_e32 v13, 0x40c00000, v11
	v_mul_f32_e32 v12, v14, v12
	v_cndmask_b32_e32 v15, 1.0, v15, vcc_lo
	v_cmp_lt_i32_e32 vcc_lo, 6, v8
	v_fmaak_f32 v14, s14, v11, 0x3af135b4
	v_mul_f32_e32 v12, v15, v12
	v_cndmask_b32_e32 v8, 1.0, v13, vcc_lo
	v_mul_f32_e32 v8, v8, v12
	v_fmaak_f32 v12, s1, v11, 0x3a4beed6
	v_cmp_gt_f32_e32 vcc_lo, 0x800000, v8
	v_fmaak_f32 v12, v11, v12, 0x3c98bf54
	v_cndmask_b32_e64 v13, 0, 32, vcc_lo
	v_fmaak_f32 v12, v11, v12, 0x3e300f6e
	v_ldexp_f32 v8, v8, v13
	v_fmaak_f32 v13, v11, v14, 0x3cda40e4
	v_fmaak_f32 v12, v11, v12, 0x3f38d0c5
	v_log_f32_e32 v8, v8
	v_fmaak_f32 v13, v11, v13, 0x3e15dce6
	v_fmaak_f32 v12, v11, v12, 0x3fb22d3b
	v_fmaak_f32 v13, v11, v13, 0x3ea6cc7a
	v_fma_f32 v12, v11, v12, 1.0
	v_mul_f32_e32 v14, 0x3f317217, v8
	v_fmaak_f32 v13, v11, v13, 0x3e5c245a
	v_rcp_f32_e32 v12, v12
	v_cmp_gt_f32_e64 s1, 0x7f800000, |v8|
	v_fma_f32 v15, 0x3f317217, v8, -v14
	v_fmaak_f32 v13, v11, v13, 0xbd9e233f
	v_fmamk_f32 v15, v8, 0x3377d1cf, v15
	v_mul_f32_e32 v13, v11, v13
	v_add_f32_e32 v14, v14, v15
	v_mul_f32_e32 v12, v13, v12
	v_cndmask_b32_e64 v13, 0, 0x41b17218, vcc_lo
	v_cndmask_b32_e64 v8, v8, v14, s1
	v_fmac_f32_e32 v12, 0.5, v11
	v_sub_f32_e32 v8, v8, v13
	v_add_f32_e32 v11, v8, v12
.LBB164_1601:
	s_or_b32 exec_lo, exec_lo, s7
.LBB164_1602:
	s_andn2_saveexec_b32 s3, s3
	s_cbranch_execz .LBB164_1620
; %bb.1603:
	s_mov_b32 s7, exec_lo
                                        ; implicit-def: $vgpr11
                                        ; implicit-def: $vgpr12
                                        ; implicit-def: $vgpr8
	v_cmpx_ge_f32_e64 0x3f666666, |v10|
	s_xor_b32 s7, exec_lo, s7
	s_cbranch_execz .LBB164_1605
; %bb.1604:
	v_cmp_gt_f32_e64 s1, 0x800000, |v10|
	v_sub_f32_e64 v13, 1.0, |v10|
	v_cmp_gt_f32_e64 vcc_lo, 0x3f3b4a23, |v10|
	v_cndmask_b32_e64 v8, 0, 32, s1
	v_cndmask_b32_e64 v14, 0, 0x41b17218, s1
	v_ldexp_f32 v8, |v10|, v8
	v_log_f32_e32 v8, v8
	v_mul_f32_e32 v11, 0x3f317217, v8
	v_cmp_gt_f32_e64 s1, 0x7f800000, |v8|
	v_fma_f32 v12, 0x3f317217, v8, -v11
	v_fmamk_f32 v12, v8, 0x3377d1cf, v12
	v_add_f32_e32 v11, v11, v12
	v_add_f32_e64 v12, 0xbeec5b0c, |v10|
	v_cndmask_b32_e64 v8, v8, v11, s1
	v_cndmask_b32_e32 v11, v13, v12, vcc_lo
	v_cndmask_b32_e64 v12, 0, 1, vcc_lo
	v_cmp_gt_f32_e64 s1, 0x3e6d3309, |v10|
	v_sub_f32_e32 v13, v8, v14
	v_cndmask_b32_e64 v8, v11, |v10|, s1
	v_cndmask_b32_e64 v12, v12, 2, s1
	v_xor_b32_e32 v11, 0x80000000, v13
.LBB164_1605:
	s_andn2_saveexec_b32 s1, s7
	s_cbranch_execz .LBB164_1607
; %bb.1606:
	v_sub_f32_e64 v8, 2.0, |v10|
	v_add_f32_e64 v11, 0xbfbb16c3, |v10|
	v_cmp_gt_f32_e64 vcc_lo, 0x3fdda512, |v10|
	v_add_f32_e64 v12, |v10|, -1.0
	v_cndmask_b32_e32 v11, v8, v11, vcc_lo
	v_cndmask_b32_e64 v8, v8, 1.0, vcc_lo
	v_cmp_gt_f32_e64 vcc_lo, 0x3f9d70a4, |v10|
	v_cvt_i32_f32_e32 v13, v8
	v_cndmask_b32_e32 v8, v11, v12, vcc_lo
	v_mov_b32_e32 v11, 0
	v_cndmask_b32_e64 v12, v13, 2, vcc_lo
.LBB164_1607:
	s_or_b32 exec_lo, exec_lo, s1
	s_mov_b32 s1, exec_lo
	v_cmpx_lt_i32_e32 0, v12
	s_xor_b32 s1, exec_lo, s1
	s_cbranch_execz .LBB164_1615
; %bb.1608:
	s_mov_b32 s7, exec_lo
	v_cmpx_lt_i32_e32 1, v12
	s_xor_b32 s7, exec_lo, s7
	s_cbranch_execz .LBB164_1612
; %bb.1609:
	s_mov_b32 s14, exec_lo
	v_cmpx_eq_u32_e32 2, v12
	s_cbranch_execz .LBB164_1611
; %bb.1610:
	s_mov_b32 s15, 0x3b52d5db
	v_fmaak_f32 v12, s15, v8, 0x3dd572af
	s_mov_b32 s15, 0x3c5b3c5e
	v_fmaak_f32 v13, s15, v8, 0x3e6a7578
	v_fmaak_f32 v12, v8, v12, 0x3f44efdf
	v_fmaak_f32 v13, v8, v13, 0x3f7a4bb2
	v_fmaak_f32 v12, v8, v12, 0x4008392d
	v_fmaak_f32 v13, v8, v13, 0x3fba3ae7
	v_fmaak_f32 v12, v8, v12, 0x401d2ebe
	v_fmaak_f32 v13, v8, v13, 0x3f2200f4
	v_fma_f32 v12, v8, v12, 1.0
	v_fmaak_f32 v13, v8, v13, 0xbd9e233f
	v_rcp_f32_e32 v12, v12
	v_mul_f32_e32 v13, v8, v13
	v_mul_f32_e32 v12, v13, v12
	v_fmac_f32_e32 v12, -0.5, v8
	v_add_f32_e32 v11, v11, v12
.LBB164_1611:
	s_or_b32 exec_lo, exec_lo, s14
                                        ; implicit-def: $vgpr8
.LBB164_1612:
	s_andn2_saveexec_b32 s7, s7
	s_cbranch_execz .LBB164_1614
; %bb.1613:
	v_mul_f32_e32 v12, v8, v8
	s_mov_b32 s14, 0xb9a3f927
	s_mov_b32 s15, 0x39afe9f7
	v_mul_f32_e32 v13, v8, v12
	v_fmaak_f32 v14, s14, v13, 0x3a66f867
	v_fmaak_f32 v15, s15, v13, 0xba0d3085
	s_mov_b32 s14, 0x39a57b6b
	v_fmaak_f32 v16, s14, v13, 0xbab7f476
	v_fmaak_f32 v14, v13, v14, 0xbb7177fe
	;; [unrolled: 1-line block ×9, first 2 shown]
	v_fmac_f32_e32 v14, v8, v15
	v_fmaak_f32 v8, v13, v16, 0x3ef7b95e
	v_fma_f32 v13, v13, -v14, 0xa2863e55
	v_fma_f32 v8, v12, v8, -v13
	v_add_f32_e32 v8, 0xbdf8cdce, v8
	v_add_f32_e32 v11, v11, v8
.LBB164_1614:
	s_or_b32 exec_lo, exec_lo, s7
                                        ; implicit-def: $vgpr12
                                        ; implicit-def: $vgpr8
.LBB164_1615:
	s_andn2_saveexec_b32 s1, s1
	s_cbranch_execz .LBB164_1619
; %bb.1616:
	s_mov_b32 s7, exec_lo
	v_cmpx_eq_u32_e32 0, v12
	s_cbranch_execz .LBB164_1618
; %bb.1617:
	v_mul_f32_e32 v12, v8, v8
	s_mov_b32 s14, 0x383c2c75
	v_fmaak_f32 v13, s14, v12, 0x38e28445
	s_mov_b32 s14, 0x37d383a2
	v_fmaak_f32 v14, s14, v12, 0x39679767
	v_fmaak_f32 v13, v12, v13, 0x3a05b634
	;; [unrolled: 1-line block ×9, first 2 shown]
	v_mul_f32_e32 v12, v12, v13
	v_fmac_f32_e32 v12, v8, v14
	v_fmac_f32_e32 v12, -0.5, v8
	v_add_f32_e32 v11, v11, v12
.LBB164_1618:
	s_or_b32 exec_lo, exec_lo, s7
.LBB164_1619:
	s_or_b32 exec_lo, exec_lo, s1
.LBB164_1620:
	s_or_b32 exec_lo, exec_lo, s3
.LBB164_1621:
	s_andn2_saveexec_b32 s1, s2
	s_cbranch_execz .LBB164_1623
; %bb.1622:
	v_cmp_gt_f32_e64 s2, 0x800000, |v10|
	s_mov_b32 s3, 0x3e8a8991
	v_fma_f32 v13, |v10|, s3, 0xbecd26ab
	v_cndmask_b32_e64 v8, 0, 32, s2
	v_ldexp_f32 v8, |v10|, v8
	v_log_f32_e32 v8, v8
	v_mul_f32_e32 v11, 0x3f317217, v8
	v_cmp_gt_f32_e64 vcc_lo, 0x7f800000, |v8|
	v_fma_f32 v12, 0x3f317217, v8, -v11
	v_fmamk_f32 v12, v8, 0x3377d1cf, v12
	v_add_f32_e32 v11, v11, v12
	v_fma_f32 v12, |v10|, v13, 0x3f528d33
	v_cndmask_b32_e32 v8, v8, v11, vcc_lo
	v_cndmask_b32_e64 v11, 0, 0x41b17218, s2
	v_fma_f32 v12, |v10|, v12, 0xbf13c468
	v_sub_f32_e32 v8, v8, v11
	v_fma_f32 v11, |v10|, v12, -v8
.LBB164_1623:
	s_or_b32 exec_lo, exec_lo, s1
	v_cmp_le_f32_e64 s1, 0, v10
	s_mov_b32 s2, exec_lo
	v_cmpx_nle_f32_e32 0, v10
	s_xor_b32 s3, exec_lo, s2
	s_cbranch_execz .LBB164_1627
; %bb.1624:
	v_cmp_gt_f32_e64 s2, 0x4b000000, |v10|
	v_cmp_lt_f32_e64 s7, 0x35000000, |v10|
	s_and_b32 s2, s2, s7
	s_and_saveexec_b32 s7, s2
	s_cbranch_execz .LBB164_1626
; %bb.1625:
	v_mul_f32_e64 v8, |v10|, 0.5
	v_cmp_gt_f32_e64 s2, |v10|, 1.0
	s_mov_b32 s14, 0x3d4be544
	v_floor_f32_e32 v12, v8
	v_cmp_neq_f32_e32 vcc_lo, 0x7f800000, v8
	v_sub_f32_e32 v12, v8, v12
	v_min_f32_e32 v12, 0x3f7fffff, v12
	v_add_f32_e32 v12, v12, v12
	v_cndmask_b32_e32 v8, 0, v12, vcc_lo
	v_cndmask_b32_e64 v8, |v10|, v8, s2
	s_mov_b32 s2, 0x3e75aa41
	v_add_f32_e32 v12, v8, v8
	v_rndne_f32_e32 v12, v12
	v_fmac_f32_e32 v8, -0.5, v12
	v_cvt_i32_f32_e32 v12, v12
	v_mul_f32_e32 v13, v8, v8
	v_fmaak_f32 v14, s2, v13, 0xbf1f24be
	v_fmaak_f32 v15, s14, v13, 0x3e642e9d
	v_mul_f32_e32 v16, v8, v13
	v_fmaak_f32 v14, v13, v14, 0x40234736
	v_fmaak_f32 v15, v13, v15, 0xbfaad1da
	;; [unrolled: 1-line block ×4, first 2 shown]
	v_mul_f32_e32 v14, v16, v14
	v_fmaak_f32 v15, v13, v15, 0xc09de9e6
	v_and_b32_e32 v16, 1, v12
	v_lshlrev_b32_e32 v12, 30, v12
	v_fmamk_f32 v8, v8, 0x40490fdb, v14
	v_fma_f32 v13, v13, v15, 1.0
	v_cmp_eq_u32_e32 vcc_lo, 0, v16
	v_and_or_b32 v5, 0x80000000, v12, v5
	v_cndmask_b32_e32 v8, v13, v8, vcc_lo
	v_xor3_b32 v5, v5, v8, v10
	v_mul_f32_e32 v5, v10, v5
	v_frexp_mant_f32_e64 v8, |v5|
	v_frexp_exp_i32_f32_e32 v5, v5
	v_rcp_f32_e32 v8, v8
	v_sub_nc_u32_e32 v5, 2, v5
	v_mul_f32_e32 v8, 0x3f490fdb, v8
	v_ldexp_f32 v5, v8, v5
	v_cmp_gt_f32_e32 vcc_lo, 0x800000, v5
	v_cndmask_b32_e64 v8, 0, 32, vcc_lo
	v_ldexp_f32 v5, v5, v8
	v_log_f32_e32 v5, v5
	v_mul_f32_e32 v8, 0x3f317217, v5
	v_cmp_gt_f32_e64 s2, 0x7f800000, |v5|
	v_fma_f32 v12, 0x3f317217, v5, -v8
	v_fmamk_f32 v12, v5, 0x3377d1cf, v12
	v_add_f32_e32 v8, v8, v12
	v_floor_f32_e32 v12, v10
	v_cndmask_b32_e64 v5, v5, v8, s2
	v_cndmask_b32_e64 v8, 0, 0x41b17218, vcc_lo
	v_sub_f32_e32 v12, v10, v12
	v_sub_f32_e32 v5, v5, v8
	v_min_f32_e32 v8, 0x3f7fffff, v12
	v_sub_f32_e32 v5, v5, v11
	v_cmp_neq_f32_e32 vcc_lo, 0, v8
	v_cndmask_b32_e32 v11, 0x7f800000, v5, vcc_lo
.LBB164_1626:
	s_or_b32 exec_lo, exec_lo, s7
.LBB164_1627:
	s_andn2_saveexec_b32 s3, s3
; %bb.1628:
	v_cmp_eq_f32_e32 vcc_lo, 1.0, v10
	v_cmp_eq_f32_e64 s2, 2.0, v10
	s_or_b32 s2, vcc_lo, s2
	v_cndmask_b32_e64 v11, v11, 0, s2
; %bb.1629:
	s_or_b32 exec_lo, exec_lo, s3
	v_add_co_u32 v8, s2, s10, v9
	v_add_co_ci_u32_e64 v9, null, s11, 0, s2
	s_cmp_lt_i32 s4, 11
	s_cbranch_scc1 .LBB164_1636
; %bb.1630:
	s_and_b32 s2, 0xffff, s4
	s_mov_b32 s7, 0
	s_cmp_gt_i32 s2, 25
	s_cbranch_scc0 .LBB164_1638
; %bb.1631:
	s_cmp_gt_i32 s2, 28
	s_cbranch_scc0 .LBB164_1639
; %bb.1632:
	;; [unrolled: 3-line block ×4, first 2 shown]
	s_cmp_eq_u32 s2, 46
	s_mov_b32 s15, 0
	s_cbranch_scc0 .LBB164_1643
; %bb.1635:
	global_load_dword v5, v[8:9], off
	s_mov_b32 s3, 0
	s_mov_b32 s14, -1
	s_branch .LBB164_1645
.LBB164_1636:
	s_mov_b32 s14, 0
                                        ; implicit-def: $vgpr5
	s_cbranch_execnz .LBB164_1711
.LBB164_1637:
	s_andn2_b32 vcc_lo, exec_lo, s14
	s_cbranch_vccnz .LBB164_2399
	s_branch .LBB164_1759
.LBB164_1638:
	s_mov_b32 s15, -1
	s_mov_b32 s14, 0
	s_mov_b32 s3, 0
                                        ; implicit-def: $vgpr5
	s_branch .LBB164_1674
.LBB164_1639:
	s_mov_b32 s15, -1
	s_mov_b32 s14, 0
	s_mov_b32 s3, 0
                                        ; implicit-def: $vgpr5
	s_branch .LBB164_1655
.LBB164_1640:
	s_mov_b32 s15, -1
	s_mov_b32 s14, 0
	s_mov_b32 s3, 0
                                        ; implicit-def: $vgpr5
	s_branch .LBB164_1650
.LBB164_1641:
	s_or_b32 s5, s5, exec_lo
	s_trap 2
	s_cbranch_execz .LBB164_1542
	s_branch .LBB164_1543
.LBB164_1642:
	s_mov_b32 s15, -1
	s_mov_b32 s14, 0
	s_mov_b32 s3, 0
	s_branch .LBB164_1644
.LBB164_1643:
	s_mov_b32 s3, -1
	s_mov_b32 s14, 0
.LBB164_1644:
                                        ; implicit-def: $vgpr5
.LBB164_1645:
	s_and_b32 vcc_lo, exec_lo, s15
	s_cbranch_vccz .LBB164_1649
; %bb.1646:
	s_cmp_eq_u32 s2, 44
	s_cbranch_scc0 .LBB164_1648
; %bb.1647:
	global_load_ubyte v5, v[8:9], off
	s_mov_b32 s3, 0
	s_mov_b32 s14, -1
	s_waitcnt vmcnt(0)
	v_lshlrev_b32_e32 v12, 23, v5
	v_cmp_ne_u32_e32 vcc_lo, 0xff, v5
	v_cndmask_b32_e32 v12, 0x7f800001, v12, vcc_lo
	v_cmp_ne_u32_e32 vcc_lo, 0, v5
	v_cndmask_b32_e32 v5, 0x400000, v12, vcc_lo
	v_mov_b32_e32 v12, 0x7fc0
	v_cmp_o_f32_e32 vcc_lo, v5, v5
	v_add_nc_u32_e32 v5, 0x7fff, v5
	v_cndmask_b32_sdwa v5, v12, v5, vcc_lo dst_sel:DWORD dst_unused:UNUSED_PAD src0_sel:DWORD src1_sel:WORD_1
	s_branch .LBB164_1649
.LBB164_1648:
	s_mov_b32 s3, -1
                                        ; implicit-def: $vgpr5
.LBB164_1649:
	s_mov_b32 s15, 0
.LBB164_1650:
	s_and_b32 vcc_lo, exec_lo, s15
	s_cbranch_vccz .LBB164_1654
; %bb.1651:
	s_cmp_eq_u32 s2, 29
	s_cbranch_scc0 .LBB164_1653
; %bb.1652:
	global_load_dwordx2 v[12:13], v[8:9], off
	s_mov_b32 s3, 0
	s_mov_b32 s14, -1
	s_mov_b32 s15, 0
	s_waitcnt vmcnt(0)
	v_ffbh_u32_e32 v5, v13
	v_min_u32_e32 v5, 32, v5
	v_lshlrev_b64 v[12:13], v5, v[12:13]
	v_sub_nc_u32_e32 v5, 32, v5
	v_min_u32_e32 v12, 1, v12
	v_or_b32_e32 v12, v13, v12
	v_cvt_f32_u32_e32 v12, v12
	v_ldexp_f32 v5, v12, v5
	v_bfe_u32 v12, v5, 16, 1
	v_add3_u32 v5, v5, v12, 0x7fff
	v_lshrrev_b32_e32 v5, 16, v5
	s_branch .LBB164_1655
.LBB164_1653:
	s_mov_b32 s3, -1
                                        ; implicit-def: $vgpr5
.LBB164_1654:
	s_mov_b32 s15, 0
.LBB164_1655:
	s_and_b32 vcc_lo, exec_lo, s15
	s_cbranch_vccz .LBB164_1673
; %bb.1656:
	s_cmp_lt_i32 s2, 27
	s_cbranch_scc1 .LBB164_1659
; %bb.1657:
	s_cmp_gt_i32 s2, 27
	s_cbranch_scc0 .LBB164_1660
; %bb.1658:
	global_load_dword v5, v[8:9], off
	s_mov_b32 s14, 0
	s_waitcnt vmcnt(0)
	v_cvt_f32_u32_e32 v5, v5
	v_bfe_u32 v12, v5, 16, 1
	v_add3_u32 v5, v5, v12, 0x7fff
	v_lshrrev_b32_e32 v5, 16, v5
	s_branch .LBB164_1661
.LBB164_1659:
	s_mov_b32 s14, -1
                                        ; implicit-def: $vgpr5
	s_branch .LBB164_1664
.LBB164_1660:
	s_mov_b32 s14, -1
                                        ; implicit-def: $vgpr5
.LBB164_1661:
	s_andn2_b32 vcc_lo, exec_lo, s14
	s_cbranch_vccnz .LBB164_1663
; %bb.1662:
	global_load_ushort v5, v[8:9], off
	s_waitcnt vmcnt(0)
	v_cvt_f32_u32_e32 v5, v5
	v_bfe_u32 v12, v5, 16, 1
	v_add3_u32 v5, v5, v12, 0x7fff
	v_lshrrev_b32_e32 v5, 16, v5
.LBB164_1663:
	s_mov_b32 s14, 0
.LBB164_1664:
	s_andn2_b32 vcc_lo, exec_lo, s14
	s_cbranch_vccnz .LBB164_1672
; %bb.1665:
	global_load_ubyte v5, v[8:9], off
	s_mov_b32 s14, 0
	s_mov_b32 s15, exec_lo
	s_waitcnt vmcnt(0)
	v_cmpx_lt_i16_e32 0x7f, v5
	s_xor_b32 s15, exec_lo, s15
	s_cbranch_execz .LBB164_1686
; %bb.1666:
	s_mov_b32 s14, -1
	s_mov_b32 s16, exec_lo
	v_cmpx_eq_u16_e32 0x80, v5
; %bb.1667:
	s_xor_b32 s14, exec_lo, -1
; %bb.1668:
	s_or_b32 exec_lo, exec_lo, s16
	s_and_b32 s14, s14, exec_lo
	s_or_saveexec_b32 s15, s15
	v_mov_b32_e32 v12, 0x7f800001
	s_xor_b32 exec_lo, exec_lo, s15
	s_cbranch_execnz .LBB164_1687
.LBB164_1669:
	s_or_b32 exec_lo, exec_lo, s15
	s_and_saveexec_b32 s15, s14
	s_cbranch_execz .LBB164_1671
.LBB164_1670:
	v_and_b32_e32 v12, 0xffff, v5
	v_lshlrev_b32_e32 v5, 24, v5
	v_and_b32_e32 v13, 7, v12
	v_bfe_u32 v16, v12, 3, 4
	v_and_b32_e32 v5, 0x80000000, v5
	v_ffbh_u32_e32 v14, v13
	v_cmp_eq_u32_e32 vcc_lo, 0, v16
	v_min_u32_e32 v14, 32, v14
	v_subrev_nc_u32_e32 v15, 28, v14
	v_sub_nc_u32_e32 v14, 29, v14
	v_lshlrev_b32_e32 v12, v15, v12
	v_cndmask_b32_e32 v14, v16, v14, vcc_lo
	v_and_b32_e32 v12, 7, v12
	v_cndmask_b32_e32 v12, v13, v12, vcc_lo
	v_lshl_add_u32 v13, v14, 23, 0x3b800000
	v_lshlrev_b32_e32 v12, 20, v12
	v_or3_b32 v12, v5, v13, v12
.LBB164_1671:
	s_or_b32 exec_lo, exec_lo, s15
	v_bfe_u32 v5, v12, 16, 1
	v_cmp_o_f32_e32 vcc_lo, v12, v12
	v_add3_u32 v5, v12, v5, 0x7fff
	v_mov_b32_e32 v12, 0x7fc0
	v_cndmask_b32_sdwa v5, v12, v5, vcc_lo dst_sel:DWORD dst_unused:UNUSED_PAD src0_sel:DWORD src1_sel:WORD_1
.LBB164_1672:
	s_mov_b32 s14, -1
.LBB164_1673:
	s_mov_b32 s15, 0
.LBB164_1674:
	s_and_b32 vcc_lo, exec_lo, s15
	s_cbranch_vccz .LBB164_1707
; %bb.1675:
	s_cmp_gt_i32 s2, 22
	s_cbranch_scc0 .LBB164_1685
; %bb.1676:
	s_cmp_lt_i32 s2, 24
	s_cbranch_scc1 .LBB164_1688
; %bb.1677:
	s_cmp_gt_i32 s2, 24
	s_cbranch_scc0 .LBB164_1689
; %bb.1678:
	global_load_ubyte v5, v[8:9], off
	s_mov_b32 s14, exec_lo
	s_waitcnt vmcnt(0)
	v_cmpx_lt_i16_e32 0x7f, v5
	s_xor_b32 s14, exec_lo, s14
	s_cbranch_execz .LBB164_1701
; %bb.1679:
	s_mov_b32 s7, -1
	s_mov_b32 s15, exec_lo
	v_cmpx_eq_u16_e32 0x80, v5
; %bb.1680:
	s_xor_b32 s7, exec_lo, -1
; %bb.1681:
	s_or_b32 exec_lo, exec_lo, s15
	s_and_b32 s7, s7, exec_lo
	s_or_saveexec_b32 s14, s14
	v_mov_b32_e32 v12, 0x7f800001
	s_xor_b32 exec_lo, exec_lo, s14
	s_cbranch_execnz .LBB164_1702
.LBB164_1682:
	s_or_b32 exec_lo, exec_lo, s14
	s_and_saveexec_b32 s14, s7
	s_cbranch_execz .LBB164_1684
.LBB164_1683:
	v_and_b32_e32 v12, 0xffff, v5
	v_lshlrev_b32_e32 v5, 24, v5
	v_and_b32_e32 v13, 3, v12
	v_bfe_u32 v16, v12, 2, 5
	v_and_b32_e32 v5, 0x80000000, v5
	v_ffbh_u32_e32 v14, v13
	v_cmp_eq_u32_e32 vcc_lo, 0, v16
	v_min_u32_e32 v14, 32, v14
	v_subrev_nc_u32_e32 v15, 29, v14
	v_sub_nc_u32_e32 v14, 30, v14
	v_lshlrev_b32_e32 v12, v15, v12
	v_cndmask_b32_e32 v14, v16, v14, vcc_lo
	v_and_b32_e32 v12, 3, v12
	v_cndmask_b32_e32 v12, v13, v12, vcc_lo
	v_lshl_add_u32 v13, v14, 23, 0x37800000
	v_lshlrev_b32_e32 v12, 21, v12
	v_or3_b32 v12, v5, v13, v12
.LBB164_1684:
	s_or_b32 exec_lo, exec_lo, s14
	v_bfe_u32 v5, v12, 16, 1
	v_cmp_o_f32_e32 vcc_lo, v12, v12
	s_mov_b32 s7, 0
	v_add3_u32 v5, v12, v5, 0x7fff
	v_mov_b32_e32 v12, 0x7fc0
	v_cndmask_b32_sdwa v5, v12, v5, vcc_lo dst_sel:DWORD dst_unused:UNUSED_PAD src0_sel:DWORD src1_sel:WORD_1
	s_branch .LBB164_1690
.LBB164_1685:
	s_mov_b32 s7, -1
                                        ; implicit-def: $vgpr5
	s_branch .LBB164_1696
.LBB164_1686:
	s_or_saveexec_b32 s15, s15
	v_mov_b32_e32 v12, 0x7f800001
	s_xor_b32 exec_lo, exec_lo, s15
	s_cbranch_execz .LBB164_1669
.LBB164_1687:
	v_cmp_ne_u16_e32 vcc_lo, 0, v5
	v_mov_b32_e32 v12, 0
	s_andn2_b32 s14, s14, exec_lo
	s_and_b32 s16, vcc_lo, exec_lo
	s_or_b32 s14, s14, s16
	s_or_b32 exec_lo, exec_lo, s15
	s_and_saveexec_b32 s15, s14
	s_cbranch_execnz .LBB164_1670
	s_branch .LBB164_1671
.LBB164_1688:
	s_mov_b32 s7, -1
                                        ; implicit-def: $vgpr5
	s_branch .LBB164_1693
.LBB164_1689:
	s_mov_b32 s7, -1
                                        ; implicit-def: $vgpr5
.LBB164_1690:
	s_and_b32 vcc_lo, exec_lo, s7
	s_cbranch_vccz .LBB164_1692
; %bb.1691:
	global_load_ubyte v5, v[8:9], off
	s_waitcnt vmcnt(0)
	v_lshlrev_b32_e32 v5, 24, v5
	v_and_b32_e32 v12, 0x7f000000, v5
	v_ffbh_u32_e32 v13, v12
	v_add_nc_u32_e32 v15, 0x1000000, v12
	v_cmp_ne_u32_e32 vcc_lo, 0, v12
	v_min_u32_e32 v13, 32, v13
	v_sub_nc_u32_e64 v13, v13, 4 clamp
	v_lshlrev_b32_e32 v14, v13, v12
	v_lshlrev_b32_e32 v13, 23, v13
	v_lshrrev_b32_e32 v14, 4, v14
	v_sub_nc_u32_e32 v13, v14, v13
	v_ashrrev_i32_e32 v14, 8, v15
	v_add_nc_u32_e32 v13, 0x3c000000, v13
	v_and_or_b32 v13, 0x7f800000, v14, v13
	v_cndmask_b32_e32 v12, 0, v13, vcc_lo
	v_and_or_b32 v5, 0x80000000, v5, v12
	v_bfe_u32 v12, v12, 16, 1
	v_cmp_o_f32_e32 vcc_lo, v5, v5
	v_add3_u32 v5, v5, v12, 0x7fff
	v_mov_b32_e32 v12, 0x7fc0
	v_cndmask_b32_sdwa v5, v12, v5, vcc_lo dst_sel:DWORD dst_unused:UNUSED_PAD src0_sel:DWORD src1_sel:WORD_1
.LBB164_1692:
	s_mov_b32 s7, 0
.LBB164_1693:
	s_andn2_b32 vcc_lo, exec_lo, s7
	s_cbranch_vccnz .LBB164_1695
; %bb.1694:
	global_load_ubyte v5, v[8:9], off
	s_waitcnt vmcnt(0)
	v_lshlrev_b32_e32 v12, 25, v5
	v_lshlrev_b16 v5, 8, v5
	v_lshrrev_b32_e32 v13, 4, v12
	v_and_or_b32 v14, 0x7f00, v5, 0.5
	v_cmp_gt_u32_e32 vcc_lo, 0x8000000, v12
	v_bfe_i32 v5, v5, 0, 16
	v_or_b32_e32 v13, 0x70000000, v13
	v_add_f32_e32 v14, -0.5, v14
	v_mul_f32_e32 v13, 0x7800000, v13
	v_cndmask_b32_e32 v12, v13, v14, vcc_lo
	v_and_or_b32 v5, 0x80000000, v5, v12
	v_bfe_u32 v12, v12, 16, 1
	v_cmp_o_f32_e32 vcc_lo, v5, v5
	v_add3_u32 v5, v5, v12, 0x7fff
	v_mov_b32_e32 v12, 0x7fc0
	v_cndmask_b32_sdwa v5, v12, v5, vcc_lo dst_sel:DWORD dst_unused:UNUSED_PAD src0_sel:DWORD src1_sel:WORD_1
.LBB164_1695:
	s_mov_b32 s7, 0
	s_mov_b32 s14, -1
.LBB164_1696:
	s_andn2_b32 vcc_lo, exec_lo, s7
	s_mov_b32 s7, 0
	s_cbranch_vccnz .LBB164_1707
; %bb.1697:
	s_cmp_gt_i32 s2, 14
	s_cbranch_scc0 .LBB164_1700
; %bb.1698:
	s_cmp_eq_u32 s2, 15
	s_cbranch_scc0 .LBB164_1703
; %bb.1699:
	global_load_ushort v5, v[8:9], off
	s_mov_b32 s3, 0
	s_mov_b32 s14, -1
	s_branch .LBB164_1705
.LBB164_1700:
	s_mov_b32 s7, -1
	s_branch .LBB164_1704
.LBB164_1701:
	s_or_saveexec_b32 s14, s14
	v_mov_b32_e32 v12, 0x7f800001
	s_xor_b32 exec_lo, exec_lo, s14
	s_cbranch_execz .LBB164_1682
.LBB164_1702:
	v_cmp_ne_u16_e32 vcc_lo, 0, v5
	v_mov_b32_e32 v12, 0
	s_andn2_b32 s7, s7, exec_lo
	s_and_b32 s15, vcc_lo, exec_lo
	s_or_b32 s7, s7, s15
	s_or_b32 exec_lo, exec_lo, s14
	s_and_saveexec_b32 s14, s7
	s_cbranch_execnz .LBB164_1683
	s_branch .LBB164_1684
.LBB164_1703:
	s_mov_b32 s3, -1
.LBB164_1704:
                                        ; implicit-def: $vgpr5
.LBB164_1705:
	s_and_b32 vcc_lo, exec_lo, s7
	s_mov_b32 s7, 0
	s_cbranch_vccz .LBB164_1707
; %bb.1706:
	s_cmp_lg_u32 s2, 11
	s_mov_b32 s7, -1
	s_cselect_b32 s3, -1, 0
.LBB164_1707:
	s_and_b32 vcc_lo, exec_lo, s3
	s_cbranch_vccnz .LBB164_1808
; %bb.1708:
	s_andn2_b32 vcc_lo, exec_lo, s7
	s_cbranch_vccnz .LBB164_1710
.LBB164_1709:
	global_load_ubyte v5, v[8:9], off
	s_mov_b32 s14, -1
	s_waitcnt vmcnt(0)
	v_cmp_ne_u16_e32 vcc_lo, 0, v5
	v_cndmask_b32_e64 v5, 0, 1.0, vcc_lo
	v_lshrrev_b32_e32 v5, 16, v5
.LBB164_1710:
	s_branch .LBB164_1637
.LBB164_1711:
	s_and_b32 s2, 0xffff, s4
	s_cmp_lt_i32 s2, 5
	s_cbranch_scc1 .LBB164_1716
; %bb.1712:
	s_cmp_lt_i32 s2, 8
	s_cbranch_scc1 .LBB164_1717
; %bb.1713:
	;; [unrolled: 3-line block ×3, first 2 shown]
	s_cmp_gt_i32 s2, 9
	s_cbranch_scc0 .LBB164_1719
; %bb.1715:
	global_load_dwordx2 v[12:13], v[8:9], off
	s_mov_b32 s3, 0
	s_waitcnt vmcnt(0)
	v_cvt_f32_f64_e32 v5, v[12:13]
	v_bfe_u32 v12, v5, 16, 1
	v_cmp_o_f32_e32 vcc_lo, v5, v5
	v_add3_u32 v5, v5, v12, 0x7fff
	v_mov_b32_e32 v12, 0x7fc0
	v_cndmask_b32_sdwa v5, v12, v5, vcc_lo dst_sel:DWORD dst_unused:UNUSED_PAD src0_sel:DWORD src1_sel:WORD_1
	s_branch .LBB164_1720
.LBB164_1716:
	s_mov_b32 s3, -1
                                        ; implicit-def: $vgpr5
	s_branch .LBB164_1738
.LBB164_1717:
	s_mov_b32 s3, -1
                                        ; implicit-def: $vgpr5
	s_branch .LBB164_1726
.LBB164_1718:
	s_mov_b32 s3, -1
                                        ; implicit-def: $vgpr5
	s_branch .LBB164_1723
.LBB164_1719:
	s_mov_b32 s3, -1
                                        ; implicit-def: $vgpr5
.LBB164_1720:
	s_andn2_b32 vcc_lo, exec_lo, s3
	s_cbranch_vccnz .LBB164_1722
; %bb.1721:
	global_load_dword v5, v[8:9], off
	s_waitcnt vmcnt(0)
	v_bfe_u32 v12, v5, 16, 1
	v_cmp_o_f32_e32 vcc_lo, v5, v5
	v_add3_u32 v5, v5, v12, 0x7fff
	v_mov_b32_e32 v12, 0x7fc0
	v_cndmask_b32_sdwa v5, v12, v5, vcc_lo dst_sel:DWORD dst_unused:UNUSED_PAD src0_sel:DWORD src1_sel:WORD_1
.LBB164_1722:
	s_mov_b32 s3, 0
.LBB164_1723:
	s_andn2_b32 vcc_lo, exec_lo, s3
	s_cbranch_vccnz .LBB164_1725
; %bb.1724:
	global_load_dword v5, v[8:9], off
	s_waitcnt vmcnt(0)
	v_cvt_f32_f16_e32 v12, v5
	v_cmp_o_f16_e32 vcc_lo, v5, v5
	v_bfe_u32 v13, v12, 16, 1
	v_add3_u32 v5, v12, v13, 0x7fff
	v_mov_b32_e32 v12, 0x7fc0
	v_cndmask_b32_sdwa v5, v12, v5, vcc_lo dst_sel:DWORD dst_unused:UNUSED_PAD src0_sel:DWORD src1_sel:WORD_1
.LBB164_1725:
	s_mov_b32 s3, 0
.LBB164_1726:
	s_andn2_b32 vcc_lo, exec_lo, s3
	s_cbranch_vccnz .LBB164_1737
; %bb.1727:
	s_cmp_lt_i32 s2, 6
	s_cbranch_scc1 .LBB164_1730
; %bb.1728:
	s_cmp_gt_i32 s2, 6
	s_cbranch_scc0 .LBB164_1731
; %bb.1729:
	global_load_dwordx2 v[12:13], v[8:9], off
	s_mov_b32 s3, 0
	s_waitcnt vmcnt(0)
	v_cvt_f32_f64_e32 v5, v[12:13]
	v_bfe_u32 v12, v5, 16, 1
	v_cmp_o_f32_e32 vcc_lo, v5, v5
	v_add3_u32 v5, v5, v12, 0x7fff
	v_mov_b32_e32 v12, 0x7fc0
	v_cndmask_b32_sdwa v5, v12, v5, vcc_lo dst_sel:DWORD dst_unused:UNUSED_PAD src0_sel:DWORD src1_sel:WORD_1
	s_branch .LBB164_1732
.LBB164_1730:
	s_mov_b32 s3, -1
                                        ; implicit-def: $vgpr5
	s_branch .LBB164_1735
.LBB164_1731:
	s_mov_b32 s3, -1
                                        ; implicit-def: $vgpr5
.LBB164_1732:
	s_andn2_b32 vcc_lo, exec_lo, s3
	s_cbranch_vccnz .LBB164_1734
; %bb.1733:
	global_load_dword v5, v[8:9], off
	s_waitcnt vmcnt(0)
	v_bfe_u32 v12, v5, 16, 1
	v_cmp_o_f32_e32 vcc_lo, v5, v5
	v_add3_u32 v5, v5, v12, 0x7fff
	v_mov_b32_e32 v12, 0x7fc0
	v_cndmask_b32_sdwa v5, v12, v5, vcc_lo dst_sel:DWORD dst_unused:UNUSED_PAD src0_sel:DWORD src1_sel:WORD_1
.LBB164_1734:
	s_mov_b32 s3, 0
.LBB164_1735:
	s_andn2_b32 vcc_lo, exec_lo, s3
	s_cbranch_vccnz .LBB164_1737
; %bb.1736:
	global_load_ushort v5, v[8:9], off
	s_waitcnt vmcnt(0)
	v_cvt_f32_f16_e32 v12, v5
	v_cmp_o_f16_e32 vcc_lo, v5, v5
	v_bfe_u32 v13, v12, 16, 1
	v_add3_u32 v5, v12, v13, 0x7fff
	v_mov_b32_e32 v12, 0x7fc0
	v_cndmask_b32_sdwa v5, v12, v5, vcc_lo dst_sel:DWORD dst_unused:UNUSED_PAD src0_sel:DWORD src1_sel:WORD_1
.LBB164_1737:
	s_mov_b32 s3, 0
.LBB164_1738:
	s_andn2_b32 vcc_lo, exec_lo, s3
	s_cbranch_vccnz .LBB164_1758
; %bb.1739:
	s_cmp_lt_i32 s2, 2
	s_cbranch_scc1 .LBB164_1743
; %bb.1740:
	s_cmp_lt_i32 s2, 3
	s_cbranch_scc1 .LBB164_1744
; %bb.1741:
	s_cmp_gt_i32 s2, 3
	s_cbranch_scc0 .LBB164_1745
; %bb.1742:
	global_load_dwordx2 v[12:13], v[8:9], off
	s_mov_b32 s3, 0
	s_waitcnt vmcnt(0)
	v_xor_b32_e32 v5, v12, v13
	v_ffbh_i32_e32 v14, v13
	v_ashrrev_i32_e32 v5, 31, v5
	v_add_nc_u32_e32 v14, -1, v14
	v_add_nc_u32_e32 v5, 32, v5
	v_min_u32_e32 v5, v14, v5
	v_lshlrev_b64 v[12:13], v5, v[12:13]
	v_sub_nc_u32_e32 v5, 32, v5
	v_min_u32_e32 v12, 1, v12
	v_or_b32_e32 v12, v13, v12
	v_cvt_f32_i32_e32 v12, v12
	v_ldexp_f32 v5, v12, v5
	v_bfe_u32 v12, v5, 16, 1
	v_add3_u32 v5, v5, v12, 0x7fff
	v_lshrrev_b32_e32 v5, 16, v5
	s_branch .LBB164_1746
.LBB164_1743:
	s_mov_b32 s3, -1
                                        ; implicit-def: $vgpr5
	s_branch .LBB164_1752
.LBB164_1744:
	s_mov_b32 s3, -1
                                        ; implicit-def: $vgpr5
	s_branch .LBB164_1749
.LBB164_1745:
	s_mov_b32 s3, -1
                                        ; implicit-def: $vgpr5
.LBB164_1746:
	s_andn2_b32 vcc_lo, exec_lo, s3
	s_cbranch_vccnz .LBB164_1748
; %bb.1747:
	global_load_dword v5, v[8:9], off
	s_waitcnt vmcnt(0)
	v_cvt_f32_i32_e32 v5, v5
	v_bfe_u32 v12, v5, 16, 1
	v_add3_u32 v5, v5, v12, 0x7fff
	v_lshrrev_b32_e32 v5, 16, v5
.LBB164_1748:
	s_mov_b32 s3, 0
.LBB164_1749:
	s_andn2_b32 vcc_lo, exec_lo, s3
	s_cbranch_vccnz .LBB164_1751
; %bb.1750:
	global_load_sshort v5, v[8:9], off
	s_waitcnt vmcnt(0)
	v_cvt_f32_i32_e32 v5, v5
	v_bfe_u32 v12, v5, 16, 1
	v_add3_u32 v5, v5, v12, 0x7fff
	v_lshrrev_b32_e32 v5, 16, v5
.LBB164_1751:
	s_mov_b32 s3, 0
.LBB164_1752:
	s_andn2_b32 vcc_lo, exec_lo, s3
	s_cbranch_vccnz .LBB164_1758
; %bb.1753:
	s_cmp_gt_i32 s2, 0
	s_mov_b32 s2, 0
	s_cbranch_scc0 .LBB164_1755
; %bb.1754:
	global_load_sbyte v5, v[8:9], off
	s_waitcnt vmcnt(0)
	v_cvt_f32_i32_e32 v5, v5
	v_bfe_u32 v12, v5, 16, 1
	v_add3_u32 v5, v5, v12, 0x7fff
	v_lshrrev_b32_e32 v5, 16, v5
	s_branch .LBB164_1756
.LBB164_1755:
	s_mov_b32 s2, -1
                                        ; implicit-def: $vgpr5
.LBB164_1756:
	s_andn2_b32 vcc_lo, exec_lo, s2
	s_cbranch_vccnz .LBB164_1758
; %bb.1757:
	global_load_ubyte v5, v[8:9], off
	s_waitcnt vmcnt(0)
	v_cvt_f32_ubyte0_e32 v5, v5
	v_bfe_u32 v8, v5, 16, 1
	v_add3_u32 v5, v5, v8, 0x7fff
	v_lshrrev_b32_e32 v5, 16, v5
.LBB164_1758:
.LBB164_1759:
	s_waitcnt vmcnt(0)
	v_lshlrev_b32_e32 v9, 16, v5
	s_mov_b32 s3, exec_lo
                                        ; implicit-def: $vgpr12
	v_and_b32_e32 v5, 0x7fffffff, v9
	v_cmpx_ngt_f32_e64 0x3c800000, |v9|
	s_xor_b32 s3, exec_lo, s3
	s_cbranch_execz .LBB164_1789
; %bb.1760:
	s_mov_b32 s7, exec_lo
                                        ; implicit-def: $vgpr12
	v_cmpx_nlt_f32_e64 |v9|, 2.0
	s_xor_b32 s7, exec_lo, s7
	s_cbranch_execz .LBB164_1770
; %bb.1761:
	v_cmp_ngt_f32_e64 s2, 0x41000000, |v9|
                                        ; implicit-def: $vgpr12
	s_and_saveexec_b32 s14, s2
	s_xor_b32 s2, exec_lo, s14
	s_cbranch_execz .LBB164_1767
; %bb.1762:
	v_cmp_ngt_f32_e64 s14, 0x5c800000, |v9|
                                        ; implicit-def: $vgpr12
	s_and_saveexec_b32 s15, s14
	s_xor_b32 s14, exec_lo, s15
	s_cbranch_execz .LBB164_1764
; %bb.1763:
	v_cmp_gt_f32_e64 s15, 0x800000, |v9|
	v_cndmask_b32_e64 v8, 0, 32, s15
	v_ldexp_f32 v8, |v9|, v8
	v_log_f32_e32 v8, v8
	v_mul_f32_e32 v12, 0x3f317217, v8
	v_cmp_gt_f32_e64 vcc_lo, 0x7f800000, |v8|
	v_fma_f32 v13, 0x3f317217, v8, -v12
	v_fmamk_f32 v13, v8, 0x3377d1cf, v13
	v_add_f32_e32 v12, v12, v13
	v_cndmask_b32_e32 v8, v8, v12, vcc_lo
	v_cndmask_b32_e64 v12, 0, 0x41b17218, s15
	v_sub_f32_e32 v8, v8, v12
	v_fma_f32 v12, |v9|, v8, -|v9|
.LBB164_1764:
	s_andn2_saveexec_b32 s14, s14
	s_cbranch_execz .LBB164_1766
; %bb.1765:
	v_cmp_gt_f32_e64 s15, 0x800000, |v9|
	v_rcp_f32_e64 v12, |v9|
	s_mov_b32 s16, 0xbad5c4e8
	v_cndmask_b32_e64 v8, 0, 32, s15
	v_ldexp_f32 v8, |v9|, v8
	v_mul_f32_e32 v13, v12, v12
	v_log_f32_e32 v8, v8
	v_fmaak_f32 v15, s16, v13, 0x3a5b3dd2
	v_fmaak_f32 v15, v13, v15, 0xba1c065c
	v_mul_f32_e32 v14, 0x3f317217, v8
	v_fmaak_f32 v15, v13, v15, 0x3a500cfd
	v_cmp_gt_f32_e64 vcc_lo, 0x7f800000, |v8|
	v_fma_f32 v16, 0x3f317217, v8, -v14
	v_fmaak_f32 v15, v13, v15, 0xbb360b61
	v_fmamk_f32 v16, v8, 0x3377d1cf, v16
	v_fmaak_f32 v13, v13, v15, 0x3daaaaab
	v_add_f32_e32 v14, v14, v16
	v_fmaak_f32 v12, v12, v13, 0x3ed67f1d
	v_add_f32_e64 v13, |v9|, -0.5
	v_cndmask_b32_e32 v8, v8, v14, vcc_lo
	v_cndmask_b32_e64 v14, 0, 0x41b17218, s15
	v_sub_f32_e32 v8, v8, v14
	v_add_f32_e32 v8, -1.0, v8
	v_fmac_f32_e32 v12, v13, v8
.LBB164_1766:
	s_or_b32 exec_lo, exec_lo, s14
.LBB164_1767:
	s_andn2_saveexec_b32 s14, s2
	s_cbranch_execz .LBB164_1769
; %bb.1768:
	v_cvt_i32_f32_e32 v8, v5
	s_mov_b32 s2, 0x36f5d7bd
	s_mov_b32 s15, 0x3805ff67
	v_cvt_f32_i32_e32 v12, v8
	v_cmp_lt_i32_e32 vcc_lo, 2, v8
	v_sub_f32_e64 v12, |v9|, v12
	v_add_f32_e32 v13, 2.0, v12
	v_add_f32_e32 v14, 0x40400000, v12
	v_add_f32_e32 v15, 4.0, v12
	v_add_f32_e32 v16, 0x40a00000, v12
	v_cndmask_b32_e32 v13, 1.0, v13, vcc_lo
	v_cmp_lt_i32_e32 vcc_lo, 3, v8
	v_cndmask_b32_e32 v14, 1.0, v14, vcc_lo
	v_cmp_lt_i32_e32 vcc_lo, 4, v8
	v_mul_f32_e32 v13, v13, v14
	v_cndmask_b32_e32 v15, 1.0, v15, vcc_lo
	v_cmp_lt_i32_e32 vcc_lo, 5, v8
	v_add_f32_e32 v14, 0x40c00000, v12
	v_mul_f32_e32 v13, v15, v13
	v_cndmask_b32_e32 v16, 1.0, v16, vcc_lo
	v_cmp_lt_i32_e32 vcc_lo, 6, v8
	v_fmaak_f32 v15, s15, v12, 0x3af135b4
	v_mul_f32_e32 v13, v16, v13
	v_cndmask_b32_e32 v8, 1.0, v14, vcc_lo
	v_mul_f32_e32 v8, v8, v13
	v_fmaak_f32 v13, s2, v12, 0x3a4beed6
	v_cmp_gt_f32_e32 vcc_lo, 0x800000, v8
	v_fmaak_f32 v13, v12, v13, 0x3c98bf54
	v_cndmask_b32_e64 v14, 0, 32, vcc_lo
	v_fmaak_f32 v13, v12, v13, 0x3e300f6e
	v_ldexp_f32 v8, v8, v14
	v_fmaak_f32 v14, v12, v15, 0x3cda40e4
	v_fmaak_f32 v13, v12, v13, 0x3f38d0c5
	v_log_f32_e32 v8, v8
	v_fmaak_f32 v14, v12, v14, 0x3e15dce6
	v_fmaak_f32 v13, v12, v13, 0x3fb22d3b
	;; [unrolled: 1-line block ×3, first 2 shown]
	v_fma_f32 v13, v12, v13, 1.0
	v_mul_f32_e32 v15, 0x3f317217, v8
	v_fmaak_f32 v14, v12, v14, 0x3e5c245a
	v_rcp_f32_e32 v13, v13
	v_cmp_gt_f32_e64 s2, 0x7f800000, |v8|
	v_fma_f32 v16, 0x3f317217, v8, -v15
	v_fmaak_f32 v14, v12, v14, 0xbd9e233f
	v_fmamk_f32 v16, v8, 0x3377d1cf, v16
	v_mul_f32_e32 v14, v12, v14
	v_add_f32_e32 v15, v15, v16
	v_mul_f32_e32 v13, v14, v13
	v_cndmask_b32_e64 v14, 0, 0x41b17218, vcc_lo
	v_cndmask_b32_e64 v8, v8, v15, s2
	v_fmac_f32_e32 v13, 0.5, v12
	v_sub_f32_e32 v8, v8, v14
	v_add_f32_e32 v12, v8, v13
.LBB164_1769:
	s_or_b32 exec_lo, exec_lo, s14
.LBB164_1770:
	s_andn2_saveexec_b32 s7, s7
	s_cbranch_execz .LBB164_1788
; %bb.1771:
	s_mov_b32 s14, exec_lo
                                        ; implicit-def: $vgpr12
                                        ; implicit-def: $vgpr13
                                        ; implicit-def: $vgpr8
	v_cmpx_ge_f32_e64 0x3f666666, |v9|
	s_xor_b32 s14, exec_lo, s14
	s_cbranch_execz .LBB164_1773
; %bb.1772:
	v_cmp_gt_f32_e64 s2, 0x800000, |v9|
	v_sub_f32_e64 v14, 1.0, |v9|
	v_cmp_gt_f32_e64 vcc_lo, 0x3f3b4a23, |v9|
	v_cndmask_b32_e64 v8, 0, 32, s2
	v_cndmask_b32_e64 v15, 0, 0x41b17218, s2
	v_ldexp_f32 v8, |v9|, v8
	v_log_f32_e32 v8, v8
	v_mul_f32_e32 v12, 0x3f317217, v8
	v_cmp_gt_f32_e64 s2, 0x7f800000, |v8|
	v_fma_f32 v13, 0x3f317217, v8, -v12
	v_fmamk_f32 v13, v8, 0x3377d1cf, v13
	v_add_f32_e32 v12, v12, v13
	v_add_f32_e64 v13, 0xbeec5b0c, |v9|
	v_cndmask_b32_e64 v8, v8, v12, s2
	v_cndmask_b32_e32 v12, v14, v13, vcc_lo
	v_cndmask_b32_e64 v13, 0, 1, vcc_lo
	v_cmp_gt_f32_e64 s2, 0x3e6d3309, |v9|
	v_sub_f32_e32 v14, v8, v15
	v_cndmask_b32_e64 v8, v12, |v9|, s2
	v_cndmask_b32_e64 v13, v13, 2, s2
	v_xor_b32_e32 v12, 0x80000000, v14
.LBB164_1773:
	s_andn2_saveexec_b32 s2, s14
	s_cbranch_execz .LBB164_1775
; %bb.1774:
	v_sub_f32_e64 v8, 2.0, |v9|
	v_add_f32_e64 v12, 0xbfbb16c3, |v9|
	v_cmp_gt_f32_e64 vcc_lo, 0x3fdda512, |v9|
	v_add_f32_e64 v13, |v9|, -1.0
	v_cndmask_b32_e32 v12, v8, v12, vcc_lo
	v_cndmask_b32_e64 v8, v8, 1.0, vcc_lo
	v_cmp_gt_f32_e64 vcc_lo, 0x3f9d70a4, |v9|
	v_cvt_i32_f32_e32 v14, v8
	v_cndmask_b32_e32 v8, v12, v13, vcc_lo
	v_mov_b32_e32 v12, 0
	v_cndmask_b32_e64 v13, v14, 2, vcc_lo
.LBB164_1775:
	s_or_b32 exec_lo, exec_lo, s2
	s_mov_b32 s2, exec_lo
	v_cmpx_lt_i32_e32 0, v13
	s_xor_b32 s2, exec_lo, s2
	s_cbranch_execz .LBB164_1783
; %bb.1776:
	s_mov_b32 s14, exec_lo
	v_cmpx_lt_i32_e32 1, v13
	s_xor_b32 s14, exec_lo, s14
	s_cbranch_execz .LBB164_1780
; %bb.1777:
	s_mov_b32 s15, exec_lo
	v_cmpx_eq_u32_e32 2, v13
	s_cbranch_execz .LBB164_1779
; %bb.1778:
	s_mov_b32 s16, 0x3b52d5db
	v_fmaak_f32 v13, s16, v8, 0x3dd572af
	s_mov_b32 s16, 0x3c5b3c5e
	v_fmaak_f32 v14, s16, v8, 0x3e6a7578
	v_fmaak_f32 v13, v8, v13, 0x3f44efdf
	;; [unrolled: 1-line block ×7, first 2 shown]
	v_fma_f32 v13, v8, v13, 1.0
	v_fmaak_f32 v14, v8, v14, 0xbd9e233f
	v_rcp_f32_e32 v13, v13
	v_mul_f32_e32 v14, v8, v14
	v_mul_f32_e32 v13, v14, v13
	v_fmac_f32_e32 v13, -0.5, v8
	v_add_f32_e32 v12, v12, v13
.LBB164_1779:
	s_or_b32 exec_lo, exec_lo, s15
                                        ; implicit-def: $vgpr8
.LBB164_1780:
	s_andn2_saveexec_b32 s14, s14
	s_cbranch_execz .LBB164_1782
; %bb.1781:
	v_mul_f32_e32 v13, v8, v8
	s_mov_b32 s15, 0xb9a3f927
	s_mov_b32 s16, 0x39afe9f7
	v_mul_f32_e32 v14, v8, v13
	v_fmaak_f32 v15, s15, v14, 0x3a66f867
	v_fmaak_f32 v16, s16, v14, 0xba0d3085
	s_mov_b32 s15, 0x39a57b6b
	v_fmaak_f32 v17, s15, v14, 0xbab7f476
	v_fmaak_f32 v15, v14, v15, 0xbb7177fe
	v_fmaak_f32 v16, v14, v16, 0x3b141699
	v_fmaak_f32 v17, v14, v17, 0x3bc7e707
	v_fmaak_f32 v15, v14, v15, 0x3c93373d
	v_fmaak_f32 v16, v14, v16, 0xbc28fcfe
	v_fmaak_f32 v17, v14, v17, 0xbd064d47
	v_fmaak_f32 v15, v14, v15, 0xbe17213c
	v_fmaak_f32 v16, v14, v16, 0x3d845a15
	v_fmac_f32_e32 v15, v8, v16
	v_fmaak_f32 v8, v14, v17, 0x3ef7b95e
	v_fma_f32 v14, v14, -v15, 0xa2863e55
	v_fma_f32 v8, v13, v8, -v14
	v_add_f32_e32 v8, 0xbdf8cdce, v8
	v_add_f32_e32 v12, v12, v8
.LBB164_1782:
	s_or_b32 exec_lo, exec_lo, s14
                                        ; implicit-def: $vgpr13
                                        ; implicit-def: $vgpr8
.LBB164_1783:
	s_andn2_saveexec_b32 s2, s2
	s_cbranch_execz .LBB164_1787
; %bb.1784:
	s_mov_b32 s14, exec_lo
	v_cmpx_eq_u32_e32 0, v13
	s_cbranch_execz .LBB164_1786
; %bb.1785:
	v_mul_f32_e32 v13, v8, v8
	s_mov_b32 s15, 0x383c2c75
	v_fmaak_f32 v14, s15, v13, 0x38e28445
	s_mov_b32 s15, 0x37d383a2
	v_fmaak_f32 v15, s15, v13, 0x39679767
	v_fmaak_f32 v14, v13, v14, 0x3a05b634
	;; [unrolled: 1-line block ×9, first 2 shown]
	v_mul_f32_e32 v13, v13, v14
	v_fmac_f32_e32 v13, v8, v15
	v_fmac_f32_e32 v13, -0.5, v8
	v_add_f32_e32 v12, v12, v13
.LBB164_1786:
	s_or_b32 exec_lo, exec_lo, s14
.LBB164_1787:
	s_or_b32 exec_lo, exec_lo, s2
.LBB164_1788:
	s_or_b32 exec_lo, exec_lo, s7
.LBB164_1789:
	s_andn2_saveexec_b32 s2, s3
	s_cbranch_execz .LBB164_1791
; %bb.1790:
	v_cmp_gt_f32_e64 s3, 0x800000, |v9|
	s_mov_b32 s7, 0x3e8a8991
	v_fma_f32 v14, |v9|, s7, 0xbecd26ab
	v_cndmask_b32_e64 v8, 0, 32, s3
	v_ldexp_f32 v8, |v9|, v8
	v_log_f32_e32 v8, v8
	v_mul_f32_e32 v12, 0x3f317217, v8
	v_cmp_gt_f32_e64 vcc_lo, 0x7f800000, |v8|
	v_fma_f32 v13, 0x3f317217, v8, -v12
	v_fmamk_f32 v13, v8, 0x3377d1cf, v13
	v_add_f32_e32 v12, v12, v13
	v_fma_f32 v13, |v9|, v14, 0x3f528d33
	v_cndmask_b32_e32 v8, v8, v12, vcc_lo
	v_cndmask_b32_e64 v12, 0, 0x41b17218, s3
	v_fma_f32 v13, |v9|, v13, 0xbf13c468
	v_sub_f32_e32 v8, v8, v12
	v_fma_f32 v12, |v9|, v13, -v8
.LBB164_1791:
	s_or_b32 exec_lo, exec_lo, s2
	v_cmp_le_f32_e64 s2, 0, v9
	s_mov_b32 s3, exec_lo
	v_cmpx_nle_f32_e32 0, v9
	s_xor_b32 s7, exec_lo, s3
	s_cbranch_execz .LBB164_1795
; %bb.1792:
	v_cmp_gt_f32_e64 s3, 0x4b000000, |v9|
	v_cmp_lt_f32_e64 s14, 0x35000000, |v9|
	s_and_b32 s3, s3, s14
	s_and_saveexec_b32 s14, s3
	s_cbranch_execz .LBB164_1794
; %bb.1793:
	v_mul_f32_e64 v8, |v9|, 0.5
	v_cmp_gt_f32_e64 s3, |v9|, 1.0
	s_mov_b32 s15, 0x3d4be544
	v_floor_f32_e32 v13, v8
	v_cmp_neq_f32_e32 vcc_lo, 0x7f800000, v8
	v_sub_f32_e32 v13, v8, v13
	v_min_f32_e32 v13, 0x3f7fffff, v13
	v_add_f32_e32 v13, v13, v13
	v_cndmask_b32_e32 v8, 0, v13, vcc_lo
	v_cndmask_b32_e64 v8, |v9|, v8, s3
	s_mov_b32 s3, 0x3e75aa41
	v_add_f32_e32 v13, v8, v8
	v_rndne_f32_e32 v13, v13
	v_fmac_f32_e32 v8, -0.5, v13
	v_cvt_i32_f32_e32 v13, v13
	v_mul_f32_e32 v14, v8, v8
	v_fmaak_f32 v15, s3, v14, 0xbf1f24be
	v_fmaak_f32 v16, s15, v14, 0x3e642e9d
	v_mul_f32_e32 v17, v8, v14
	v_fmaak_f32 v15, v14, v15, 0x40234736
	v_fmaak_f32 v16, v14, v16, 0xbfaad1da
	;; [unrolled: 1-line block ×4, first 2 shown]
	v_mul_f32_e32 v15, v17, v15
	v_fmaak_f32 v16, v14, v16, 0xc09de9e6
	v_and_b32_e32 v17, 1, v13
	v_lshlrev_b32_e32 v13, 30, v13
	v_fmamk_f32 v8, v8, 0x40490fdb, v15
	v_fma_f32 v14, v14, v16, 1.0
	v_cmp_eq_u32_e32 vcc_lo, 0, v17
	v_and_or_b32 v5, 0x80000000, v13, v5
	v_cndmask_b32_e32 v8, v14, v8, vcc_lo
	v_xor3_b32 v5, v5, v8, v9
	v_mul_f32_e32 v5, v9, v5
	v_frexp_mant_f32_e64 v8, |v5|
	v_frexp_exp_i32_f32_e32 v5, v5
	v_rcp_f32_e32 v8, v8
	v_sub_nc_u32_e32 v5, 2, v5
	v_mul_f32_e32 v8, 0x3f490fdb, v8
	v_ldexp_f32 v5, v8, v5
	v_cmp_gt_f32_e32 vcc_lo, 0x800000, v5
	v_cndmask_b32_e64 v8, 0, 32, vcc_lo
	v_ldexp_f32 v5, v5, v8
	v_log_f32_e32 v5, v5
	v_mul_f32_e32 v8, 0x3f317217, v5
	v_cmp_gt_f32_e64 s3, 0x7f800000, |v5|
	v_fma_f32 v13, 0x3f317217, v5, -v8
	v_fmamk_f32 v13, v5, 0x3377d1cf, v13
	v_add_f32_e32 v8, v8, v13
	v_floor_f32_e32 v13, v9
	v_cndmask_b32_e64 v5, v5, v8, s3
	v_cndmask_b32_e64 v8, 0, 0x41b17218, vcc_lo
	v_sub_f32_e32 v13, v9, v13
	v_sub_f32_e32 v5, v5, v8
	v_min_f32_e32 v8, 0x3f7fffff, v13
	v_sub_f32_e32 v5, v5, v12
	v_cmp_neq_f32_e32 vcc_lo, 0, v8
	v_cndmask_b32_e32 v12, 0x7f800000, v5, vcc_lo
.LBB164_1794:
	s_or_b32 exec_lo, exec_lo, s14
.LBB164_1795:
	s_andn2_saveexec_b32 s7, s7
; %bb.1796:
	v_cmp_eq_f32_e32 vcc_lo, 1.0, v9
	v_cmp_eq_f32_e64 s3, 2.0, v9
	s_or_b32 s3, vcc_lo, s3
	v_cndmask_b32_e64 v12, v12, 0, s3
; %bb.1797:
	s_or_b32 exec_lo, exec_lo, s7
	v_add_co_u32 v7, s3, s10, v7
	v_add_co_ci_u32_e64 v8, null, s11, 0, s3
	s_cmp_lt_i32 s4, 11
	s_cbranch_scc1 .LBB164_1804
; %bb.1798:
	s_and_b32 s3, 0xffff, s4
	s_mov_b32 s10, 0
	s_cmp_gt_i32 s3, 25
	s_cbranch_scc0 .LBB164_1805
; %bb.1799:
	s_cmp_gt_i32 s3, 28
	s_cbranch_scc0 .LBB164_1806
; %bb.1800:
	;; [unrolled: 3-line block ×4, first 2 shown]
	s_cmp_eq_u32 s3, 46
	s_mov_b32 s14, 0
	s_cbranch_scc0 .LBB164_1810
; %bb.1803:
	global_load_dword v5, v[7:8], off
	s_mov_b32 s7, 0
	s_mov_b32 s11, -1
	s_branch .LBB164_1812
.LBB164_1804:
	s_mov_b32 s3, -1
	s_mov_b32 s11, 0
                                        ; implicit-def: $vgpr5
	s_branch .LBB164_1878
.LBB164_1805:
	s_mov_b32 s14, -1
	s_mov_b32 s11, 0
	s_mov_b32 s7, 0
                                        ; implicit-def: $vgpr5
	s_branch .LBB164_1841
.LBB164_1806:
	s_mov_b32 s14, -1
	s_mov_b32 s11, 0
	s_mov_b32 s7, 0
                                        ; implicit-def: $vgpr5
	s_branch .LBB164_1822
.LBB164_1807:
	s_mov_b32 s14, -1
	s_mov_b32 s11, 0
	s_mov_b32 s7, 0
                                        ; implicit-def: $vgpr5
	s_branch .LBB164_1817
.LBB164_1808:
	s_or_b32 s5, s5, exec_lo
	s_trap 2
	s_cbranch_execz .LBB164_1709
	s_branch .LBB164_1710
.LBB164_1809:
	s_mov_b32 s14, -1
	s_mov_b32 s11, 0
	s_mov_b32 s7, 0
	s_branch .LBB164_1811
.LBB164_1810:
	s_mov_b32 s7, -1
	s_mov_b32 s11, 0
.LBB164_1811:
                                        ; implicit-def: $vgpr5
.LBB164_1812:
	s_and_b32 vcc_lo, exec_lo, s14
	s_cbranch_vccz .LBB164_1816
; %bb.1813:
	s_cmp_eq_u32 s3, 44
	s_cbranch_scc0 .LBB164_1815
; %bb.1814:
	global_load_ubyte v5, v[7:8], off
	s_mov_b32 s7, 0
	s_mov_b32 s11, -1
	s_waitcnt vmcnt(0)
	v_lshlrev_b32_e32 v13, 23, v5
	v_cmp_ne_u32_e32 vcc_lo, 0xff, v5
	v_cndmask_b32_e32 v13, 0x7f800001, v13, vcc_lo
	v_cmp_ne_u32_e32 vcc_lo, 0, v5
	v_cndmask_b32_e32 v5, 0x400000, v13, vcc_lo
	v_mov_b32_e32 v13, 0x7fc0
	v_cmp_o_f32_e32 vcc_lo, v5, v5
	v_add_nc_u32_e32 v5, 0x7fff, v5
	v_cndmask_b32_sdwa v5, v13, v5, vcc_lo dst_sel:DWORD dst_unused:UNUSED_PAD src0_sel:DWORD src1_sel:WORD_1
	s_branch .LBB164_1816
.LBB164_1815:
	s_mov_b32 s7, -1
                                        ; implicit-def: $vgpr5
.LBB164_1816:
	s_mov_b32 s14, 0
.LBB164_1817:
	s_and_b32 vcc_lo, exec_lo, s14
	s_cbranch_vccz .LBB164_1821
; %bb.1818:
	s_cmp_eq_u32 s3, 29
	s_cbranch_scc0 .LBB164_1820
; %bb.1819:
	global_load_dwordx2 v[13:14], v[7:8], off
	s_mov_b32 s7, 0
	s_mov_b32 s11, -1
	s_mov_b32 s14, 0
	s_waitcnt vmcnt(0)
	v_ffbh_u32_e32 v5, v14
	v_min_u32_e32 v5, 32, v5
	v_lshlrev_b64 v[13:14], v5, v[13:14]
	v_sub_nc_u32_e32 v5, 32, v5
	v_min_u32_e32 v13, 1, v13
	v_or_b32_e32 v13, v14, v13
	v_cvt_f32_u32_e32 v13, v13
	v_ldexp_f32 v5, v13, v5
	v_bfe_u32 v13, v5, 16, 1
	v_add3_u32 v5, v5, v13, 0x7fff
	v_lshrrev_b32_e32 v5, 16, v5
	s_branch .LBB164_1822
.LBB164_1820:
	s_mov_b32 s7, -1
                                        ; implicit-def: $vgpr5
.LBB164_1821:
	s_mov_b32 s14, 0
.LBB164_1822:
	s_and_b32 vcc_lo, exec_lo, s14
	s_cbranch_vccz .LBB164_1840
; %bb.1823:
	s_cmp_lt_i32 s3, 27
	s_cbranch_scc1 .LBB164_1826
; %bb.1824:
	s_cmp_gt_i32 s3, 27
	s_cbranch_scc0 .LBB164_1827
; %bb.1825:
	global_load_dword v5, v[7:8], off
	s_mov_b32 s11, 0
	s_waitcnt vmcnt(0)
	v_cvt_f32_u32_e32 v5, v5
	v_bfe_u32 v13, v5, 16, 1
	v_add3_u32 v5, v5, v13, 0x7fff
	v_lshrrev_b32_e32 v5, 16, v5
	s_branch .LBB164_1828
.LBB164_1826:
	s_mov_b32 s11, -1
                                        ; implicit-def: $vgpr5
	s_branch .LBB164_1831
.LBB164_1827:
	s_mov_b32 s11, -1
                                        ; implicit-def: $vgpr5
.LBB164_1828:
	s_andn2_b32 vcc_lo, exec_lo, s11
	s_cbranch_vccnz .LBB164_1830
; %bb.1829:
	global_load_ushort v5, v[7:8], off
	s_waitcnt vmcnt(0)
	v_cvt_f32_u32_e32 v5, v5
	v_bfe_u32 v13, v5, 16, 1
	v_add3_u32 v5, v5, v13, 0x7fff
	v_lshrrev_b32_e32 v5, 16, v5
.LBB164_1830:
	s_mov_b32 s11, 0
.LBB164_1831:
	s_andn2_b32 vcc_lo, exec_lo, s11
	s_cbranch_vccnz .LBB164_1839
; %bb.1832:
	global_load_ubyte v5, v[7:8], off
	s_mov_b32 s11, 0
	s_mov_b32 s14, exec_lo
	s_waitcnt vmcnt(0)
	v_cmpx_lt_i16_e32 0x7f, v5
	s_xor_b32 s14, exec_lo, s14
	s_cbranch_execz .LBB164_1853
; %bb.1833:
	s_mov_b32 s11, -1
	s_mov_b32 s15, exec_lo
	v_cmpx_eq_u16_e32 0x80, v5
; %bb.1834:
	s_xor_b32 s11, exec_lo, -1
; %bb.1835:
	s_or_b32 exec_lo, exec_lo, s15
	s_and_b32 s11, s11, exec_lo
	s_or_saveexec_b32 s14, s14
	v_mov_b32_e32 v13, 0x7f800001
	s_xor_b32 exec_lo, exec_lo, s14
	s_cbranch_execnz .LBB164_1854
.LBB164_1836:
	s_or_b32 exec_lo, exec_lo, s14
	s_and_saveexec_b32 s14, s11
	s_cbranch_execz .LBB164_1838
.LBB164_1837:
	v_and_b32_e32 v13, 0xffff, v5
	v_lshlrev_b32_e32 v5, 24, v5
	v_and_b32_e32 v14, 7, v13
	v_bfe_u32 v17, v13, 3, 4
	v_and_b32_e32 v5, 0x80000000, v5
	v_ffbh_u32_e32 v15, v14
	v_cmp_eq_u32_e32 vcc_lo, 0, v17
	v_min_u32_e32 v15, 32, v15
	v_subrev_nc_u32_e32 v16, 28, v15
	v_sub_nc_u32_e32 v15, 29, v15
	v_lshlrev_b32_e32 v13, v16, v13
	v_cndmask_b32_e32 v15, v17, v15, vcc_lo
	v_and_b32_e32 v13, 7, v13
	v_cndmask_b32_e32 v13, v14, v13, vcc_lo
	v_lshl_add_u32 v14, v15, 23, 0x3b800000
	v_lshlrev_b32_e32 v13, 20, v13
	v_or3_b32 v13, v5, v14, v13
.LBB164_1838:
	s_or_b32 exec_lo, exec_lo, s14
	v_bfe_u32 v5, v13, 16, 1
	v_cmp_o_f32_e32 vcc_lo, v13, v13
	v_add3_u32 v5, v13, v5, 0x7fff
	v_mov_b32_e32 v13, 0x7fc0
	v_cndmask_b32_sdwa v5, v13, v5, vcc_lo dst_sel:DWORD dst_unused:UNUSED_PAD src0_sel:DWORD src1_sel:WORD_1
.LBB164_1839:
	s_mov_b32 s11, -1
.LBB164_1840:
	s_mov_b32 s14, 0
.LBB164_1841:
	s_and_b32 vcc_lo, exec_lo, s14
	s_cbranch_vccz .LBB164_1874
; %bb.1842:
	s_cmp_gt_i32 s3, 22
	s_cbranch_scc0 .LBB164_1852
; %bb.1843:
	s_cmp_lt_i32 s3, 24
	s_cbranch_scc1 .LBB164_1855
; %bb.1844:
	s_cmp_gt_i32 s3, 24
	s_cbranch_scc0 .LBB164_1856
; %bb.1845:
	global_load_ubyte v5, v[7:8], off
	s_mov_b32 s11, exec_lo
	s_waitcnt vmcnt(0)
	v_cmpx_lt_i16_e32 0x7f, v5
	s_xor_b32 s11, exec_lo, s11
	s_cbranch_execz .LBB164_1868
; %bb.1846:
	s_mov_b32 s10, -1
	s_mov_b32 s14, exec_lo
	v_cmpx_eq_u16_e32 0x80, v5
; %bb.1847:
	s_xor_b32 s10, exec_lo, -1
; %bb.1848:
	s_or_b32 exec_lo, exec_lo, s14
	s_and_b32 s10, s10, exec_lo
	s_or_saveexec_b32 s11, s11
	v_mov_b32_e32 v13, 0x7f800001
	s_xor_b32 exec_lo, exec_lo, s11
	s_cbranch_execnz .LBB164_1869
.LBB164_1849:
	s_or_b32 exec_lo, exec_lo, s11
	s_and_saveexec_b32 s11, s10
	s_cbranch_execz .LBB164_1851
.LBB164_1850:
	v_and_b32_e32 v13, 0xffff, v5
	v_lshlrev_b32_e32 v5, 24, v5
	v_and_b32_e32 v14, 3, v13
	v_bfe_u32 v17, v13, 2, 5
	v_and_b32_e32 v5, 0x80000000, v5
	v_ffbh_u32_e32 v15, v14
	v_cmp_eq_u32_e32 vcc_lo, 0, v17
	v_min_u32_e32 v15, 32, v15
	v_subrev_nc_u32_e32 v16, 29, v15
	v_sub_nc_u32_e32 v15, 30, v15
	v_lshlrev_b32_e32 v13, v16, v13
	v_cndmask_b32_e32 v15, v17, v15, vcc_lo
	v_and_b32_e32 v13, 3, v13
	v_cndmask_b32_e32 v13, v14, v13, vcc_lo
	v_lshl_add_u32 v14, v15, 23, 0x37800000
	v_lshlrev_b32_e32 v13, 21, v13
	v_or3_b32 v13, v5, v14, v13
.LBB164_1851:
	s_or_b32 exec_lo, exec_lo, s11
	v_bfe_u32 v5, v13, 16, 1
	v_cmp_o_f32_e32 vcc_lo, v13, v13
	s_mov_b32 s10, 0
	v_add3_u32 v5, v13, v5, 0x7fff
	v_mov_b32_e32 v13, 0x7fc0
	v_cndmask_b32_sdwa v5, v13, v5, vcc_lo dst_sel:DWORD dst_unused:UNUSED_PAD src0_sel:DWORD src1_sel:WORD_1
	s_branch .LBB164_1857
.LBB164_1852:
	s_mov_b32 s10, -1
                                        ; implicit-def: $vgpr5
	s_branch .LBB164_1863
.LBB164_1853:
	s_or_saveexec_b32 s14, s14
	v_mov_b32_e32 v13, 0x7f800001
	s_xor_b32 exec_lo, exec_lo, s14
	s_cbranch_execz .LBB164_1836
.LBB164_1854:
	v_cmp_ne_u16_e32 vcc_lo, 0, v5
	v_mov_b32_e32 v13, 0
	s_andn2_b32 s11, s11, exec_lo
	s_and_b32 s15, vcc_lo, exec_lo
	s_or_b32 s11, s11, s15
	s_or_b32 exec_lo, exec_lo, s14
	s_and_saveexec_b32 s14, s11
	s_cbranch_execnz .LBB164_1837
	s_branch .LBB164_1838
.LBB164_1855:
	s_mov_b32 s10, -1
                                        ; implicit-def: $vgpr5
	s_branch .LBB164_1860
.LBB164_1856:
	s_mov_b32 s10, -1
                                        ; implicit-def: $vgpr5
.LBB164_1857:
	s_and_b32 vcc_lo, exec_lo, s10
	s_cbranch_vccz .LBB164_1859
; %bb.1858:
	global_load_ubyte v5, v[7:8], off
	s_waitcnt vmcnt(0)
	v_lshlrev_b32_e32 v5, 24, v5
	v_and_b32_e32 v13, 0x7f000000, v5
	v_ffbh_u32_e32 v14, v13
	v_add_nc_u32_e32 v16, 0x1000000, v13
	v_cmp_ne_u32_e32 vcc_lo, 0, v13
	v_min_u32_e32 v14, 32, v14
	v_sub_nc_u32_e64 v14, v14, 4 clamp
	v_lshlrev_b32_e32 v15, v14, v13
	v_lshlrev_b32_e32 v14, 23, v14
	v_lshrrev_b32_e32 v15, 4, v15
	v_sub_nc_u32_e32 v14, v15, v14
	v_ashrrev_i32_e32 v15, 8, v16
	v_add_nc_u32_e32 v14, 0x3c000000, v14
	v_and_or_b32 v14, 0x7f800000, v15, v14
	v_cndmask_b32_e32 v13, 0, v14, vcc_lo
	v_and_or_b32 v5, 0x80000000, v5, v13
	v_bfe_u32 v13, v13, 16, 1
	v_cmp_o_f32_e32 vcc_lo, v5, v5
	v_add3_u32 v5, v5, v13, 0x7fff
	v_mov_b32_e32 v13, 0x7fc0
	v_cndmask_b32_sdwa v5, v13, v5, vcc_lo dst_sel:DWORD dst_unused:UNUSED_PAD src0_sel:DWORD src1_sel:WORD_1
.LBB164_1859:
	s_mov_b32 s10, 0
.LBB164_1860:
	s_andn2_b32 vcc_lo, exec_lo, s10
	s_cbranch_vccnz .LBB164_1862
; %bb.1861:
	global_load_ubyte v5, v[7:8], off
	s_waitcnt vmcnt(0)
	v_lshlrev_b32_e32 v13, 25, v5
	v_lshlrev_b16 v5, 8, v5
	v_lshrrev_b32_e32 v14, 4, v13
	v_and_or_b32 v15, 0x7f00, v5, 0.5
	v_cmp_gt_u32_e32 vcc_lo, 0x8000000, v13
	v_bfe_i32 v5, v5, 0, 16
	v_or_b32_e32 v14, 0x70000000, v14
	v_add_f32_e32 v15, -0.5, v15
	v_mul_f32_e32 v14, 0x7800000, v14
	v_cndmask_b32_e32 v13, v14, v15, vcc_lo
	v_and_or_b32 v5, 0x80000000, v5, v13
	v_bfe_u32 v13, v13, 16, 1
	v_cmp_o_f32_e32 vcc_lo, v5, v5
	v_add3_u32 v5, v5, v13, 0x7fff
	v_mov_b32_e32 v13, 0x7fc0
	v_cndmask_b32_sdwa v5, v13, v5, vcc_lo dst_sel:DWORD dst_unused:UNUSED_PAD src0_sel:DWORD src1_sel:WORD_1
.LBB164_1862:
	s_mov_b32 s10, 0
	s_mov_b32 s11, -1
.LBB164_1863:
	s_andn2_b32 vcc_lo, exec_lo, s10
	s_mov_b32 s10, 0
	s_cbranch_vccnz .LBB164_1874
; %bb.1864:
	s_cmp_gt_i32 s3, 14
	s_cbranch_scc0 .LBB164_1867
; %bb.1865:
	s_cmp_eq_u32 s3, 15
	s_cbranch_scc0 .LBB164_1870
; %bb.1866:
	global_load_ushort v5, v[7:8], off
	s_mov_b32 s7, 0
	s_mov_b32 s11, -1
	s_branch .LBB164_1872
.LBB164_1867:
	s_mov_b32 s10, -1
	s_branch .LBB164_1871
.LBB164_1868:
	s_or_saveexec_b32 s11, s11
	v_mov_b32_e32 v13, 0x7f800001
	s_xor_b32 exec_lo, exec_lo, s11
	s_cbranch_execz .LBB164_1849
.LBB164_1869:
	v_cmp_ne_u16_e32 vcc_lo, 0, v5
	v_mov_b32_e32 v13, 0
	s_andn2_b32 s10, s10, exec_lo
	s_and_b32 s14, vcc_lo, exec_lo
	s_or_b32 s10, s10, s14
	s_or_b32 exec_lo, exec_lo, s11
	s_and_saveexec_b32 s11, s10
	s_cbranch_execnz .LBB164_1850
	s_branch .LBB164_1851
.LBB164_1870:
	s_mov_b32 s7, -1
.LBB164_1871:
                                        ; implicit-def: $vgpr5
.LBB164_1872:
	s_and_b32 vcc_lo, exec_lo, s10
	s_mov_b32 s10, 0
	s_cbranch_vccz .LBB164_1874
; %bb.1873:
	s_cmp_lg_u32 s3, 11
	s_mov_b32 s10, -1
	s_cselect_b32 s7, -1, 0
.LBB164_1874:
	s_and_b32 vcc_lo, exec_lo, s7
	s_cbranch_vccnz .LBB164_2445
; %bb.1875:
	s_andn2_b32 vcc_lo, exec_lo, s10
	s_cbranch_vccnz .LBB164_1877
.LBB164_1876:
	global_load_ubyte v5, v[7:8], off
	s_mov_b32 s11, -1
	s_waitcnt vmcnt(0)
	v_cmp_ne_u16_e32 vcc_lo, 0, v5
	v_cndmask_b32_e64 v5, 0, 1.0, vcc_lo
	v_lshrrev_b32_e32 v5, 16, v5
.LBB164_1877:
	s_mov_b32 s3, 0
.LBB164_1878:
	s_and_b32 vcc_lo, exec_lo, s3
	s_cbranch_vccz .LBB164_1927
; %bb.1879:
	s_and_b32 s3, 0xffff, s4
	s_cmp_lt_i32 s3, 5
	s_cbranch_scc1 .LBB164_1884
; %bb.1880:
	s_cmp_lt_i32 s3, 8
	s_cbranch_scc1 .LBB164_1885
; %bb.1881:
	;; [unrolled: 3-line block ×3, first 2 shown]
	s_cmp_gt_i32 s3, 9
	s_cbranch_scc0 .LBB164_1887
; %bb.1883:
	global_load_dwordx2 v[13:14], v[7:8], off
	s_mov_b32 s4, 0
	s_waitcnt vmcnt(0)
	v_cvt_f32_f64_e32 v5, v[13:14]
	v_bfe_u32 v13, v5, 16, 1
	v_cmp_o_f32_e32 vcc_lo, v5, v5
	v_add3_u32 v5, v5, v13, 0x7fff
	v_mov_b32_e32 v13, 0x7fc0
	v_cndmask_b32_sdwa v5, v13, v5, vcc_lo dst_sel:DWORD dst_unused:UNUSED_PAD src0_sel:DWORD src1_sel:WORD_1
	s_branch .LBB164_1888
.LBB164_1884:
	s_mov_b32 s4, -1
                                        ; implicit-def: $vgpr5
	s_branch .LBB164_1906
.LBB164_1885:
	s_mov_b32 s4, -1
                                        ; implicit-def: $vgpr5
	s_branch .LBB164_1894
.LBB164_1886:
	s_mov_b32 s4, -1
                                        ; implicit-def: $vgpr5
	s_branch .LBB164_1891
.LBB164_1887:
	s_mov_b32 s4, -1
                                        ; implicit-def: $vgpr5
.LBB164_1888:
	s_andn2_b32 vcc_lo, exec_lo, s4
	s_cbranch_vccnz .LBB164_1890
; %bb.1889:
	global_load_dword v5, v[7:8], off
	s_waitcnt vmcnt(0)
	v_bfe_u32 v13, v5, 16, 1
	v_cmp_o_f32_e32 vcc_lo, v5, v5
	v_add3_u32 v5, v5, v13, 0x7fff
	v_mov_b32_e32 v13, 0x7fc0
	v_cndmask_b32_sdwa v5, v13, v5, vcc_lo dst_sel:DWORD dst_unused:UNUSED_PAD src0_sel:DWORD src1_sel:WORD_1
.LBB164_1890:
	s_mov_b32 s4, 0
.LBB164_1891:
	s_andn2_b32 vcc_lo, exec_lo, s4
	s_cbranch_vccnz .LBB164_1893
; %bb.1892:
	global_load_dword v5, v[7:8], off
	s_waitcnt vmcnt(0)
	v_cvt_f32_f16_e32 v13, v5
	v_cmp_o_f16_e32 vcc_lo, v5, v5
	v_bfe_u32 v14, v13, 16, 1
	v_add3_u32 v5, v13, v14, 0x7fff
	v_mov_b32_e32 v13, 0x7fc0
	v_cndmask_b32_sdwa v5, v13, v5, vcc_lo dst_sel:DWORD dst_unused:UNUSED_PAD src0_sel:DWORD src1_sel:WORD_1
.LBB164_1893:
	s_mov_b32 s4, 0
.LBB164_1894:
	s_andn2_b32 vcc_lo, exec_lo, s4
	s_cbranch_vccnz .LBB164_1905
; %bb.1895:
	s_cmp_lt_i32 s3, 6
	s_cbranch_scc1 .LBB164_1898
; %bb.1896:
	s_cmp_gt_i32 s3, 6
	s_cbranch_scc0 .LBB164_1899
; %bb.1897:
	global_load_dwordx2 v[13:14], v[7:8], off
	s_mov_b32 s4, 0
	s_waitcnt vmcnt(0)
	v_cvt_f32_f64_e32 v5, v[13:14]
	v_bfe_u32 v13, v5, 16, 1
	v_cmp_o_f32_e32 vcc_lo, v5, v5
	v_add3_u32 v5, v5, v13, 0x7fff
	v_mov_b32_e32 v13, 0x7fc0
	v_cndmask_b32_sdwa v5, v13, v5, vcc_lo dst_sel:DWORD dst_unused:UNUSED_PAD src0_sel:DWORD src1_sel:WORD_1
	s_branch .LBB164_1900
.LBB164_1898:
	s_mov_b32 s4, -1
                                        ; implicit-def: $vgpr5
	s_branch .LBB164_1903
.LBB164_1899:
	s_mov_b32 s4, -1
                                        ; implicit-def: $vgpr5
.LBB164_1900:
	s_andn2_b32 vcc_lo, exec_lo, s4
	s_cbranch_vccnz .LBB164_1902
; %bb.1901:
	global_load_dword v5, v[7:8], off
	s_waitcnt vmcnt(0)
	v_bfe_u32 v13, v5, 16, 1
	v_cmp_o_f32_e32 vcc_lo, v5, v5
	v_add3_u32 v5, v5, v13, 0x7fff
	v_mov_b32_e32 v13, 0x7fc0
	v_cndmask_b32_sdwa v5, v13, v5, vcc_lo dst_sel:DWORD dst_unused:UNUSED_PAD src0_sel:DWORD src1_sel:WORD_1
.LBB164_1902:
	s_mov_b32 s4, 0
.LBB164_1903:
	s_andn2_b32 vcc_lo, exec_lo, s4
	s_cbranch_vccnz .LBB164_1905
; %bb.1904:
	global_load_ushort v5, v[7:8], off
	s_waitcnt vmcnt(0)
	v_cvt_f32_f16_e32 v13, v5
	v_cmp_o_f16_e32 vcc_lo, v5, v5
	v_bfe_u32 v14, v13, 16, 1
	v_add3_u32 v5, v13, v14, 0x7fff
	v_mov_b32_e32 v13, 0x7fc0
	v_cndmask_b32_sdwa v5, v13, v5, vcc_lo dst_sel:DWORD dst_unused:UNUSED_PAD src0_sel:DWORD src1_sel:WORD_1
.LBB164_1905:
	s_mov_b32 s4, 0
.LBB164_1906:
	s_andn2_b32 vcc_lo, exec_lo, s4
	s_cbranch_vccnz .LBB164_1926
; %bb.1907:
	s_cmp_lt_i32 s3, 2
	s_cbranch_scc1 .LBB164_1911
; %bb.1908:
	s_cmp_lt_i32 s3, 3
	s_cbranch_scc1 .LBB164_1912
; %bb.1909:
	s_cmp_gt_i32 s3, 3
	s_cbranch_scc0 .LBB164_1913
; %bb.1910:
	global_load_dwordx2 v[13:14], v[7:8], off
	s_mov_b32 s4, 0
	s_waitcnt vmcnt(0)
	v_xor_b32_e32 v5, v13, v14
	v_ffbh_i32_e32 v15, v14
	v_ashrrev_i32_e32 v5, 31, v5
	v_add_nc_u32_e32 v15, -1, v15
	v_add_nc_u32_e32 v5, 32, v5
	v_min_u32_e32 v5, v15, v5
	v_lshlrev_b64 v[13:14], v5, v[13:14]
	v_sub_nc_u32_e32 v5, 32, v5
	v_min_u32_e32 v13, 1, v13
	v_or_b32_e32 v13, v14, v13
	v_cvt_f32_i32_e32 v13, v13
	v_ldexp_f32 v5, v13, v5
	v_bfe_u32 v13, v5, 16, 1
	v_add3_u32 v5, v5, v13, 0x7fff
	v_lshrrev_b32_e32 v5, 16, v5
	s_branch .LBB164_1914
.LBB164_1911:
	s_mov_b32 s4, -1
                                        ; implicit-def: $vgpr5
	s_branch .LBB164_1920
.LBB164_1912:
	s_mov_b32 s4, -1
                                        ; implicit-def: $vgpr5
	s_branch .LBB164_1917
.LBB164_1913:
	s_mov_b32 s4, -1
                                        ; implicit-def: $vgpr5
.LBB164_1914:
	s_andn2_b32 vcc_lo, exec_lo, s4
	s_cbranch_vccnz .LBB164_1916
; %bb.1915:
	global_load_dword v5, v[7:8], off
	s_waitcnt vmcnt(0)
	v_cvt_f32_i32_e32 v5, v5
	v_bfe_u32 v13, v5, 16, 1
	v_add3_u32 v5, v5, v13, 0x7fff
	v_lshrrev_b32_e32 v5, 16, v5
.LBB164_1916:
	s_mov_b32 s4, 0
.LBB164_1917:
	s_andn2_b32 vcc_lo, exec_lo, s4
	s_cbranch_vccnz .LBB164_1919
; %bb.1918:
	global_load_sshort v5, v[7:8], off
	s_waitcnt vmcnt(0)
	v_cvt_f32_i32_e32 v5, v5
	v_bfe_u32 v13, v5, 16, 1
	v_add3_u32 v5, v5, v13, 0x7fff
	v_lshrrev_b32_e32 v5, 16, v5
.LBB164_1919:
	s_mov_b32 s4, 0
.LBB164_1920:
	s_andn2_b32 vcc_lo, exec_lo, s4
	s_cbranch_vccnz .LBB164_1926
; %bb.1921:
	s_cmp_gt_i32 s3, 0
	s_mov_b32 s3, 0
	s_cbranch_scc0 .LBB164_1923
; %bb.1922:
	global_load_sbyte v5, v[7:8], off
	s_waitcnt vmcnt(0)
	v_cvt_f32_i32_e32 v5, v5
	v_bfe_u32 v13, v5, 16, 1
	v_add3_u32 v5, v5, v13, 0x7fff
	v_lshrrev_b32_e32 v5, 16, v5
	s_branch .LBB164_1924
.LBB164_1923:
	s_mov_b32 s3, -1
                                        ; implicit-def: $vgpr5
.LBB164_1924:
	s_andn2_b32 vcc_lo, exec_lo, s3
	s_cbranch_vccnz .LBB164_1926
; %bb.1925:
	global_load_ubyte v5, v[7:8], off
	s_waitcnt vmcnt(0)
	v_cvt_f32_ubyte0_e32 v5, v5
	v_bfe_u32 v7, v5, 16, 1
	v_add3_u32 v5, v5, v7, 0x7fff
	v_lshrrev_b32_e32 v5, 16, v5
.LBB164_1926:
	s_mov_b32 s11, -1
.LBB164_1927:
	s_andn2_b32 vcc_lo, exec_lo, s11
	s_cbranch_vccnz .LBB164_2399
; %bb.1928:
	s_waitcnt vmcnt(0)
	v_lshlrev_b32_e32 v7, 16, v5
	s_mov_b32 s4, exec_lo
                                        ; implicit-def: $vgpr8
	v_and_b32_e32 v5, 0x7fffffff, v7
	v_cmpx_ngt_f32_e64 0x3c800000, |v7|
	s_xor_b32 s4, exec_lo, s4
	s_cbranch_execz .LBB164_1958
; %bb.1929:
	s_mov_b32 s7, exec_lo
                                        ; implicit-def: $vgpr8
	v_cmpx_nlt_f32_e64 |v7|, 2.0
	s_xor_b32 s7, exec_lo, s7
	s_cbranch_execz .LBB164_1939
; %bb.1930:
	v_cmp_ngt_f32_e64 s3, 0x41000000, |v7|
                                        ; implicit-def: $vgpr8
	s_and_saveexec_b32 s10, s3
	s_xor_b32 s3, exec_lo, s10
	s_cbranch_execz .LBB164_1936
; %bb.1931:
	v_cmp_ngt_f32_e64 s10, 0x5c800000, |v7|
                                        ; implicit-def: $vgpr8
	s_and_saveexec_b32 s11, s10
	s_xor_b32 s10, exec_lo, s11
	s_cbranch_execz .LBB164_1933
; %bb.1932:
	v_cmp_gt_f32_e64 s11, 0x800000, |v7|
	v_cndmask_b32_e64 v8, 0, 32, s11
	v_ldexp_f32 v8, |v7|, v8
	v_log_f32_e32 v8, v8
	v_mul_f32_e32 v13, 0x3f317217, v8
	v_cmp_gt_f32_e64 vcc_lo, 0x7f800000, |v8|
	v_fma_f32 v14, 0x3f317217, v8, -v13
	v_fmamk_f32 v14, v8, 0x3377d1cf, v14
	v_add_f32_e32 v13, v13, v14
	v_cndmask_b32_e32 v8, v8, v13, vcc_lo
	v_cndmask_b32_e64 v13, 0, 0x41b17218, s11
	v_sub_f32_e32 v8, v8, v13
	v_fma_f32 v8, |v7|, v8, -|v7|
.LBB164_1933:
	s_andn2_saveexec_b32 s10, s10
	s_cbranch_execz .LBB164_1935
; %bb.1934:
	v_cmp_gt_f32_e64 s11, 0x800000, |v7|
	v_rcp_f32_e64 v13, |v7|
	s_mov_b32 s14, 0xbad5c4e8
	v_cndmask_b32_e64 v8, 0, 32, s11
	v_ldexp_f32 v8, |v7|, v8
	v_mul_f32_e32 v14, v13, v13
	v_log_f32_e32 v8, v8
	v_fmaak_f32 v16, s14, v14, 0x3a5b3dd2
	v_fmaak_f32 v16, v14, v16, 0xba1c065c
	v_mul_f32_e32 v15, 0x3f317217, v8
	v_fmaak_f32 v16, v14, v16, 0x3a500cfd
	v_cmp_gt_f32_e64 vcc_lo, 0x7f800000, |v8|
	v_fma_f32 v17, 0x3f317217, v8, -v15
	v_fmaak_f32 v16, v14, v16, 0xbb360b61
	v_fmamk_f32 v17, v8, 0x3377d1cf, v17
	v_fmaak_f32 v14, v14, v16, 0x3daaaaab
	v_add_f32_e32 v15, v15, v17
	v_cndmask_b32_e32 v8, v8, v15, vcc_lo
	v_cndmask_b32_e64 v15, 0, 0x41b17218, s11
	v_sub_f32_e32 v15, v8, v15
	v_fmaak_f32 v8, v13, v14, 0x3ed67f1d
	v_add_f32_e64 v13, |v7|, -0.5
	v_add_f32_e32 v14, -1.0, v15
	v_fmac_f32_e32 v8, v13, v14
.LBB164_1935:
	s_or_b32 exec_lo, exec_lo, s10
.LBB164_1936:
	s_andn2_saveexec_b32 s10, s3
	s_cbranch_execz .LBB164_1938
; %bb.1937:
	v_cvt_i32_f32_e32 v8, v5
	s_mov_b32 s3, 0x36f5d7bd
	s_mov_b32 s11, 0x3805ff67
	v_cvt_f32_i32_e32 v13, v8
	v_cmp_lt_i32_e32 vcc_lo, 2, v8
	v_sub_f32_e64 v13, |v7|, v13
	v_add_f32_e32 v14, 2.0, v13
	v_add_f32_e32 v15, 0x40400000, v13
	v_add_f32_e32 v16, 4.0, v13
	v_add_f32_e32 v17, 0x40a00000, v13
	v_cndmask_b32_e32 v14, 1.0, v14, vcc_lo
	v_cmp_lt_i32_e32 vcc_lo, 3, v8
	v_cndmask_b32_e32 v15, 1.0, v15, vcc_lo
	v_cmp_lt_i32_e32 vcc_lo, 4, v8
	v_mul_f32_e32 v14, v14, v15
	v_cndmask_b32_e32 v16, 1.0, v16, vcc_lo
	v_cmp_lt_i32_e32 vcc_lo, 5, v8
	v_add_f32_e32 v15, 0x40c00000, v13
	v_mul_f32_e32 v14, v16, v14
	v_cndmask_b32_e32 v17, 1.0, v17, vcc_lo
	v_cmp_lt_i32_e32 vcc_lo, 6, v8
	v_fmaak_f32 v16, s11, v13, 0x3af135b4
	v_mul_f32_e32 v14, v17, v14
	v_cndmask_b32_e32 v8, 1.0, v15, vcc_lo
	v_mul_f32_e32 v8, v8, v14
	v_fmaak_f32 v14, s3, v13, 0x3a4beed6
	v_cmp_gt_f32_e32 vcc_lo, 0x800000, v8
	v_fmaak_f32 v14, v13, v14, 0x3c98bf54
	v_cndmask_b32_e64 v15, 0, 32, vcc_lo
	v_fmaak_f32 v14, v13, v14, 0x3e300f6e
	v_ldexp_f32 v8, v8, v15
	v_fmaak_f32 v15, v13, v16, 0x3cda40e4
	v_fmaak_f32 v14, v13, v14, 0x3f38d0c5
	v_log_f32_e32 v8, v8
	v_fmaak_f32 v15, v13, v15, 0x3e15dce6
	v_fmaak_f32 v14, v13, v14, 0x3fb22d3b
	;; [unrolled: 1-line block ×3, first 2 shown]
	v_fma_f32 v14, v13, v14, 1.0
	v_mul_f32_e32 v16, 0x3f317217, v8
	v_fmaak_f32 v15, v13, v15, 0x3e5c245a
	v_rcp_f32_e32 v14, v14
	v_cmp_gt_f32_e64 s3, 0x7f800000, |v8|
	v_fma_f32 v17, 0x3f317217, v8, -v16
	v_fmaak_f32 v15, v13, v15, 0xbd9e233f
	v_fmamk_f32 v17, v8, 0x3377d1cf, v17
	v_mul_f32_e32 v15, v13, v15
	v_add_f32_e32 v16, v16, v17
	v_mul_f32_e32 v14, v15, v14
	v_cndmask_b32_e64 v15, 0, 0x41b17218, vcc_lo
	v_cndmask_b32_e64 v8, v8, v16, s3
	v_fmac_f32_e32 v14, 0.5, v13
	v_sub_f32_e32 v8, v8, v15
	v_add_f32_e32 v8, v8, v14
.LBB164_1938:
	s_or_b32 exec_lo, exec_lo, s10
.LBB164_1939:
	s_andn2_saveexec_b32 s7, s7
	s_cbranch_execz .LBB164_1957
; %bb.1940:
	s_mov_b32 s10, exec_lo
                                        ; implicit-def: $vgpr8
                                        ; implicit-def: $vgpr14
                                        ; implicit-def: $vgpr13
	v_cmpx_ge_f32_e64 0x3f666666, |v7|
	s_xor_b32 s10, exec_lo, s10
	s_cbranch_execz .LBB164_1942
; %bb.1941:
	v_cmp_gt_f32_e64 s3, 0x800000, |v7|
	v_sub_f32_e64 v15, 1.0, |v7|
	v_cmp_gt_f32_e64 vcc_lo, 0x3f3b4a23, |v7|
	v_cndmask_b32_e64 v8, 0, 32, s3
	v_cndmask_b32_e64 v16, 0, 0x41b17218, s3
	v_ldexp_f32 v8, |v7|, v8
	v_log_f32_e32 v8, v8
	v_mul_f32_e32 v13, 0x3f317217, v8
	v_cmp_gt_f32_e64 s3, 0x7f800000, |v8|
	v_fma_f32 v14, 0x3f317217, v8, -v13
	v_fmamk_f32 v14, v8, 0x3377d1cf, v14
	v_add_f32_e32 v13, v13, v14
	v_add_f32_e64 v14, 0xbeec5b0c, |v7|
	v_cndmask_b32_e64 v8, v8, v13, s3
	v_cndmask_b32_e32 v13, v15, v14, vcc_lo
	v_cndmask_b32_e64 v14, 0, 1, vcc_lo
	v_cmp_gt_f32_e64 s3, 0x3e6d3309, |v7|
	v_sub_f32_e32 v8, v8, v16
	v_cndmask_b32_e64 v13, v13, |v7|, s3
	v_cndmask_b32_e64 v14, v14, 2, s3
	v_xor_b32_e32 v8, 0x80000000, v8
.LBB164_1942:
	s_andn2_saveexec_b32 s3, s10
	s_cbranch_execz .LBB164_1944
; %bb.1943:
	v_sub_f32_e64 v8, 2.0, |v7|
	v_add_f32_e64 v13, 0xbfbb16c3, |v7|
	v_cmp_gt_f32_e64 vcc_lo, 0x3fdda512, |v7|
	v_add_f32_e64 v14, |v7|, -1.0
	v_cndmask_b32_e32 v13, v8, v13, vcc_lo
	v_cndmask_b32_e64 v8, v8, 1.0, vcc_lo
	v_cmp_gt_f32_e64 vcc_lo, 0x3f9d70a4, |v7|
	v_cvt_i32_f32_e32 v8, v8
	v_cndmask_b32_e32 v13, v13, v14, vcc_lo
	v_cndmask_b32_e64 v14, v8, 2, vcc_lo
	v_mov_b32_e32 v8, 0
.LBB164_1944:
	s_or_b32 exec_lo, exec_lo, s3
	s_mov_b32 s3, exec_lo
	v_cmpx_lt_i32_e32 0, v14
	s_xor_b32 s3, exec_lo, s3
	s_cbranch_execz .LBB164_1952
; %bb.1945:
	s_mov_b32 s10, exec_lo
	v_cmpx_lt_i32_e32 1, v14
	s_xor_b32 s10, exec_lo, s10
	s_cbranch_execz .LBB164_1949
; %bb.1946:
	s_mov_b32 s11, exec_lo
	v_cmpx_eq_u32_e32 2, v14
	s_cbranch_execz .LBB164_1948
; %bb.1947:
	s_mov_b32 s14, 0x3b52d5db
	v_fmaak_f32 v14, s14, v13, 0x3dd572af
	s_mov_b32 s14, 0x3c5b3c5e
	v_fmaak_f32 v15, s14, v13, 0x3e6a7578
	v_fmaak_f32 v14, v13, v14, 0x3f44efdf
	v_fmaak_f32 v15, v13, v15, 0x3f7a4bb2
	v_fmaak_f32 v14, v13, v14, 0x4008392d
	v_fmaak_f32 v15, v13, v15, 0x3fba3ae7
	v_fmaak_f32 v14, v13, v14, 0x401d2ebe
	v_fmaak_f32 v15, v13, v15, 0x3f2200f4
	v_fma_f32 v14, v13, v14, 1.0
	v_fmaak_f32 v15, v13, v15, 0xbd9e233f
	v_rcp_f32_e32 v14, v14
	v_mul_f32_e32 v15, v13, v15
	v_mul_f32_e32 v14, v15, v14
	v_fmac_f32_e32 v14, -0.5, v13
	v_add_f32_e32 v8, v8, v14
.LBB164_1948:
	s_or_b32 exec_lo, exec_lo, s11
                                        ; implicit-def: $vgpr13
.LBB164_1949:
	s_andn2_saveexec_b32 s10, s10
	s_cbranch_execz .LBB164_1951
; %bb.1950:
	v_mul_f32_e32 v14, v13, v13
	s_mov_b32 s11, 0xb9a3f927
	s_mov_b32 s14, 0x39afe9f7
	v_mul_f32_e32 v15, v13, v14
	v_fmaak_f32 v16, s11, v15, 0x3a66f867
	v_fmaak_f32 v17, s14, v15, 0xba0d3085
	s_mov_b32 s11, 0x39a57b6b
	v_fmaak_f32 v18, s11, v15, 0xbab7f476
	v_fmaak_f32 v16, v15, v16, 0xbb7177fe
	v_fmaak_f32 v17, v15, v17, 0x3b141699
	v_fmaak_f32 v18, v15, v18, 0x3bc7e707
	v_fmaak_f32 v16, v15, v16, 0x3c93373d
	v_fmaak_f32 v17, v15, v17, 0xbc28fcfe
	v_fmaak_f32 v18, v15, v18, 0xbd064d47
	v_fmaak_f32 v16, v15, v16, 0xbe17213c
	v_fmaak_f32 v17, v15, v17, 0x3d845a15
	v_fmac_f32_e32 v16, v13, v17
	v_fmaak_f32 v13, v15, v18, 0x3ef7b95e
	v_fma_f32 v15, v15, -v16, 0xa2863e55
	v_fma_f32 v13, v14, v13, -v15
	v_add_f32_e32 v13, 0xbdf8cdce, v13
	v_add_f32_e32 v8, v8, v13
.LBB164_1951:
	s_or_b32 exec_lo, exec_lo, s10
                                        ; implicit-def: $vgpr14
                                        ; implicit-def: $vgpr13
.LBB164_1952:
	s_andn2_saveexec_b32 s3, s3
	s_cbranch_execz .LBB164_1956
; %bb.1953:
	s_mov_b32 s10, exec_lo
	v_cmpx_eq_u32_e32 0, v14
	s_cbranch_execz .LBB164_1955
; %bb.1954:
	v_mul_f32_e32 v14, v13, v13
	s_mov_b32 s11, 0x383c2c75
	v_fmaak_f32 v15, s11, v14, 0x38e28445
	s_mov_b32 s11, 0x37d383a2
	v_fmaak_f32 v16, s11, v14, 0x39679767
	v_fmaak_f32 v15, v14, v15, 0x3a05b634
	;; [unrolled: 1-line block ×9, first 2 shown]
	v_mul_f32_e32 v14, v14, v15
	v_fmac_f32_e32 v14, v13, v16
	v_fmac_f32_e32 v14, -0.5, v13
	v_add_f32_e32 v8, v8, v14
.LBB164_1955:
	s_or_b32 exec_lo, exec_lo, s10
.LBB164_1956:
	s_or_b32 exec_lo, exec_lo, s3
.LBB164_1957:
	s_or_b32 exec_lo, exec_lo, s7
.LBB164_1958:
	s_andn2_saveexec_b32 s3, s4
	s_cbranch_execz .LBB164_1960
; %bb.1959:
	v_cmp_gt_f32_e64 s4, 0x800000, |v7|
	s_mov_b32 s7, 0x3e8a8991
	v_fma_f32 v15, |v7|, s7, 0xbecd26ab
	v_cndmask_b32_e64 v8, 0, 32, s4
	v_ldexp_f32 v8, |v7|, v8
	v_log_f32_e32 v8, v8
	v_mul_f32_e32 v13, 0x3f317217, v8
	v_cmp_gt_f32_e64 vcc_lo, 0x7f800000, |v8|
	v_fma_f32 v14, 0x3f317217, v8, -v13
	v_fmamk_f32 v14, v8, 0x3377d1cf, v14
	v_add_f32_e32 v13, v13, v14
	v_fma_f32 v14, |v7|, v15, 0x3f528d33
	v_cndmask_b32_e32 v8, v8, v13, vcc_lo
	v_cndmask_b32_e64 v13, 0, 0x41b17218, s4
	v_fma_f32 v14, |v7|, v14, 0xbf13c468
	v_sub_f32_e32 v8, v8, v13
	v_fma_f32 v8, |v7|, v14, -v8
.LBB164_1960:
	s_or_b32 exec_lo, exec_lo, s3
	v_cmp_le_f32_e64 s3, 0, v7
	s_mov_b32 s4, exec_lo
	v_cmpx_nle_f32_e32 0, v7
	s_xor_b32 s7, exec_lo, s4
	s_cbranch_execz .LBB164_1964
; %bb.1961:
	v_cmp_gt_f32_e64 s4, 0x4b000000, |v7|
	v_cmp_lt_f32_e64 s10, 0x35000000, |v7|
	s_and_b32 s4, s4, s10
	s_and_saveexec_b32 s10, s4
	s_cbranch_execz .LBB164_1963
; %bb.1962:
	v_mul_f32_e64 v13, |v7|, 0.5
	v_cmp_gt_f32_e64 s4, |v7|, 1.0
	s_mov_b32 s11, 0x3d4be544
	v_floor_f32_e32 v14, v13
	v_cmp_neq_f32_e32 vcc_lo, 0x7f800000, v13
	v_sub_f32_e32 v14, v13, v14
	v_min_f32_e32 v14, 0x3f7fffff, v14
	v_add_f32_e32 v14, v14, v14
	v_cndmask_b32_e32 v13, 0, v14, vcc_lo
	v_cndmask_b32_e64 v13, |v7|, v13, s4
	s_mov_b32 s4, 0x3e75aa41
	v_add_f32_e32 v14, v13, v13
	v_rndne_f32_e32 v14, v14
	v_fmac_f32_e32 v13, -0.5, v14
	v_cvt_i32_f32_e32 v14, v14
	v_mul_f32_e32 v15, v13, v13
	v_fmaak_f32 v16, s4, v15, 0xbf1f24be
	v_fmaak_f32 v17, s11, v15, 0x3e642e9d
	v_mul_f32_e32 v18, v13, v15
	v_fmaak_f32 v16, v15, v16, 0x40234736
	v_fmaak_f32 v17, v15, v17, 0xbfaad1da
	;; [unrolled: 1-line block ×4, first 2 shown]
	v_mul_f32_e32 v16, v18, v16
	v_fmaak_f32 v17, v15, v17, 0xc09de9e6
	v_and_b32_e32 v18, 1, v14
	v_lshlrev_b32_e32 v14, 30, v14
	v_fmamk_f32 v13, v13, 0x40490fdb, v16
	v_fma_f32 v15, v15, v17, 1.0
	v_cmp_eq_u32_e32 vcc_lo, 0, v18
	v_and_or_b32 v5, 0x80000000, v14, v5
	v_cndmask_b32_e32 v13, v15, v13, vcc_lo
	v_xor3_b32 v5, v5, v13, v7
	v_mul_f32_e32 v5, v7, v5
	v_frexp_mant_f32_e64 v13, |v5|
	v_frexp_exp_i32_f32_e32 v5, v5
	v_rcp_f32_e32 v13, v13
	v_sub_nc_u32_e32 v5, 2, v5
	v_mul_f32_e32 v13, 0x3f490fdb, v13
	v_ldexp_f32 v5, v13, v5
	v_cmp_gt_f32_e32 vcc_lo, 0x800000, v5
	v_cndmask_b32_e64 v13, 0, 32, vcc_lo
	v_ldexp_f32 v5, v5, v13
	v_log_f32_e32 v5, v5
	v_mul_f32_e32 v13, 0x3f317217, v5
	v_cmp_gt_f32_e64 s4, 0x7f800000, |v5|
	v_fma_f32 v14, 0x3f317217, v5, -v13
	v_fmamk_f32 v14, v5, 0x3377d1cf, v14
	v_add_f32_e32 v13, v13, v14
	v_floor_f32_e32 v14, v7
	v_cndmask_b32_e64 v5, v5, v13, s4
	v_cndmask_b32_e64 v13, 0, 0x41b17218, vcc_lo
	v_sub_f32_e32 v14, v7, v14
	v_sub_f32_e32 v5, v5, v13
	v_min_f32_e32 v13, 0x3f7fffff, v14
	v_sub_f32_e32 v5, v5, v8
	v_cmp_neq_f32_e32 vcc_lo, 0, v13
	v_cndmask_b32_e32 v8, 0x7f800000, v5, vcc_lo
.LBB164_1963:
	s_or_b32 exec_lo, exec_lo, s10
.LBB164_1964:
	s_andn2_saveexec_b32 s7, s7
; %bb.1965:
	v_cmp_eq_f32_e32 vcc_lo, 1.0, v7
	v_cmp_eq_f32_e64 s4, 2.0, v7
	s_or_b32 s4, vcc_lo, s4
	v_cndmask_b32_e64 v8, v8, 0, s4
; %bb.1966:
	s_or_b32 exec_lo, exec_lo, s7
	v_cmp_gt_f32_e64 s4, 0x4b000000, |v1|
	v_mov_b32_e32 v5, 0x7fc0
	s_or_b32 vcc_lo, s0, s4
	v_cmp_class_f32_e64 s0, v1, 0x264
	v_cndmask_b32_e32 v3, 0x7f800000, v3, vcc_lo
	v_cmp_u_f32_e32 vcc_lo, v1, v1
	s_bfe_u32 s4, s6, 0x80008
	s_cmp_lt_i32 s4, 11
	v_cndmask_b32_e64 v3, v3, 0x7f800000, s0
	v_cndmask_b32_e32 v1, v3, v1, vcc_lo
	v_bfe_u32 v3, v1, 16, 1
	v_cmp_o_f32_e32 vcc_lo, v1, v1
	v_add3_u32 v1, v1, v3, 0x7fff
	v_cndmask_b32_sdwa v1, v5, v1, vcc_lo dst_sel:DWORD dst_unused:UNUSED_PAD src0_sel:DWORD src1_sel:WORD_1
	v_add_co_u32 v5, s0, s8, v6
	v_add_co_ci_u32_e64 v6, null, s9, 0, s0
	s_cbranch_scc1 .LBB164_2044
; %bb.1967:
	s_and_b32 s7, 0xffff, s4
	s_mov_b32 s14, -1
	s_mov_b32 s10, 0
	s_cmp_gt_i32 s7, 25
	s_mov_b32 s11, 0
	s_mov_b32 s0, 0
	s_cbranch_scc0 .LBB164_2000
; %bb.1968:
	s_cmp_gt_i32 s7, 28
	s_cbranch_scc0 .LBB164_1983
; %bb.1969:
	s_cmp_gt_i32 s7, 43
	;; [unrolled: 3-line block ×3, first 2 shown]
	s_cbranch_scc0 .LBB164_1973
; %bb.1971:
	s_mov_b32 s0, -1
	s_mov_b32 s14, 0
	s_cmp_eq_u32 s7, 46
	s_cbranch_scc0 .LBB164_1973
; %bb.1972:
	v_and_b32_e32 v3, 0xffff, v1
	s_mov_b32 s0, 0
	s_mov_b32 s11, -1
	global_store_dword v[5:6], v3, off
.LBB164_1973:
	s_and_b32 vcc_lo, exec_lo, s14
	s_cbranch_vccz .LBB164_1978
; %bb.1974:
	s_cmp_eq_u32 s7, 44
	s_mov_b32 s0, -1
	s_cbranch_scc0 .LBB164_1978
; %bb.1975:
	v_and_b32_e32 v3, 0xffff, v1
	v_mov_b32_e32 v13, 0xff
	s_mov_b32 s11, exec_lo
	v_bfe_u32 v14, v3, 7, 8
	v_cmpx_ne_u32_e32 0xff, v14
	s_cbranch_execz .LBB164_1977
; %bb.1976:
	v_lshlrev_b32_e32 v13, 16, v3
	v_and_b32_e32 v15, 64, v3
	v_lshrrev_b32_e32 v3, 7, v3
	v_and_or_b32 v13, 0x3f0000, v13, v14
	v_cmp_ne_u32_e32 vcc_lo, 0, v15
	v_cmp_ne_u32_e64 s0, 0, v13
	s_and_b32 s0, vcc_lo, s0
	v_cndmask_b32_e64 v13, 0, 1, s0
	v_add_nc_u32_e32 v13, v3, v13
.LBB164_1977:
	s_or_b32 exec_lo, exec_lo, s11
	s_mov_b32 s0, 0
	s_mov_b32 s11, -1
	global_store_byte v[5:6], v13, off
.LBB164_1978:
	s_mov_b32 s14, 0
.LBB164_1979:
	s_and_b32 vcc_lo, exec_lo, s14
	s_cbranch_vccz .LBB164_1982
; %bb.1980:
	s_cmp_eq_u32 s7, 29
	s_mov_b32 s0, -1
	s_cbranch_scc0 .LBB164_1982
; %bb.1981:
	v_lshlrev_b32_e32 v3, 16, v1
	s_mov_b32 s0, 0
	s_mov_b32 s11, -1
	v_trunc_f32_e32 v3, v3
	v_mul_f32_e32 v13, 0x2f800000, v3
	v_floor_f32_e32 v13, v13
	v_fmamk_f32 v3, v13, 0xcf800000, v3
	v_cvt_u32_f32_e32 v14, v13
	v_cvt_u32_f32_e32 v13, v3
	global_store_dwordx2 v[5:6], v[13:14], off
.LBB164_1982:
	s_mov_b32 s14, 0
.LBB164_1983:
	s_and_b32 vcc_lo, exec_lo, s14
	s_cbranch_vccz .LBB164_1999
; %bb.1984:
	s_cmp_lt_i32 s7, 27
	s_mov_b32 s11, -1
	s_cbranch_scc1 .LBB164_1990
; %bb.1985:
	s_cmp_gt_i32 s7, 27
	s_cbranch_scc0 .LBB164_1987
; %bb.1986:
	v_lshlrev_b32_e32 v3, 16, v1
	s_mov_b32 s11, 0
	v_cvt_u32_f32_e32 v3, v3
	global_store_dword v[5:6], v3, off
.LBB164_1987:
	s_andn2_b32 vcc_lo, exec_lo, s11
	s_cbranch_vccnz .LBB164_1989
; %bb.1988:
	v_lshlrev_b32_e32 v3, 16, v1
	v_cvt_u32_f32_e32 v3, v3
	global_store_short v[5:6], v3, off
.LBB164_1989:
	s_mov_b32 s11, 0
.LBB164_1990:
	s_andn2_b32 vcc_lo, exec_lo, s11
	s_cbranch_vccnz .LBB164_1998
; %bb.1991:
	v_lshlrev_b32_e32 v14, 16, v1
	v_mov_b32_e32 v15, 0x80
	s_mov_b32 s11, exec_lo
	v_and_b32_e32 v13, 0x7fffffff, v14
	v_cmpx_gt_u32_e32 0x43800000, v13
	s_cbranch_execz .LBB164_1997
; %bb.1992:
	v_and_b32_e32 v3, 0xffff, v1
	v_cmp_lt_u32_e32 vcc_lo, 0x3bffffff, v13
	s_mov_b32 s14, 0
                                        ; implicit-def: $vgpr13
	s_and_saveexec_b32 s15, vcc_lo
	s_xor_b32 s15, exec_lo, s15
	s_cbranch_execz .LBB164_2446
; %bb.1993:
	v_bfe_u32 v13, v3, 4, 1
	s_mov_b32 s14, exec_lo
	v_add3_u32 v13, v14, v13, 0x487ffff
                                        ; implicit-def: $vgpr14
	v_lshrrev_b32_e32 v13, 20, v13
	s_andn2_saveexec_b32 s15, s15
	s_cbranch_execnz .LBB164_2447
.LBB164_1994:
	s_or_b32 exec_lo, exec_lo, s15
	v_mov_b32_e32 v15, 0
	s_and_saveexec_b32 s15, s14
.LBB164_1995:
	v_lshrrev_b32_e32 v3, 8, v3
	v_and_or_b32 v15, 0x80, v3, v13
.LBB164_1996:
	s_or_b32 exec_lo, exec_lo, s15
.LBB164_1997:
	s_or_b32 exec_lo, exec_lo, s11
	global_store_byte v[5:6], v15, off
.LBB164_1998:
	s_mov_b32 s11, -1
.LBB164_1999:
	s_mov_b32 s14, 0
.LBB164_2000:
	s_and_b32 vcc_lo, exec_lo, s14
	s_cbranch_vccz .LBB164_2040
; %bb.2001:
	s_cmp_gt_i32 s7, 22
	s_mov_b32 s10, -1
	s_cbranch_scc0 .LBB164_2033
; %bb.2002:
	s_cmp_lt_i32 s7, 24
	s_cbranch_scc1 .LBB164_2022
; %bb.2003:
	s_cmp_gt_i32 s7, 24
	s_cbranch_scc0 .LBB164_2011
; %bb.2004:
	v_lshlrev_b32_e32 v14, 16, v1
	v_mov_b32_e32 v15, 0x80
	s_mov_b32 s10, exec_lo
	v_and_b32_e32 v13, 0x7fffffff, v14
	v_cmpx_gt_u32_e32 0x47800000, v13
	s_cbranch_execz .LBB164_2010
; %bb.2005:
	v_and_b32_e32 v3, 0xffff, v1
	v_cmp_lt_u32_e32 vcc_lo, 0x37ffffff, v13
	s_mov_b32 s11, 0
                                        ; implicit-def: $vgpr13
	s_and_saveexec_b32 s14, vcc_lo
	s_xor_b32 s14, exec_lo, s14
	s_cbranch_execz .LBB164_2449
; %bb.2006:
	v_bfe_u32 v13, v3, 5, 1
	s_mov_b32 s11, exec_lo
	v_add3_u32 v13, v14, v13, 0x88fffff
                                        ; implicit-def: $vgpr14
	v_lshrrev_b32_e32 v13, 21, v13
	s_andn2_saveexec_b32 s14, s14
	s_cbranch_execnz .LBB164_2450
.LBB164_2007:
	s_or_b32 exec_lo, exec_lo, s14
	v_mov_b32_e32 v15, 0
	s_and_saveexec_b32 s14, s11
.LBB164_2008:
	v_lshrrev_b32_e32 v3, 8, v3
	v_and_or_b32 v15, 0x80, v3, v13
.LBB164_2009:
	s_or_b32 exec_lo, exec_lo, s14
.LBB164_2010:
	s_or_b32 exec_lo, exec_lo, s10
	s_mov_b32 s10, 0
	global_store_byte v[5:6], v15, off
.LBB164_2011:
	s_and_b32 vcc_lo, exec_lo, s10
	s_cbranch_vccz .LBB164_2021
; %bb.2012:
	v_lshlrev_b32_e32 v14, 16, v1
	v_and_b32_e32 v3, 0xffff, v1
	s_mov_b32 s10, exec_lo
                                        ; implicit-def: $vgpr13
	v_and_b32_e32 v15, 0x7fffffff, v14
	v_cmpx_gt_u32_e32 0x43f00000, v15
	s_xor_b32 s10, exec_lo, s10
	s_cbranch_execz .LBB164_2018
; %bb.2013:
	s_mov_b32 s11, exec_lo
                                        ; implicit-def: $vgpr13
	v_cmpx_lt_u32_e32 0x3c7fffff, v15
	s_xor_b32 s11, exec_lo, s11
; %bb.2014:
	v_bfe_u32 v13, v3, 4, 1
	v_add3_u32 v13, v14, v13, 0x407ffff
	v_and_b32_e32 v14, 0xff00000, v13
	v_lshrrev_b32_e32 v13, 20, v13
	v_cmp_ne_u32_e32 vcc_lo, 0x7f00000, v14
                                        ; implicit-def: $vgpr14
	v_cndmask_b32_e32 v13, 0x7e, v13, vcc_lo
; %bb.2015:
	s_andn2_saveexec_b32 s11, s11
; %bb.2016:
	v_add_f32_e64 v13, 0x46800000, |v14|
; %bb.2017:
	s_or_b32 exec_lo, exec_lo, s11
                                        ; implicit-def: $vgpr15
.LBB164_2018:
	s_andn2_saveexec_b32 s10, s10
; %bb.2019:
	v_mov_b32_e32 v13, 0x7f
	v_cmp_lt_u32_e32 vcc_lo, 0x7f800000, v15
	v_cndmask_b32_e32 v13, 0x7e, v13, vcc_lo
; %bb.2020:
	s_or_b32 exec_lo, exec_lo, s10
	v_lshrrev_b32_e32 v3, 8, v3
	v_and_or_b32 v3, 0x80, v3, v13
	global_store_byte v[5:6], v3, off
.LBB164_2021:
	s_mov_b32 s10, 0
.LBB164_2022:
	s_andn2_b32 vcc_lo, exec_lo, s10
	s_cbranch_vccnz .LBB164_2032
; %bb.2023:
	v_lshlrev_b32_e32 v14, 16, v1
	v_and_b32_e32 v3, 0xffff, v1
	s_mov_b32 s10, exec_lo
                                        ; implicit-def: $vgpr13
	v_and_b32_e32 v15, 0x7fffffff, v14
	v_cmpx_gt_u32_e32 0x47800000, v15
	s_xor_b32 s10, exec_lo, s10
	s_cbranch_execz .LBB164_2029
; %bb.2024:
	s_mov_b32 s11, exec_lo
                                        ; implicit-def: $vgpr13
	v_cmpx_lt_u32_e32 0x387fffff, v15
	s_xor_b32 s11, exec_lo, s11
; %bb.2025:
	v_bfe_u32 v13, v3, 5, 1
	v_add3_u32 v13, v14, v13, 0x80fffff
                                        ; implicit-def: $vgpr14
	v_lshrrev_b32_e32 v13, 21, v13
; %bb.2026:
	s_andn2_saveexec_b32 s11, s11
; %bb.2027:
	v_add_f32_e64 v13, 0x43000000, |v14|
; %bb.2028:
	s_or_b32 exec_lo, exec_lo, s11
                                        ; implicit-def: $vgpr15
.LBB164_2029:
	s_andn2_saveexec_b32 s10, s10
; %bb.2030:
	v_mov_b32_e32 v13, 0x7f
	v_cmp_lt_u32_e32 vcc_lo, 0x7f800000, v15
	v_cndmask_b32_e32 v13, 0x7c, v13, vcc_lo
; %bb.2031:
	s_or_b32 exec_lo, exec_lo, s10
	v_lshrrev_b32_e32 v3, 8, v3
	v_and_or_b32 v3, 0x80, v3, v13
	global_store_byte v[5:6], v3, off
.LBB164_2032:
	s_mov_b32 s10, 0
	s_mov_b32 s11, -1
.LBB164_2033:
	s_andn2_b32 vcc_lo, exec_lo, s10
	s_mov_b32 s10, 0
	s_cbranch_vccnz .LBB164_2040
; %bb.2034:
	s_cmp_gt_i32 s7, 14
	s_mov_b32 s10, -1
	s_cbranch_scc0 .LBB164_2038
; %bb.2035:
	s_cmp_eq_u32 s7, 15
	s_mov_b32 s0, -1
	s_cbranch_scc0 .LBB164_2037
; %bb.2036:
	s_mov_b32 s0, 0
	s_mov_b32 s11, -1
	global_store_short v[5:6], v1, off
.LBB164_2037:
	s_mov_b32 s10, 0
.LBB164_2038:
	s_and_b32 vcc_lo, exec_lo, s10
	s_mov_b32 s10, 0
	s_cbranch_vccz .LBB164_2040
; %bb.2039:
	s_cmp_lg_u32 s7, 11
	s_mov_b32 s10, -1
	s_cselect_b32 s0, -1, 0
.LBB164_2040:
	s_and_b32 vcc_lo, exec_lo, s0
	s_cbranch_vccnz .LBB164_2448
; %bb.2041:
	s_andn2_b32 vcc_lo, exec_lo, s10
	s_cbranch_vccnz .LBB164_2043
.LBB164_2042:
	v_and_b32_e32 v3, 0x7fff, v1
	s_mov_b32 s11, -1
	v_cmp_ne_u16_e32 vcc_lo, 0, v3
	v_cndmask_b32_e64 v3, 0, 1, vcc_lo
	global_store_byte v[5:6], v3, off
.LBB164_2043:
	s_mov_b32 s0, 0
	s_branch .LBB164_2045
.LBB164_2044:
	s_mov_b32 s0, -1
	s_mov_b32 s11, 0
.LBB164_2045:
	s_and_b32 vcc_lo, exec_lo, s0
	s_cbranch_vccz .LBB164_2084
; %bb.2046:
	s_and_b32 s0, 0xffff, s4
	s_mov_b32 s4, -1
	s_cmp_lt_i32 s0, 5
	s_cbranch_scc1 .LBB164_2067
; %bb.2047:
	s_cmp_lt_i32 s0, 8
	s_cbranch_scc1 .LBB164_2057
; %bb.2048:
	;; [unrolled: 3-line block ×3, first 2 shown]
	s_cmp_gt_i32 s0, 9
	s_cbranch_scc0 .LBB164_2051
; %bb.2050:
	v_lshlrev_b32_e32 v3, 16, v1
	v_mov_b32_e32 v15, 0
	s_mov_b32 s4, 0
	v_cvt_f64_f32_e32 v[13:14], v3
	v_mov_b32_e32 v16, v15
	global_store_dwordx4 v[5:6], v[13:16], off
.LBB164_2051:
	s_andn2_b32 vcc_lo, exec_lo, s4
	s_cbranch_vccnz .LBB164_2053
; %bb.2052:
	v_lshlrev_b32_e32 v13, 16, v1
	v_mov_b32_e32 v14, 0
	global_store_dwordx2 v[5:6], v[13:14], off
.LBB164_2053:
	s_mov_b32 s4, 0
.LBB164_2054:
	s_andn2_b32 vcc_lo, exec_lo, s4
	s_cbranch_vccnz .LBB164_2056
; %bb.2055:
	v_lshlrev_b32_e32 v3, 16, v1
	v_cvt_f16_f32_e32 v3, v3
	v_and_b32_e32 v3, 0xffff, v3
	global_store_dword v[5:6], v3, off
.LBB164_2056:
	s_mov_b32 s4, 0
.LBB164_2057:
	s_andn2_b32 vcc_lo, exec_lo, s4
	s_cbranch_vccnz .LBB164_2066
; %bb.2058:
	s_cmp_lt_i32 s0, 6
	s_mov_b32 s4, -1
	s_cbranch_scc1 .LBB164_2064
; %bb.2059:
	s_cmp_gt_i32 s0, 6
	s_cbranch_scc0 .LBB164_2061
; %bb.2060:
	v_lshlrev_b32_e32 v3, 16, v1
	s_mov_b32 s4, 0
	v_cvt_f64_f32_e32 v[13:14], v3
	global_store_dwordx2 v[5:6], v[13:14], off
.LBB164_2061:
	s_andn2_b32 vcc_lo, exec_lo, s4
	s_cbranch_vccnz .LBB164_2063
; %bb.2062:
	v_lshlrev_b32_e32 v3, 16, v1
	global_store_dword v[5:6], v3, off
.LBB164_2063:
	s_mov_b32 s4, 0
.LBB164_2064:
	s_andn2_b32 vcc_lo, exec_lo, s4
	s_cbranch_vccnz .LBB164_2066
; %bb.2065:
	v_lshlrev_b32_e32 v3, 16, v1
	v_cvt_f16_f32_e32 v3, v3
	global_store_short v[5:6], v3, off
.LBB164_2066:
	s_mov_b32 s4, 0
.LBB164_2067:
	s_andn2_b32 vcc_lo, exec_lo, s4
	s_cbranch_vccnz .LBB164_2083
; %bb.2068:
	s_cmp_lt_i32 s0, 2
	s_mov_b32 s4, -1
	s_cbranch_scc1 .LBB164_2078
; %bb.2069:
	s_cmp_lt_i32 s0, 3
	s_cbranch_scc1 .LBB164_2075
; %bb.2070:
	s_cmp_gt_i32 s0, 3
	s_cbranch_scc0 .LBB164_2072
; %bb.2071:
	v_lshlrev_b32_e32 v3, 16, v1
	s_mov_b32 s4, 0
	v_trunc_f32_e32 v3, v3
	v_mul_f32_e64 v13, 0x2f800000, |v3|
	v_floor_f32_e32 v13, v13
	v_fma_f32 v14, 0xcf800000, v13, |v3|
	v_ashrrev_i32_e32 v3, 31, v3
	v_cvt_u32_f32_e32 v13, v13
	v_cvt_u32_f32_e32 v14, v14
	v_xor_b32_e32 v15, v13, v3
	v_xor_b32_e32 v14, v14, v3
	v_sub_co_u32 v13, vcc_lo, v14, v3
	v_sub_co_ci_u32_e64 v14, null, v15, v3, vcc_lo
	global_store_dwordx2 v[5:6], v[13:14], off
.LBB164_2072:
	s_andn2_b32 vcc_lo, exec_lo, s4
	s_cbranch_vccnz .LBB164_2074
; %bb.2073:
	v_lshlrev_b32_e32 v3, 16, v1
	v_cvt_i32_f32_e32 v3, v3
	global_store_dword v[5:6], v3, off
.LBB164_2074:
	s_mov_b32 s4, 0
.LBB164_2075:
	s_andn2_b32 vcc_lo, exec_lo, s4
	s_cbranch_vccnz .LBB164_2077
; %bb.2076:
	v_lshlrev_b32_e32 v3, 16, v1
	v_cvt_i32_f32_e32 v3, v3
	global_store_short v[5:6], v3, off
.LBB164_2077:
	s_mov_b32 s4, 0
.LBB164_2078:
	s_andn2_b32 vcc_lo, exec_lo, s4
	s_cbranch_vccnz .LBB164_2083
; %bb.2079:
	v_lshlrev_b32_e32 v1, 16, v1
	s_cmp_gt_i32 s0, 0
	s_mov_b32 s0, -1
	s_cbranch_scc0 .LBB164_2081
; %bb.2080:
	v_cvt_i32_f32_e32 v3, v1
	s_mov_b32 s0, 0
	global_store_byte v[5:6], v3, off
.LBB164_2081:
	s_andn2_b32 vcc_lo, exec_lo, s0
	s_cbranch_vccnz .LBB164_2083
; %bb.2082:
	v_trunc_f32_e32 v1, v1
	v_mul_f32_e64 v3, 0x2f800000, |v1|
	v_floor_f32_e32 v3, v3
	v_fma_f32 v3, 0xcf800000, v3, |v1|
	v_ashrrev_i32_e32 v1, 31, v1
	v_cvt_u32_f32_e32 v3, v3
	v_xor_b32_e32 v3, v3, v1
	v_sub_nc_u32_e32 v1, v3, v1
	global_store_byte v[5:6], v1, off
.LBB164_2083:
	s_mov_b32 s11, -1
.LBB164_2084:
	s_andn2_b32 vcc_lo, exec_lo, s11
	s_cbranch_vccnz .LBB164_2399
; %bb.2085:
	v_cmp_gt_f32_e64 s0, 0x4b000000, |v10|
	v_mov_b32_e32 v5, 0x7fc0
	s_or_b32 vcc_lo, s1, s0
	v_cmp_class_f32_e64 s0, v10, 0x264
	v_cndmask_b32_e32 v1, 0x7f800000, v11, vcc_lo
	v_cmp_u_f32_e32 vcc_lo, v10, v10
	v_cndmask_b32_e64 v1, v1, 0x7f800000, s0
	s_lshr_b32 s0, s6, 8
	s_and_b32 s1, s0, 0xff
	s_cmp_lt_i32 s1, 11
	v_cndmask_b32_e32 v1, v1, v10, vcc_lo
	v_bfe_u32 v3, v1, 16, 1
	v_cmp_o_f32_e32 vcc_lo, v1, v1
	v_add3_u32 v1, v1, v3, 0x7fff
	v_add_co_u32 v3, s0, s8, v4
	v_add_co_ci_u32_e64 v4, null, s9, 0, s0
	v_cndmask_b32_sdwa v1, v5, v1, vcc_lo dst_sel:DWORD dst_unused:UNUSED_PAD src0_sel:DWORD src1_sel:WORD_1
	s_cbranch_scc1 .LBB164_2163
; %bb.2086:
	s_and_b32 s4, 0xffff, s1
	s_mov_b32 s10, -1
	s_mov_b32 s6, 0
	s_cmp_gt_i32 s4, 25
	s_mov_b32 s7, 0
	s_mov_b32 s0, 0
	s_cbranch_scc0 .LBB164_2119
; %bb.2087:
	s_cmp_gt_i32 s4, 28
	s_cbranch_scc0 .LBB164_2102
; %bb.2088:
	s_cmp_gt_i32 s4, 43
	;; [unrolled: 3-line block ×3, first 2 shown]
	s_cbranch_scc0 .LBB164_2092
; %bb.2090:
	s_mov_b32 s0, -1
	s_mov_b32 s10, 0
	s_cmp_eq_u32 s4, 46
	s_cbranch_scc0 .LBB164_2092
; %bb.2091:
	v_and_b32_e32 v5, 0xffff, v1
	s_mov_b32 s0, 0
	s_mov_b32 s7, -1
	global_store_dword v[3:4], v5, off
.LBB164_2092:
	s_and_b32 vcc_lo, exec_lo, s10
	s_cbranch_vccz .LBB164_2097
; %bb.2093:
	s_cmp_eq_u32 s4, 44
	s_mov_b32 s0, -1
	s_cbranch_scc0 .LBB164_2097
; %bb.2094:
	v_and_b32_e32 v5, 0xffff, v1
	v_mov_b32_e32 v6, 0xff
	s_mov_b32 s7, exec_lo
	v_bfe_u32 v10, v5, 7, 8
	v_cmpx_ne_u32_e32 0xff, v10
	s_cbranch_execz .LBB164_2096
; %bb.2095:
	v_lshlrev_b32_e32 v6, 16, v5
	v_and_b32_e32 v11, 64, v5
	v_lshrrev_b32_e32 v5, 7, v5
	v_and_or_b32 v6, 0x3f0000, v6, v10
	v_cmp_ne_u32_e32 vcc_lo, 0, v11
	v_cmp_ne_u32_e64 s0, 0, v6
	s_and_b32 s0, vcc_lo, s0
	v_cndmask_b32_e64 v6, 0, 1, s0
	v_add_nc_u32_e32 v6, v5, v6
.LBB164_2096:
	s_or_b32 exec_lo, exec_lo, s7
	s_mov_b32 s0, 0
	s_mov_b32 s7, -1
	global_store_byte v[3:4], v6, off
.LBB164_2097:
	s_mov_b32 s10, 0
.LBB164_2098:
	s_and_b32 vcc_lo, exec_lo, s10
	s_cbranch_vccz .LBB164_2101
; %bb.2099:
	s_cmp_eq_u32 s4, 29
	s_mov_b32 s0, -1
	s_cbranch_scc0 .LBB164_2101
; %bb.2100:
	v_lshlrev_b32_e32 v5, 16, v1
	s_mov_b32 s0, 0
	s_mov_b32 s7, -1
	v_trunc_f32_e32 v5, v5
	v_mul_f32_e32 v6, 0x2f800000, v5
	v_floor_f32_e32 v6, v6
	v_fmamk_f32 v5, v6, 0xcf800000, v5
	v_cvt_u32_f32_e32 v6, v6
	v_cvt_u32_f32_e32 v5, v5
	global_store_dwordx2 v[3:4], v[5:6], off
.LBB164_2101:
	s_mov_b32 s10, 0
.LBB164_2102:
	s_and_b32 vcc_lo, exec_lo, s10
	s_cbranch_vccz .LBB164_2118
; %bb.2103:
	s_cmp_lt_i32 s4, 27
	s_mov_b32 s7, -1
	s_cbranch_scc1 .LBB164_2109
; %bb.2104:
	s_cmp_gt_i32 s4, 27
	s_cbranch_scc0 .LBB164_2106
; %bb.2105:
	v_lshlrev_b32_e32 v5, 16, v1
	s_mov_b32 s7, 0
	v_cvt_u32_f32_e32 v5, v5
	global_store_dword v[3:4], v5, off
.LBB164_2106:
	s_andn2_b32 vcc_lo, exec_lo, s7
	s_cbranch_vccnz .LBB164_2108
; %bb.2107:
	v_lshlrev_b32_e32 v5, 16, v1
	v_cvt_u32_f32_e32 v5, v5
	global_store_short v[3:4], v5, off
.LBB164_2108:
	s_mov_b32 s7, 0
.LBB164_2109:
	s_andn2_b32 vcc_lo, exec_lo, s7
	s_cbranch_vccnz .LBB164_2117
; %bb.2110:
	v_lshlrev_b32_e32 v10, 16, v1
	v_mov_b32_e32 v11, 0x80
	s_mov_b32 s7, exec_lo
	v_and_b32_e32 v6, 0x7fffffff, v10
	v_cmpx_gt_u32_e32 0x43800000, v6
	s_cbranch_execz .LBB164_2116
; %bb.2111:
	v_and_b32_e32 v5, 0xffff, v1
	v_cmp_lt_u32_e32 vcc_lo, 0x3bffffff, v6
	s_mov_b32 s10, 0
                                        ; implicit-def: $vgpr6
	s_and_saveexec_b32 s11, vcc_lo
	s_xor_b32 s11, exec_lo, s11
	s_cbranch_execz .LBB164_2451
; %bb.2112:
	v_bfe_u32 v6, v5, 4, 1
	s_mov_b32 s10, exec_lo
	v_add3_u32 v6, v10, v6, 0x487ffff
                                        ; implicit-def: $vgpr10
	v_lshrrev_b32_e32 v6, 20, v6
	s_andn2_saveexec_b32 s11, s11
	s_cbranch_execnz .LBB164_2452
.LBB164_2113:
	s_or_b32 exec_lo, exec_lo, s11
	v_mov_b32_e32 v11, 0
	s_and_saveexec_b32 s11, s10
.LBB164_2114:
	v_lshrrev_b32_e32 v5, 8, v5
	v_and_or_b32 v11, 0x80, v5, v6
.LBB164_2115:
	s_or_b32 exec_lo, exec_lo, s11
.LBB164_2116:
	s_or_b32 exec_lo, exec_lo, s7
	global_store_byte v[3:4], v11, off
.LBB164_2117:
	s_mov_b32 s7, -1
.LBB164_2118:
	s_mov_b32 s10, 0
.LBB164_2119:
	s_and_b32 vcc_lo, exec_lo, s10
	s_cbranch_vccz .LBB164_2159
; %bb.2120:
	s_cmp_gt_i32 s4, 22
	s_mov_b32 s6, -1
	s_cbranch_scc0 .LBB164_2152
; %bb.2121:
	s_cmp_lt_i32 s4, 24
	s_cbranch_scc1 .LBB164_2141
; %bb.2122:
	s_cmp_gt_i32 s4, 24
	s_cbranch_scc0 .LBB164_2130
; %bb.2123:
	v_lshlrev_b32_e32 v10, 16, v1
	v_mov_b32_e32 v11, 0x80
	s_mov_b32 s6, exec_lo
	v_and_b32_e32 v6, 0x7fffffff, v10
	v_cmpx_gt_u32_e32 0x47800000, v6
	s_cbranch_execz .LBB164_2129
; %bb.2124:
	v_and_b32_e32 v5, 0xffff, v1
	v_cmp_lt_u32_e32 vcc_lo, 0x37ffffff, v6
	s_mov_b32 s7, 0
                                        ; implicit-def: $vgpr6
	s_and_saveexec_b32 s10, vcc_lo
	s_xor_b32 s10, exec_lo, s10
	s_cbranch_execz .LBB164_2454
; %bb.2125:
	v_bfe_u32 v6, v5, 5, 1
	s_mov_b32 s7, exec_lo
	v_add3_u32 v6, v10, v6, 0x88fffff
                                        ; implicit-def: $vgpr10
	v_lshrrev_b32_e32 v6, 21, v6
	s_andn2_saveexec_b32 s10, s10
	s_cbranch_execnz .LBB164_2455
.LBB164_2126:
	s_or_b32 exec_lo, exec_lo, s10
	v_mov_b32_e32 v11, 0
	s_and_saveexec_b32 s10, s7
.LBB164_2127:
	v_lshrrev_b32_e32 v5, 8, v5
	v_and_or_b32 v11, 0x80, v5, v6
.LBB164_2128:
	s_or_b32 exec_lo, exec_lo, s10
.LBB164_2129:
	s_or_b32 exec_lo, exec_lo, s6
	s_mov_b32 s6, 0
	global_store_byte v[3:4], v11, off
.LBB164_2130:
	s_and_b32 vcc_lo, exec_lo, s6
	s_cbranch_vccz .LBB164_2140
; %bb.2131:
	v_lshlrev_b32_e32 v10, 16, v1
	v_and_b32_e32 v5, 0xffff, v1
	s_mov_b32 s6, exec_lo
                                        ; implicit-def: $vgpr6
	v_and_b32_e32 v11, 0x7fffffff, v10
	v_cmpx_gt_u32_e32 0x43f00000, v11
	s_xor_b32 s6, exec_lo, s6
	s_cbranch_execz .LBB164_2137
; %bb.2132:
	s_mov_b32 s7, exec_lo
                                        ; implicit-def: $vgpr6
	v_cmpx_lt_u32_e32 0x3c7fffff, v11
	s_xor_b32 s7, exec_lo, s7
; %bb.2133:
	v_bfe_u32 v6, v5, 4, 1
	v_add3_u32 v6, v10, v6, 0x407ffff
	v_and_b32_e32 v10, 0xff00000, v6
	v_lshrrev_b32_e32 v6, 20, v6
	v_cmp_ne_u32_e32 vcc_lo, 0x7f00000, v10
                                        ; implicit-def: $vgpr10
	v_cndmask_b32_e32 v6, 0x7e, v6, vcc_lo
; %bb.2134:
	s_andn2_saveexec_b32 s7, s7
; %bb.2135:
	v_add_f32_e64 v6, 0x46800000, |v10|
; %bb.2136:
	s_or_b32 exec_lo, exec_lo, s7
                                        ; implicit-def: $vgpr11
.LBB164_2137:
	s_andn2_saveexec_b32 s6, s6
; %bb.2138:
	v_mov_b32_e32 v6, 0x7f
	v_cmp_lt_u32_e32 vcc_lo, 0x7f800000, v11
	v_cndmask_b32_e32 v6, 0x7e, v6, vcc_lo
; %bb.2139:
	s_or_b32 exec_lo, exec_lo, s6
	v_lshrrev_b32_e32 v5, 8, v5
	v_and_or_b32 v5, 0x80, v5, v6
	global_store_byte v[3:4], v5, off
.LBB164_2140:
	s_mov_b32 s6, 0
.LBB164_2141:
	s_andn2_b32 vcc_lo, exec_lo, s6
	s_cbranch_vccnz .LBB164_2151
; %bb.2142:
	v_lshlrev_b32_e32 v10, 16, v1
	v_and_b32_e32 v5, 0xffff, v1
	s_mov_b32 s6, exec_lo
                                        ; implicit-def: $vgpr6
	v_and_b32_e32 v11, 0x7fffffff, v10
	v_cmpx_gt_u32_e32 0x47800000, v11
	s_xor_b32 s6, exec_lo, s6
	s_cbranch_execz .LBB164_2148
; %bb.2143:
	s_mov_b32 s7, exec_lo
                                        ; implicit-def: $vgpr6
	v_cmpx_lt_u32_e32 0x387fffff, v11
	s_xor_b32 s7, exec_lo, s7
; %bb.2144:
	v_bfe_u32 v6, v5, 5, 1
	v_add3_u32 v6, v10, v6, 0x80fffff
                                        ; implicit-def: $vgpr10
	v_lshrrev_b32_e32 v6, 21, v6
; %bb.2145:
	s_andn2_saveexec_b32 s7, s7
; %bb.2146:
	v_add_f32_e64 v6, 0x43000000, |v10|
; %bb.2147:
	s_or_b32 exec_lo, exec_lo, s7
                                        ; implicit-def: $vgpr11
.LBB164_2148:
	s_andn2_saveexec_b32 s6, s6
; %bb.2149:
	v_mov_b32_e32 v6, 0x7f
	v_cmp_lt_u32_e32 vcc_lo, 0x7f800000, v11
	v_cndmask_b32_e32 v6, 0x7c, v6, vcc_lo
; %bb.2150:
	s_or_b32 exec_lo, exec_lo, s6
	v_lshrrev_b32_e32 v5, 8, v5
	v_and_or_b32 v5, 0x80, v5, v6
	global_store_byte v[3:4], v5, off
.LBB164_2151:
	s_mov_b32 s6, 0
	s_mov_b32 s7, -1
.LBB164_2152:
	s_andn2_b32 vcc_lo, exec_lo, s6
	s_mov_b32 s6, 0
	s_cbranch_vccnz .LBB164_2159
; %bb.2153:
	s_cmp_gt_i32 s4, 14
	s_mov_b32 s6, -1
	s_cbranch_scc0 .LBB164_2157
; %bb.2154:
	s_cmp_eq_u32 s4, 15
	s_mov_b32 s0, -1
	s_cbranch_scc0 .LBB164_2156
; %bb.2155:
	s_mov_b32 s0, 0
	s_mov_b32 s7, -1
	global_store_short v[3:4], v1, off
.LBB164_2156:
	s_mov_b32 s6, 0
.LBB164_2157:
	s_and_b32 vcc_lo, exec_lo, s6
	s_mov_b32 s6, 0
	s_cbranch_vccz .LBB164_2159
; %bb.2158:
	s_cmp_lg_u32 s4, 11
	s_mov_b32 s6, -1
	s_cselect_b32 s0, -1, 0
.LBB164_2159:
	s_and_b32 vcc_lo, exec_lo, s0
	s_cbranch_vccnz .LBB164_2453
; %bb.2160:
	s_andn2_b32 vcc_lo, exec_lo, s6
	s_cbranch_vccnz .LBB164_2162
.LBB164_2161:
	v_and_b32_e32 v5, 0x7fff, v1
	s_mov_b32 s7, -1
	v_cmp_ne_u16_e32 vcc_lo, 0, v5
	v_cndmask_b32_e64 v5, 0, 1, vcc_lo
	global_store_byte v[3:4], v5, off
.LBB164_2162:
	s_mov_b32 s0, 0
	s_branch .LBB164_2164
.LBB164_2163:
	s_mov_b32 s0, -1
	s_mov_b32 s7, 0
.LBB164_2164:
	s_and_b32 vcc_lo, exec_lo, s0
	s_cbranch_vccz .LBB164_2203
; %bb.2165:
	s_and_b32 s0, 0xffff, s1
	s_mov_b32 s4, -1
	s_cmp_lt_i32 s0, 5
	s_cbranch_scc1 .LBB164_2186
; %bb.2166:
	s_cmp_lt_i32 s0, 8
	s_cbranch_scc1 .LBB164_2176
; %bb.2167:
	;; [unrolled: 3-line block ×3, first 2 shown]
	s_cmp_gt_i32 s0, 9
	s_cbranch_scc0 .LBB164_2170
; %bb.2169:
	v_lshlrev_b32_e32 v5, 16, v1
	v_mov_b32_e32 v15, 0
	s_mov_b32 s4, 0
	v_cvt_f64_f32_e32 v[13:14], v5
	v_mov_b32_e32 v16, v15
	global_store_dwordx4 v[3:4], v[13:16], off
.LBB164_2170:
	s_andn2_b32 vcc_lo, exec_lo, s4
	s_cbranch_vccnz .LBB164_2172
; %bb.2171:
	v_lshlrev_b32_e32 v5, 16, v1
	v_mov_b32_e32 v6, 0
	global_store_dwordx2 v[3:4], v[5:6], off
.LBB164_2172:
	s_mov_b32 s4, 0
.LBB164_2173:
	s_andn2_b32 vcc_lo, exec_lo, s4
	s_cbranch_vccnz .LBB164_2175
; %bb.2174:
	v_lshlrev_b32_e32 v5, 16, v1
	v_cvt_f16_f32_e32 v5, v5
	v_and_b32_e32 v5, 0xffff, v5
	global_store_dword v[3:4], v5, off
.LBB164_2175:
	s_mov_b32 s4, 0
.LBB164_2176:
	s_andn2_b32 vcc_lo, exec_lo, s4
	s_cbranch_vccnz .LBB164_2185
; %bb.2177:
	s_cmp_lt_i32 s0, 6
	s_mov_b32 s4, -1
	s_cbranch_scc1 .LBB164_2183
; %bb.2178:
	s_cmp_gt_i32 s0, 6
	s_cbranch_scc0 .LBB164_2180
; %bb.2179:
	v_lshlrev_b32_e32 v5, 16, v1
	s_mov_b32 s4, 0
	v_cvt_f64_f32_e32 v[5:6], v5
	global_store_dwordx2 v[3:4], v[5:6], off
.LBB164_2180:
	s_andn2_b32 vcc_lo, exec_lo, s4
	s_cbranch_vccnz .LBB164_2182
; %bb.2181:
	v_lshlrev_b32_e32 v5, 16, v1
	global_store_dword v[3:4], v5, off
.LBB164_2182:
	s_mov_b32 s4, 0
.LBB164_2183:
	s_andn2_b32 vcc_lo, exec_lo, s4
	s_cbranch_vccnz .LBB164_2185
; %bb.2184:
	v_lshlrev_b32_e32 v5, 16, v1
	v_cvt_f16_f32_e32 v5, v5
	global_store_short v[3:4], v5, off
.LBB164_2185:
	s_mov_b32 s4, 0
.LBB164_2186:
	s_andn2_b32 vcc_lo, exec_lo, s4
	s_cbranch_vccnz .LBB164_2202
; %bb.2187:
	s_cmp_lt_i32 s0, 2
	s_mov_b32 s4, -1
	s_cbranch_scc1 .LBB164_2197
; %bb.2188:
	s_cmp_lt_i32 s0, 3
	s_cbranch_scc1 .LBB164_2194
; %bb.2189:
	s_cmp_gt_i32 s0, 3
	s_cbranch_scc0 .LBB164_2191
; %bb.2190:
	v_lshlrev_b32_e32 v5, 16, v1
	s_mov_b32 s4, 0
	v_trunc_f32_e32 v5, v5
	v_mul_f32_e64 v6, 0x2f800000, |v5|
	v_ashrrev_i32_e32 v11, 31, v5
	v_floor_f32_e32 v6, v6
	v_fma_f32 v10, 0xcf800000, v6, |v5|
	v_cvt_u32_f32_e32 v6, v6
	v_cvt_u32_f32_e32 v5, v10
	v_xor_b32_e32 v6, v6, v11
	v_xor_b32_e32 v5, v5, v11
	v_sub_co_u32 v5, vcc_lo, v5, v11
	v_sub_co_ci_u32_e64 v6, null, v6, v11, vcc_lo
	global_store_dwordx2 v[3:4], v[5:6], off
.LBB164_2191:
	s_andn2_b32 vcc_lo, exec_lo, s4
	s_cbranch_vccnz .LBB164_2193
; %bb.2192:
	v_lshlrev_b32_e32 v5, 16, v1
	v_cvt_i32_f32_e32 v5, v5
	global_store_dword v[3:4], v5, off
.LBB164_2193:
	s_mov_b32 s4, 0
.LBB164_2194:
	s_andn2_b32 vcc_lo, exec_lo, s4
	s_cbranch_vccnz .LBB164_2196
; %bb.2195:
	v_lshlrev_b32_e32 v5, 16, v1
	v_cvt_i32_f32_e32 v5, v5
	global_store_short v[3:4], v5, off
.LBB164_2196:
	s_mov_b32 s4, 0
.LBB164_2197:
	s_andn2_b32 vcc_lo, exec_lo, s4
	s_cbranch_vccnz .LBB164_2202
; %bb.2198:
	v_lshlrev_b32_e32 v1, 16, v1
	s_cmp_gt_i32 s0, 0
	s_mov_b32 s0, -1
	s_cbranch_scc0 .LBB164_2200
; %bb.2199:
	v_cvt_i32_f32_e32 v5, v1
	s_mov_b32 s0, 0
	global_store_byte v[3:4], v5, off
.LBB164_2200:
	s_andn2_b32 vcc_lo, exec_lo, s0
	s_cbranch_vccnz .LBB164_2202
; %bb.2201:
	v_trunc_f32_e32 v1, v1
	v_mul_f32_e64 v5, 0x2f800000, |v1|
	v_floor_f32_e32 v5, v5
	v_fma_f32 v5, 0xcf800000, v5, |v1|
	v_ashrrev_i32_e32 v1, 31, v1
	v_cvt_u32_f32_e32 v5, v5
	v_xor_b32_e32 v5, v5, v1
	v_sub_nc_u32_e32 v1, v5, v1
	global_store_byte v[3:4], v1, off
.LBB164_2202:
	s_mov_b32 s7, -1
.LBB164_2203:
	s_andn2_b32 vcc_lo, exec_lo, s7
	s_cbranch_vccnz .LBB164_2399
; %bb.2204:
	v_cmp_gt_f32_e64 s0, 0x4b000000, |v9|
	v_mov_b32_e32 v4, 0x7fc0
	s_or_b32 vcc_lo, s2, s0
	v_cmp_class_f32_e64 s0, v9, 0x264
	v_cndmask_b32_e32 v1, 0x7f800000, v12, vcc_lo
	v_cmp_u_f32_e32 vcc_lo, v9, v9
	s_cmp_lt_i32 s1, 11
	v_cndmask_b32_e64 v1, v1, 0x7f800000, s0
	v_cndmask_b32_e32 v1, v1, v9, vcc_lo
	v_bfe_u32 v3, v1, 16, 1
	v_cmp_o_f32_e32 vcc_lo, v1, v1
	v_add3_u32 v1, v1, v3, 0x7fff
	v_cndmask_b32_sdwa v3, v4, v1, vcc_lo dst_sel:DWORD dst_unused:UNUSED_PAD src0_sel:DWORD src1_sel:WORD_1
	v_add_co_u32 v1, s0, s8, v2
	v_add_co_ci_u32_e64 v2, null, s9, 0, s0
	s_cbranch_scc1 .LBB164_2282
; %bb.2205:
	s_and_b32 s2, 0xffff, s1
	s_mov_b32 s7, -1
	s_mov_b32 s4, 0
	s_cmp_gt_i32 s2, 25
	s_mov_b32 s6, 0
	s_mov_b32 s0, 0
	s_cbranch_scc0 .LBB164_2238
; %bb.2206:
	s_cmp_gt_i32 s2, 28
	s_cbranch_scc0 .LBB164_2221
; %bb.2207:
	s_cmp_gt_i32 s2, 43
	;; [unrolled: 3-line block ×3, first 2 shown]
	s_cbranch_scc0 .LBB164_2211
; %bb.2209:
	s_mov_b32 s0, -1
	s_mov_b32 s7, 0
	s_cmp_eq_u32 s2, 46
	s_cbranch_scc0 .LBB164_2211
; %bb.2210:
	v_and_b32_e32 v4, 0xffff, v3
	s_mov_b32 s0, 0
	s_mov_b32 s6, -1
	global_store_dword v[1:2], v4, off
.LBB164_2211:
	s_and_b32 vcc_lo, exec_lo, s7
	s_cbranch_vccz .LBB164_2216
; %bb.2212:
	s_cmp_eq_u32 s2, 44
	s_mov_b32 s0, -1
	s_cbranch_scc0 .LBB164_2216
; %bb.2213:
	v_and_b32_e32 v4, 0xffff, v3
	v_mov_b32_e32 v5, 0xff
	s_mov_b32 s6, exec_lo
	v_bfe_u32 v6, v4, 7, 8
	v_cmpx_ne_u32_e32 0xff, v6
	s_cbranch_execz .LBB164_2215
; %bb.2214:
	v_lshlrev_b32_e32 v5, 16, v4
	v_and_b32_e32 v9, 64, v4
	v_lshrrev_b32_e32 v4, 7, v4
	v_and_or_b32 v5, 0x3f0000, v5, v6
	v_cmp_ne_u32_e32 vcc_lo, 0, v9
	v_cmp_ne_u32_e64 s0, 0, v5
	s_and_b32 s0, vcc_lo, s0
	v_cndmask_b32_e64 v5, 0, 1, s0
	v_add_nc_u32_e32 v5, v4, v5
.LBB164_2215:
	s_or_b32 exec_lo, exec_lo, s6
	s_mov_b32 s0, 0
	s_mov_b32 s6, -1
	global_store_byte v[1:2], v5, off
.LBB164_2216:
	s_mov_b32 s7, 0
.LBB164_2217:
	s_and_b32 vcc_lo, exec_lo, s7
	s_cbranch_vccz .LBB164_2220
; %bb.2218:
	s_cmp_eq_u32 s2, 29
	s_mov_b32 s0, -1
	s_cbranch_scc0 .LBB164_2220
; %bb.2219:
	v_lshlrev_b32_e32 v4, 16, v3
	s_mov_b32 s0, 0
	s_mov_b32 s6, -1
	v_trunc_f32_e32 v4, v4
	v_mul_f32_e32 v5, 0x2f800000, v4
	v_floor_f32_e32 v5, v5
	v_fmamk_f32 v4, v5, 0xcf800000, v4
	v_cvt_u32_f32_e32 v5, v5
	v_cvt_u32_f32_e32 v4, v4
	global_store_dwordx2 v[1:2], v[4:5], off
.LBB164_2220:
	s_mov_b32 s7, 0
.LBB164_2221:
	s_and_b32 vcc_lo, exec_lo, s7
	s_cbranch_vccz .LBB164_2237
; %bb.2222:
	s_cmp_lt_i32 s2, 27
	s_mov_b32 s6, -1
	s_cbranch_scc1 .LBB164_2228
; %bb.2223:
	s_cmp_gt_i32 s2, 27
	s_cbranch_scc0 .LBB164_2225
; %bb.2224:
	v_lshlrev_b32_e32 v4, 16, v3
	s_mov_b32 s6, 0
	v_cvt_u32_f32_e32 v4, v4
	global_store_dword v[1:2], v4, off
.LBB164_2225:
	s_andn2_b32 vcc_lo, exec_lo, s6
	s_cbranch_vccnz .LBB164_2227
; %bb.2226:
	v_lshlrev_b32_e32 v4, 16, v3
	v_cvt_u32_f32_e32 v4, v4
	global_store_short v[1:2], v4, off
.LBB164_2227:
	s_mov_b32 s6, 0
.LBB164_2228:
	s_andn2_b32 vcc_lo, exec_lo, s6
	s_cbranch_vccnz .LBB164_2236
; %bb.2229:
	v_lshlrev_b32_e32 v6, 16, v3
	v_mov_b32_e32 v9, 0x80
	s_mov_b32 s6, exec_lo
	v_and_b32_e32 v5, 0x7fffffff, v6
	v_cmpx_gt_u32_e32 0x43800000, v5
	s_cbranch_execz .LBB164_2235
; %bb.2230:
	v_and_b32_e32 v4, 0xffff, v3
	v_cmp_lt_u32_e32 vcc_lo, 0x3bffffff, v5
	s_mov_b32 s7, 0
                                        ; implicit-def: $vgpr5
	s_and_saveexec_b32 s10, vcc_lo
	s_xor_b32 s10, exec_lo, s10
	s_cbranch_execz .LBB164_2456
; %bb.2231:
	v_bfe_u32 v5, v4, 4, 1
	s_mov_b32 s7, exec_lo
	v_add3_u32 v5, v6, v5, 0x487ffff
                                        ; implicit-def: $vgpr6
	v_lshrrev_b32_e32 v5, 20, v5
	s_andn2_saveexec_b32 s10, s10
	s_cbranch_execnz .LBB164_2457
.LBB164_2232:
	s_or_b32 exec_lo, exec_lo, s10
	v_mov_b32_e32 v9, 0
	s_and_saveexec_b32 s10, s7
.LBB164_2233:
	v_lshrrev_b32_e32 v4, 8, v4
	v_and_or_b32 v9, 0x80, v4, v5
.LBB164_2234:
	s_or_b32 exec_lo, exec_lo, s10
.LBB164_2235:
	s_or_b32 exec_lo, exec_lo, s6
	global_store_byte v[1:2], v9, off
.LBB164_2236:
	s_mov_b32 s6, -1
.LBB164_2237:
	s_mov_b32 s7, 0
.LBB164_2238:
	s_and_b32 vcc_lo, exec_lo, s7
	s_cbranch_vccz .LBB164_2278
; %bb.2239:
	s_cmp_gt_i32 s2, 22
	s_mov_b32 s4, -1
	s_cbranch_scc0 .LBB164_2271
; %bb.2240:
	s_cmp_lt_i32 s2, 24
	s_cbranch_scc1 .LBB164_2260
; %bb.2241:
	s_cmp_gt_i32 s2, 24
	s_cbranch_scc0 .LBB164_2249
; %bb.2242:
	v_lshlrev_b32_e32 v6, 16, v3
	v_mov_b32_e32 v9, 0x80
	s_mov_b32 s4, exec_lo
	v_and_b32_e32 v5, 0x7fffffff, v6
	v_cmpx_gt_u32_e32 0x47800000, v5
	s_cbranch_execz .LBB164_2248
; %bb.2243:
	v_and_b32_e32 v4, 0xffff, v3
	v_cmp_lt_u32_e32 vcc_lo, 0x37ffffff, v5
	s_mov_b32 s6, 0
                                        ; implicit-def: $vgpr5
	s_and_saveexec_b32 s7, vcc_lo
	s_xor_b32 s7, exec_lo, s7
	s_cbranch_execz .LBB164_2459
; %bb.2244:
	v_bfe_u32 v5, v4, 5, 1
	s_mov_b32 s6, exec_lo
	v_add3_u32 v5, v6, v5, 0x88fffff
                                        ; implicit-def: $vgpr6
	v_lshrrev_b32_e32 v5, 21, v5
	s_andn2_saveexec_b32 s7, s7
	s_cbranch_execnz .LBB164_2460
.LBB164_2245:
	s_or_b32 exec_lo, exec_lo, s7
	v_mov_b32_e32 v9, 0
	s_and_saveexec_b32 s7, s6
.LBB164_2246:
	v_lshrrev_b32_e32 v4, 8, v4
	v_and_or_b32 v9, 0x80, v4, v5
.LBB164_2247:
	s_or_b32 exec_lo, exec_lo, s7
.LBB164_2248:
	s_or_b32 exec_lo, exec_lo, s4
	s_mov_b32 s4, 0
	global_store_byte v[1:2], v9, off
.LBB164_2249:
	s_and_b32 vcc_lo, exec_lo, s4
	s_cbranch_vccz .LBB164_2259
; %bb.2250:
	v_lshlrev_b32_e32 v6, 16, v3
	v_and_b32_e32 v4, 0xffff, v3
	s_mov_b32 s4, exec_lo
                                        ; implicit-def: $vgpr5
	v_and_b32_e32 v9, 0x7fffffff, v6
	v_cmpx_gt_u32_e32 0x43f00000, v9
	s_xor_b32 s4, exec_lo, s4
	s_cbranch_execz .LBB164_2256
; %bb.2251:
	s_mov_b32 s6, exec_lo
                                        ; implicit-def: $vgpr5
	v_cmpx_lt_u32_e32 0x3c7fffff, v9
	s_xor_b32 s6, exec_lo, s6
; %bb.2252:
	v_bfe_u32 v5, v4, 4, 1
	v_add3_u32 v5, v6, v5, 0x407ffff
	v_and_b32_e32 v6, 0xff00000, v5
	v_lshrrev_b32_e32 v5, 20, v5
	v_cmp_ne_u32_e32 vcc_lo, 0x7f00000, v6
                                        ; implicit-def: $vgpr6
	v_cndmask_b32_e32 v5, 0x7e, v5, vcc_lo
; %bb.2253:
	s_andn2_saveexec_b32 s6, s6
; %bb.2254:
	v_add_f32_e64 v5, 0x46800000, |v6|
; %bb.2255:
	s_or_b32 exec_lo, exec_lo, s6
                                        ; implicit-def: $vgpr9
.LBB164_2256:
	s_andn2_saveexec_b32 s4, s4
; %bb.2257:
	v_mov_b32_e32 v5, 0x7f
	v_cmp_lt_u32_e32 vcc_lo, 0x7f800000, v9
	v_cndmask_b32_e32 v5, 0x7e, v5, vcc_lo
; %bb.2258:
	s_or_b32 exec_lo, exec_lo, s4
	v_lshrrev_b32_e32 v4, 8, v4
	v_and_or_b32 v4, 0x80, v4, v5
	global_store_byte v[1:2], v4, off
.LBB164_2259:
	s_mov_b32 s4, 0
.LBB164_2260:
	s_andn2_b32 vcc_lo, exec_lo, s4
	s_cbranch_vccnz .LBB164_2270
; %bb.2261:
	v_lshlrev_b32_e32 v6, 16, v3
	v_and_b32_e32 v4, 0xffff, v3
	s_mov_b32 s4, exec_lo
                                        ; implicit-def: $vgpr5
	v_and_b32_e32 v9, 0x7fffffff, v6
	v_cmpx_gt_u32_e32 0x47800000, v9
	s_xor_b32 s4, exec_lo, s4
	s_cbranch_execz .LBB164_2267
; %bb.2262:
	s_mov_b32 s6, exec_lo
                                        ; implicit-def: $vgpr5
	v_cmpx_lt_u32_e32 0x387fffff, v9
	s_xor_b32 s6, exec_lo, s6
; %bb.2263:
	v_bfe_u32 v5, v4, 5, 1
	v_add3_u32 v5, v6, v5, 0x80fffff
                                        ; implicit-def: $vgpr6
	v_lshrrev_b32_e32 v5, 21, v5
; %bb.2264:
	s_andn2_saveexec_b32 s6, s6
; %bb.2265:
	v_add_f32_e64 v5, 0x43000000, |v6|
; %bb.2266:
	s_or_b32 exec_lo, exec_lo, s6
                                        ; implicit-def: $vgpr9
.LBB164_2267:
	s_andn2_saveexec_b32 s4, s4
; %bb.2268:
	v_mov_b32_e32 v5, 0x7f
	v_cmp_lt_u32_e32 vcc_lo, 0x7f800000, v9
	v_cndmask_b32_e32 v5, 0x7c, v5, vcc_lo
; %bb.2269:
	s_or_b32 exec_lo, exec_lo, s4
	v_lshrrev_b32_e32 v4, 8, v4
	v_and_or_b32 v4, 0x80, v4, v5
	global_store_byte v[1:2], v4, off
.LBB164_2270:
	s_mov_b32 s4, 0
	s_mov_b32 s6, -1
.LBB164_2271:
	s_andn2_b32 vcc_lo, exec_lo, s4
	s_mov_b32 s4, 0
	s_cbranch_vccnz .LBB164_2278
; %bb.2272:
	s_cmp_gt_i32 s2, 14
	s_mov_b32 s4, -1
	s_cbranch_scc0 .LBB164_2276
; %bb.2273:
	s_cmp_eq_u32 s2, 15
	s_mov_b32 s0, -1
	s_cbranch_scc0 .LBB164_2275
; %bb.2274:
	s_mov_b32 s0, 0
	s_mov_b32 s6, -1
	global_store_short v[1:2], v3, off
.LBB164_2275:
	s_mov_b32 s4, 0
.LBB164_2276:
	s_and_b32 vcc_lo, exec_lo, s4
	s_mov_b32 s4, 0
	s_cbranch_vccz .LBB164_2278
; %bb.2277:
	s_cmp_lg_u32 s2, 11
	s_mov_b32 s4, -1
	s_cselect_b32 s0, -1, 0
.LBB164_2278:
	s_and_b32 vcc_lo, exec_lo, s0
	s_cbranch_vccnz .LBB164_2458
; %bb.2279:
	s_andn2_b32 vcc_lo, exec_lo, s4
	s_cbranch_vccnz .LBB164_2281
.LBB164_2280:
	v_and_b32_e32 v4, 0x7fff, v3
	s_mov_b32 s6, -1
	v_cmp_ne_u16_e32 vcc_lo, 0, v4
	v_cndmask_b32_e64 v4, 0, 1, vcc_lo
	global_store_byte v[1:2], v4, off
.LBB164_2281:
	s_mov_b32 s0, 0
	s_branch .LBB164_2283
.LBB164_2282:
	s_mov_b32 s0, -1
	s_mov_b32 s6, 0
.LBB164_2283:
	s_and_b32 vcc_lo, exec_lo, s0
	s_cbranch_vccz .LBB164_2322
; %bb.2284:
	s_and_b32 s0, 0xffff, s1
	s_mov_b32 s2, -1
	s_cmp_lt_i32 s0, 5
	s_cbranch_scc1 .LBB164_2305
; %bb.2285:
	s_cmp_lt_i32 s0, 8
	s_cbranch_scc1 .LBB164_2295
; %bb.2286:
	;; [unrolled: 3-line block ×3, first 2 shown]
	s_cmp_gt_i32 s0, 9
	s_cbranch_scc0 .LBB164_2289
; %bb.2288:
	v_lshlrev_b32_e32 v4, 16, v3
	v_mov_b32_e32 v11, 0
	s_mov_b32 s2, 0
	v_cvt_f64_f32_e32 v[9:10], v4
	v_mov_b32_e32 v12, v11
	global_store_dwordx4 v[1:2], v[9:12], off
.LBB164_2289:
	s_andn2_b32 vcc_lo, exec_lo, s2
	s_cbranch_vccnz .LBB164_2291
; %bb.2290:
	v_lshlrev_b32_e32 v4, 16, v3
	v_mov_b32_e32 v5, 0
	global_store_dwordx2 v[1:2], v[4:5], off
.LBB164_2291:
	s_mov_b32 s2, 0
.LBB164_2292:
	s_andn2_b32 vcc_lo, exec_lo, s2
	s_cbranch_vccnz .LBB164_2294
; %bb.2293:
	v_lshlrev_b32_e32 v4, 16, v3
	v_cvt_f16_f32_e32 v4, v4
	v_and_b32_e32 v4, 0xffff, v4
	global_store_dword v[1:2], v4, off
.LBB164_2294:
	s_mov_b32 s2, 0
.LBB164_2295:
	s_andn2_b32 vcc_lo, exec_lo, s2
	s_cbranch_vccnz .LBB164_2304
; %bb.2296:
	s_cmp_lt_i32 s0, 6
	s_mov_b32 s2, -1
	s_cbranch_scc1 .LBB164_2302
; %bb.2297:
	s_cmp_gt_i32 s0, 6
	s_cbranch_scc0 .LBB164_2299
; %bb.2298:
	v_lshlrev_b32_e32 v4, 16, v3
	s_mov_b32 s2, 0
	v_cvt_f64_f32_e32 v[4:5], v4
	global_store_dwordx2 v[1:2], v[4:5], off
.LBB164_2299:
	s_andn2_b32 vcc_lo, exec_lo, s2
	s_cbranch_vccnz .LBB164_2301
; %bb.2300:
	v_lshlrev_b32_e32 v4, 16, v3
	global_store_dword v[1:2], v4, off
.LBB164_2301:
	s_mov_b32 s2, 0
.LBB164_2302:
	s_andn2_b32 vcc_lo, exec_lo, s2
	s_cbranch_vccnz .LBB164_2304
; %bb.2303:
	v_lshlrev_b32_e32 v4, 16, v3
	v_cvt_f16_f32_e32 v4, v4
	global_store_short v[1:2], v4, off
.LBB164_2304:
	s_mov_b32 s2, 0
.LBB164_2305:
	s_andn2_b32 vcc_lo, exec_lo, s2
	s_cbranch_vccnz .LBB164_2321
; %bb.2306:
	s_cmp_lt_i32 s0, 2
	s_mov_b32 s2, -1
	s_cbranch_scc1 .LBB164_2316
; %bb.2307:
	s_cmp_lt_i32 s0, 3
	s_cbranch_scc1 .LBB164_2313
; %bb.2308:
	s_cmp_gt_i32 s0, 3
	s_cbranch_scc0 .LBB164_2310
; %bb.2309:
	v_lshlrev_b32_e32 v4, 16, v3
	s_mov_b32 s2, 0
	v_trunc_f32_e32 v4, v4
	v_mul_f32_e64 v5, 0x2f800000, |v4|
	v_ashrrev_i32_e32 v9, 31, v4
	v_floor_f32_e32 v5, v5
	v_fma_f32 v6, 0xcf800000, v5, |v4|
	v_cvt_u32_f32_e32 v5, v5
	v_cvt_u32_f32_e32 v4, v6
	v_xor_b32_e32 v5, v5, v9
	v_xor_b32_e32 v4, v4, v9
	v_sub_co_u32 v4, vcc_lo, v4, v9
	v_sub_co_ci_u32_e64 v5, null, v5, v9, vcc_lo
	global_store_dwordx2 v[1:2], v[4:5], off
.LBB164_2310:
	s_andn2_b32 vcc_lo, exec_lo, s2
	s_cbranch_vccnz .LBB164_2312
; %bb.2311:
	v_lshlrev_b32_e32 v4, 16, v3
	v_cvt_i32_f32_e32 v4, v4
	global_store_dword v[1:2], v4, off
.LBB164_2312:
	s_mov_b32 s2, 0
.LBB164_2313:
	s_andn2_b32 vcc_lo, exec_lo, s2
	s_cbranch_vccnz .LBB164_2315
; %bb.2314:
	v_lshlrev_b32_e32 v4, 16, v3
	v_cvt_i32_f32_e32 v4, v4
	global_store_short v[1:2], v4, off
.LBB164_2315:
	s_mov_b32 s2, 0
.LBB164_2316:
	s_andn2_b32 vcc_lo, exec_lo, s2
	s_cbranch_vccnz .LBB164_2321
; %bb.2317:
	s_cmp_gt_i32 s0, 0
	s_mov_b32 s0, -1
	s_cbranch_scc0 .LBB164_2319
; %bb.2318:
	v_lshlrev_b32_e32 v4, 16, v3
	s_mov_b32 s0, 0
	v_cvt_i32_f32_e32 v4, v4
	global_store_byte v[1:2], v4, off
.LBB164_2319:
	s_andn2_b32 vcc_lo, exec_lo, s0
	s_cbranch_vccnz .LBB164_2321
; %bb.2320:
	v_lshlrev_b32_e32 v3, 16, v3
	v_trunc_f32_e32 v3, v3
	v_mul_f32_e64 v4, 0x2f800000, |v3|
	v_floor_f32_e32 v4, v4
	v_fma_f32 v4, 0xcf800000, v4, |v3|
	v_ashrrev_i32_e32 v3, 31, v3
	v_cvt_u32_f32_e32 v4, v4
	v_xor_b32_e32 v4, v4, v3
	v_sub_nc_u32_e32 v3, v4, v3
	global_store_byte v[1:2], v3, off
.LBB164_2321:
	s_mov_b32 s6, -1
.LBB164_2322:
	s_andn2_b32 vcc_lo, exec_lo, s6
	s_cbranch_vccnz .LBB164_2399
; %bb.2323:
	v_cmp_gt_f32_e64 s0, 0x4b000000, |v7|
	v_mov_b32_e32 v3, 0x7fc0
	s_or_b32 vcc_lo, s3, s0
	v_cmp_class_f32_e64 s0, v7, 0x264
	v_cndmask_b32_e32 v1, 0x7f800000, v8, vcc_lo
	v_cmp_u_f32_e32 vcc_lo, v7, v7
	s_cmp_lt_i32 s1, 11
	v_cndmask_b32_e64 v1, v1, 0x7f800000, s0
	v_add_co_u32 v0, s0, s8, v0
	v_cndmask_b32_e32 v1, v1, v7, vcc_lo
	v_bfe_u32 v2, v1, 16, 1
	v_cmp_o_f32_e32 vcc_lo, v1, v1
	v_add3_u32 v1, v1, v2, 0x7fff
	v_cndmask_b32_sdwa v2, v3, v1, vcc_lo dst_sel:DWORD dst_unused:UNUSED_PAD src0_sel:DWORD src1_sel:WORD_1
	v_add_co_ci_u32_e64 v1, null, s9, 0, s0
	s_cbranch_scc1 .LBB164_2444
; %bb.2324:
	s_and_b32 s2, 0xffff, s1
	s_mov_b32 s4, -1
	s_mov_b32 s3, 0
	s_cmp_gt_i32 s2, 25
	s_mov_b32 s0, 0
	s_cbranch_scc0 .LBB164_2357
; %bb.2325:
	s_cmp_gt_i32 s2, 28
	s_cbranch_scc0 .LBB164_2341
; %bb.2326:
	s_cmp_gt_i32 s2, 43
	;; [unrolled: 3-line block ×3, first 2 shown]
	s_cbranch_scc0 .LBB164_2331
; %bb.2328:
	s_cmp_eq_u32 s2, 46
	s_mov_b32 s0, -1
	s_cbranch_scc0 .LBB164_2330
; %bb.2329:
	v_and_b32_e32 v3, 0xffff, v2
	s_mov_b32 s0, 0
	global_store_dword v[0:1], v3, off
.LBB164_2330:
	s_mov_b32 s4, 0
.LBB164_2331:
	s_and_b32 vcc_lo, exec_lo, s4
	s_cbranch_vccz .LBB164_2336
; %bb.2332:
	s_cmp_eq_u32 s2, 44
	s_mov_b32 s0, -1
	s_cbranch_scc0 .LBB164_2336
; %bb.2333:
	v_and_b32_e32 v3, 0xffff, v2
	v_mov_b32_e32 v4, 0xff
	s_mov_b32 s4, exec_lo
	v_bfe_u32 v5, v3, 7, 8
	v_cmpx_ne_u32_e32 0xff, v5
	s_cbranch_execz .LBB164_2335
; %bb.2334:
	v_lshlrev_b32_e32 v4, 16, v3
	v_and_b32_e32 v6, 64, v3
	v_lshrrev_b32_e32 v3, 7, v3
	v_and_or_b32 v4, 0x3f0000, v4, v5
	v_cmp_ne_u32_e32 vcc_lo, 0, v6
	v_cmp_ne_u32_e64 s0, 0, v4
	s_and_b32 s0, vcc_lo, s0
	v_cndmask_b32_e64 v4, 0, 1, s0
	v_add_nc_u32_e32 v4, v3, v4
.LBB164_2335:
	s_or_b32 exec_lo, exec_lo, s4
	s_mov_b32 s0, 0
	global_store_byte v[0:1], v4, off
.LBB164_2336:
	s_mov_b32 s4, 0
.LBB164_2337:
	s_and_b32 vcc_lo, exec_lo, s4
	s_cbranch_vccz .LBB164_2340
; %bb.2338:
	s_cmp_eq_u32 s2, 29
	s_mov_b32 s0, -1
	s_cbranch_scc0 .LBB164_2340
; %bb.2339:
	v_lshlrev_b32_e32 v3, 16, v2
	s_mov_b32 s0, 0
	v_trunc_f32_e32 v3, v3
	v_mul_f32_e32 v4, 0x2f800000, v3
	v_floor_f32_e32 v4, v4
	v_fmamk_f32 v3, v4, 0xcf800000, v3
	v_cvt_u32_f32_e32 v4, v4
	v_cvt_u32_f32_e32 v3, v3
	global_store_dwordx2 v[0:1], v[3:4], off
.LBB164_2340:
	s_mov_b32 s4, 0
.LBB164_2341:
	s_and_b32 vcc_lo, exec_lo, s4
	s_cbranch_vccz .LBB164_2356
; %bb.2342:
	s_cmp_lt_i32 s2, 27
	s_mov_b32 s4, -1
	s_cbranch_scc1 .LBB164_2348
; %bb.2343:
	s_cmp_gt_i32 s2, 27
	s_cbranch_scc0 .LBB164_2345
; %bb.2344:
	v_lshlrev_b32_e32 v3, 16, v2
	s_mov_b32 s4, 0
	v_cvt_u32_f32_e32 v3, v3
	global_store_dword v[0:1], v3, off
.LBB164_2345:
	s_andn2_b32 vcc_lo, exec_lo, s4
	s_cbranch_vccnz .LBB164_2347
; %bb.2346:
	v_lshlrev_b32_e32 v3, 16, v2
	v_cvt_u32_f32_e32 v3, v3
	global_store_short v[0:1], v3, off
.LBB164_2347:
	s_mov_b32 s4, 0
.LBB164_2348:
	s_andn2_b32 vcc_lo, exec_lo, s4
	s_cbranch_vccnz .LBB164_2356
; %bb.2349:
	v_lshlrev_b32_e32 v5, 16, v2
	v_mov_b32_e32 v6, 0x80
	s_mov_b32 s4, exec_lo
	v_and_b32_e32 v4, 0x7fffffff, v5
	v_cmpx_gt_u32_e32 0x43800000, v4
	s_cbranch_execz .LBB164_2355
; %bb.2350:
	v_and_b32_e32 v3, 0xffff, v2
	v_cmp_lt_u32_e32 vcc_lo, 0x3bffffff, v4
	s_mov_b32 s6, 0
                                        ; implicit-def: $vgpr4
	s_and_saveexec_b32 s7, vcc_lo
	s_xor_b32 s7, exec_lo, s7
	s_cbranch_execz .LBB164_2461
; %bb.2351:
	v_bfe_u32 v4, v3, 4, 1
	s_mov_b32 s6, exec_lo
	v_add3_u32 v4, v5, v4, 0x487ffff
                                        ; implicit-def: $vgpr5
	v_lshrrev_b32_e32 v4, 20, v4
	s_andn2_saveexec_b32 s7, s7
	s_cbranch_execnz .LBB164_2462
.LBB164_2352:
	s_or_b32 exec_lo, exec_lo, s7
	v_mov_b32_e32 v6, 0
	s_and_saveexec_b32 s7, s6
.LBB164_2353:
	v_lshrrev_b32_e32 v3, 8, v3
	v_and_or_b32 v6, 0x80, v3, v4
.LBB164_2354:
	s_or_b32 exec_lo, exec_lo, s7
.LBB164_2355:
	s_or_b32 exec_lo, exec_lo, s4
	global_store_byte v[0:1], v6, off
.LBB164_2356:
	s_mov_b32 s4, 0
.LBB164_2357:
	s_and_b32 vcc_lo, exec_lo, s4
	s_cbranch_vccz .LBB164_2397
; %bb.2358:
	s_cmp_gt_i32 s2, 22
	s_mov_b32 s3, -1
	s_cbranch_scc0 .LBB164_2390
; %bb.2359:
	s_cmp_lt_i32 s2, 24
	s_cbranch_scc1 .LBB164_2379
; %bb.2360:
	s_cmp_gt_i32 s2, 24
	s_cbranch_scc0 .LBB164_2368
; %bb.2361:
	v_lshlrev_b32_e32 v5, 16, v2
	v_mov_b32_e32 v6, 0x80
	s_mov_b32 s3, exec_lo
	v_and_b32_e32 v4, 0x7fffffff, v5
	v_cmpx_gt_u32_e32 0x47800000, v4
	s_cbranch_execz .LBB164_2367
; %bb.2362:
	v_and_b32_e32 v3, 0xffff, v2
	v_cmp_lt_u32_e32 vcc_lo, 0x37ffffff, v4
	s_mov_b32 s4, 0
                                        ; implicit-def: $vgpr4
	s_and_saveexec_b32 s6, vcc_lo
	s_xor_b32 s6, exec_lo, s6
	s_cbranch_execz .LBB164_2464
; %bb.2363:
	v_bfe_u32 v4, v3, 5, 1
	s_mov_b32 s4, exec_lo
	v_add3_u32 v4, v5, v4, 0x88fffff
                                        ; implicit-def: $vgpr5
	v_lshrrev_b32_e32 v4, 21, v4
	s_andn2_saveexec_b32 s6, s6
	s_cbranch_execnz .LBB164_2465
.LBB164_2364:
	s_or_b32 exec_lo, exec_lo, s6
	v_mov_b32_e32 v6, 0
	s_and_saveexec_b32 s6, s4
.LBB164_2365:
	v_lshrrev_b32_e32 v3, 8, v3
	v_and_or_b32 v6, 0x80, v3, v4
.LBB164_2366:
	s_or_b32 exec_lo, exec_lo, s6
.LBB164_2367:
	s_or_b32 exec_lo, exec_lo, s3
	s_mov_b32 s3, 0
	global_store_byte v[0:1], v6, off
.LBB164_2368:
	s_and_b32 vcc_lo, exec_lo, s3
	s_cbranch_vccz .LBB164_2378
; %bb.2369:
	v_lshlrev_b32_e32 v5, 16, v2
	v_and_b32_e32 v3, 0xffff, v2
	s_mov_b32 s3, exec_lo
                                        ; implicit-def: $vgpr4
	v_and_b32_e32 v6, 0x7fffffff, v5
	v_cmpx_gt_u32_e32 0x43f00000, v6
	s_xor_b32 s3, exec_lo, s3
	s_cbranch_execz .LBB164_2375
; %bb.2370:
	s_mov_b32 s4, exec_lo
                                        ; implicit-def: $vgpr4
	v_cmpx_lt_u32_e32 0x3c7fffff, v6
	s_xor_b32 s4, exec_lo, s4
; %bb.2371:
	v_bfe_u32 v4, v3, 4, 1
	v_add3_u32 v4, v5, v4, 0x407ffff
	v_and_b32_e32 v5, 0xff00000, v4
	v_lshrrev_b32_e32 v4, 20, v4
	v_cmp_ne_u32_e32 vcc_lo, 0x7f00000, v5
                                        ; implicit-def: $vgpr5
	v_cndmask_b32_e32 v4, 0x7e, v4, vcc_lo
; %bb.2372:
	s_andn2_saveexec_b32 s4, s4
; %bb.2373:
	v_add_f32_e64 v4, 0x46800000, |v5|
; %bb.2374:
	s_or_b32 exec_lo, exec_lo, s4
                                        ; implicit-def: $vgpr6
.LBB164_2375:
	s_andn2_saveexec_b32 s3, s3
; %bb.2376:
	v_mov_b32_e32 v4, 0x7f
	v_cmp_lt_u32_e32 vcc_lo, 0x7f800000, v6
	v_cndmask_b32_e32 v4, 0x7e, v4, vcc_lo
; %bb.2377:
	s_or_b32 exec_lo, exec_lo, s3
	v_lshrrev_b32_e32 v3, 8, v3
	v_and_or_b32 v3, 0x80, v3, v4
	global_store_byte v[0:1], v3, off
.LBB164_2378:
	s_mov_b32 s3, 0
.LBB164_2379:
	s_andn2_b32 vcc_lo, exec_lo, s3
	s_cbranch_vccnz .LBB164_2389
; %bb.2380:
	v_lshlrev_b32_e32 v5, 16, v2
	v_and_b32_e32 v3, 0xffff, v2
	s_mov_b32 s3, exec_lo
                                        ; implicit-def: $vgpr4
	v_and_b32_e32 v6, 0x7fffffff, v5
	v_cmpx_gt_u32_e32 0x47800000, v6
	s_xor_b32 s3, exec_lo, s3
	s_cbranch_execz .LBB164_2386
; %bb.2381:
	s_mov_b32 s4, exec_lo
                                        ; implicit-def: $vgpr4
	v_cmpx_lt_u32_e32 0x387fffff, v6
	s_xor_b32 s4, exec_lo, s4
; %bb.2382:
	v_bfe_u32 v4, v3, 5, 1
	v_add3_u32 v4, v5, v4, 0x80fffff
                                        ; implicit-def: $vgpr5
	v_lshrrev_b32_e32 v4, 21, v4
; %bb.2383:
	s_andn2_saveexec_b32 s4, s4
; %bb.2384:
	v_add_f32_e64 v4, 0x43000000, |v5|
; %bb.2385:
	s_or_b32 exec_lo, exec_lo, s4
                                        ; implicit-def: $vgpr6
.LBB164_2386:
	s_andn2_saveexec_b32 s3, s3
; %bb.2387:
	v_mov_b32_e32 v4, 0x7f
	v_cmp_lt_u32_e32 vcc_lo, 0x7f800000, v6
	v_cndmask_b32_e32 v4, 0x7c, v4, vcc_lo
; %bb.2388:
	s_or_b32 exec_lo, exec_lo, s3
	v_lshrrev_b32_e32 v3, 8, v3
	v_and_or_b32 v3, 0x80, v3, v4
	global_store_byte v[0:1], v3, off
.LBB164_2389:
	s_mov_b32 s3, 0
.LBB164_2390:
	s_andn2_b32 vcc_lo, exec_lo, s3
	s_mov_b32 s3, 0
	s_cbranch_vccnz .LBB164_2397
; %bb.2391:
	s_cmp_gt_i32 s2, 14
	s_mov_b32 s3, -1
	s_cbranch_scc0 .LBB164_2395
; %bb.2392:
	s_cmp_eq_u32 s2, 15
	s_mov_b32 s0, -1
	s_cbranch_scc0 .LBB164_2394
; %bb.2393:
	s_mov_b32 s0, 0
	global_store_short v[0:1], v2, off
.LBB164_2394:
	s_mov_b32 s3, 0
.LBB164_2395:
	s_and_b32 vcc_lo, exec_lo, s3
	s_mov_b32 s3, 0
	s_cbranch_vccz .LBB164_2397
; %bb.2396:
	s_cmp_lg_u32 s2, 11
	s_mov_b32 s3, -1
	s_cselect_b32 s0, -1, 0
.LBB164_2397:
	s_and_b32 vcc_lo, exec_lo, s0
	s_cbranch_vccnz .LBB164_2463
.LBB164_2398:
	s_mov_b32 s0, 0
	s_branch .LBB164_2400
.LBB164_2399:
	s_mov_b32 s0, 0
	s_mov_b32 s3, 0
                                        ; implicit-def: $vgpr0_vgpr1
                                        ; implicit-def: $sgpr1
                                        ; implicit-def: $vgpr2
.LBB164_2400:
	s_andn2_b32 s2, s12, exec_lo
	s_and_b32 s4, s5, exec_lo
	s_and_b32 s0, s0, exec_lo
	s_and_b32 s26, s3, exec_lo
	s_or_b32 s12, s2, s4
.LBB164_2401:
	s_or_b32 exec_lo, exec_lo, s13
	s_and_saveexec_b32 s2, s12
	s_cbranch_execz .LBB164_2404
; %bb.2402:
	; divergent unreachable
	s_or_b32 exec_lo, exec_lo, s2
	s_and_saveexec_b32 s2, s26
	s_xor_b32 s2, exec_lo, s2
	s_cbranch_execnz .LBB164_2405
.LBB164_2403:
	s_or_b32 exec_lo, exec_lo, s2
	s_and_saveexec_b32 s2, s0
	s_cbranch_execnz .LBB164_2406
	s_branch .LBB164_2443
.LBB164_2404:
	s_or_b32 exec_lo, exec_lo, s2
	s_and_saveexec_b32 s2, s26
	s_xor_b32 s2, exec_lo, s2
	s_cbranch_execz .LBB164_2403
.LBB164_2405:
	s_waitcnt vmcnt(0)
	v_and_b32_e32 v3, 0x7fff, v2
	v_cmp_ne_u16_e32 vcc_lo, 0, v3
	v_cndmask_b32_e64 v3, 0, 1, vcc_lo
	global_store_byte v[0:1], v3, off
	s_or_b32 exec_lo, exec_lo, s2
	s_and_saveexec_b32 s2, s0
	s_cbranch_execz .LBB164_2443
.LBB164_2406:
	s_sext_i32_i16 s2, s1
	s_mov_b32 s0, -1
	s_cmp_lt_i32 s2, 5
	s_cbranch_scc1 .LBB164_2427
; %bb.2407:
	s_cmp_lt_i32 s2, 8
	s_cbranch_scc1 .LBB164_2417
; %bb.2408:
	;; [unrolled: 3-line block ×3, first 2 shown]
	s_cmp_gt_i32 s2, 9
	s_cbranch_scc0 .LBB164_2411
; %bb.2410:
	s_waitcnt vmcnt(0)
	v_lshlrev_b32_e32 v3, 16, v2
	v_mov_b32_e32 v5, 0
	s_mov_b32 s0, 0
	v_cvt_f64_f32_e32 v[3:4], v3
	v_mov_b32_e32 v6, v5
	global_store_dwordx4 v[0:1], v[3:6], off
.LBB164_2411:
	s_andn2_b32 vcc_lo, exec_lo, s0
	s_cbranch_vccnz .LBB164_2413
; %bb.2412:
	s_waitcnt vmcnt(0)
	v_lshlrev_b32_e32 v3, 16, v2
	v_mov_b32_e32 v4, 0
	global_store_dwordx2 v[0:1], v[3:4], off
.LBB164_2413:
	s_mov_b32 s0, 0
.LBB164_2414:
	s_andn2_b32 vcc_lo, exec_lo, s0
	s_cbranch_vccnz .LBB164_2416
; %bb.2415:
	s_waitcnt vmcnt(0)
	v_lshlrev_b32_e32 v3, 16, v2
	v_cvt_f16_f32_e32 v3, v3
	v_and_b32_e32 v3, 0xffff, v3
	global_store_dword v[0:1], v3, off
.LBB164_2416:
	s_mov_b32 s0, 0
.LBB164_2417:
	s_andn2_b32 vcc_lo, exec_lo, s0
	s_cbranch_vccnz .LBB164_2426
; %bb.2418:
	s_sext_i32_i16 s2, s1
	s_mov_b32 s0, -1
	s_cmp_lt_i32 s2, 6
	s_cbranch_scc1 .LBB164_2424
; %bb.2419:
	s_cmp_gt_i32 s2, 6
	s_cbranch_scc0 .LBB164_2421
; %bb.2420:
	s_waitcnt vmcnt(0)
	v_lshlrev_b32_e32 v3, 16, v2
	s_mov_b32 s0, 0
	v_cvt_f64_f32_e32 v[3:4], v3
	global_store_dwordx2 v[0:1], v[3:4], off
.LBB164_2421:
	s_andn2_b32 vcc_lo, exec_lo, s0
	s_cbranch_vccnz .LBB164_2423
; %bb.2422:
	s_waitcnt vmcnt(0)
	v_lshlrev_b32_e32 v3, 16, v2
	global_store_dword v[0:1], v3, off
.LBB164_2423:
	s_mov_b32 s0, 0
.LBB164_2424:
	s_andn2_b32 vcc_lo, exec_lo, s0
	s_cbranch_vccnz .LBB164_2426
; %bb.2425:
	s_waitcnt vmcnt(0)
	v_lshlrev_b32_e32 v3, 16, v2
	v_cvt_f16_f32_e32 v3, v3
	global_store_short v[0:1], v3, off
.LBB164_2426:
	s_mov_b32 s0, 0
.LBB164_2427:
	s_andn2_b32 vcc_lo, exec_lo, s0
	s_cbranch_vccnz .LBB164_2443
; %bb.2428:
	s_sext_i32_i16 s2, s1
	s_mov_b32 s0, -1
	s_cmp_lt_i32 s2, 2
	s_cbranch_scc1 .LBB164_2438
; %bb.2429:
	s_cmp_lt_i32 s2, 3
	s_cbranch_scc1 .LBB164_2435
; %bb.2430:
	s_cmp_gt_i32 s2, 3
	s_cbranch_scc0 .LBB164_2432
; %bb.2431:
	s_waitcnt vmcnt(0)
	v_lshlrev_b32_e32 v3, 16, v2
	s_mov_b32 s0, 0
	v_trunc_f32_e32 v3, v3
	v_mul_f32_e64 v4, 0x2f800000, |v3|
	v_ashrrev_i32_e32 v6, 31, v3
	v_floor_f32_e32 v4, v4
	v_fma_f32 v5, 0xcf800000, v4, |v3|
	v_cvt_u32_f32_e32 v4, v4
	v_cvt_u32_f32_e32 v3, v5
	v_xor_b32_e32 v4, v4, v6
	v_xor_b32_e32 v3, v3, v6
	v_sub_co_u32 v3, vcc_lo, v3, v6
	v_sub_co_ci_u32_e64 v4, null, v4, v6, vcc_lo
	global_store_dwordx2 v[0:1], v[3:4], off
.LBB164_2432:
	s_andn2_b32 vcc_lo, exec_lo, s0
	s_cbranch_vccnz .LBB164_2434
; %bb.2433:
	s_waitcnt vmcnt(0)
	v_lshlrev_b32_e32 v3, 16, v2
	v_cvt_i32_f32_e32 v3, v3
	global_store_dword v[0:1], v3, off
.LBB164_2434:
	s_mov_b32 s0, 0
.LBB164_2435:
	s_andn2_b32 vcc_lo, exec_lo, s0
	s_cbranch_vccnz .LBB164_2437
; %bb.2436:
	s_waitcnt vmcnt(0)
	v_lshlrev_b32_e32 v3, 16, v2
	v_cvt_i32_f32_e32 v3, v3
	global_store_short v[0:1], v3, off
.LBB164_2437:
	s_mov_b32 s0, 0
.LBB164_2438:
	s_andn2_b32 vcc_lo, exec_lo, s0
	s_cbranch_vccnz .LBB164_2443
; %bb.2439:
	s_sext_i32_i16 s0, s1
	s_cmp_gt_i32 s0, 0
	s_mov_b32 s0, -1
	s_cbranch_scc0 .LBB164_2441
; %bb.2440:
	s_waitcnt vmcnt(0)
	v_lshlrev_b32_e32 v3, 16, v2
	s_mov_b32 s0, 0
	v_cvt_i32_f32_e32 v3, v3
	global_store_byte v[0:1], v3, off
.LBB164_2441:
	s_andn2_b32 vcc_lo, exec_lo, s0
	s_cbranch_vccnz .LBB164_2443
; %bb.2442:
	v_lshlrev_b32_e32 v2, 16, v2
	v_trunc_f32_e32 v2, v2
	s_waitcnt vmcnt(0)
	v_mul_f32_e64 v3, 0x2f800000, |v2|
	v_floor_f32_e32 v3, v3
	v_fma_f32 v3, 0xcf800000, v3, |v2|
	v_ashrrev_i32_e32 v2, 31, v2
	v_cvt_u32_f32_e32 v3, v3
	v_xor_b32_e32 v3, v3, v2
	v_sub_nc_u32_e32 v2, v3, v2
	global_store_byte v[0:1], v2, off
	s_endpgm
.LBB164_2443:
	s_endpgm
.LBB164_2444:
	s_mov_b32 s3, 0
	s_mov_b32 s0, -1
	s_branch .LBB164_2400
.LBB164_2445:
	s_or_b32 s5, s5, exec_lo
	s_trap 2
	s_cbranch_execz .LBB164_1876
	s_branch .LBB164_1877
.LBB164_2446:
	s_andn2_saveexec_b32 s15, s15
	s_cbranch_execz .LBB164_1994
.LBB164_2447:
	v_add_f32_e64 v13, 0x46000000, |v14|
	s_andn2_b32 s14, s14, exec_lo
	v_and_b32_e32 v13, 0xff, v13
	v_cmp_ne_u32_e32 vcc_lo, 0, v13
	s_and_b32 s16, vcc_lo, exec_lo
	s_or_b32 s14, s14, s16
	s_or_b32 exec_lo, exec_lo, s15
	v_mov_b32_e32 v15, 0
	s_and_saveexec_b32 s15, s14
	s_cbranch_execnz .LBB164_1995
	s_branch .LBB164_1996
.LBB164_2448:
	s_or_b32 s5, s5, exec_lo
	s_trap 2
	s_cbranch_execz .LBB164_2042
	s_branch .LBB164_2043
.LBB164_2449:
	s_andn2_saveexec_b32 s14, s14
	s_cbranch_execz .LBB164_2007
.LBB164_2450:
	v_add_f32_e64 v13, 0x42800000, |v14|
	s_andn2_b32 s11, s11, exec_lo
	v_and_b32_e32 v13, 0xff, v13
	v_cmp_ne_u32_e32 vcc_lo, 0, v13
	s_and_b32 s15, vcc_lo, exec_lo
	s_or_b32 s11, s11, s15
	s_or_b32 exec_lo, exec_lo, s14
	v_mov_b32_e32 v15, 0
	s_and_saveexec_b32 s14, s11
	s_cbranch_execnz .LBB164_2008
	s_branch .LBB164_2009
.LBB164_2451:
	s_andn2_saveexec_b32 s11, s11
	s_cbranch_execz .LBB164_2113
.LBB164_2452:
	v_add_f32_e64 v6, 0x46000000, |v10|
	s_andn2_b32 s10, s10, exec_lo
	v_and_b32_e32 v6, 0xff, v6
	v_cmp_ne_u32_e32 vcc_lo, 0, v6
	s_and_b32 s14, vcc_lo, exec_lo
	s_or_b32 s10, s10, s14
	s_or_b32 exec_lo, exec_lo, s11
	v_mov_b32_e32 v11, 0
	s_and_saveexec_b32 s11, s10
	s_cbranch_execnz .LBB164_2114
	s_branch .LBB164_2115
.LBB164_2453:
	s_or_b32 s5, s5, exec_lo
	s_trap 2
	s_cbranch_execz .LBB164_2161
	s_branch .LBB164_2162
.LBB164_2454:
	s_andn2_saveexec_b32 s10, s10
	s_cbranch_execz .LBB164_2126
.LBB164_2455:
	v_add_f32_e64 v6, 0x42800000, |v10|
	s_andn2_b32 s7, s7, exec_lo
	v_and_b32_e32 v6, 0xff, v6
	v_cmp_ne_u32_e32 vcc_lo, 0, v6
	s_and_b32 s11, vcc_lo, exec_lo
	s_or_b32 s7, s7, s11
	s_or_b32 exec_lo, exec_lo, s10
	v_mov_b32_e32 v11, 0
	s_and_saveexec_b32 s10, s7
	s_cbranch_execnz .LBB164_2127
	s_branch .LBB164_2128
.LBB164_2456:
	s_andn2_saveexec_b32 s10, s10
	s_cbranch_execz .LBB164_2232
.LBB164_2457:
	v_add_f32_e64 v5, 0x46000000, |v6|
	s_andn2_b32 s7, s7, exec_lo
	v_and_b32_e32 v5, 0xff, v5
	v_cmp_ne_u32_e32 vcc_lo, 0, v5
	s_and_b32 s11, vcc_lo, exec_lo
	s_or_b32 s7, s7, s11
	s_or_b32 exec_lo, exec_lo, s10
	v_mov_b32_e32 v9, 0
	s_and_saveexec_b32 s10, s7
	s_cbranch_execnz .LBB164_2233
	s_branch .LBB164_2234
.LBB164_2458:
	s_or_b32 s5, s5, exec_lo
	s_trap 2
	s_cbranch_execz .LBB164_2280
	s_branch .LBB164_2281
.LBB164_2459:
	s_andn2_saveexec_b32 s7, s7
	s_cbranch_execz .LBB164_2245
.LBB164_2460:
	v_add_f32_e64 v5, 0x42800000, |v6|
	s_andn2_b32 s6, s6, exec_lo
	v_and_b32_e32 v5, 0xff, v5
	v_cmp_ne_u32_e32 vcc_lo, 0, v5
	s_and_b32 s10, vcc_lo, exec_lo
	s_or_b32 s6, s6, s10
	s_or_b32 exec_lo, exec_lo, s7
	v_mov_b32_e32 v9, 0
	s_and_saveexec_b32 s7, s6
	s_cbranch_execnz .LBB164_2246
	s_branch .LBB164_2247
.LBB164_2461:
	s_andn2_saveexec_b32 s7, s7
	s_cbranch_execz .LBB164_2352
.LBB164_2462:
	v_add_f32_e64 v4, 0x46000000, |v5|
	s_andn2_b32 s6, s6, exec_lo
	v_and_b32_e32 v4, 0xff, v4
	v_cmp_ne_u32_e32 vcc_lo, 0, v4
	s_and_b32 s8, vcc_lo, exec_lo
	s_or_b32 s6, s6, s8
	s_or_b32 exec_lo, exec_lo, s7
	v_mov_b32_e32 v6, 0
	s_and_saveexec_b32 s7, s6
	s_cbranch_execnz .LBB164_2353
	s_branch .LBB164_2354
.LBB164_2463:
	s_mov_b32 s3, 0
	s_or_b32 s5, s5, exec_lo
	s_trap 2
	s_branch .LBB164_2398
.LBB164_2464:
	s_andn2_saveexec_b32 s6, s6
	s_cbranch_execz .LBB164_2364
.LBB164_2465:
	v_add_f32_e64 v4, 0x42800000, |v5|
	s_andn2_b32 s4, s4, exec_lo
	v_and_b32_e32 v4, 0xff, v4
	v_cmp_ne_u32_e32 vcc_lo, 0, v4
	s_and_b32 s7, vcc_lo, exec_lo
	s_or_b32 s4, s4, s7
	s_or_b32 exec_lo, exec_lo, s6
	v_mov_b32_e32 v6, 0
	s_and_saveexec_b32 s6, s4
	s_cbranch_execnz .LBB164_2365
	s_branch .LBB164_2366
	.section	.rodata,"a",@progbits
	.p2align	6, 0x0
	.amdhsa_kernel _ZN2at6native32elementwise_kernel_manual_unrollILi128ELi4EZNS0_15gpu_kernel_implIZZZNS0_18lgamma_kernel_cudaERNS_18TensorIteratorBaseEENKUlvE_clEvENKUlvE2_clEvEUlN3c108BFloat16EE_EEvS4_RKT_EUlibE0_EEviT1_
		.amdhsa_group_segment_fixed_size 0
		.amdhsa_private_segment_fixed_size 0
		.amdhsa_kernarg_size 360
		.amdhsa_user_sgpr_count 6
		.amdhsa_user_sgpr_private_segment_buffer 1
		.amdhsa_user_sgpr_dispatch_ptr 0
		.amdhsa_user_sgpr_queue_ptr 0
		.amdhsa_user_sgpr_kernarg_segment_ptr 1
		.amdhsa_user_sgpr_dispatch_id 0
		.amdhsa_user_sgpr_flat_scratch_init 0
		.amdhsa_user_sgpr_private_segment_size 0
		.amdhsa_wavefront_size32 1
		.amdhsa_uses_dynamic_stack 0
		.amdhsa_system_sgpr_private_segment_wavefront_offset 0
		.amdhsa_system_sgpr_workgroup_id_x 1
		.amdhsa_system_sgpr_workgroup_id_y 0
		.amdhsa_system_sgpr_workgroup_id_z 0
		.amdhsa_system_sgpr_workgroup_info 0
		.amdhsa_system_vgpr_workitem_id 0
		.amdhsa_next_free_vgpr 19
		.amdhsa_next_free_sgpr 68
		.amdhsa_reserve_vcc 1
		.amdhsa_reserve_flat_scratch 0
		.amdhsa_float_round_mode_32 0
		.amdhsa_float_round_mode_16_64 0
		.amdhsa_float_denorm_mode_32 3
		.amdhsa_float_denorm_mode_16_64 3
		.amdhsa_dx10_clamp 1
		.amdhsa_ieee_mode 1
		.amdhsa_fp16_overflow 0
		.amdhsa_workgroup_processor_mode 1
		.amdhsa_memory_ordered 1
		.amdhsa_forward_progress 1
		.amdhsa_shared_vgpr_count 0
		.amdhsa_exception_fp_ieee_invalid_op 0
		.amdhsa_exception_fp_denorm_src 0
		.amdhsa_exception_fp_ieee_div_zero 0
		.amdhsa_exception_fp_ieee_overflow 0
		.amdhsa_exception_fp_ieee_underflow 0
		.amdhsa_exception_fp_ieee_inexact 0
		.amdhsa_exception_int_div_zero 0
	.end_amdhsa_kernel
	.section	.text._ZN2at6native32elementwise_kernel_manual_unrollILi128ELi4EZNS0_15gpu_kernel_implIZZZNS0_18lgamma_kernel_cudaERNS_18TensorIteratorBaseEENKUlvE_clEvENKUlvE2_clEvEUlN3c108BFloat16EE_EEvS4_RKT_EUlibE0_EEviT1_,"axG",@progbits,_ZN2at6native32elementwise_kernel_manual_unrollILi128ELi4EZNS0_15gpu_kernel_implIZZZNS0_18lgamma_kernel_cudaERNS_18TensorIteratorBaseEENKUlvE_clEvENKUlvE2_clEvEUlN3c108BFloat16EE_EEvS4_RKT_EUlibE0_EEviT1_,comdat
.Lfunc_end164:
	.size	_ZN2at6native32elementwise_kernel_manual_unrollILi128ELi4EZNS0_15gpu_kernel_implIZZZNS0_18lgamma_kernel_cudaERNS_18TensorIteratorBaseEENKUlvE_clEvENKUlvE2_clEvEUlN3c108BFloat16EE_EEvS4_RKT_EUlibE0_EEviT1_, .Lfunc_end164-_ZN2at6native32elementwise_kernel_manual_unrollILi128ELi4EZNS0_15gpu_kernel_implIZZZNS0_18lgamma_kernel_cudaERNS_18TensorIteratorBaseEENKUlvE_clEvENKUlvE2_clEvEUlN3c108BFloat16EE_EEvS4_RKT_EUlibE0_EEviT1_
                                        ; -- End function
	.set _ZN2at6native32elementwise_kernel_manual_unrollILi128ELi4EZNS0_15gpu_kernel_implIZZZNS0_18lgamma_kernel_cudaERNS_18TensorIteratorBaseEENKUlvE_clEvENKUlvE2_clEvEUlN3c108BFloat16EE_EEvS4_RKT_EUlibE0_EEviT1_.num_vgpr, 19
	.set _ZN2at6native32elementwise_kernel_manual_unrollILi128ELi4EZNS0_15gpu_kernel_implIZZZNS0_18lgamma_kernel_cudaERNS_18TensorIteratorBaseEENKUlvE_clEvENKUlvE2_clEvEUlN3c108BFloat16EE_EEvS4_RKT_EUlibE0_EEviT1_.num_agpr, 0
	.set _ZN2at6native32elementwise_kernel_manual_unrollILi128ELi4EZNS0_15gpu_kernel_implIZZZNS0_18lgamma_kernel_cudaERNS_18TensorIteratorBaseEENKUlvE_clEvENKUlvE2_clEvEUlN3c108BFloat16EE_EEvS4_RKT_EUlibE0_EEviT1_.numbered_sgpr, 68
	.set _ZN2at6native32elementwise_kernel_manual_unrollILi128ELi4EZNS0_15gpu_kernel_implIZZZNS0_18lgamma_kernel_cudaERNS_18TensorIteratorBaseEENKUlvE_clEvENKUlvE2_clEvEUlN3c108BFloat16EE_EEvS4_RKT_EUlibE0_EEviT1_.num_named_barrier, 0
	.set _ZN2at6native32elementwise_kernel_manual_unrollILi128ELi4EZNS0_15gpu_kernel_implIZZZNS0_18lgamma_kernel_cudaERNS_18TensorIteratorBaseEENKUlvE_clEvENKUlvE2_clEvEUlN3c108BFloat16EE_EEvS4_RKT_EUlibE0_EEviT1_.private_seg_size, 0
	.set _ZN2at6native32elementwise_kernel_manual_unrollILi128ELi4EZNS0_15gpu_kernel_implIZZZNS0_18lgamma_kernel_cudaERNS_18TensorIteratorBaseEENKUlvE_clEvENKUlvE2_clEvEUlN3c108BFloat16EE_EEvS4_RKT_EUlibE0_EEviT1_.uses_vcc, 1
	.set _ZN2at6native32elementwise_kernel_manual_unrollILi128ELi4EZNS0_15gpu_kernel_implIZZZNS0_18lgamma_kernel_cudaERNS_18TensorIteratorBaseEENKUlvE_clEvENKUlvE2_clEvEUlN3c108BFloat16EE_EEvS4_RKT_EUlibE0_EEviT1_.uses_flat_scratch, 0
	.set _ZN2at6native32elementwise_kernel_manual_unrollILi128ELi4EZNS0_15gpu_kernel_implIZZZNS0_18lgamma_kernel_cudaERNS_18TensorIteratorBaseEENKUlvE_clEvENKUlvE2_clEvEUlN3c108BFloat16EE_EEvS4_RKT_EUlibE0_EEviT1_.has_dyn_sized_stack, 0
	.set _ZN2at6native32elementwise_kernel_manual_unrollILi128ELi4EZNS0_15gpu_kernel_implIZZZNS0_18lgamma_kernel_cudaERNS_18TensorIteratorBaseEENKUlvE_clEvENKUlvE2_clEvEUlN3c108BFloat16EE_EEvS4_RKT_EUlibE0_EEviT1_.has_recursion, 0
	.set _ZN2at6native32elementwise_kernel_manual_unrollILi128ELi4EZNS0_15gpu_kernel_implIZZZNS0_18lgamma_kernel_cudaERNS_18TensorIteratorBaseEENKUlvE_clEvENKUlvE2_clEvEUlN3c108BFloat16EE_EEvS4_RKT_EUlibE0_EEviT1_.has_indirect_call, 0
	.section	.AMDGPU.csdata,"",@progbits
; Kernel info:
; codeLenInByte = 60720
; TotalNumSgprs: 70
; NumVgprs: 19
; ScratchSize: 0
; MemoryBound: 0
; FloatMode: 240
; IeeeMode: 1
; LDSByteSize: 0 bytes/workgroup (compile time only)
; SGPRBlocks: 0
; VGPRBlocks: 2
; NumSGPRsForWavesPerEU: 70
; NumVGPRsForWavesPerEU: 19
; Occupancy: 16
; WaveLimiterHint : 1
; COMPUTE_PGM_RSRC2:SCRATCH_EN: 0
; COMPUTE_PGM_RSRC2:USER_SGPR: 6
; COMPUTE_PGM_RSRC2:TRAP_HANDLER: 0
; COMPUTE_PGM_RSRC2:TGID_X_EN: 1
; COMPUTE_PGM_RSRC2:TGID_Y_EN: 0
; COMPUTE_PGM_RSRC2:TGID_Z_EN: 0
; COMPUTE_PGM_RSRC2:TIDIG_COMP_CNT: 0
	.text
	.p2alignl 6, 3214868480
	.fill 48, 4, 3214868480
	.section	.AMDGPU.gpr_maximums,"",@progbits
	.set amdgpu.max_num_vgpr, 82
	.set amdgpu.max_num_agpr, 0
	.set amdgpu.max_num_sgpr, 96
	.text
	.hidden	_ZZ4zetaIdLb1EET_S0_S0_E1A      ; @_ZZ4zetaIdLb1EET_S0_S0_E1A
	.type	_ZZ4zetaIdLb1EET_S0_S0_E1A,@object
	.section	.rodata._ZZ4zetaIdLb1EET_S0_S0_E1A,"aG",@progbits,_ZZ4zetaIdLb1EET_S0_S0_E1A,comdat
	.weak	_ZZ4zetaIdLb1EET_S0_S0_E1A
	.p2align	4, 0x0
_ZZ4zetaIdLb1EET_S0_S0_E1A:
	.quad	0x4028000000000000              ; double 12
	.quad	0xc086800000000000              ; double -720
	.quad	0x40dd880000000000              ; double 30240
	.quad	0xc132750000000000              ; double -1209600
	.quad	0x4186d73000000000              ; double 47900160
	.quad	0xc1dc331393146053              ; double -1892437580.3183792
	.quad	0x423165e990000000              ; double 74724249600
	.quad	0xc285770bf3df7150              ; double -2950130727918.1641
	.quad	0x42da7b51e18d632b              ; double 116467828143500.67
	.quad	0xc33055d6586f1431              ; double -4597978722407473
	.quad	0x438427237ec0a9de              ; double 1.8152105401943546E+17
	.quad	0xc3d8dcd555480632              ; double -7.1661652561756672E+18
	.size	_ZZ4zetaIdLb1EET_S0_S0_E1A, 96

	.hidden	_ZZ4zetaIfLb1EET_S0_S0_E1A      ; @_ZZ4zetaIfLb1EET_S0_S0_E1A
	.type	_ZZ4zetaIfLb1EET_S0_S0_E1A,@object
	.section	.rodata._ZZ4zetaIfLb1EET_S0_S0_E1A,"aG",@progbits,_ZZ4zetaIfLb1EET_S0_S0_E1A,comdat
	.weak	_ZZ4zetaIfLb1EET_S0_S0_E1A
	.p2align	4, 0x0
_ZZ4zetaIfLb1EET_S0_S0_E1A:
	.long	0x41400000                      ; float 12
	.long	0xc4340000                      ; float -720
	.long	0x46ec4000                      ; float 30240
	.long	0xc993a800                      ; float -1209600
	.long	0x4c36b980                      ; float 47900160
	.long	0xcee1989d                      ; float -1.89243763E+9
	.long	0x518b2f4c                      ; float 7.47242455E+10
	.long	0xd42bb860                      ; float -2.95013083E+12
	.long	0x56d3da8f                      ; float 1.16467828E+14
	.long	0xd982aeb3                      ; float -4.59797885E+15
	.long	0x5c21391c                      ; float 1.81521055E+17
	.long	0xdec6e6ab                      ; float -7.16616544E+18
	.size	_ZZ4zetaIfLb1EET_S0_S0_E1A, 48

	.hidden	_ZZ4zetaIN3c104HalfELb1EET_S2_S2_E1A ; @_ZZ4zetaIN3c104HalfELb1EET_S2_S2_E1A
	.type	_ZZ4zetaIN3c104HalfELb1EET_S2_S2_E1A,@object
	.section	.rodata._ZZ4zetaIN3c104HalfELb1EET_S2_S2_E1A,"aG",@progbits,_ZZ4zetaIN3c104HalfELb1EET_S2_S2_E1A,comdat
	.weak	_ZZ4zetaIN3c104HalfELb1EET_S2_S2_E1A
	.p2align	4, 0x0
_ZZ4zetaIN3c104HalfELb1EET_S2_S2_E1A:
	.long	0x41400000                      ; float 12
	.long	0xc4340000                      ; float -720
	.long	0x46ec4000                      ; float 30240
	.long	0xc993a800                      ; float -1209600
	.long	0x4c36b980                      ; float 47900160
	.long	0xcee1989d                      ; float -1.89243763E+9
	.long	0x518b2f4c                      ; float 7.47242455E+10
	.long	0xd42bb860                      ; float -2.95013083E+12
	.long	0x56d3da8f                      ; float 1.16467828E+14
	.long	0xd982aeb3                      ; float -4.59797885E+15
	.long	0x5c21391c                      ; float 1.81521055E+17
	.long	0xdec6e6ab                      ; float -7.16616544E+18
	.size	_ZZ4zetaIN3c104HalfELb1EET_S2_S2_E1A, 48

	.hidden	_ZZ4zetaIN3c108BFloat16ELb1EET_S2_S2_E1A ; @_ZZ4zetaIN3c108BFloat16ELb1EET_S2_S2_E1A
	.type	_ZZ4zetaIN3c108BFloat16ELb1EET_S2_S2_E1A,@object
	.section	.rodata._ZZ4zetaIN3c108BFloat16ELb1EET_S2_S2_E1A,"aG",@progbits,_ZZ4zetaIN3c108BFloat16ELb1EET_S2_S2_E1A,comdat
	.weak	_ZZ4zetaIN3c108BFloat16ELb1EET_S2_S2_E1A
	.p2align	4, 0x0
_ZZ4zetaIN3c108BFloat16ELb1EET_S2_S2_E1A:
	.long	0x41400000                      ; float 12
	.long	0xc4340000                      ; float -720
	.long	0x46ec4000                      ; float 30240
	.long	0xc993a800                      ; float -1209600
	.long	0x4c36b980                      ; float 47900160
	.long	0xcee1989d                      ; float -1.89243763E+9
	.long	0x518b2f4c                      ; float 7.47242455E+10
	.long	0xd42bb860                      ; float -2.95013083E+12
	.long	0x56d3da8f                      ; float 1.16467828E+14
	.long	0xd982aeb3                      ; float -4.59797885E+15
	.long	0x5c21391c                      ; float 1.81521055E+17
	.long	0xdec6e6ab                      ; float -7.16616544E+18
	.size	_ZZ4zetaIN3c108BFloat16ELb1EET_S2_S2_E1A, 48

	.type	__hip_cuid_b75b484a0a02f685,@object ; @__hip_cuid_b75b484a0a02f685
	.section	.bss,"aw",@nobits
	.globl	__hip_cuid_b75b484a0a02f685
__hip_cuid_b75b484a0a02f685:
	.byte	0                               ; 0x0
	.size	__hip_cuid_b75b484a0a02f685, 1

	.ident	"AMD clang version 22.0.0git (https://github.com/RadeonOpenCompute/llvm-project roc-7.2.4 26084 f58b06dce1f9c15707c5f808fd002e18c2accf7e)"
	.section	".note.GNU-stack","",@progbits
	.addrsig
	.addrsig_sym __hip_cuid_b75b484a0a02f685
	.amdgpu_metadata
---
amdhsa.kernels:
  - .args:
      - .offset:         0
        .size:           4
        .value_kind:     by_value
      - .offset:         4
        .size:           1
        .value_kind:     by_value
      - .offset:         8
        .size:           16
        .value_kind:     by_value
    .group_segment_fixed_size: 0
    .kernarg_segment_align: 8
    .kernarg_segment_size: 24
    .language:       OpenCL C
    .language_version:
      - 2
      - 0
    .max_flat_workgroup_size: 256
    .name:           _ZN2at6native29vectorized_elementwise_kernelILi16EZZZNS0_19digamma_kernel_cudaERNS_18TensorIteratorBaseEENKUlvE_clEvENKUlvE_clEvEUldE_St5arrayIPcLm2EEEEviT0_T1_
    .private_segment_fixed_size: 0
    .sgpr_count:     35
    .sgpr_spill_count: 0
    .symbol:         _ZN2at6native29vectorized_elementwise_kernelILi16EZZZNS0_19digamma_kernel_cudaERNS_18TensorIteratorBaseEENKUlvE_clEvENKUlvE_clEvEUldE_St5arrayIPcLm2EEEEviT0_T1_.kd
    .uniform_work_group_size: 1
    .uses_dynamic_stack: false
    .vgpr_count:     68
    .vgpr_spill_count: 0
    .wavefront_size: 32
    .workgroup_processor_mode: 1
  - .args:
      - .offset:         0
        .size:           4
        .value_kind:     by_value
      - .offset:         4
        .size:           1
        .value_kind:     by_value
      - .offset:         8
        .size:           16
        .value_kind:     by_value
    .group_segment_fixed_size: 0
    .kernarg_segment_align: 8
    .kernarg_segment_size: 24
    .language:       OpenCL C
    .language_version:
      - 2
      - 0
    .max_flat_workgroup_size: 256
    .name:           _ZN2at6native29vectorized_elementwise_kernelILi8EZZZNS0_19digamma_kernel_cudaERNS_18TensorIteratorBaseEENKUlvE_clEvENKUlvE_clEvEUldE_St5arrayIPcLm2EEEEviT0_T1_
    .private_segment_fixed_size: 0
    .sgpr_count:     35
    .sgpr_spill_count: 0
    .symbol:         _ZN2at6native29vectorized_elementwise_kernelILi8EZZZNS0_19digamma_kernel_cudaERNS_18TensorIteratorBaseEENKUlvE_clEvENKUlvE_clEvEUldE_St5arrayIPcLm2EEEEviT0_T1_.kd
    .uniform_work_group_size: 1
    .uses_dynamic_stack: false
    .vgpr_count:     68
    .vgpr_spill_count: 0
    .wavefront_size: 32
    .workgroup_processor_mode: 1
  - .args:
      - .offset:         0
        .size:           4
        .value_kind:     by_value
      - .offset:         4
        .size:           1
        .value_kind:     by_value
      - .offset:         8
        .size:           16
        .value_kind:     by_value
    .group_segment_fixed_size: 0
    .kernarg_segment_align: 8
    .kernarg_segment_size: 24
    .language:       OpenCL C
    .language_version:
      - 2
      - 0
    .max_flat_workgroup_size: 256
    .name:           _ZN2at6native29vectorized_elementwise_kernelILi4EZZZNS0_19digamma_kernel_cudaERNS_18TensorIteratorBaseEENKUlvE_clEvENKUlvE_clEvEUldE_St5arrayIPcLm2EEEEviT0_T1_
    .private_segment_fixed_size: 0
    .sgpr_count:     35
    .sgpr_spill_count: 0
    .symbol:         _ZN2at6native29vectorized_elementwise_kernelILi4EZZZNS0_19digamma_kernel_cudaERNS_18TensorIteratorBaseEENKUlvE_clEvENKUlvE_clEvEUldE_St5arrayIPcLm2EEEEviT0_T1_.kd
    .uniform_work_group_size: 1
    .uses_dynamic_stack: false
    .vgpr_count:     68
    .vgpr_spill_count: 0
    .wavefront_size: 32
    .workgroup_processor_mode: 1
  - .args:
      - .offset:         0
        .size:           4
        .value_kind:     by_value
      - .offset:         4
        .size:           1
        .value_kind:     by_value
      - .offset:         8
        .size:           16
        .value_kind:     by_value
    .group_segment_fixed_size: 0
    .kernarg_segment_align: 8
    .kernarg_segment_size: 24
    .language:       OpenCL C
    .language_version:
      - 2
      - 0
    .max_flat_workgroup_size: 256
    .name:           _ZN2at6native29vectorized_elementwise_kernelILi2EZZZNS0_19digamma_kernel_cudaERNS_18TensorIteratorBaseEENKUlvE_clEvENKUlvE_clEvEUldE_St5arrayIPcLm2EEEEviT0_T1_
    .private_segment_fixed_size: 0
    .sgpr_count:     35
    .sgpr_spill_count: 0
    .symbol:         _ZN2at6native29vectorized_elementwise_kernelILi2EZZZNS0_19digamma_kernel_cudaERNS_18TensorIteratorBaseEENKUlvE_clEvENKUlvE_clEvEUldE_St5arrayIPcLm2EEEEviT0_T1_.kd
    .uniform_work_group_size: 1
    .uses_dynamic_stack: false
    .vgpr_count:     68
    .vgpr_spill_count: 0
    .wavefront_size: 32
    .workgroup_processor_mode: 1
  - .args:
      - .offset:         0
        .size:           4
        .value_kind:     by_value
      - .offset:         4
        .size:           1
        .value_kind:     by_value
      - .offset:         8
        .size:           16
        .value_kind:     by_value
      - .offset:         24
        .size:           1
        .value_kind:     by_value
      - .offset:         25
        .size:           1
        .value_kind:     by_value
      - .offset:         26
        .size:           1
        .value_kind:     by_value
      - .offset:         27
        .size:           1
        .value_kind:     by_value
    .group_segment_fixed_size: 0
    .kernarg_segment_align: 8
    .kernarg_segment_size: 28
    .language:       OpenCL C
    .language_version:
      - 2
      - 0
    .max_flat_workgroup_size: 256
    .name:           _ZN2at6native27unrolled_elementwise_kernelIZZZNS0_19digamma_kernel_cudaERNS_18TensorIteratorBaseEENKUlvE_clEvENKUlvE_clEvEUldE_St5arrayIPcLm2EELi4E23TrivialOffsetCalculatorILi1EjESB_NS0_6memory15LoadWithoutCastENSC_16StoreWithoutCastEEEviT_T0_T2_T3_T4_T5_
    .private_segment_fixed_size: 0
    .sgpr_count:     35
    .sgpr_spill_count: 0
    .symbol:         _ZN2at6native27unrolled_elementwise_kernelIZZZNS0_19digamma_kernel_cudaERNS_18TensorIteratorBaseEENKUlvE_clEvENKUlvE_clEvEUldE_St5arrayIPcLm2EELi4E23TrivialOffsetCalculatorILi1EjESB_NS0_6memory15LoadWithoutCastENSC_16StoreWithoutCastEEEviT_T0_T2_T3_T4_T5_.kd
    .uniform_work_group_size: 1
    .uses_dynamic_stack: false
    .vgpr_count:     68
    .vgpr_spill_count: 0
    .wavefront_size: 32
    .workgroup_processor_mode: 1
  - .args:
      - .offset:         0
        .size:           4
        .value_kind:     by_value
      - .offset:         8
        .size:           352
        .value_kind:     by_value
    .group_segment_fixed_size: 0
    .kernarg_segment_align: 8
    .kernarg_segment_size: 360
    .language:       OpenCL C
    .language_version:
      - 2
      - 0
    .max_flat_workgroup_size: 128
    .name:           _ZN2at6native32elementwise_kernel_manual_unrollILi128ELi4EZNS0_22gpu_kernel_impl_nocastIZZZNS0_19digamma_kernel_cudaERNS_18TensorIteratorBaseEENKUlvE_clEvENKUlvE_clEvEUldE_EEvS4_RKT_EUlibE_EEviT1_
    .private_segment_fixed_size: 0
    .sgpr_count:     58
    .sgpr_spill_count: 0
    .symbol:         _ZN2at6native32elementwise_kernel_manual_unrollILi128ELi4EZNS0_22gpu_kernel_impl_nocastIZZZNS0_19digamma_kernel_cudaERNS_18TensorIteratorBaseEENKUlvE_clEvENKUlvE_clEvEUldE_EEvS4_RKT_EUlibE_EEviT1_.kd
    .uniform_work_group_size: 1
    .uses_dynamic_stack: false
    .vgpr_count:     46
    .vgpr_spill_count: 0
    .wavefront_size: 32
    .workgroup_processor_mode: 1
  - .args:
      - .offset:         0
        .size:           4
        .value_kind:     by_value
      - .offset:         8
        .size:           32
        .value_kind:     by_value
    .group_segment_fixed_size: 0
    .kernarg_segment_align: 8
    .kernarg_segment_size: 40
    .language:       OpenCL C
    .language_version:
      - 2
      - 0
    .max_flat_workgroup_size: 128
    .name:           _ZN2at6native32elementwise_kernel_manual_unrollILi128ELi4EZNS0_15gpu_kernel_implIZZZNS0_19digamma_kernel_cudaERNS_18TensorIteratorBaseEENKUlvE_clEvENKUlvE_clEvEUldE_EEvS4_RKT_EUlibE_EEviT1_
    .private_segment_fixed_size: 0
    .sgpr_count:     32
    .sgpr_spill_count: 0
    .symbol:         _ZN2at6native32elementwise_kernel_manual_unrollILi128ELi4EZNS0_15gpu_kernel_implIZZZNS0_19digamma_kernel_cudaERNS_18TensorIteratorBaseEENKUlvE_clEvENKUlvE_clEvEUldE_EEvS4_RKT_EUlibE_EEviT1_.kd
    .uniform_work_group_size: 1
    .uses_dynamic_stack: false
    .vgpr_count:     42
    .vgpr_spill_count: 0
    .wavefront_size: 32
    .workgroup_processor_mode: 1
  - .args:
      - .offset:         0
        .size:           4
        .value_kind:     by_value
      - .offset:         8
        .size:           352
        .value_kind:     by_value
    .group_segment_fixed_size: 0
    .kernarg_segment_align: 8
    .kernarg_segment_size: 360
    .language:       OpenCL C
    .language_version:
      - 2
      - 0
    .max_flat_workgroup_size: 128
    .name:           _ZN2at6native32elementwise_kernel_manual_unrollILi128ELi4EZNS0_15gpu_kernel_implIZZZNS0_19digamma_kernel_cudaERNS_18TensorIteratorBaseEENKUlvE_clEvENKUlvE_clEvEUldE_EEvS4_RKT_EUlibE0_EEviT1_
    .private_segment_fixed_size: 0
    .sgpr_count:     70
    .sgpr_spill_count: 0
    .symbol:         _ZN2at6native32elementwise_kernel_manual_unrollILi128ELi4EZNS0_15gpu_kernel_implIZZZNS0_19digamma_kernel_cudaERNS_18TensorIteratorBaseEENKUlvE_clEvENKUlvE_clEvEUldE_EEvS4_RKT_EUlibE0_EEviT1_.kd
    .uniform_work_group_size: 1
    .uses_dynamic_stack: false
    .vgpr_count:     48
    .vgpr_spill_count: 0
    .wavefront_size: 32
    .workgroup_processor_mode: 1
  - .args:
      - .offset:         0
        .size:           4
        .value_kind:     by_value
      - .offset:         4
        .size:           1
        .value_kind:     by_value
      - .offset:         8
        .size:           16
        .value_kind:     by_value
    .group_segment_fixed_size: 0
    .kernarg_segment_align: 8
    .kernarg_segment_size: 24
    .language:       OpenCL C
    .language_version:
      - 2
      - 0
    .max_flat_workgroup_size: 256
    .name:           _ZN2at6native29vectorized_elementwise_kernelILi16EZZZNS0_19digamma_kernel_cudaERNS_18TensorIteratorBaseEENKUlvE_clEvENKUlvE0_clEvEUlfE_St5arrayIPcLm2EEEEviT0_T1_
    .private_segment_fixed_size: 0
    .sgpr_count:     35
    .sgpr_spill_count: 0
    .symbol:         _ZN2at6native29vectorized_elementwise_kernelILi16EZZZNS0_19digamma_kernel_cudaERNS_18TensorIteratorBaseEENKUlvE_clEvENKUlvE0_clEvEUlfE_St5arrayIPcLm2EEEEviT0_T1_.kd
    .uniform_work_group_size: 1
    .uses_dynamic_stack: false
    .vgpr_count:     54
    .vgpr_spill_count: 0
    .wavefront_size: 32
    .workgroup_processor_mode: 1
  - .args:
      - .offset:         0
        .size:           4
        .value_kind:     by_value
      - .offset:         4
        .size:           1
        .value_kind:     by_value
      - .offset:         8
        .size:           16
        .value_kind:     by_value
    .group_segment_fixed_size: 0
    .kernarg_segment_align: 8
    .kernarg_segment_size: 24
    .language:       OpenCL C
    .language_version:
      - 2
      - 0
    .max_flat_workgroup_size: 256
    .name:           _ZN2at6native29vectorized_elementwise_kernelILi8EZZZNS0_19digamma_kernel_cudaERNS_18TensorIteratorBaseEENKUlvE_clEvENKUlvE0_clEvEUlfE_St5arrayIPcLm2EEEEviT0_T1_
    .private_segment_fixed_size: 0
    .sgpr_count:     35
    .sgpr_spill_count: 0
    .symbol:         _ZN2at6native29vectorized_elementwise_kernelILi8EZZZNS0_19digamma_kernel_cudaERNS_18TensorIteratorBaseEENKUlvE_clEvENKUlvE0_clEvEUlfE_St5arrayIPcLm2EEEEviT0_T1_.kd
    .uniform_work_group_size: 1
    .uses_dynamic_stack: false
    .vgpr_count:     54
    .vgpr_spill_count: 0
    .wavefront_size: 32
    .workgroup_processor_mode: 1
  - .args:
      - .offset:         0
        .size:           4
        .value_kind:     by_value
      - .offset:         4
        .size:           1
        .value_kind:     by_value
      - .offset:         8
        .size:           16
        .value_kind:     by_value
    .group_segment_fixed_size: 0
    .kernarg_segment_align: 8
    .kernarg_segment_size: 24
    .language:       OpenCL C
    .language_version:
      - 2
      - 0
    .max_flat_workgroup_size: 256
    .name:           _ZN2at6native29vectorized_elementwise_kernelILi4EZZZNS0_19digamma_kernel_cudaERNS_18TensorIteratorBaseEENKUlvE_clEvENKUlvE0_clEvEUlfE_St5arrayIPcLm2EEEEviT0_T1_
    .private_segment_fixed_size: 0
    .sgpr_count:     35
    .sgpr_spill_count: 0
    .symbol:         _ZN2at6native29vectorized_elementwise_kernelILi4EZZZNS0_19digamma_kernel_cudaERNS_18TensorIteratorBaseEENKUlvE_clEvENKUlvE0_clEvEUlfE_St5arrayIPcLm2EEEEviT0_T1_.kd
    .uniform_work_group_size: 1
    .uses_dynamic_stack: false
    .vgpr_count:     54
    .vgpr_spill_count: 0
    .wavefront_size: 32
    .workgroup_processor_mode: 1
  - .args:
      - .offset:         0
        .size:           4
        .value_kind:     by_value
      - .offset:         4
        .size:           1
        .value_kind:     by_value
      - .offset:         8
        .size:           16
        .value_kind:     by_value
    .group_segment_fixed_size: 0
    .kernarg_segment_align: 8
    .kernarg_segment_size: 24
    .language:       OpenCL C
    .language_version:
      - 2
      - 0
    .max_flat_workgroup_size: 256
    .name:           _ZN2at6native29vectorized_elementwise_kernelILi2EZZZNS0_19digamma_kernel_cudaERNS_18TensorIteratorBaseEENKUlvE_clEvENKUlvE0_clEvEUlfE_St5arrayIPcLm2EEEEviT0_T1_
    .private_segment_fixed_size: 0
    .sgpr_count:     35
    .sgpr_spill_count: 0
    .symbol:         _ZN2at6native29vectorized_elementwise_kernelILi2EZZZNS0_19digamma_kernel_cudaERNS_18TensorIteratorBaseEENKUlvE_clEvENKUlvE0_clEvEUlfE_St5arrayIPcLm2EEEEviT0_T1_.kd
    .uniform_work_group_size: 1
    .uses_dynamic_stack: false
    .vgpr_count:     54
    .vgpr_spill_count: 0
    .wavefront_size: 32
    .workgroup_processor_mode: 1
  - .args:
      - .offset:         0
        .size:           4
        .value_kind:     by_value
      - .offset:         4
        .size:           1
        .value_kind:     by_value
      - .offset:         8
        .size:           16
        .value_kind:     by_value
      - .offset:         24
        .size:           1
        .value_kind:     by_value
      - .offset:         25
        .size:           1
        .value_kind:     by_value
      - .offset:         26
        .size:           1
        .value_kind:     by_value
      - .offset:         27
        .size:           1
        .value_kind:     by_value
    .group_segment_fixed_size: 0
    .kernarg_segment_align: 8
    .kernarg_segment_size: 28
    .language:       OpenCL C
    .language_version:
      - 2
      - 0
    .max_flat_workgroup_size: 256
    .name:           _ZN2at6native27unrolled_elementwise_kernelIZZZNS0_19digamma_kernel_cudaERNS_18TensorIteratorBaseEENKUlvE_clEvENKUlvE0_clEvEUlfE_St5arrayIPcLm2EELi4E23TrivialOffsetCalculatorILi1EjESB_NS0_6memory15LoadWithoutCastENSC_16StoreWithoutCastEEEviT_T0_T2_T3_T4_T5_
    .private_segment_fixed_size: 0
    .sgpr_count:     35
    .sgpr_spill_count: 0
    .symbol:         _ZN2at6native27unrolled_elementwise_kernelIZZZNS0_19digamma_kernel_cudaERNS_18TensorIteratorBaseEENKUlvE_clEvENKUlvE0_clEvEUlfE_St5arrayIPcLm2EELi4E23TrivialOffsetCalculatorILi1EjESB_NS0_6memory15LoadWithoutCastENSC_16StoreWithoutCastEEEviT_T0_T2_T3_T4_T5_.kd
    .uniform_work_group_size: 1
    .uses_dynamic_stack: false
    .vgpr_count:     54
    .vgpr_spill_count: 0
    .wavefront_size: 32
    .workgroup_processor_mode: 1
  - .args:
      - .offset:         0
        .size:           4
        .value_kind:     by_value
      - .offset:         8
        .size:           352
        .value_kind:     by_value
    .group_segment_fixed_size: 0
    .kernarg_segment_align: 8
    .kernarg_segment_size: 360
    .language:       OpenCL C
    .language_version:
      - 2
      - 0
    .max_flat_workgroup_size: 128
    .name:           _ZN2at6native32elementwise_kernel_manual_unrollILi128ELi4EZNS0_22gpu_kernel_impl_nocastIZZZNS0_19digamma_kernel_cudaERNS_18TensorIteratorBaseEENKUlvE_clEvENKUlvE0_clEvEUlfE_EEvS4_RKT_EUlibE_EEviT1_
    .private_segment_fixed_size: 0
    .sgpr_count:     58
    .sgpr_spill_count: 0
    .symbol:         _ZN2at6native32elementwise_kernel_manual_unrollILi128ELi4EZNS0_22gpu_kernel_impl_nocastIZZZNS0_19digamma_kernel_cudaERNS_18TensorIteratorBaseEENKUlvE_clEvENKUlvE0_clEvEUlfE_EEvS4_RKT_EUlibE_EEviT1_.kd
    .uniform_work_group_size: 1
    .uses_dynamic_stack: false
    .vgpr_count:     43
    .vgpr_spill_count: 0
    .wavefront_size: 32
    .workgroup_processor_mode: 1
  - .args:
      - .offset:         0
        .size:           4
        .value_kind:     by_value
      - .offset:         8
        .size:           32
        .value_kind:     by_value
    .group_segment_fixed_size: 0
    .kernarg_segment_align: 8
    .kernarg_segment_size: 40
    .language:       OpenCL C
    .language_version:
      - 2
      - 0
    .max_flat_workgroup_size: 128
    .name:           _ZN2at6native32elementwise_kernel_manual_unrollILi128ELi4EZNS0_15gpu_kernel_implIZZZNS0_19digamma_kernel_cudaERNS_18TensorIteratorBaseEENKUlvE_clEvENKUlvE0_clEvEUlfE_EEvS4_RKT_EUlibE_EEviT1_
    .private_segment_fixed_size: 0
    .sgpr_count:     30
    .sgpr_spill_count: 0
    .symbol:         _ZN2at6native32elementwise_kernel_manual_unrollILi128ELi4EZNS0_15gpu_kernel_implIZZZNS0_19digamma_kernel_cudaERNS_18TensorIteratorBaseEENKUlvE_clEvENKUlvE0_clEvEUlfE_EEvS4_RKT_EUlibE_EEviT1_.kd
    .uniform_work_group_size: 1
    .uses_dynamic_stack: false
    .vgpr_count:     39
    .vgpr_spill_count: 0
    .wavefront_size: 32
    .workgroup_processor_mode: 1
  - .args:
      - .offset:         0
        .size:           4
        .value_kind:     by_value
      - .offset:         8
        .size:           352
        .value_kind:     by_value
    .group_segment_fixed_size: 0
    .kernarg_segment_align: 8
    .kernarg_segment_size: 360
    .language:       OpenCL C
    .language_version:
      - 2
      - 0
    .max_flat_workgroup_size: 128
    .name:           _ZN2at6native32elementwise_kernel_manual_unrollILi128ELi4EZNS0_15gpu_kernel_implIZZZNS0_19digamma_kernel_cudaERNS_18TensorIteratorBaseEENKUlvE_clEvENKUlvE0_clEvEUlfE_EEvS4_RKT_EUlibE0_EEviT1_
    .private_segment_fixed_size: 0
    .sgpr_count:     70
    .sgpr_spill_count: 0
    .symbol:         _ZN2at6native32elementwise_kernel_manual_unrollILi128ELi4EZNS0_15gpu_kernel_implIZZZNS0_19digamma_kernel_cudaERNS_18TensorIteratorBaseEENKUlvE_clEvENKUlvE0_clEvEUlfE_EEvS4_RKT_EUlibE0_EEviT1_.kd
    .uniform_work_group_size: 1
    .uses_dynamic_stack: false
    .vgpr_count:     45
    .vgpr_spill_count: 0
    .wavefront_size: 32
    .workgroup_processor_mode: 1
  - .args:
      - .offset:         0
        .size:           4
        .value_kind:     by_value
      - .offset:         4
        .size:           1
        .value_kind:     by_value
      - .offset:         8
        .size:           16
        .value_kind:     by_value
    .group_segment_fixed_size: 0
    .kernarg_segment_align: 8
    .kernarg_segment_size: 24
    .language:       OpenCL C
    .language_version:
      - 2
      - 0
    .max_flat_workgroup_size: 256
    .name:           _ZN2at6native29vectorized_elementwise_kernelILi16EZZZNS0_19digamma_kernel_cudaERNS_18TensorIteratorBaseEENKUlvE_clEvENKUlvE1_clEvEUlN3c104HalfEE_St5arrayIPcLm2EEEEviT0_T1_
    .private_segment_fixed_size: 0
    .sgpr_count:     35
    .sgpr_spill_count: 0
    .symbol:         _ZN2at6native29vectorized_elementwise_kernelILi16EZZZNS0_19digamma_kernel_cudaERNS_18TensorIteratorBaseEENKUlvE_clEvENKUlvE1_clEvEUlN3c104HalfEE_St5arrayIPcLm2EEEEviT0_T1_.kd
    .uniform_work_group_size: 1
    .uses_dynamic_stack: false
    .vgpr_count:     66
    .vgpr_spill_count: 0
    .wavefront_size: 32
    .workgroup_processor_mode: 1
  - .args:
      - .offset:         0
        .size:           4
        .value_kind:     by_value
      - .offset:         4
        .size:           1
        .value_kind:     by_value
      - .offset:         8
        .size:           16
        .value_kind:     by_value
    .group_segment_fixed_size: 0
    .kernarg_segment_align: 8
    .kernarg_segment_size: 24
    .language:       OpenCL C
    .language_version:
      - 2
      - 0
    .max_flat_workgroup_size: 256
    .name:           _ZN2at6native29vectorized_elementwise_kernelILi8EZZZNS0_19digamma_kernel_cudaERNS_18TensorIteratorBaseEENKUlvE_clEvENKUlvE1_clEvEUlN3c104HalfEE_St5arrayIPcLm2EEEEviT0_T1_
    .private_segment_fixed_size: 0
    .sgpr_count:     35
    .sgpr_spill_count: 0
    .symbol:         _ZN2at6native29vectorized_elementwise_kernelILi8EZZZNS0_19digamma_kernel_cudaERNS_18TensorIteratorBaseEENKUlvE_clEvENKUlvE1_clEvEUlN3c104HalfEE_St5arrayIPcLm2EEEEviT0_T1_.kd
    .uniform_work_group_size: 1
    .uses_dynamic_stack: false
    .vgpr_count:     66
    .vgpr_spill_count: 0
    .wavefront_size: 32
    .workgroup_processor_mode: 1
  - .args:
      - .offset:         0
        .size:           4
        .value_kind:     by_value
      - .offset:         4
        .size:           1
        .value_kind:     by_value
      - .offset:         8
        .size:           16
        .value_kind:     by_value
    .group_segment_fixed_size: 0
    .kernarg_segment_align: 8
    .kernarg_segment_size: 24
    .language:       OpenCL C
    .language_version:
      - 2
      - 0
    .max_flat_workgroup_size: 256
    .name:           _ZN2at6native29vectorized_elementwise_kernelILi4EZZZNS0_19digamma_kernel_cudaERNS_18TensorIteratorBaseEENKUlvE_clEvENKUlvE1_clEvEUlN3c104HalfEE_St5arrayIPcLm2EEEEviT0_T1_
    .private_segment_fixed_size: 0
    .sgpr_count:     35
    .sgpr_spill_count: 0
    .symbol:         _ZN2at6native29vectorized_elementwise_kernelILi4EZZZNS0_19digamma_kernel_cudaERNS_18TensorIteratorBaseEENKUlvE_clEvENKUlvE1_clEvEUlN3c104HalfEE_St5arrayIPcLm2EEEEviT0_T1_.kd
    .uniform_work_group_size: 1
    .uses_dynamic_stack: false
    .vgpr_count:     66
    .vgpr_spill_count: 0
    .wavefront_size: 32
    .workgroup_processor_mode: 1
  - .args:
      - .offset:         0
        .size:           4
        .value_kind:     by_value
      - .offset:         4
        .size:           1
        .value_kind:     by_value
      - .offset:         8
        .size:           16
        .value_kind:     by_value
    .group_segment_fixed_size: 0
    .kernarg_segment_align: 8
    .kernarg_segment_size: 24
    .language:       OpenCL C
    .language_version:
      - 2
      - 0
    .max_flat_workgroup_size: 256
    .name:           _ZN2at6native29vectorized_elementwise_kernelILi2EZZZNS0_19digamma_kernel_cudaERNS_18TensorIteratorBaseEENKUlvE_clEvENKUlvE1_clEvEUlN3c104HalfEE_St5arrayIPcLm2EEEEviT0_T1_
    .private_segment_fixed_size: 0
    .sgpr_count:     35
    .sgpr_spill_count: 0
    .symbol:         _ZN2at6native29vectorized_elementwise_kernelILi2EZZZNS0_19digamma_kernel_cudaERNS_18TensorIteratorBaseEENKUlvE_clEvENKUlvE1_clEvEUlN3c104HalfEE_St5arrayIPcLm2EEEEviT0_T1_.kd
    .uniform_work_group_size: 1
    .uses_dynamic_stack: false
    .vgpr_count:     66
    .vgpr_spill_count: 0
    .wavefront_size: 32
    .workgroup_processor_mode: 1
  - .args:
      - .offset:         0
        .size:           4
        .value_kind:     by_value
      - .offset:         4
        .size:           1
        .value_kind:     by_value
      - .offset:         8
        .size:           16
        .value_kind:     by_value
      - .offset:         24
        .size:           1
        .value_kind:     by_value
      - .offset:         25
        .size:           1
        .value_kind:     by_value
      - .offset:         26
        .size:           1
        .value_kind:     by_value
      - .offset:         27
        .size:           1
        .value_kind:     by_value
    .group_segment_fixed_size: 0
    .kernarg_segment_align: 8
    .kernarg_segment_size: 28
    .language:       OpenCL C
    .language_version:
      - 2
      - 0
    .max_flat_workgroup_size: 256
    .name:           _ZN2at6native27unrolled_elementwise_kernelIZZZNS0_19digamma_kernel_cudaERNS_18TensorIteratorBaseEENKUlvE_clEvENKUlvE1_clEvEUlN3c104HalfEE_St5arrayIPcLm2EELi4E23TrivialOffsetCalculatorILi1EjESD_NS0_6memory15LoadWithoutCastENSE_16StoreWithoutCastEEEviT_T0_T2_T3_T4_T5_
    .private_segment_fixed_size: 0
    .sgpr_count:     18
    .sgpr_spill_count: 0
    .symbol:         _ZN2at6native27unrolled_elementwise_kernelIZZZNS0_19digamma_kernel_cudaERNS_18TensorIteratorBaseEENKUlvE_clEvENKUlvE1_clEvEUlN3c104HalfEE_St5arrayIPcLm2EELi4E23TrivialOffsetCalculatorILi1EjESD_NS0_6memory15LoadWithoutCastENSE_16StoreWithoutCastEEEviT_T0_T2_T3_T4_T5_.kd
    .uniform_work_group_size: 1
    .uses_dynamic_stack: false
    .vgpr_count:     42
    .vgpr_spill_count: 0
    .wavefront_size: 32
    .workgroup_processor_mode: 1
  - .args:
      - .offset:         0
        .size:           4
        .value_kind:     by_value
      - .offset:         8
        .size:           352
        .value_kind:     by_value
    .group_segment_fixed_size: 0
    .kernarg_segment_align: 8
    .kernarg_segment_size: 360
    .language:       OpenCL C
    .language_version:
      - 2
      - 0
    .max_flat_workgroup_size: 128
    .name:           _ZN2at6native32elementwise_kernel_manual_unrollILi128ELi8EZNS0_22gpu_kernel_impl_nocastIZZZNS0_19digamma_kernel_cudaERNS_18TensorIteratorBaseEENKUlvE_clEvENKUlvE1_clEvEUlN3c104HalfEE_EEvS4_RKT_EUlibE_EEviT1_
    .private_segment_fixed_size: 0
    .sgpr_count:     58
    .sgpr_spill_count: 0
    .symbol:         _ZN2at6native32elementwise_kernel_manual_unrollILi128ELi8EZNS0_22gpu_kernel_impl_nocastIZZZNS0_19digamma_kernel_cudaERNS_18TensorIteratorBaseEENKUlvE_clEvENKUlvE1_clEvEUlN3c104HalfEE_EEvS4_RKT_EUlibE_EEviT1_.kd
    .uniform_work_group_size: 1
    .uses_dynamic_stack: false
    .vgpr_count:     55
    .vgpr_spill_count: 0
    .wavefront_size: 32
    .workgroup_processor_mode: 1
  - .args:
      - .offset:         0
        .size:           4
        .value_kind:     by_value
      - .offset:         8
        .size:           32
        .value_kind:     by_value
    .group_segment_fixed_size: 0
    .kernarg_segment_align: 8
    .kernarg_segment_size: 40
    .language:       OpenCL C
    .language_version:
      - 2
      - 0
    .max_flat_workgroup_size: 128
    .name:           _ZN2at6native32elementwise_kernel_manual_unrollILi128ELi4EZNS0_15gpu_kernel_implIZZZNS0_19digamma_kernel_cudaERNS_18TensorIteratorBaseEENKUlvE_clEvENKUlvE1_clEvEUlN3c104HalfEE_EEvS4_RKT_EUlibE_EEviT1_
    .private_segment_fixed_size: 0
    .sgpr_count:     30
    .sgpr_spill_count: 0
    .symbol:         _ZN2at6native32elementwise_kernel_manual_unrollILi128ELi4EZNS0_15gpu_kernel_implIZZZNS0_19digamma_kernel_cudaERNS_18TensorIteratorBaseEENKUlvE_clEvENKUlvE1_clEvEUlN3c104HalfEE_EEvS4_RKT_EUlibE_EEviT1_.kd
    .uniform_work_group_size: 1
    .uses_dynamic_stack: false
    .vgpr_count:     39
    .vgpr_spill_count: 0
    .wavefront_size: 32
    .workgroup_processor_mode: 1
  - .args:
      - .offset:         0
        .size:           4
        .value_kind:     by_value
      - .offset:         8
        .size:           352
        .value_kind:     by_value
    .group_segment_fixed_size: 0
    .kernarg_segment_align: 8
    .kernarg_segment_size: 360
    .language:       OpenCL C
    .language_version:
      - 2
      - 0
    .max_flat_workgroup_size: 128
    .name:           _ZN2at6native32elementwise_kernel_manual_unrollILi128ELi4EZNS0_15gpu_kernel_implIZZZNS0_19digamma_kernel_cudaERNS_18TensorIteratorBaseEENKUlvE_clEvENKUlvE1_clEvEUlN3c104HalfEE_EEvS4_RKT_EUlibE0_EEviT1_
    .private_segment_fixed_size: 0
    .sgpr_count:     70
    .sgpr_spill_count: 0
    .symbol:         _ZN2at6native32elementwise_kernel_manual_unrollILi128ELi4EZNS0_15gpu_kernel_implIZZZNS0_19digamma_kernel_cudaERNS_18TensorIteratorBaseEENKUlvE_clEvENKUlvE1_clEvEUlN3c104HalfEE_EEvS4_RKT_EUlibE0_EEviT1_.kd
    .uniform_work_group_size: 1
    .uses_dynamic_stack: false
    .vgpr_count:     45
    .vgpr_spill_count: 0
    .wavefront_size: 32
    .workgroup_processor_mode: 1
  - .args:
      - .offset:         0
        .size:           4
        .value_kind:     by_value
      - .offset:         4
        .size:           1
        .value_kind:     by_value
      - .offset:         8
        .size:           16
        .value_kind:     by_value
    .group_segment_fixed_size: 0
    .kernarg_segment_align: 8
    .kernarg_segment_size: 24
    .language:       OpenCL C
    .language_version:
      - 2
      - 0
    .max_flat_workgroup_size: 256
    .name:           _ZN2at6native29vectorized_elementwise_kernelILi16EZZZNS0_19digamma_kernel_cudaERNS_18TensorIteratorBaseEENKUlvE_clEvENKUlvE2_clEvEUlN3c108BFloat16EE_St5arrayIPcLm2EEEEviT0_T1_
    .private_segment_fixed_size: 0
    .sgpr_count:     35
    .sgpr_spill_count: 0
    .symbol:         _ZN2at6native29vectorized_elementwise_kernelILi16EZZZNS0_19digamma_kernel_cudaERNS_18TensorIteratorBaseEENKUlvE_clEvENKUlvE2_clEvEUlN3c108BFloat16EE_St5arrayIPcLm2EEEEviT0_T1_.kd
    .uniform_work_group_size: 1
    .uses_dynamic_stack: false
    .vgpr_count:     66
    .vgpr_spill_count: 0
    .wavefront_size: 32
    .workgroup_processor_mode: 1
  - .args:
      - .offset:         0
        .size:           4
        .value_kind:     by_value
      - .offset:         4
        .size:           1
        .value_kind:     by_value
      - .offset:         8
        .size:           16
        .value_kind:     by_value
    .group_segment_fixed_size: 0
    .kernarg_segment_align: 8
    .kernarg_segment_size: 24
    .language:       OpenCL C
    .language_version:
      - 2
      - 0
    .max_flat_workgroup_size: 256
    .name:           _ZN2at6native29vectorized_elementwise_kernelILi8EZZZNS0_19digamma_kernel_cudaERNS_18TensorIteratorBaseEENKUlvE_clEvENKUlvE2_clEvEUlN3c108BFloat16EE_St5arrayIPcLm2EEEEviT0_T1_
    .private_segment_fixed_size: 0
    .sgpr_count:     35
    .sgpr_spill_count: 0
    .symbol:         _ZN2at6native29vectorized_elementwise_kernelILi8EZZZNS0_19digamma_kernel_cudaERNS_18TensorIteratorBaseEENKUlvE_clEvENKUlvE2_clEvEUlN3c108BFloat16EE_St5arrayIPcLm2EEEEviT0_T1_.kd
    .uniform_work_group_size: 1
    .uses_dynamic_stack: false
    .vgpr_count:     66
    .vgpr_spill_count: 0
    .wavefront_size: 32
    .workgroup_processor_mode: 1
  - .args:
      - .offset:         0
        .size:           4
        .value_kind:     by_value
      - .offset:         4
        .size:           1
        .value_kind:     by_value
      - .offset:         8
        .size:           16
        .value_kind:     by_value
    .group_segment_fixed_size: 0
    .kernarg_segment_align: 8
    .kernarg_segment_size: 24
    .language:       OpenCL C
    .language_version:
      - 2
      - 0
    .max_flat_workgroup_size: 256
    .name:           _ZN2at6native29vectorized_elementwise_kernelILi4EZZZNS0_19digamma_kernel_cudaERNS_18TensorIteratorBaseEENKUlvE_clEvENKUlvE2_clEvEUlN3c108BFloat16EE_St5arrayIPcLm2EEEEviT0_T1_
    .private_segment_fixed_size: 0
    .sgpr_count:     35
    .sgpr_spill_count: 0
    .symbol:         _ZN2at6native29vectorized_elementwise_kernelILi4EZZZNS0_19digamma_kernel_cudaERNS_18TensorIteratorBaseEENKUlvE_clEvENKUlvE2_clEvEUlN3c108BFloat16EE_St5arrayIPcLm2EEEEviT0_T1_.kd
    .uniform_work_group_size: 1
    .uses_dynamic_stack: false
    .vgpr_count:     66
    .vgpr_spill_count: 0
    .wavefront_size: 32
    .workgroup_processor_mode: 1
  - .args:
      - .offset:         0
        .size:           4
        .value_kind:     by_value
      - .offset:         4
        .size:           1
        .value_kind:     by_value
      - .offset:         8
        .size:           16
        .value_kind:     by_value
    .group_segment_fixed_size: 0
    .kernarg_segment_align: 8
    .kernarg_segment_size: 24
    .language:       OpenCL C
    .language_version:
      - 2
      - 0
    .max_flat_workgroup_size: 256
    .name:           _ZN2at6native29vectorized_elementwise_kernelILi2EZZZNS0_19digamma_kernel_cudaERNS_18TensorIteratorBaseEENKUlvE_clEvENKUlvE2_clEvEUlN3c108BFloat16EE_St5arrayIPcLm2EEEEviT0_T1_
    .private_segment_fixed_size: 0
    .sgpr_count:     35
    .sgpr_spill_count: 0
    .symbol:         _ZN2at6native29vectorized_elementwise_kernelILi2EZZZNS0_19digamma_kernel_cudaERNS_18TensorIteratorBaseEENKUlvE_clEvENKUlvE2_clEvEUlN3c108BFloat16EE_St5arrayIPcLm2EEEEviT0_T1_.kd
    .uniform_work_group_size: 1
    .uses_dynamic_stack: false
    .vgpr_count:     66
    .vgpr_spill_count: 0
    .wavefront_size: 32
    .workgroup_processor_mode: 1
  - .args:
      - .offset:         0
        .size:           4
        .value_kind:     by_value
      - .offset:         4
        .size:           1
        .value_kind:     by_value
      - .offset:         8
        .size:           16
        .value_kind:     by_value
      - .offset:         24
        .size:           1
        .value_kind:     by_value
      - .offset:         25
        .size:           1
        .value_kind:     by_value
      - .offset:         26
        .size:           1
        .value_kind:     by_value
      - .offset:         27
        .size:           1
        .value_kind:     by_value
    .group_segment_fixed_size: 0
    .kernarg_segment_align: 8
    .kernarg_segment_size: 28
    .language:       OpenCL C
    .language_version:
      - 2
      - 0
    .max_flat_workgroup_size: 256
    .name:           _ZN2at6native27unrolled_elementwise_kernelIZZZNS0_19digamma_kernel_cudaERNS_18TensorIteratorBaseEENKUlvE_clEvENKUlvE2_clEvEUlN3c108BFloat16EE_St5arrayIPcLm2EELi4E23TrivialOffsetCalculatorILi1EjESD_NS0_6memory15LoadWithoutCastENSE_16StoreWithoutCastEEEviT_T0_T2_T3_T4_T5_
    .private_segment_fixed_size: 0
    .sgpr_count:     18
    .sgpr_spill_count: 0
    .symbol:         _ZN2at6native27unrolled_elementwise_kernelIZZZNS0_19digamma_kernel_cudaERNS_18TensorIteratorBaseEENKUlvE_clEvENKUlvE2_clEvEUlN3c108BFloat16EE_St5arrayIPcLm2EELi4E23TrivialOffsetCalculatorILi1EjESD_NS0_6memory15LoadWithoutCastENSE_16StoreWithoutCastEEEviT_T0_T2_T3_T4_T5_.kd
    .uniform_work_group_size: 1
    .uses_dynamic_stack: false
    .vgpr_count:     41
    .vgpr_spill_count: 0
    .wavefront_size: 32
    .workgroup_processor_mode: 1
  - .args:
      - .offset:         0
        .size:           4
        .value_kind:     by_value
      - .offset:         8
        .size:           352
        .value_kind:     by_value
    .group_segment_fixed_size: 0
    .kernarg_segment_align: 8
    .kernarg_segment_size: 360
    .language:       OpenCL C
    .language_version:
      - 2
      - 0
    .max_flat_workgroup_size: 128
    .name:           _ZN2at6native32elementwise_kernel_manual_unrollILi128ELi8EZNS0_22gpu_kernel_impl_nocastIZZZNS0_19digamma_kernel_cudaERNS_18TensorIteratorBaseEENKUlvE_clEvENKUlvE2_clEvEUlN3c108BFloat16EE_EEvS4_RKT_EUlibE_EEviT1_
    .private_segment_fixed_size: 0
    .sgpr_count:     58
    .sgpr_spill_count: 0
    .symbol:         _ZN2at6native32elementwise_kernel_manual_unrollILi128ELi8EZNS0_22gpu_kernel_impl_nocastIZZZNS0_19digamma_kernel_cudaERNS_18TensorIteratorBaseEENKUlvE_clEvENKUlvE2_clEvEUlN3c108BFloat16EE_EEvS4_RKT_EUlibE_EEviT1_.kd
    .uniform_work_group_size: 1
    .uses_dynamic_stack: false
    .vgpr_count:     55
    .vgpr_spill_count: 0
    .wavefront_size: 32
    .workgroup_processor_mode: 1
  - .args:
      - .offset:         0
        .size:           4
        .value_kind:     by_value
      - .offset:         8
        .size:           32
        .value_kind:     by_value
    .group_segment_fixed_size: 0
    .kernarg_segment_align: 8
    .kernarg_segment_size: 40
    .language:       OpenCL C
    .language_version:
      - 2
      - 0
    .max_flat_workgroup_size: 128
    .name:           _ZN2at6native32elementwise_kernel_manual_unrollILi128ELi4EZNS0_15gpu_kernel_implIZZZNS0_19digamma_kernel_cudaERNS_18TensorIteratorBaseEENKUlvE_clEvENKUlvE2_clEvEUlN3c108BFloat16EE_EEvS4_RKT_EUlibE_EEviT1_
    .private_segment_fixed_size: 0
    .sgpr_count:     30
    .sgpr_spill_count: 0
    .symbol:         _ZN2at6native32elementwise_kernel_manual_unrollILi128ELi4EZNS0_15gpu_kernel_implIZZZNS0_19digamma_kernel_cudaERNS_18TensorIteratorBaseEENKUlvE_clEvENKUlvE2_clEvEUlN3c108BFloat16EE_EEvS4_RKT_EUlibE_EEviT1_.kd
    .uniform_work_group_size: 1
    .uses_dynamic_stack: false
    .vgpr_count:     39
    .vgpr_spill_count: 0
    .wavefront_size: 32
    .workgroup_processor_mode: 1
  - .args:
      - .offset:         0
        .size:           4
        .value_kind:     by_value
      - .offset:         8
        .size:           352
        .value_kind:     by_value
    .group_segment_fixed_size: 0
    .kernarg_segment_align: 8
    .kernarg_segment_size: 360
    .language:       OpenCL C
    .language_version:
      - 2
      - 0
    .max_flat_workgroup_size: 128
    .name:           _ZN2at6native32elementwise_kernel_manual_unrollILi128ELi4EZNS0_15gpu_kernel_implIZZZNS0_19digamma_kernel_cudaERNS_18TensorIteratorBaseEENKUlvE_clEvENKUlvE2_clEvEUlN3c108BFloat16EE_EEvS4_RKT_EUlibE0_EEviT1_
    .private_segment_fixed_size: 0
    .sgpr_count:     70
    .sgpr_spill_count: 0
    .symbol:         _ZN2at6native32elementwise_kernel_manual_unrollILi128ELi4EZNS0_15gpu_kernel_implIZZZNS0_19digamma_kernel_cudaERNS_18TensorIteratorBaseEENKUlvE_clEvENKUlvE2_clEvEUlN3c108BFloat16EE_EEvS4_RKT_EUlibE0_EEviT1_.kd
    .uniform_work_group_size: 1
    .uses_dynamic_stack: false
    .vgpr_count:     45
    .vgpr_spill_count: 0
    .wavefront_size: 32
    .workgroup_processor_mode: 1
  - .args:
      - .offset:         0
        .size:           4
        .value_kind:     by_value
      - .offset:         4
        .size:           1
        .value_kind:     by_value
      - .offset:         8
        .size:           16
        .value_kind:     by_value
    .group_segment_fixed_size: 0
    .kernarg_segment_align: 8
    .kernarg_segment_size: 24
    .language:       OpenCL C
    .language_version:
      - 2
      - 0
    .max_flat_workgroup_size: 256
    .name:           _ZN2at6native29vectorized_elementwise_kernelILi16EZZZNS0_20trigamma_kernel_cudaERNS_18TensorIteratorBaseEENKUlvE_clEvENKUlvE_clEvEUldE_St5arrayIPcLm2EEEEviT0_T1_
    .private_segment_fixed_size: 0
    .sgpr_count:     35
    .sgpr_spill_count: 0
    .symbol:         _ZN2at6native29vectorized_elementwise_kernelILi16EZZZNS0_20trigamma_kernel_cudaERNS_18TensorIteratorBaseEENKUlvE_clEvENKUlvE_clEvEUldE_St5arrayIPcLm2EEEEviT0_T1_.kd
    .uniform_work_group_size: 1
    .uses_dynamic_stack: false
    .vgpr_count:     82
    .vgpr_spill_count: 0
    .wavefront_size: 32
    .workgroup_processor_mode: 1
  - .args:
      - .offset:         0
        .size:           4
        .value_kind:     by_value
      - .offset:         4
        .size:           1
        .value_kind:     by_value
      - .offset:         8
        .size:           16
        .value_kind:     by_value
    .group_segment_fixed_size: 0
    .kernarg_segment_align: 8
    .kernarg_segment_size: 24
    .language:       OpenCL C
    .language_version:
      - 2
      - 0
    .max_flat_workgroup_size: 256
    .name:           _ZN2at6native29vectorized_elementwise_kernelILi8EZZZNS0_20trigamma_kernel_cudaERNS_18TensorIteratorBaseEENKUlvE_clEvENKUlvE_clEvEUldE_St5arrayIPcLm2EEEEviT0_T1_
    .private_segment_fixed_size: 0
    .sgpr_count:     35
    .sgpr_spill_count: 0
    .symbol:         _ZN2at6native29vectorized_elementwise_kernelILi8EZZZNS0_20trigamma_kernel_cudaERNS_18TensorIteratorBaseEENKUlvE_clEvENKUlvE_clEvEUldE_St5arrayIPcLm2EEEEviT0_T1_.kd
    .uniform_work_group_size: 1
    .uses_dynamic_stack: false
    .vgpr_count:     82
    .vgpr_spill_count: 0
    .wavefront_size: 32
    .workgroup_processor_mode: 1
  - .args:
      - .offset:         0
        .size:           4
        .value_kind:     by_value
      - .offset:         4
        .size:           1
        .value_kind:     by_value
      - .offset:         8
        .size:           16
        .value_kind:     by_value
    .group_segment_fixed_size: 0
    .kernarg_segment_align: 8
    .kernarg_segment_size: 24
    .language:       OpenCL C
    .language_version:
      - 2
      - 0
    .max_flat_workgroup_size: 256
    .name:           _ZN2at6native29vectorized_elementwise_kernelILi4EZZZNS0_20trigamma_kernel_cudaERNS_18TensorIteratorBaseEENKUlvE_clEvENKUlvE_clEvEUldE_St5arrayIPcLm2EEEEviT0_T1_
    .private_segment_fixed_size: 0
    .sgpr_count:     35
    .sgpr_spill_count: 0
    .symbol:         _ZN2at6native29vectorized_elementwise_kernelILi4EZZZNS0_20trigamma_kernel_cudaERNS_18TensorIteratorBaseEENKUlvE_clEvENKUlvE_clEvEUldE_St5arrayIPcLm2EEEEviT0_T1_.kd
    .uniform_work_group_size: 1
    .uses_dynamic_stack: false
    .vgpr_count:     82
    .vgpr_spill_count: 0
    .wavefront_size: 32
    .workgroup_processor_mode: 1
  - .args:
      - .offset:         0
        .size:           4
        .value_kind:     by_value
      - .offset:         4
        .size:           1
        .value_kind:     by_value
      - .offset:         8
        .size:           16
        .value_kind:     by_value
    .group_segment_fixed_size: 0
    .kernarg_segment_align: 8
    .kernarg_segment_size: 24
    .language:       OpenCL C
    .language_version:
      - 2
      - 0
    .max_flat_workgroup_size: 256
    .name:           _ZN2at6native29vectorized_elementwise_kernelILi2EZZZNS0_20trigamma_kernel_cudaERNS_18TensorIteratorBaseEENKUlvE_clEvENKUlvE_clEvEUldE_St5arrayIPcLm2EEEEviT0_T1_
    .private_segment_fixed_size: 0
    .sgpr_count:     35
    .sgpr_spill_count: 0
    .symbol:         _ZN2at6native29vectorized_elementwise_kernelILi2EZZZNS0_20trigamma_kernel_cudaERNS_18TensorIteratorBaseEENKUlvE_clEvENKUlvE_clEvEUldE_St5arrayIPcLm2EEEEviT0_T1_.kd
    .uniform_work_group_size: 1
    .uses_dynamic_stack: false
    .vgpr_count:     156
    .vgpr_spill_count: 0
    .wavefront_size: 32
    .workgroup_processor_mode: 1
  - .args:
      - .offset:         0
        .size:           4
        .value_kind:     by_value
      - .offset:         4
        .size:           1
        .value_kind:     by_value
      - .offset:         8
        .size:           16
        .value_kind:     by_value
      - .offset:         24
        .size:           1
        .value_kind:     by_value
      - .offset:         25
        .size:           1
        .value_kind:     by_value
      - .offset:         26
        .size:           1
        .value_kind:     by_value
      - .offset:         27
        .size:           1
        .value_kind:     by_value
    .group_segment_fixed_size: 0
    .kernarg_segment_align: 8
    .kernarg_segment_size: 28
    .language:       OpenCL C
    .language_version:
      - 2
      - 0
    .max_flat_workgroup_size: 256
    .name:           _ZN2at6native27unrolled_elementwise_kernelIZZZNS0_20trigamma_kernel_cudaERNS_18TensorIteratorBaseEENKUlvE_clEvENKUlvE_clEvEUldE_St5arrayIPcLm2EELi4E23TrivialOffsetCalculatorILi1EjESB_NS0_6memory15LoadWithoutCastENSC_16StoreWithoutCastEEEviT_T0_T2_T3_T4_T5_
    .private_segment_fixed_size: 0
    .sgpr_count:     35
    .sgpr_spill_count: 0
    .symbol:         _ZN2at6native27unrolled_elementwise_kernelIZZZNS0_20trigamma_kernel_cudaERNS_18TensorIteratorBaseEENKUlvE_clEvENKUlvE_clEvEUldE_St5arrayIPcLm2EELi4E23TrivialOffsetCalculatorILi1EjESB_NS0_6memory15LoadWithoutCastENSC_16StoreWithoutCastEEEviT_T0_T2_T3_T4_T5_.kd
    .uniform_work_group_size: 1
    .uses_dynamic_stack: false
    .vgpr_count:     68
    .vgpr_spill_count: 0
    .wavefront_size: 32
    .workgroup_processor_mode: 1
  - .args:
      - .offset:         0
        .size:           4
        .value_kind:     by_value
      - .offset:         8
        .size:           352
        .value_kind:     by_value
    .group_segment_fixed_size: 0
    .kernarg_segment_align: 8
    .kernarg_segment_size: 360
    .language:       OpenCL C
    .language_version:
      - 2
      - 0
    .max_flat_workgroup_size: 128
    .name:           _ZN2at6native32elementwise_kernel_manual_unrollILi128ELi4EZNS0_22gpu_kernel_impl_nocastIZZZNS0_20trigamma_kernel_cudaERNS_18TensorIteratorBaseEENKUlvE_clEvENKUlvE_clEvEUldE_EEvS4_RKT_EUlibE_EEviT1_
    .private_segment_fixed_size: 0
    .sgpr_count:     58
    .sgpr_spill_count: 0
    .symbol:         _ZN2at6native32elementwise_kernel_manual_unrollILi128ELi4EZNS0_22gpu_kernel_impl_nocastIZZZNS0_20trigamma_kernel_cudaERNS_18TensorIteratorBaseEENKUlvE_clEvENKUlvE_clEvEUldE_EEvS4_RKT_EUlibE_EEviT1_.kd
    .uniform_work_group_size: 1
    .uses_dynamic_stack: false
    .vgpr_count:     154
    .vgpr_spill_count: 0
    .wavefront_size: 32
    .workgroup_processor_mode: 1
  - .args:
      - .offset:         0
        .size:           4
        .value_kind:     by_value
      - .offset:         8
        .size:           32
        .value_kind:     by_value
    .group_segment_fixed_size: 0
    .kernarg_segment_align: 8
    .kernarg_segment_size: 40
    .language:       OpenCL C
    .language_version:
      - 2
      - 0
    .max_flat_workgroup_size: 128
    .name:           _ZN2at6native32elementwise_kernel_manual_unrollILi128ELi4EZNS0_15gpu_kernel_implIZZZNS0_20trigamma_kernel_cudaERNS_18TensorIteratorBaseEENKUlvE_clEvENKUlvE_clEvEUldE_EEvS4_RKT_EUlibE_EEviT1_
    .private_segment_fixed_size: 0
    .sgpr_count:     30
    .sgpr_spill_count: 0
    .symbol:         _ZN2at6native32elementwise_kernel_manual_unrollILi128ELi4EZNS0_15gpu_kernel_implIZZZNS0_20trigamma_kernel_cudaERNS_18TensorIteratorBaseEENKUlvE_clEvENKUlvE_clEvEUldE_EEvS4_RKT_EUlibE_EEviT1_.kd
    .uniform_work_group_size: 1
    .uses_dynamic_stack: false
    .vgpr_count:     103
    .vgpr_spill_count: 0
    .wavefront_size: 32
    .workgroup_processor_mode: 1
  - .args:
      - .offset:         0
        .size:           4
        .value_kind:     by_value
      - .offset:         8
        .size:           352
        .value_kind:     by_value
    .group_segment_fixed_size: 0
    .kernarg_segment_align: 8
    .kernarg_segment_size: 360
    .language:       OpenCL C
    .language_version:
      - 2
      - 0
    .max_flat_workgroup_size: 128
    .name:           _ZN2at6native32elementwise_kernel_manual_unrollILi128ELi4EZNS0_15gpu_kernel_implIZZZNS0_20trigamma_kernel_cudaERNS_18TensorIteratorBaseEENKUlvE_clEvENKUlvE_clEvEUldE_EEvS4_RKT_EUlibE0_EEviT1_
    .private_segment_fixed_size: 0
    .sgpr_count:     70
    .sgpr_spill_count: 0
    .symbol:         _ZN2at6native32elementwise_kernel_manual_unrollILi128ELi4EZNS0_15gpu_kernel_implIZZZNS0_20trigamma_kernel_cudaERNS_18TensorIteratorBaseEENKUlvE_clEvENKUlvE_clEvEUldE_EEvS4_RKT_EUlibE0_EEviT1_.kd
    .uniform_work_group_size: 1
    .uses_dynamic_stack: false
    .vgpr_count:     109
    .vgpr_spill_count: 0
    .wavefront_size: 32
    .workgroup_processor_mode: 1
  - .args:
      - .offset:         0
        .size:           4
        .value_kind:     by_value
      - .offset:         4
        .size:           1
        .value_kind:     by_value
      - .offset:         8
        .size:           16
        .value_kind:     by_value
    .group_segment_fixed_size: 0
    .kernarg_segment_align: 8
    .kernarg_segment_size: 24
    .language:       OpenCL C
    .language_version:
      - 2
      - 0
    .max_flat_workgroup_size: 256
    .name:           _ZN2at6native29vectorized_elementwise_kernelILi16EZZZNS0_20trigamma_kernel_cudaERNS_18TensorIteratorBaseEENKUlvE_clEvENKUlvE0_clEvEUlfE_St5arrayIPcLm2EEEEviT0_T1_
    .private_segment_fixed_size: 0
    .sgpr_count:     14
    .sgpr_spill_count: 0
    .symbol:         _ZN2at6native29vectorized_elementwise_kernelILi16EZZZNS0_20trigamma_kernel_cudaERNS_18TensorIteratorBaseEENKUlvE_clEvENKUlvE0_clEvEUlfE_St5arrayIPcLm2EEEEviT0_T1_.kd
    .uniform_work_group_size: 1
    .uses_dynamic_stack: false
    .vgpr_count:     43
    .vgpr_spill_count: 0
    .wavefront_size: 32
    .workgroup_processor_mode: 1
  - .args:
      - .offset:         0
        .size:           4
        .value_kind:     by_value
      - .offset:         4
        .size:           1
        .value_kind:     by_value
      - .offset:         8
        .size:           16
        .value_kind:     by_value
    .group_segment_fixed_size: 0
    .kernarg_segment_align: 8
    .kernarg_segment_size: 24
    .language:       OpenCL C
    .language_version:
      - 2
      - 0
    .max_flat_workgroup_size: 256
    .name:           _ZN2at6native29vectorized_elementwise_kernelILi8EZZZNS0_20trigamma_kernel_cudaERNS_18TensorIteratorBaseEENKUlvE_clEvENKUlvE0_clEvEUlfE_St5arrayIPcLm2EEEEviT0_T1_
    .private_segment_fixed_size: 0
    .sgpr_count:     14
    .sgpr_spill_count: 0
    .symbol:         _ZN2at6native29vectorized_elementwise_kernelILi8EZZZNS0_20trigamma_kernel_cudaERNS_18TensorIteratorBaseEENKUlvE_clEvENKUlvE0_clEvEUlfE_St5arrayIPcLm2EEEEviT0_T1_.kd
    .uniform_work_group_size: 1
    .uses_dynamic_stack: false
    .vgpr_count:     43
    .vgpr_spill_count: 0
    .wavefront_size: 32
    .workgroup_processor_mode: 1
  - .args:
      - .offset:         0
        .size:           4
        .value_kind:     by_value
      - .offset:         4
        .size:           1
        .value_kind:     by_value
      - .offset:         8
        .size:           16
        .value_kind:     by_value
    .group_segment_fixed_size: 0
    .kernarg_segment_align: 8
    .kernarg_segment_size: 24
    .language:       OpenCL C
    .language_version:
      - 2
      - 0
    .max_flat_workgroup_size: 256
    .name:           _ZN2at6native29vectorized_elementwise_kernelILi4EZZZNS0_20trigamma_kernel_cudaERNS_18TensorIteratorBaseEENKUlvE_clEvENKUlvE0_clEvEUlfE_St5arrayIPcLm2EEEEviT0_T1_
    .private_segment_fixed_size: 0
    .sgpr_count:     14
    .sgpr_spill_count: 0
    .symbol:         _ZN2at6native29vectorized_elementwise_kernelILi4EZZZNS0_20trigamma_kernel_cudaERNS_18TensorIteratorBaseEENKUlvE_clEvENKUlvE0_clEvEUlfE_St5arrayIPcLm2EEEEviT0_T1_.kd
    .uniform_work_group_size: 1
    .uses_dynamic_stack: false
    .vgpr_count:     43
    .vgpr_spill_count: 0
    .wavefront_size: 32
    .workgroup_processor_mode: 1
  - .args:
      - .offset:         0
        .size:           4
        .value_kind:     by_value
      - .offset:         4
        .size:           1
        .value_kind:     by_value
      - .offset:         8
        .size:           16
        .value_kind:     by_value
    .group_segment_fixed_size: 0
    .kernarg_segment_align: 8
    .kernarg_segment_size: 24
    .language:       OpenCL C
    .language_version:
      - 2
      - 0
    .max_flat_workgroup_size: 256
    .name:           _ZN2at6native29vectorized_elementwise_kernelILi2EZZZNS0_20trigamma_kernel_cudaERNS_18TensorIteratorBaseEENKUlvE_clEvENKUlvE0_clEvEUlfE_St5arrayIPcLm2EEEEviT0_T1_
    .private_segment_fixed_size: 0
    .sgpr_count:     16
    .sgpr_spill_count: 0
    .symbol:         _ZN2at6native29vectorized_elementwise_kernelILi2EZZZNS0_20trigamma_kernel_cudaERNS_18TensorIteratorBaseEENKUlvE_clEvENKUlvE0_clEvEUlfE_St5arrayIPcLm2EEEEviT0_T1_.kd
    .uniform_work_group_size: 1
    .uses_dynamic_stack: false
    .vgpr_count:     78
    .vgpr_spill_count: 0
    .wavefront_size: 32
    .workgroup_processor_mode: 1
  - .args:
      - .offset:         0
        .size:           4
        .value_kind:     by_value
      - .offset:         4
        .size:           1
        .value_kind:     by_value
      - .offset:         8
        .size:           16
        .value_kind:     by_value
      - .offset:         24
        .size:           1
        .value_kind:     by_value
      - .offset:         25
        .size:           1
        .value_kind:     by_value
      - .offset:         26
        .size:           1
        .value_kind:     by_value
      - .offset:         27
        .size:           1
        .value_kind:     by_value
    .group_segment_fixed_size: 0
    .kernarg_segment_align: 8
    .kernarg_segment_size: 28
    .language:       OpenCL C
    .language_version:
      - 2
      - 0
    .max_flat_workgroup_size: 256
    .name:           _ZN2at6native27unrolled_elementwise_kernelIZZZNS0_20trigamma_kernel_cudaERNS_18TensorIteratorBaseEENKUlvE_clEvENKUlvE0_clEvEUlfE_St5arrayIPcLm2EELi4E23TrivialOffsetCalculatorILi1EjESB_NS0_6memory15LoadWithoutCastENSC_16StoreWithoutCastEEEviT_T0_T2_T3_T4_T5_
    .private_segment_fixed_size: 0
    .sgpr_count:     14
    .sgpr_spill_count: 0
    .symbol:         _ZN2at6native27unrolled_elementwise_kernelIZZZNS0_20trigamma_kernel_cudaERNS_18TensorIteratorBaseEENKUlvE_clEvENKUlvE0_clEvEUlfE_St5arrayIPcLm2EELi4E23TrivialOffsetCalculatorILi1EjESB_NS0_6memory15LoadWithoutCastENSC_16StoreWithoutCastEEEviT_T0_T2_T3_T4_T5_.kd
    .uniform_work_group_size: 1
    .uses_dynamic_stack: false
    .vgpr_count:     43
    .vgpr_spill_count: 0
    .wavefront_size: 32
    .workgroup_processor_mode: 1
  - .args:
      - .offset:         0
        .size:           4
        .value_kind:     by_value
      - .offset:         8
        .size:           352
        .value_kind:     by_value
    .group_segment_fixed_size: 0
    .kernarg_segment_align: 8
    .kernarg_segment_size: 360
    .language:       OpenCL C
    .language_version:
      - 2
      - 0
    .max_flat_workgroup_size: 128
    .name:           _ZN2at6native32elementwise_kernel_manual_unrollILi128ELi4EZNS0_22gpu_kernel_impl_nocastIZZZNS0_20trigamma_kernel_cudaERNS_18TensorIteratorBaseEENKUlvE_clEvENKUlvE0_clEvEUlfE_EEvS4_RKT_EUlibE_EEviT1_
    .private_segment_fixed_size: 0
    .sgpr_count:     58
    .sgpr_spill_count: 0
    .symbol:         _ZN2at6native32elementwise_kernel_manual_unrollILi128ELi4EZNS0_22gpu_kernel_impl_nocastIZZZNS0_20trigamma_kernel_cudaERNS_18TensorIteratorBaseEENKUlvE_clEvENKUlvE0_clEvEUlfE_EEvS4_RKT_EUlibE_EEviT1_.kd
    .uniform_work_group_size: 1
    .uses_dynamic_stack: false
    .vgpr_count:     78
    .vgpr_spill_count: 0
    .wavefront_size: 32
    .workgroup_processor_mode: 1
  - .args:
      - .offset:         0
        .size:           4
        .value_kind:     by_value
      - .offset:         8
        .size:           32
        .value_kind:     by_value
    .group_segment_fixed_size: 0
    .kernarg_segment_align: 8
    .kernarg_segment_size: 40
    .language:       OpenCL C
    .language_version:
      - 2
      - 0
    .max_flat_workgroup_size: 128
    .name:           _ZN2at6native32elementwise_kernel_manual_unrollILi128ELi4EZNS0_15gpu_kernel_implIZZZNS0_20trigamma_kernel_cudaERNS_18TensorIteratorBaseEENKUlvE_clEvENKUlvE0_clEvEUlfE_EEvS4_RKT_EUlibE_EEviT1_
    .private_segment_fixed_size: 0
    .sgpr_count:     28
    .sgpr_spill_count: 0
    .symbol:         _ZN2at6native32elementwise_kernel_manual_unrollILi128ELi4EZNS0_15gpu_kernel_implIZZZNS0_20trigamma_kernel_cudaERNS_18TensorIteratorBaseEENKUlvE_clEvENKUlvE0_clEvEUlfE_EEvS4_RKT_EUlibE_EEviT1_.kd
    .uniform_work_group_size: 1
    .uses_dynamic_stack: false
    .vgpr_count:     45
    .vgpr_spill_count: 0
    .wavefront_size: 32
    .workgroup_processor_mode: 1
  - .args:
      - .offset:         0
        .size:           4
        .value_kind:     by_value
      - .offset:         8
        .size:           352
        .value_kind:     by_value
    .group_segment_fixed_size: 0
    .kernarg_segment_align: 8
    .kernarg_segment_size: 360
    .language:       OpenCL C
    .language_version:
      - 2
      - 0
    .max_flat_workgroup_size: 128
    .name:           _ZN2at6native32elementwise_kernel_manual_unrollILi128ELi4EZNS0_15gpu_kernel_implIZZZNS0_20trigamma_kernel_cudaERNS_18TensorIteratorBaseEENKUlvE_clEvENKUlvE0_clEvEUlfE_EEvS4_RKT_EUlibE0_EEviT1_
    .private_segment_fixed_size: 0
    .sgpr_count:     70
    .sgpr_spill_count: 0
    .symbol:         _ZN2at6native32elementwise_kernel_manual_unrollILi128ELi4EZNS0_15gpu_kernel_implIZZZNS0_20trigamma_kernel_cudaERNS_18TensorIteratorBaseEENKUlvE_clEvENKUlvE0_clEvEUlfE_EEvS4_RKT_EUlibE0_EEviT1_.kd
    .uniform_work_group_size: 1
    .uses_dynamic_stack: false
    .vgpr_count:     48
    .vgpr_spill_count: 0
    .wavefront_size: 32
    .workgroup_processor_mode: 1
  - .args:
      - .offset:         0
        .size:           4
        .value_kind:     by_value
      - .offset:         4
        .size:           1
        .value_kind:     by_value
      - .offset:         8
        .size:           16
        .value_kind:     by_value
    .group_segment_fixed_size: 0
    .kernarg_segment_align: 8
    .kernarg_segment_size: 24
    .language:       OpenCL C
    .language_version:
      - 2
      - 0
    .max_flat_workgroup_size: 256
    .name:           _ZN2at6native29vectorized_elementwise_kernelILi16EZZZNS0_20trigamma_kernel_cudaERNS_18TensorIteratorBaseEENKUlvE_clEvENKUlvE1_clEvEUlN3c104HalfEE_St5arrayIPcLm2EEEEviT0_T1_
    .private_segment_fixed_size: 0
    .sgpr_count:     35
    .sgpr_spill_count: 0
    .symbol:         _ZN2at6native29vectorized_elementwise_kernelILi16EZZZNS0_20trigamma_kernel_cudaERNS_18TensorIteratorBaseEENKUlvE_clEvENKUlvE1_clEvEUlN3c104HalfEE_St5arrayIPcLm2EEEEviT0_T1_.kd
    .uniform_work_group_size: 1
    .uses_dynamic_stack: false
    .vgpr_count:     56
    .vgpr_spill_count: 0
    .wavefront_size: 32
    .workgroup_processor_mode: 1
  - .args:
      - .offset:         0
        .size:           4
        .value_kind:     by_value
      - .offset:         4
        .size:           1
        .value_kind:     by_value
      - .offset:         8
        .size:           16
        .value_kind:     by_value
    .group_segment_fixed_size: 0
    .kernarg_segment_align: 8
    .kernarg_segment_size: 24
    .language:       OpenCL C
    .language_version:
      - 2
      - 0
    .max_flat_workgroup_size: 256
    .name:           _ZN2at6native29vectorized_elementwise_kernelILi8EZZZNS0_20trigamma_kernel_cudaERNS_18TensorIteratorBaseEENKUlvE_clEvENKUlvE1_clEvEUlN3c104HalfEE_St5arrayIPcLm2EEEEviT0_T1_
    .private_segment_fixed_size: 0
    .sgpr_count:     35
    .sgpr_spill_count: 0
    .symbol:         _ZN2at6native29vectorized_elementwise_kernelILi8EZZZNS0_20trigamma_kernel_cudaERNS_18TensorIteratorBaseEENKUlvE_clEvENKUlvE1_clEvEUlN3c104HalfEE_St5arrayIPcLm2EEEEviT0_T1_.kd
    .uniform_work_group_size: 1
    .uses_dynamic_stack: false
    .vgpr_count:     56
    .vgpr_spill_count: 0
    .wavefront_size: 32
    .workgroup_processor_mode: 1
  - .args:
      - .offset:         0
        .size:           4
        .value_kind:     by_value
      - .offset:         4
        .size:           1
        .value_kind:     by_value
      - .offset:         8
        .size:           16
        .value_kind:     by_value
    .group_segment_fixed_size: 0
    .kernarg_segment_align: 8
    .kernarg_segment_size: 24
    .language:       OpenCL C
    .language_version:
      - 2
      - 0
    .max_flat_workgroup_size: 256
    .name:           _ZN2at6native29vectorized_elementwise_kernelILi4EZZZNS0_20trigamma_kernel_cudaERNS_18TensorIteratorBaseEENKUlvE_clEvENKUlvE1_clEvEUlN3c104HalfEE_St5arrayIPcLm2EEEEviT0_T1_
    .private_segment_fixed_size: 0
    .sgpr_count:     35
    .sgpr_spill_count: 0
    .symbol:         _ZN2at6native29vectorized_elementwise_kernelILi4EZZZNS0_20trigamma_kernel_cudaERNS_18TensorIteratorBaseEENKUlvE_clEvENKUlvE1_clEvEUlN3c104HalfEE_St5arrayIPcLm2EEEEviT0_T1_.kd
    .uniform_work_group_size: 1
    .uses_dynamic_stack: false
    .vgpr_count:     141
    .vgpr_spill_count: 0
    .wavefront_size: 32
    .workgroup_processor_mode: 1
  - .args:
      - .offset:         0
        .size:           4
        .value_kind:     by_value
      - .offset:         4
        .size:           1
        .value_kind:     by_value
      - .offset:         8
        .size:           16
        .value_kind:     by_value
    .group_segment_fixed_size: 0
    .kernarg_segment_align: 8
    .kernarg_segment_size: 24
    .language:       OpenCL C
    .language_version:
      - 2
      - 0
    .max_flat_workgroup_size: 256
    .name:           _ZN2at6native29vectorized_elementwise_kernelILi2EZZZNS0_20trigamma_kernel_cudaERNS_18TensorIteratorBaseEENKUlvE_clEvENKUlvE1_clEvEUlN3c104HalfEE_St5arrayIPcLm2EEEEviT0_T1_
    .private_segment_fixed_size: 0
    .sgpr_count:     35
    .sgpr_spill_count: 0
    .symbol:         _ZN2at6native29vectorized_elementwise_kernelILi2EZZZNS0_20trigamma_kernel_cudaERNS_18TensorIteratorBaseEENKUlvE_clEvENKUlvE1_clEvEUlN3c104HalfEE_St5arrayIPcLm2EEEEviT0_T1_.kd
    .uniform_work_group_size: 1
    .uses_dynamic_stack: false
    .vgpr_count:     143
    .vgpr_spill_count: 0
    .wavefront_size: 32
    .workgroup_processor_mode: 1
  - .args:
      - .offset:         0
        .size:           4
        .value_kind:     by_value
      - .offset:         4
        .size:           1
        .value_kind:     by_value
      - .offset:         8
        .size:           16
        .value_kind:     by_value
      - .offset:         24
        .size:           1
        .value_kind:     by_value
      - .offset:         25
        .size:           1
        .value_kind:     by_value
      - .offset:         26
        .size:           1
        .value_kind:     by_value
      - .offset:         27
        .size:           1
        .value_kind:     by_value
    .group_segment_fixed_size: 0
    .kernarg_segment_align: 8
    .kernarg_segment_size: 28
    .language:       OpenCL C
    .language_version:
      - 2
      - 0
    .max_flat_workgroup_size: 256
    .name:           _ZN2at6native27unrolled_elementwise_kernelIZZZNS0_20trigamma_kernel_cudaERNS_18TensorIteratorBaseEENKUlvE_clEvENKUlvE1_clEvEUlN3c104HalfEE_St5arrayIPcLm2EELi4E23TrivialOffsetCalculatorILi1EjESD_NS0_6memory15LoadWithoutCastENSE_16StoreWithoutCastEEEviT_T0_T2_T3_T4_T5_
    .private_segment_fixed_size: 0
    .sgpr_count:     14
    .sgpr_spill_count: 0
    .symbol:         _ZN2at6native27unrolled_elementwise_kernelIZZZNS0_20trigamma_kernel_cudaERNS_18TensorIteratorBaseEENKUlvE_clEvENKUlvE1_clEvEUlN3c104HalfEE_St5arrayIPcLm2EELi4E23TrivialOffsetCalculatorILi1EjESD_NS0_6memory15LoadWithoutCastENSE_16StoreWithoutCastEEEviT_T0_T2_T3_T4_T5_.kd
    .uniform_work_group_size: 1
    .uses_dynamic_stack: false
    .vgpr_count:     41
    .vgpr_spill_count: 0
    .wavefront_size: 32
    .workgroup_processor_mode: 1
  - .args:
      - .offset:         0
        .size:           4
        .value_kind:     by_value
      - .offset:         8
        .size:           352
        .value_kind:     by_value
    .group_segment_fixed_size: 0
    .kernarg_segment_align: 8
    .kernarg_segment_size: 360
    .language:       OpenCL C
    .language_version:
      - 2
      - 0
    .max_flat_workgroup_size: 128
    .name:           _ZN2at6native32elementwise_kernel_manual_unrollILi128ELi8EZNS0_22gpu_kernel_impl_nocastIZZZNS0_20trigamma_kernel_cudaERNS_18TensorIteratorBaseEENKUlvE_clEvENKUlvE1_clEvEUlN3c104HalfEE_EEvS4_RKT_EUlibE_EEviT1_
    .private_segment_fixed_size: 0
    .sgpr_count:     58
    .sgpr_spill_count: 0
    .symbol:         _ZN2at6native32elementwise_kernel_manual_unrollILi128ELi8EZNS0_22gpu_kernel_impl_nocastIZZZNS0_20trigamma_kernel_cudaERNS_18TensorIteratorBaseEENKUlvE_clEvENKUlvE1_clEvEUlN3c104HalfEE_EEvS4_RKT_EUlibE_EEviT1_.kd
    .uniform_work_group_size: 1
    .uses_dynamic_stack: false
    .vgpr_count:     153
    .vgpr_spill_count: 0
    .wavefront_size: 32
    .workgroup_processor_mode: 1
  - .args:
      - .offset:         0
        .size:           4
        .value_kind:     by_value
      - .offset:         8
        .size:           32
        .value_kind:     by_value
    .group_segment_fixed_size: 0
    .kernarg_segment_align: 8
    .kernarg_segment_size: 40
    .language:       OpenCL C
    .language_version:
      - 2
      - 0
    .max_flat_workgroup_size: 128
    .name:           _ZN2at6native32elementwise_kernel_manual_unrollILi128ELi4EZNS0_15gpu_kernel_implIZZZNS0_20trigamma_kernel_cudaERNS_18TensorIteratorBaseEENKUlvE_clEvENKUlvE1_clEvEUlN3c104HalfEE_EEvS4_RKT_EUlibE_EEviT1_
    .private_segment_fixed_size: 0
    .sgpr_count:     28
    .sgpr_spill_count: 0
    .symbol:         _ZN2at6native32elementwise_kernel_manual_unrollILi128ELi4EZNS0_15gpu_kernel_implIZZZNS0_20trigamma_kernel_cudaERNS_18TensorIteratorBaseEENKUlvE_clEvENKUlvE1_clEvEUlN3c104HalfEE_EEvS4_RKT_EUlibE_EEviT1_.kd
    .uniform_work_group_size: 1
    .uses_dynamic_stack: false
    .vgpr_count:     45
    .vgpr_spill_count: 0
    .wavefront_size: 32
    .workgroup_processor_mode: 1
  - .args:
      - .offset:         0
        .size:           4
        .value_kind:     by_value
      - .offset:         8
        .size:           352
        .value_kind:     by_value
    .group_segment_fixed_size: 0
    .kernarg_segment_align: 8
    .kernarg_segment_size: 360
    .language:       OpenCL C
    .language_version:
      - 2
      - 0
    .max_flat_workgroup_size: 128
    .name:           _ZN2at6native32elementwise_kernel_manual_unrollILi128ELi4EZNS0_15gpu_kernel_implIZZZNS0_20trigamma_kernel_cudaERNS_18TensorIteratorBaseEENKUlvE_clEvENKUlvE1_clEvEUlN3c104HalfEE_EEvS4_RKT_EUlibE0_EEviT1_
    .private_segment_fixed_size: 0
    .sgpr_count:     70
    .sgpr_spill_count: 0
    .symbol:         _ZN2at6native32elementwise_kernel_manual_unrollILi128ELi4EZNS0_15gpu_kernel_implIZZZNS0_20trigamma_kernel_cudaERNS_18TensorIteratorBaseEENKUlvE_clEvENKUlvE1_clEvEUlN3c104HalfEE_EEvS4_RKT_EUlibE0_EEviT1_.kd
    .uniform_work_group_size: 1
    .uses_dynamic_stack: false
    .vgpr_count:     48
    .vgpr_spill_count: 0
    .wavefront_size: 32
    .workgroup_processor_mode: 1
  - .args:
      - .offset:         0
        .size:           4
        .value_kind:     by_value
      - .offset:         4
        .size:           1
        .value_kind:     by_value
      - .offset:         8
        .size:           16
        .value_kind:     by_value
    .group_segment_fixed_size: 0
    .kernarg_segment_align: 8
    .kernarg_segment_size: 24
    .language:       OpenCL C
    .language_version:
      - 2
      - 0
    .max_flat_workgroup_size: 256
    .name:           _ZN2at6native29vectorized_elementwise_kernelILi16EZZZNS0_20trigamma_kernel_cudaERNS_18TensorIteratorBaseEENKUlvE_clEvENKUlvE2_clEvEUlN3c108BFloat16EE_St5arrayIPcLm2EEEEviT0_T1_
    .private_segment_fixed_size: 0
    .sgpr_count:     35
    .sgpr_spill_count: 0
    .symbol:         _ZN2at6native29vectorized_elementwise_kernelILi16EZZZNS0_20trigamma_kernel_cudaERNS_18TensorIteratorBaseEENKUlvE_clEvENKUlvE2_clEvEUlN3c108BFloat16EE_St5arrayIPcLm2EEEEviT0_T1_.kd
    .uniform_work_group_size: 1
    .uses_dynamic_stack: false
    .vgpr_count:     67
    .vgpr_spill_count: 0
    .wavefront_size: 32
    .workgroup_processor_mode: 1
  - .args:
      - .offset:         0
        .size:           4
        .value_kind:     by_value
      - .offset:         4
        .size:           1
        .value_kind:     by_value
      - .offset:         8
        .size:           16
        .value_kind:     by_value
    .group_segment_fixed_size: 0
    .kernarg_segment_align: 8
    .kernarg_segment_size: 24
    .language:       OpenCL C
    .language_version:
      - 2
      - 0
    .max_flat_workgroup_size: 256
    .name:           _ZN2at6native29vectorized_elementwise_kernelILi8EZZZNS0_20trigamma_kernel_cudaERNS_18TensorIteratorBaseEENKUlvE_clEvENKUlvE2_clEvEUlN3c108BFloat16EE_St5arrayIPcLm2EEEEviT0_T1_
    .private_segment_fixed_size: 0
    .sgpr_count:     35
    .sgpr_spill_count: 0
    .symbol:         _ZN2at6native29vectorized_elementwise_kernelILi8EZZZNS0_20trigamma_kernel_cudaERNS_18TensorIteratorBaseEENKUlvE_clEvENKUlvE2_clEvEUlN3c108BFloat16EE_St5arrayIPcLm2EEEEviT0_T1_.kd
    .uniform_work_group_size: 1
    .uses_dynamic_stack: false
    .vgpr_count:     67
    .vgpr_spill_count: 0
    .wavefront_size: 32
    .workgroup_processor_mode: 1
  - .args:
      - .offset:         0
        .size:           4
        .value_kind:     by_value
      - .offset:         4
        .size:           1
        .value_kind:     by_value
      - .offset:         8
        .size:           16
        .value_kind:     by_value
    .group_segment_fixed_size: 0
    .kernarg_segment_align: 8
    .kernarg_segment_size: 24
    .language:       OpenCL C
    .language_version:
      - 2
      - 0
    .max_flat_workgroup_size: 256
    .name:           _ZN2at6native29vectorized_elementwise_kernelILi4EZZZNS0_20trigamma_kernel_cudaERNS_18TensorIteratorBaseEENKUlvE_clEvENKUlvE2_clEvEUlN3c108BFloat16EE_St5arrayIPcLm2EEEEviT0_T1_
    .private_segment_fixed_size: 0
    .sgpr_count:     35
    .sgpr_spill_count: 0
    .symbol:         _ZN2at6native29vectorized_elementwise_kernelILi4EZZZNS0_20trigamma_kernel_cudaERNS_18TensorIteratorBaseEENKUlvE_clEvENKUlvE2_clEvEUlN3c108BFloat16EE_St5arrayIPcLm2EEEEviT0_T1_.kd
    .uniform_work_group_size: 1
    .uses_dynamic_stack: false
    .vgpr_count:     143
    .vgpr_spill_count: 0
    .wavefront_size: 32
    .workgroup_processor_mode: 1
  - .args:
      - .offset:         0
        .size:           4
        .value_kind:     by_value
      - .offset:         4
        .size:           1
        .value_kind:     by_value
      - .offset:         8
        .size:           16
        .value_kind:     by_value
    .group_segment_fixed_size: 0
    .kernarg_segment_align: 8
    .kernarg_segment_size: 24
    .language:       OpenCL C
    .language_version:
      - 2
      - 0
    .max_flat_workgroup_size: 256
    .name:           _ZN2at6native29vectorized_elementwise_kernelILi2EZZZNS0_20trigamma_kernel_cudaERNS_18TensorIteratorBaseEENKUlvE_clEvENKUlvE2_clEvEUlN3c108BFloat16EE_St5arrayIPcLm2EEEEviT0_T1_
    .private_segment_fixed_size: 0
    .sgpr_count:     35
    .sgpr_spill_count: 0
    .symbol:         _ZN2at6native29vectorized_elementwise_kernelILi2EZZZNS0_20trigamma_kernel_cudaERNS_18TensorIteratorBaseEENKUlvE_clEvENKUlvE2_clEvEUlN3c108BFloat16EE_St5arrayIPcLm2EEEEviT0_T1_.kd
    .uniform_work_group_size: 1
    .uses_dynamic_stack: false
    .vgpr_count:     141
    .vgpr_spill_count: 0
    .wavefront_size: 32
    .workgroup_processor_mode: 1
  - .args:
      - .offset:         0
        .size:           4
        .value_kind:     by_value
      - .offset:         4
        .size:           1
        .value_kind:     by_value
      - .offset:         8
        .size:           16
        .value_kind:     by_value
      - .offset:         24
        .size:           1
        .value_kind:     by_value
      - .offset:         25
        .size:           1
        .value_kind:     by_value
      - .offset:         26
        .size:           1
        .value_kind:     by_value
      - .offset:         27
        .size:           1
        .value_kind:     by_value
    .group_segment_fixed_size: 0
    .kernarg_segment_align: 8
    .kernarg_segment_size: 28
    .language:       OpenCL C
    .language_version:
      - 2
      - 0
    .max_flat_workgroup_size: 256
    .name:           _ZN2at6native27unrolled_elementwise_kernelIZZZNS0_20trigamma_kernel_cudaERNS_18TensorIteratorBaseEENKUlvE_clEvENKUlvE2_clEvEUlN3c108BFloat16EE_St5arrayIPcLm2EELi4E23TrivialOffsetCalculatorILi1EjESD_NS0_6memory15LoadWithoutCastENSE_16StoreWithoutCastEEEviT_T0_T2_T3_T4_T5_
    .private_segment_fixed_size: 0
    .sgpr_count:     14
    .sgpr_spill_count: 0
    .symbol:         _ZN2at6native27unrolled_elementwise_kernelIZZZNS0_20trigamma_kernel_cudaERNS_18TensorIteratorBaseEENKUlvE_clEvENKUlvE2_clEvEUlN3c108BFloat16EE_St5arrayIPcLm2EELi4E23TrivialOffsetCalculatorILi1EjESD_NS0_6memory15LoadWithoutCastENSE_16StoreWithoutCastEEEviT_T0_T2_T3_T4_T5_.kd
    .uniform_work_group_size: 1
    .uses_dynamic_stack: false
    .vgpr_count:     41
    .vgpr_spill_count: 0
    .wavefront_size: 32
    .workgroup_processor_mode: 1
  - .args:
      - .offset:         0
        .size:           4
        .value_kind:     by_value
      - .offset:         8
        .size:           352
        .value_kind:     by_value
    .group_segment_fixed_size: 0
    .kernarg_segment_align: 8
    .kernarg_segment_size: 360
    .language:       OpenCL C
    .language_version:
      - 2
      - 0
    .max_flat_workgroup_size: 128
    .name:           _ZN2at6native32elementwise_kernel_manual_unrollILi128ELi8EZNS0_22gpu_kernel_impl_nocastIZZZNS0_20trigamma_kernel_cudaERNS_18TensorIteratorBaseEENKUlvE_clEvENKUlvE2_clEvEUlN3c108BFloat16EE_EEvS4_RKT_EUlibE_EEviT1_
    .private_segment_fixed_size: 0
    .sgpr_count:     58
    .sgpr_spill_count: 0
    .symbol:         _ZN2at6native32elementwise_kernel_manual_unrollILi128ELi8EZNS0_22gpu_kernel_impl_nocastIZZZNS0_20trigamma_kernel_cudaERNS_18TensorIteratorBaseEENKUlvE_clEvENKUlvE2_clEvEUlN3c108BFloat16EE_EEvS4_RKT_EUlibE_EEviT1_.kd
    .uniform_work_group_size: 1
    .uses_dynamic_stack: false
    .vgpr_count:     148
    .vgpr_spill_count: 0
    .wavefront_size: 32
    .workgroup_processor_mode: 1
  - .args:
      - .offset:         0
        .size:           4
        .value_kind:     by_value
      - .offset:         8
        .size:           32
        .value_kind:     by_value
    .group_segment_fixed_size: 0
    .kernarg_segment_align: 8
    .kernarg_segment_size: 40
    .language:       OpenCL C
    .language_version:
      - 2
      - 0
    .max_flat_workgroup_size: 128
    .name:           _ZN2at6native32elementwise_kernel_manual_unrollILi128ELi4EZNS0_15gpu_kernel_implIZZZNS0_20trigamma_kernel_cudaERNS_18TensorIteratorBaseEENKUlvE_clEvENKUlvE2_clEvEUlN3c108BFloat16EE_EEvS4_RKT_EUlibE_EEviT1_
    .private_segment_fixed_size: 0
    .sgpr_count:     28
    .sgpr_spill_count: 0
    .symbol:         _ZN2at6native32elementwise_kernel_manual_unrollILi128ELi4EZNS0_15gpu_kernel_implIZZZNS0_20trigamma_kernel_cudaERNS_18TensorIteratorBaseEENKUlvE_clEvENKUlvE2_clEvEUlN3c108BFloat16EE_EEvS4_RKT_EUlibE_EEviT1_.kd
    .uniform_work_group_size: 1
    .uses_dynamic_stack: false
    .vgpr_count:     45
    .vgpr_spill_count: 0
    .wavefront_size: 32
    .workgroup_processor_mode: 1
  - .args:
      - .offset:         0
        .size:           4
        .value_kind:     by_value
      - .offset:         8
        .size:           352
        .value_kind:     by_value
    .group_segment_fixed_size: 0
    .kernarg_segment_align: 8
    .kernarg_segment_size: 360
    .language:       OpenCL C
    .language_version:
      - 2
      - 0
    .max_flat_workgroup_size: 128
    .name:           _ZN2at6native32elementwise_kernel_manual_unrollILi128ELi4EZNS0_15gpu_kernel_implIZZZNS0_20trigamma_kernel_cudaERNS_18TensorIteratorBaseEENKUlvE_clEvENKUlvE2_clEvEUlN3c108BFloat16EE_EEvS4_RKT_EUlibE0_EEviT1_
    .private_segment_fixed_size: 0
    .sgpr_count:     70
    .sgpr_spill_count: 0
    .symbol:         _ZN2at6native32elementwise_kernel_manual_unrollILi128ELi4EZNS0_15gpu_kernel_implIZZZNS0_20trigamma_kernel_cudaERNS_18TensorIteratorBaseEENKUlvE_clEvENKUlvE2_clEvEUlN3c108BFloat16EE_EEvS4_RKT_EUlibE0_EEviT1_.kd
    .uniform_work_group_size: 1
    .uses_dynamic_stack: false
    .vgpr_count:     48
    .vgpr_spill_count: 0
    .wavefront_size: 32
    .workgroup_processor_mode: 1
  - .args:
      - .offset:         0
        .size:           4
        .value_kind:     by_value
      - .offset:         8
        .size:           8
        .value_kind:     by_value
      - .offset:         16
        .size:           16
        .value_kind:     by_value
    .group_segment_fixed_size: 0
    .kernarg_segment_align: 8
    .kernarg_segment_size: 32
    .language:       OpenCL C
    .language_version:
      - 2
      - 0
    .max_flat_workgroup_size: 256
    .name:           _ZN2at6native29vectorized_elementwise_kernelILi16EZZZNS0_21polygamma_kernel_cudaERNS_18TensorIteratorBaseElENKUlvE_clEvENKUlvE_clEvEUldE_St5arrayIPcLm2EEEEviT0_T1_
    .private_segment_fixed_size: 8
    .sgpr_count:     98
    .sgpr_spill_count: 0
    .symbol:         _ZN2at6native29vectorized_elementwise_kernelILi16EZZZNS0_21polygamma_kernel_cudaERNS_18TensorIteratorBaseElENKUlvE_clEvENKUlvE_clEvEUldE_St5arrayIPcLm2EEEEviT0_T1_.kd
    .uniform_work_group_size: 1
    .uses_dynamic_stack: false
    .vgpr_count:     61
    .vgpr_spill_count: 0
    .wavefront_size: 32
    .workgroup_processor_mode: 1
  - .args:
      - .offset:         0
        .size:           4
        .value_kind:     by_value
      - .offset:         8
        .size:           8
        .value_kind:     by_value
      - .offset:         16
        .size:           16
        .value_kind:     by_value
    .group_segment_fixed_size: 0
    .kernarg_segment_align: 8
    .kernarg_segment_size: 32
    .language:       OpenCL C
    .language_version:
      - 2
      - 0
    .max_flat_workgroup_size: 256
    .name:           _ZN2at6native29vectorized_elementwise_kernelILi8EZZZNS0_21polygamma_kernel_cudaERNS_18TensorIteratorBaseElENKUlvE_clEvENKUlvE_clEvEUldE_St5arrayIPcLm2EEEEviT0_T1_
    .private_segment_fixed_size: 8
    .sgpr_count:     98
    .sgpr_spill_count: 0
    .symbol:         _ZN2at6native29vectorized_elementwise_kernelILi8EZZZNS0_21polygamma_kernel_cudaERNS_18TensorIteratorBaseElENKUlvE_clEvENKUlvE_clEvEUldE_St5arrayIPcLm2EEEEviT0_T1_.kd
    .uniform_work_group_size: 1
    .uses_dynamic_stack: false
    .vgpr_count:     61
    .vgpr_spill_count: 0
    .wavefront_size: 32
    .workgroup_processor_mode: 1
  - .args:
      - .offset:         0
        .size:           4
        .value_kind:     by_value
      - .offset:         8
        .size:           8
        .value_kind:     by_value
      - .offset:         16
        .size:           16
        .value_kind:     by_value
    .group_segment_fixed_size: 0
    .kernarg_segment_align: 8
    .kernarg_segment_size: 32
    .language:       OpenCL C
    .language_version:
      - 2
      - 0
    .max_flat_workgroup_size: 256
    .name:           _ZN2at6native29vectorized_elementwise_kernelILi4EZZZNS0_21polygamma_kernel_cudaERNS_18TensorIteratorBaseElENKUlvE_clEvENKUlvE_clEvEUldE_St5arrayIPcLm2EEEEviT0_T1_
    .private_segment_fixed_size: 8
    .sgpr_count:     98
    .sgpr_spill_count: 0
    .symbol:         _ZN2at6native29vectorized_elementwise_kernelILi4EZZZNS0_21polygamma_kernel_cudaERNS_18TensorIteratorBaseElENKUlvE_clEvENKUlvE_clEvEUldE_St5arrayIPcLm2EEEEviT0_T1_.kd
    .uniform_work_group_size: 1
    .uses_dynamic_stack: false
    .vgpr_count:     61
    .vgpr_spill_count: 0
    .wavefront_size: 32
    .workgroup_processor_mode: 1
  - .args:
      - .offset:         0
        .size:           4
        .value_kind:     by_value
      - .offset:         8
        .size:           8
        .value_kind:     by_value
      - .offset:         16
        .size:           16
        .value_kind:     by_value
    .group_segment_fixed_size: 0
    .kernarg_segment_align: 8
    .kernarg_segment_size: 32
    .language:       OpenCL C
    .language_version:
      - 2
      - 0
    .max_flat_workgroup_size: 256
    .name:           _ZN2at6native29vectorized_elementwise_kernelILi2EZZZNS0_21polygamma_kernel_cudaERNS_18TensorIteratorBaseElENKUlvE_clEvENKUlvE_clEvEUldE_St5arrayIPcLm2EEEEviT0_T1_
    .private_segment_fixed_size: 8
    .sgpr_count:     98
    .sgpr_spill_count: 0
    .symbol:         _ZN2at6native29vectorized_elementwise_kernelILi2EZZZNS0_21polygamma_kernel_cudaERNS_18TensorIteratorBaseElENKUlvE_clEvENKUlvE_clEvEUldE_St5arrayIPcLm2EEEEviT0_T1_.kd
    .uniform_work_group_size: 1
    .uses_dynamic_stack: false
    .vgpr_count:     61
    .vgpr_spill_count: 0
    .wavefront_size: 32
    .workgroup_processor_mode: 1
  - .args:
      - .offset:         0
        .size:           4
        .value_kind:     by_value
      - .offset:         8
        .size:           8
        .value_kind:     by_value
      - .offset:         16
        .size:           16
        .value_kind:     by_value
      - .offset:         32
        .size:           1
        .value_kind:     by_value
      - .offset:         33
        .size:           1
        .value_kind:     by_value
      - .offset:         34
        .size:           1
        .value_kind:     by_value
      - .offset:         35
        .size:           1
        .value_kind:     by_value
    .group_segment_fixed_size: 0
    .kernarg_segment_align: 8
    .kernarg_segment_size: 36
    .language:       OpenCL C
    .language_version:
      - 2
      - 0
    .max_flat_workgroup_size: 256
    .name:           _ZN2at6native27unrolled_elementwise_kernelIZZZNS0_21polygamma_kernel_cudaERNS_18TensorIteratorBaseElENKUlvE_clEvENKUlvE_clEvEUldE_St5arrayIPcLm2EELi4E23TrivialOffsetCalculatorILi1EjESB_NS0_6memory15LoadWithoutCastENSC_16StoreWithoutCastEEEviT_T0_T2_T3_T4_T5_
    .private_segment_fixed_size: 8
    .sgpr_count:     98
    .sgpr_spill_count: 0
    .symbol:         _ZN2at6native27unrolled_elementwise_kernelIZZZNS0_21polygamma_kernel_cudaERNS_18TensorIteratorBaseElENKUlvE_clEvENKUlvE_clEvEUldE_St5arrayIPcLm2EELi4E23TrivialOffsetCalculatorILi1EjESB_NS0_6memory15LoadWithoutCastENSC_16StoreWithoutCastEEEviT_T0_T2_T3_T4_T5_.kd
    .uniform_work_group_size: 1
    .uses_dynamic_stack: false
    .vgpr_count:     61
    .vgpr_spill_count: 0
    .wavefront_size: 32
    .workgroup_processor_mode: 1
  - .args:
      - .offset:         0
        .size:           4
        .value_kind:     by_value
      - .offset:         8
        .size:           352
        .value_kind:     by_value
    .group_segment_fixed_size: 0
    .kernarg_segment_align: 8
    .kernarg_segment_size: 360
    .language:       OpenCL C
    .language_version:
      - 2
      - 0
    .max_flat_workgroup_size: 128
    .name:           _ZN2at6native32elementwise_kernel_manual_unrollILi128ELi4EZNS0_22gpu_kernel_impl_nocastIZZZNS0_21polygamma_kernel_cudaERNS_18TensorIteratorBaseElENKUlvE_clEvENKUlvE_clEvEUldE_EEvS4_RKT_EUlibE_EEviT1_
    .private_segment_fixed_size: 8
    .sgpr_count:     101
    .sgpr_spill_count: 0
    .symbol:         _ZN2at6native32elementwise_kernel_manual_unrollILi128ELi4EZNS0_22gpu_kernel_impl_nocastIZZZNS0_21polygamma_kernel_cudaERNS_18TensorIteratorBaseElENKUlvE_clEvENKUlvE_clEvEUldE_EEvS4_RKT_EUlibE_EEviT1_.kd
    .uniform_work_group_size: 1
    .uses_dynamic_stack: false
    .vgpr_count:     57
    .vgpr_spill_count: 0
    .wavefront_size: 32
    .workgroup_processor_mode: 1
  - .args:
      - .offset:         0
        .size:           4
        .value_kind:     by_value
      - .offset:         8
        .size:           40
        .value_kind:     by_value
    .group_segment_fixed_size: 0
    .kernarg_segment_align: 8
    .kernarg_segment_size: 48
    .language:       OpenCL C
    .language_version:
      - 2
      - 0
    .max_flat_workgroup_size: 128
    .name:           _ZN2at6native32elementwise_kernel_manual_unrollILi128ELi4EZNS0_15gpu_kernel_implIZZZNS0_21polygamma_kernel_cudaERNS_18TensorIteratorBaseElENKUlvE_clEvENKUlvE_clEvEUldE_EEvS4_RKT_EUlibE_EEviT1_
    .private_segment_fixed_size: 8
    .sgpr_count:     98
    .sgpr_spill_count: 0
    .symbol:         _ZN2at6native32elementwise_kernel_manual_unrollILi128ELi4EZNS0_15gpu_kernel_implIZZZNS0_21polygamma_kernel_cudaERNS_18TensorIteratorBaseElENKUlvE_clEvENKUlvE_clEvEUldE_EEvS4_RKT_EUlibE_EEviT1_.kd
    .uniform_work_group_size: 1
    .uses_dynamic_stack: false
    .vgpr_count:     50
    .vgpr_spill_count: 0
    .wavefront_size: 32
    .workgroup_processor_mode: 1
  - .args:
      - .offset:         0
        .size:           4
        .value_kind:     by_value
      - .offset:         8
        .size:           360
        .value_kind:     by_value
    .group_segment_fixed_size: 0
    .kernarg_segment_align: 8
    .kernarg_segment_size: 368
    .language:       OpenCL C
    .language_version:
      - 2
      - 0
    .max_flat_workgroup_size: 128
    .name:           _ZN2at6native32elementwise_kernel_manual_unrollILi128ELi4EZNS0_15gpu_kernel_implIZZZNS0_21polygamma_kernel_cudaERNS_18TensorIteratorBaseElENKUlvE_clEvENKUlvE_clEvEUldE_EEvS4_RKT_EUlibE0_EEviT1_
    .private_segment_fixed_size: 8
    .sgpr_count:     107
    .sgpr_spill_count: 23
    .symbol:         _ZN2at6native32elementwise_kernel_manual_unrollILi128ELi4EZNS0_15gpu_kernel_implIZZZNS0_21polygamma_kernel_cudaERNS_18TensorIteratorBaseElENKUlvE_clEvENKUlvE_clEvEUldE_EEvS4_RKT_EUlibE0_EEviT1_.kd
    .uniform_work_group_size: 1
    .uses_dynamic_stack: false
    .vgpr_count:     58
    .vgpr_spill_count: 0
    .wavefront_size: 32
    .workgroup_processor_mode: 1
  - .args:
      - .offset:         0
        .size:           4
        .value_kind:     by_value
      - .offset:         8
        .size:           8
        .value_kind:     by_value
      - .offset:         16
        .size:           16
        .value_kind:     by_value
    .group_segment_fixed_size: 0
    .kernarg_segment_align: 8
    .kernarg_segment_size: 32
    .language:       OpenCL C
    .language_version:
      - 2
      - 0
    .max_flat_workgroup_size: 256
    .name:           _ZN2at6native29vectorized_elementwise_kernelILi16EZZZNS0_21polygamma_kernel_cudaERNS_18TensorIteratorBaseElENKUlvE_clEvENKUlvE0_clEvEUlfE_St5arrayIPcLm2EEEEviT0_T1_
    .private_segment_fixed_size: 0
    .sgpr_count:     38
    .sgpr_spill_count: 0
    .symbol:         _ZN2at6native29vectorized_elementwise_kernelILi16EZZZNS0_21polygamma_kernel_cudaERNS_18TensorIteratorBaseElENKUlvE_clEvENKUlvE0_clEvEUlfE_St5arrayIPcLm2EEEEviT0_T1_.kd
    .uniform_work_group_size: 1
    .uses_dynamic_stack: false
    .vgpr_count:     29
    .vgpr_spill_count: 0
    .wavefront_size: 32
    .workgroup_processor_mode: 1
  - .args:
      - .offset:         0
        .size:           4
        .value_kind:     by_value
      - .offset:         8
        .size:           8
        .value_kind:     by_value
      - .offset:         16
        .size:           16
        .value_kind:     by_value
    .group_segment_fixed_size: 0
    .kernarg_segment_align: 8
    .kernarg_segment_size: 32
    .language:       OpenCL C
    .language_version:
      - 2
      - 0
    .max_flat_workgroup_size: 256
    .name:           _ZN2at6native29vectorized_elementwise_kernelILi8EZZZNS0_21polygamma_kernel_cudaERNS_18TensorIteratorBaseElENKUlvE_clEvENKUlvE0_clEvEUlfE_St5arrayIPcLm2EEEEviT0_T1_
    .private_segment_fixed_size: 0
    .sgpr_count:     38
    .sgpr_spill_count: 0
    .symbol:         _ZN2at6native29vectorized_elementwise_kernelILi8EZZZNS0_21polygamma_kernel_cudaERNS_18TensorIteratorBaseElENKUlvE_clEvENKUlvE0_clEvEUlfE_St5arrayIPcLm2EEEEviT0_T1_.kd
    .uniform_work_group_size: 1
    .uses_dynamic_stack: false
    .vgpr_count:     29
    .vgpr_spill_count: 0
    .wavefront_size: 32
    .workgroup_processor_mode: 1
  - .args:
      - .offset:         0
        .size:           4
        .value_kind:     by_value
      - .offset:         8
        .size:           8
        .value_kind:     by_value
      - .offset:         16
        .size:           16
        .value_kind:     by_value
    .group_segment_fixed_size: 0
    .kernarg_segment_align: 8
    .kernarg_segment_size: 32
    .language:       OpenCL C
    .language_version:
      - 2
      - 0
    .max_flat_workgroup_size: 256
    .name:           _ZN2at6native29vectorized_elementwise_kernelILi4EZZZNS0_21polygamma_kernel_cudaERNS_18TensorIteratorBaseElENKUlvE_clEvENKUlvE0_clEvEUlfE_St5arrayIPcLm2EEEEviT0_T1_
    .private_segment_fixed_size: 0
    .sgpr_count:     38
    .sgpr_spill_count: 0
    .symbol:         _ZN2at6native29vectorized_elementwise_kernelILi4EZZZNS0_21polygamma_kernel_cudaERNS_18TensorIteratorBaseElENKUlvE_clEvENKUlvE0_clEvEUlfE_St5arrayIPcLm2EEEEviT0_T1_.kd
    .uniform_work_group_size: 1
    .uses_dynamic_stack: false
    .vgpr_count:     29
    .vgpr_spill_count: 0
    .wavefront_size: 32
    .workgroup_processor_mode: 1
  - .args:
      - .offset:         0
        .size:           4
        .value_kind:     by_value
      - .offset:         8
        .size:           8
        .value_kind:     by_value
      - .offset:         16
        .size:           16
        .value_kind:     by_value
    .group_segment_fixed_size: 0
    .kernarg_segment_align: 8
    .kernarg_segment_size: 32
    .language:       OpenCL C
    .language_version:
      - 2
      - 0
    .max_flat_workgroup_size: 256
    .name:           _ZN2at6native29vectorized_elementwise_kernelILi2EZZZNS0_21polygamma_kernel_cudaERNS_18TensorIteratorBaseElENKUlvE_clEvENKUlvE0_clEvEUlfE_St5arrayIPcLm2EEEEviT0_T1_
    .private_segment_fixed_size: 0
    .sgpr_count:     38
    .sgpr_spill_count: 0
    .symbol:         _ZN2at6native29vectorized_elementwise_kernelILi2EZZZNS0_21polygamma_kernel_cudaERNS_18TensorIteratorBaseElENKUlvE_clEvENKUlvE0_clEvEUlfE_St5arrayIPcLm2EEEEviT0_T1_.kd
    .uniform_work_group_size: 1
    .uses_dynamic_stack: false
    .vgpr_count:     29
    .vgpr_spill_count: 0
    .wavefront_size: 32
    .workgroup_processor_mode: 1
  - .args:
      - .offset:         0
        .size:           4
        .value_kind:     by_value
      - .offset:         8
        .size:           8
        .value_kind:     by_value
      - .offset:         16
        .size:           16
        .value_kind:     by_value
      - .offset:         32
        .size:           1
        .value_kind:     by_value
      - .offset:         33
        .size:           1
        .value_kind:     by_value
      - .offset:         34
        .size:           1
        .value_kind:     by_value
      - .offset:         35
        .size:           1
        .value_kind:     by_value
    .group_segment_fixed_size: 0
    .kernarg_segment_align: 8
    .kernarg_segment_size: 36
    .language:       OpenCL C
    .language_version:
      - 2
      - 0
    .max_flat_workgroup_size: 256
    .name:           _ZN2at6native27unrolled_elementwise_kernelIZZZNS0_21polygamma_kernel_cudaERNS_18TensorIteratorBaseElENKUlvE_clEvENKUlvE0_clEvEUlfE_St5arrayIPcLm2EELi4E23TrivialOffsetCalculatorILi1EjESB_NS0_6memory15LoadWithoutCastENSC_16StoreWithoutCastEEEviT_T0_T2_T3_T4_T5_
    .private_segment_fixed_size: 0
    .sgpr_count:     35
    .sgpr_spill_count: 0
    .symbol:         _ZN2at6native27unrolled_elementwise_kernelIZZZNS0_21polygamma_kernel_cudaERNS_18TensorIteratorBaseElENKUlvE_clEvENKUlvE0_clEvEUlfE_St5arrayIPcLm2EELi4E23TrivialOffsetCalculatorILi1EjESB_NS0_6memory15LoadWithoutCastENSC_16StoreWithoutCastEEEviT_T0_T2_T3_T4_T5_.kd
    .uniform_work_group_size: 1
    .uses_dynamic_stack: false
    .vgpr_count:     29
    .vgpr_spill_count: 0
    .wavefront_size: 32
    .workgroup_processor_mode: 1
  - .args:
      - .offset:         0
        .size:           4
        .value_kind:     by_value
      - .offset:         8
        .size:           352
        .value_kind:     by_value
    .group_segment_fixed_size: 0
    .kernarg_segment_align: 8
    .kernarg_segment_size: 360
    .language:       OpenCL C
    .language_version:
      - 2
      - 0
    .max_flat_workgroup_size: 128
    .name:           _ZN2at6native32elementwise_kernel_manual_unrollILi128ELi4EZNS0_22gpu_kernel_impl_nocastIZZZNS0_21polygamma_kernel_cudaERNS_18TensorIteratorBaseElENKUlvE_clEvENKUlvE0_clEvEUlfE_EEvS4_RKT_EUlibE_EEviT1_
    .private_segment_fixed_size: 0
    .sgpr_count:     70
    .sgpr_spill_count: 0
    .symbol:         _ZN2at6native32elementwise_kernel_manual_unrollILi128ELi4EZNS0_22gpu_kernel_impl_nocastIZZZNS0_21polygamma_kernel_cudaERNS_18TensorIteratorBaseElENKUlvE_clEvENKUlvE0_clEvEUlfE_EEvS4_RKT_EUlibE_EEviT1_.kd
    .uniform_work_group_size: 1
    .uses_dynamic_stack: false
    .vgpr_count:     27
    .vgpr_spill_count: 0
    .wavefront_size: 32
    .workgroup_processor_mode: 1
  - .args:
      - .offset:         0
        .size:           4
        .value_kind:     by_value
      - .offset:         8
        .size:           40
        .value_kind:     by_value
    .group_segment_fixed_size: 0
    .kernarg_segment_align: 8
    .kernarg_segment_size: 48
    .language:       OpenCL C
    .language_version:
      - 2
      - 0
    .max_flat_workgroup_size: 128
    .name:           _ZN2at6native32elementwise_kernel_manual_unrollILi128ELi4EZNS0_15gpu_kernel_implIZZZNS0_21polygamma_kernel_cudaERNS_18TensorIteratorBaseElENKUlvE_clEvENKUlvE0_clEvEUlfE_EEvS4_RKT_EUlibE_EEviT1_
    .private_segment_fixed_size: 0
    .sgpr_count:     42
    .sgpr_spill_count: 0
    .symbol:         _ZN2at6native32elementwise_kernel_manual_unrollILi128ELi4EZNS0_15gpu_kernel_implIZZZNS0_21polygamma_kernel_cudaERNS_18TensorIteratorBaseElENKUlvE_clEvENKUlvE0_clEvEUlfE_EEvS4_RKT_EUlibE_EEviT1_.kd
    .uniform_work_group_size: 1
    .uses_dynamic_stack: false
    .vgpr_count:     24
    .vgpr_spill_count: 0
    .wavefront_size: 32
    .workgroup_processor_mode: 1
  - .args:
      - .offset:         0
        .size:           4
        .value_kind:     by_value
      - .offset:         8
        .size:           360
        .value_kind:     by_value
    .group_segment_fixed_size: 0
    .kernarg_segment_align: 8
    .kernarg_segment_size: 368
    .language:       OpenCL C
    .language_version:
      - 2
      - 0
    .max_flat_workgroup_size: 128
    .name:           _ZN2at6native32elementwise_kernel_manual_unrollILi128ELi4EZNS0_15gpu_kernel_implIZZZNS0_21polygamma_kernel_cudaERNS_18TensorIteratorBaseElENKUlvE_clEvENKUlvE0_clEvEUlfE_EEvS4_RKT_EUlibE0_EEviT1_
    .private_segment_fixed_size: 0
    .sgpr_count:     78
    .sgpr_spill_count: 0
    .symbol:         _ZN2at6native32elementwise_kernel_manual_unrollILi128ELi4EZNS0_15gpu_kernel_implIZZZNS0_21polygamma_kernel_cudaERNS_18TensorIteratorBaseElENKUlvE_clEvENKUlvE0_clEvEUlfE_EEvS4_RKT_EUlibE0_EEviT1_.kd
    .uniform_work_group_size: 1
    .uses_dynamic_stack: false
    .vgpr_count:     32
    .vgpr_spill_count: 0
    .wavefront_size: 32
    .workgroup_processor_mode: 1
  - .args:
      - .offset:         0
        .size:           4
        .value_kind:     by_value
      - .offset:         8
        .size:           8
        .value_kind:     by_value
      - .offset:         16
        .size:           16
        .value_kind:     by_value
    .group_segment_fixed_size: 0
    .kernarg_segment_align: 8
    .kernarg_segment_size: 32
    .language:       OpenCL C
    .language_version:
      - 2
      - 0
    .max_flat_workgroup_size: 256
    .name:           _ZN2at6native29vectorized_elementwise_kernelILi16EZZZNS0_21polygamma_kernel_cudaERNS_18TensorIteratorBaseElENKUlvE_clEvENKUlvE1_clEvEUlN3c104HalfEE_St5arrayIPcLm2EEEEviT0_T1_
    .private_segment_fixed_size: 0
    .sgpr_count:     40
    .sgpr_spill_count: 0
    .symbol:         _ZN2at6native29vectorized_elementwise_kernelILi16EZZZNS0_21polygamma_kernel_cudaERNS_18TensorIteratorBaseElENKUlvE_clEvENKUlvE1_clEvEUlN3c104HalfEE_St5arrayIPcLm2EEEEviT0_T1_.kd
    .uniform_work_group_size: 1
    .uses_dynamic_stack: false
    .vgpr_count:     32
    .vgpr_spill_count: 0
    .wavefront_size: 32
    .workgroup_processor_mode: 1
  - .args:
      - .offset:         0
        .size:           4
        .value_kind:     by_value
      - .offset:         8
        .size:           8
        .value_kind:     by_value
      - .offset:         16
        .size:           16
        .value_kind:     by_value
    .group_segment_fixed_size: 0
    .kernarg_segment_align: 8
    .kernarg_segment_size: 32
    .language:       OpenCL C
    .language_version:
      - 2
      - 0
    .max_flat_workgroup_size: 256
    .name:           _ZN2at6native29vectorized_elementwise_kernelILi8EZZZNS0_21polygamma_kernel_cudaERNS_18TensorIteratorBaseElENKUlvE_clEvENKUlvE1_clEvEUlN3c104HalfEE_St5arrayIPcLm2EEEEviT0_T1_
    .private_segment_fixed_size: 0
    .sgpr_count:     40
    .sgpr_spill_count: 0
    .symbol:         _ZN2at6native29vectorized_elementwise_kernelILi8EZZZNS0_21polygamma_kernel_cudaERNS_18TensorIteratorBaseElENKUlvE_clEvENKUlvE1_clEvEUlN3c104HalfEE_St5arrayIPcLm2EEEEviT0_T1_.kd
    .uniform_work_group_size: 1
    .uses_dynamic_stack: false
    .vgpr_count:     32
    .vgpr_spill_count: 0
    .wavefront_size: 32
    .workgroup_processor_mode: 1
  - .args:
      - .offset:         0
        .size:           4
        .value_kind:     by_value
      - .offset:         8
        .size:           8
        .value_kind:     by_value
      - .offset:         16
        .size:           16
        .value_kind:     by_value
    .group_segment_fixed_size: 0
    .kernarg_segment_align: 8
    .kernarg_segment_size: 32
    .language:       OpenCL C
    .language_version:
      - 2
      - 0
    .max_flat_workgroup_size: 256
    .name:           _ZN2at6native29vectorized_elementwise_kernelILi4EZZZNS0_21polygamma_kernel_cudaERNS_18TensorIteratorBaseElENKUlvE_clEvENKUlvE1_clEvEUlN3c104HalfEE_St5arrayIPcLm2EEEEviT0_T1_
    .private_segment_fixed_size: 0
    .sgpr_count:     38
    .sgpr_spill_count: 0
    .symbol:         _ZN2at6native29vectorized_elementwise_kernelILi4EZZZNS0_21polygamma_kernel_cudaERNS_18TensorIteratorBaseElENKUlvE_clEvENKUlvE1_clEvEUlN3c104HalfEE_St5arrayIPcLm2EEEEviT0_T1_.kd
    .uniform_work_group_size: 1
    .uses_dynamic_stack: false
    .vgpr_count:     32
    .vgpr_spill_count: 0
    .wavefront_size: 32
    .workgroup_processor_mode: 1
  - .args:
      - .offset:         0
        .size:           4
        .value_kind:     by_value
      - .offset:         8
        .size:           8
        .value_kind:     by_value
      - .offset:         16
        .size:           16
        .value_kind:     by_value
    .group_segment_fixed_size: 0
    .kernarg_segment_align: 8
    .kernarg_segment_size: 32
    .language:       OpenCL C
    .language_version:
      - 2
      - 0
    .max_flat_workgroup_size: 256
    .name:           _ZN2at6native29vectorized_elementwise_kernelILi2EZZZNS0_21polygamma_kernel_cudaERNS_18TensorIteratorBaseElENKUlvE_clEvENKUlvE1_clEvEUlN3c104HalfEE_St5arrayIPcLm2EEEEviT0_T1_
    .private_segment_fixed_size: 0
    .sgpr_count:     38
    .sgpr_spill_count: 0
    .symbol:         _ZN2at6native29vectorized_elementwise_kernelILi2EZZZNS0_21polygamma_kernel_cudaERNS_18TensorIteratorBaseElENKUlvE_clEvENKUlvE1_clEvEUlN3c104HalfEE_St5arrayIPcLm2EEEEviT0_T1_.kd
    .uniform_work_group_size: 1
    .uses_dynamic_stack: false
    .vgpr_count:     32
    .vgpr_spill_count: 0
    .wavefront_size: 32
    .workgroup_processor_mode: 1
  - .args:
      - .offset:         0
        .size:           4
        .value_kind:     by_value
      - .offset:         8
        .size:           8
        .value_kind:     by_value
      - .offset:         16
        .size:           16
        .value_kind:     by_value
      - .offset:         32
        .size:           1
        .value_kind:     by_value
      - .offset:         33
        .size:           1
        .value_kind:     by_value
      - .offset:         34
        .size:           1
        .value_kind:     by_value
      - .offset:         35
        .size:           1
        .value_kind:     by_value
    .group_segment_fixed_size: 0
    .kernarg_segment_align: 8
    .kernarg_segment_size: 36
    .language:       OpenCL C
    .language_version:
      - 2
      - 0
    .max_flat_workgroup_size: 256
    .name:           _ZN2at6native27unrolled_elementwise_kernelIZZZNS0_21polygamma_kernel_cudaERNS_18TensorIteratorBaseElENKUlvE_clEvENKUlvE1_clEvEUlN3c104HalfEE_St5arrayIPcLm2EELi4E23TrivialOffsetCalculatorILi1EjESD_NS0_6memory15LoadWithoutCastENSE_16StoreWithoutCastEEEviT_T0_T2_T3_T4_T5_
    .private_segment_fixed_size: 0
    .sgpr_count:     35
    .sgpr_spill_count: 0
    .symbol:         _ZN2at6native27unrolled_elementwise_kernelIZZZNS0_21polygamma_kernel_cudaERNS_18TensorIteratorBaseElENKUlvE_clEvENKUlvE1_clEvEUlN3c104HalfEE_St5arrayIPcLm2EELi4E23TrivialOffsetCalculatorILi1EjESD_NS0_6memory15LoadWithoutCastENSE_16StoreWithoutCastEEEviT_T0_T2_T3_T4_T5_.kd
    .uniform_work_group_size: 1
    .uses_dynamic_stack: false
    .vgpr_count:     28
    .vgpr_spill_count: 0
    .wavefront_size: 32
    .workgroup_processor_mode: 1
  - .args:
      - .offset:         0
        .size:           4
        .value_kind:     by_value
      - .offset:         8
        .size:           352
        .value_kind:     by_value
    .group_segment_fixed_size: 0
    .kernarg_segment_align: 8
    .kernarg_segment_size: 360
    .language:       OpenCL C
    .language_version:
      - 2
      - 0
    .max_flat_workgroup_size: 128
    .name:           _ZN2at6native32elementwise_kernel_manual_unrollILi128ELi8EZNS0_22gpu_kernel_impl_nocastIZZZNS0_21polygamma_kernel_cudaERNS_18TensorIteratorBaseElENKUlvE_clEvENKUlvE1_clEvEUlN3c104HalfEE_EEvS4_RKT_EUlibE_EEviT1_
    .private_segment_fixed_size: 0
    .sgpr_count:     66
    .sgpr_spill_count: 0
    .symbol:         _ZN2at6native32elementwise_kernel_manual_unrollILi128ELi8EZNS0_22gpu_kernel_impl_nocastIZZZNS0_21polygamma_kernel_cudaERNS_18TensorIteratorBaseElENKUlvE_clEvENKUlvE1_clEvEUlN3c104HalfEE_EEvS4_RKT_EUlibE_EEviT1_.kd
    .uniform_work_group_size: 1
    .uses_dynamic_stack: false
    .vgpr_count:     36
    .vgpr_spill_count: 0
    .wavefront_size: 32
    .workgroup_processor_mode: 1
  - .args:
      - .offset:         0
        .size:           4
        .value_kind:     by_value
      - .offset:         8
        .size:           40
        .value_kind:     by_value
    .group_segment_fixed_size: 0
    .kernarg_segment_align: 8
    .kernarg_segment_size: 48
    .language:       OpenCL C
    .language_version:
      - 2
      - 0
    .max_flat_workgroup_size: 128
    .name:           _ZN2at6native32elementwise_kernel_manual_unrollILi128ELi4EZNS0_15gpu_kernel_implIZZZNS0_21polygamma_kernel_cudaERNS_18TensorIteratorBaseElENKUlvE_clEvENKUlvE1_clEvEUlN3c104HalfEE_EEvS4_RKT_EUlibE_EEviT1_
    .private_segment_fixed_size: 0
    .sgpr_count:     46
    .sgpr_spill_count: 0
    .symbol:         _ZN2at6native32elementwise_kernel_manual_unrollILi128ELi4EZNS0_15gpu_kernel_implIZZZNS0_21polygamma_kernel_cudaERNS_18TensorIteratorBaseElENKUlvE_clEvENKUlvE1_clEvEUlN3c104HalfEE_EEvS4_RKT_EUlibE_EEviT1_.kd
    .uniform_work_group_size: 1
    .uses_dynamic_stack: false
    .vgpr_count:     25
    .vgpr_spill_count: 0
    .wavefront_size: 32
    .workgroup_processor_mode: 1
  - .args:
      - .offset:         0
        .size:           4
        .value_kind:     by_value
      - .offset:         8
        .size:           360
        .value_kind:     by_value
    .group_segment_fixed_size: 0
    .kernarg_segment_align: 8
    .kernarg_segment_size: 368
    .language:       OpenCL C
    .language_version:
      - 2
      - 0
    .max_flat_workgroup_size: 128
    .name:           _ZN2at6native32elementwise_kernel_manual_unrollILi128ELi4EZNS0_15gpu_kernel_implIZZZNS0_21polygamma_kernel_cudaERNS_18TensorIteratorBaseElENKUlvE_clEvENKUlvE1_clEvEUlN3c104HalfEE_EEvS4_RKT_EUlibE0_EEviT1_
    .private_segment_fixed_size: 0
    .sgpr_count:     78
    .sgpr_spill_count: 0
    .symbol:         _ZN2at6native32elementwise_kernel_manual_unrollILi128ELi4EZNS0_15gpu_kernel_implIZZZNS0_21polygamma_kernel_cudaERNS_18TensorIteratorBaseElENKUlvE_clEvENKUlvE1_clEvEUlN3c104HalfEE_EEvS4_RKT_EUlibE0_EEviT1_.kd
    .uniform_work_group_size: 1
    .uses_dynamic_stack: false
    .vgpr_count:     32
    .vgpr_spill_count: 0
    .wavefront_size: 32
    .workgroup_processor_mode: 1
  - .args:
      - .offset:         0
        .size:           4
        .value_kind:     by_value
      - .offset:         8
        .size:           8
        .value_kind:     by_value
      - .offset:         16
        .size:           16
        .value_kind:     by_value
    .group_segment_fixed_size: 0
    .kernarg_segment_align: 8
    .kernarg_segment_size: 32
    .language:       OpenCL C
    .language_version:
      - 2
      - 0
    .max_flat_workgroup_size: 256
    .name:           _ZN2at6native29vectorized_elementwise_kernelILi16EZZZNS0_21polygamma_kernel_cudaERNS_18TensorIteratorBaseElENKUlvE_clEvENKUlvE2_clEvEUlN3c108BFloat16EE_St5arrayIPcLm2EEEEviT0_T1_
    .private_segment_fixed_size: 0
    .sgpr_count:     40
    .sgpr_spill_count: 0
    .symbol:         _ZN2at6native29vectorized_elementwise_kernelILi16EZZZNS0_21polygamma_kernel_cudaERNS_18TensorIteratorBaseElENKUlvE_clEvENKUlvE2_clEvEUlN3c108BFloat16EE_St5arrayIPcLm2EEEEviT0_T1_.kd
    .uniform_work_group_size: 1
    .uses_dynamic_stack: false
    .vgpr_count:     34
    .vgpr_spill_count: 0
    .wavefront_size: 32
    .workgroup_processor_mode: 1
  - .args:
      - .offset:         0
        .size:           4
        .value_kind:     by_value
      - .offset:         8
        .size:           8
        .value_kind:     by_value
      - .offset:         16
        .size:           16
        .value_kind:     by_value
    .group_segment_fixed_size: 0
    .kernarg_segment_align: 8
    .kernarg_segment_size: 32
    .language:       OpenCL C
    .language_version:
      - 2
      - 0
    .max_flat_workgroup_size: 256
    .name:           _ZN2at6native29vectorized_elementwise_kernelILi8EZZZNS0_21polygamma_kernel_cudaERNS_18TensorIteratorBaseElENKUlvE_clEvENKUlvE2_clEvEUlN3c108BFloat16EE_St5arrayIPcLm2EEEEviT0_T1_
    .private_segment_fixed_size: 0
    .sgpr_count:     40
    .sgpr_spill_count: 0
    .symbol:         _ZN2at6native29vectorized_elementwise_kernelILi8EZZZNS0_21polygamma_kernel_cudaERNS_18TensorIteratorBaseElENKUlvE_clEvENKUlvE2_clEvEUlN3c108BFloat16EE_St5arrayIPcLm2EEEEviT0_T1_.kd
    .uniform_work_group_size: 1
    .uses_dynamic_stack: false
    .vgpr_count:     34
    .vgpr_spill_count: 0
    .wavefront_size: 32
    .workgroup_processor_mode: 1
  - .args:
      - .offset:         0
        .size:           4
        .value_kind:     by_value
      - .offset:         8
        .size:           8
        .value_kind:     by_value
      - .offset:         16
        .size:           16
        .value_kind:     by_value
    .group_segment_fixed_size: 0
    .kernarg_segment_align: 8
    .kernarg_segment_size: 32
    .language:       OpenCL C
    .language_version:
      - 2
      - 0
    .max_flat_workgroup_size: 256
    .name:           _ZN2at6native29vectorized_elementwise_kernelILi4EZZZNS0_21polygamma_kernel_cudaERNS_18TensorIteratorBaseElENKUlvE_clEvENKUlvE2_clEvEUlN3c108BFloat16EE_St5arrayIPcLm2EEEEviT0_T1_
    .private_segment_fixed_size: 0
    .sgpr_count:     38
    .sgpr_spill_count: 0
    .symbol:         _ZN2at6native29vectorized_elementwise_kernelILi4EZZZNS0_21polygamma_kernel_cudaERNS_18TensorIteratorBaseElENKUlvE_clEvENKUlvE2_clEvEUlN3c108BFloat16EE_St5arrayIPcLm2EEEEviT0_T1_.kd
    .uniform_work_group_size: 1
    .uses_dynamic_stack: false
    .vgpr_count:     34
    .vgpr_spill_count: 0
    .wavefront_size: 32
    .workgroup_processor_mode: 1
  - .args:
      - .offset:         0
        .size:           4
        .value_kind:     by_value
      - .offset:         8
        .size:           8
        .value_kind:     by_value
      - .offset:         16
        .size:           16
        .value_kind:     by_value
    .group_segment_fixed_size: 0
    .kernarg_segment_align: 8
    .kernarg_segment_size: 32
    .language:       OpenCL C
    .language_version:
      - 2
      - 0
    .max_flat_workgroup_size: 256
    .name:           _ZN2at6native29vectorized_elementwise_kernelILi2EZZZNS0_21polygamma_kernel_cudaERNS_18TensorIteratorBaseElENKUlvE_clEvENKUlvE2_clEvEUlN3c108BFloat16EE_St5arrayIPcLm2EEEEviT0_T1_
    .private_segment_fixed_size: 0
    .sgpr_count:     38
    .sgpr_spill_count: 0
    .symbol:         _ZN2at6native29vectorized_elementwise_kernelILi2EZZZNS0_21polygamma_kernel_cudaERNS_18TensorIteratorBaseElENKUlvE_clEvENKUlvE2_clEvEUlN3c108BFloat16EE_St5arrayIPcLm2EEEEviT0_T1_.kd
    .uniform_work_group_size: 1
    .uses_dynamic_stack: false
    .vgpr_count:     34
    .vgpr_spill_count: 0
    .wavefront_size: 32
    .workgroup_processor_mode: 1
  - .args:
      - .offset:         0
        .size:           4
        .value_kind:     by_value
      - .offset:         8
        .size:           8
        .value_kind:     by_value
      - .offset:         16
        .size:           16
        .value_kind:     by_value
      - .offset:         32
        .size:           1
        .value_kind:     by_value
      - .offset:         33
        .size:           1
        .value_kind:     by_value
      - .offset:         34
        .size:           1
        .value_kind:     by_value
      - .offset:         35
        .size:           1
        .value_kind:     by_value
    .group_segment_fixed_size: 0
    .kernarg_segment_align: 8
    .kernarg_segment_size: 36
    .language:       OpenCL C
    .language_version:
      - 2
      - 0
    .max_flat_workgroup_size: 256
    .name:           _ZN2at6native27unrolled_elementwise_kernelIZZZNS0_21polygamma_kernel_cudaERNS_18TensorIteratorBaseElENKUlvE_clEvENKUlvE2_clEvEUlN3c108BFloat16EE_St5arrayIPcLm2EELi4E23TrivialOffsetCalculatorILi1EjESD_NS0_6memory15LoadWithoutCastENSE_16StoreWithoutCastEEEviT_T0_T2_T3_T4_T5_
    .private_segment_fixed_size: 0
    .sgpr_count:     35
    .sgpr_spill_count: 0
    .symbol:         _ZN2at6native27unrolled_elementwise_kernelIZZZNS0_21polygamma_kernel_cudaERNS_18TensorIteratorBaseElENKUlvE_clEvENKUlvE2_clEvEUlN3c108BFloat16EE_St5arrayIPcLm2EELi4E23TrivialOffsetCalculatorILi1EjESD_NS0_6memory15LoadWithoutCastENSE_16StoreWithoutCastEEEviT_T0_T2_T3_T4_T5_.kd
    .uniform_work_group_size: 1
    .uses_dynamic_stack: false
    .vgpr_count:     30
    .vgpr_spill_count: 0
    .wavefront_size: 32
    .workgroup_processor_mode: 1
  - .args:
      - .offset:         0
        .size:           4
        .value_kind:     by_value
      - .offset:         8
        .size:           352
        .value_kind:     by_value
    .group_segment_fixed_size: 0
    .kernarg_segment_align: 8
    .kernarg_segment_size: 360
    .language:       OpenCL C
    .language_version:
      - 2
      - 0
    .max_flat_workgroup_size: 128
    .name:           _ZN2at6native32elementwise_kernel_manual_unrollILi128ELi8EZNS0_22gpu_kernel_impl_nocastIZZZNS0_21polygamma_kernel_cudaERNS_18TensorIteratorBaseElENKUlvE_clEvENKUlvE2_clEvEUlN3c108BFloat16EE_EEvS4_RKT_EUlibE_EEviT1_
    .private_segment_fixed_size: 0
    .sgpr_count:     66
    .sgpr_spill_count: 0
    .symbol:         _ZN2at6native32elementwise_kernel_manual_unrollILi128ELi8EZNS0_22gpu_kernel_impl_nocastIZZZNS0_21polygamma_kernel_cudaERNS_18TensorIteratorBaseElENKUlvE_clEvENKUlvE2_clEvEUlN3c108BFloat16EE_EEvS4_RKT_EUlibE_EEviT1_.kd
    .uniform_work_group_size: 1
    .uses_dynamic_stack: false
    .vgpr_count:     38
    .vgpr_spill_count: 0
    .wavefront_size: 32
    .workgroup_processor_mode: 1
  - .args:
      - .offset:         0
        .size:           4
        .value_kind:     by_value
      - .offset:         8
        .size:           40
        .value_kind:     by_value
    .group_segment_fixed_size: 0
    .kernarg_segment_align: 8
    .kernarg_segment_size: 48
    .language:       OpenCL C
    .language_version:
      - 2
      - 0
    .max_flat_workgroup_size: 128
    .name:           _ZN2at6native32elementwise_kernel_manual_unrollILi128ELi4EZNS0_15gpu_kernel_implIZZZNS0_21polygamma_kernel_cudaERNS_18TensorIteratorBaseElENKUlvE_clEvENKUlvE2_clEvEUlN3c108BFloat16EE_EEvS4_RKT_EUlibE_EEviT1_
    .private_segment_fixed_size: 0
    .sgpr_count:     46
    .sgpr_spill_count: 0
    .symbol:         _ZN2at6native32elementwise_kernel_manual_unrollILi128ELi4EZNS0_15gpu_kernel_implIZZZNS0_21polygamma_kernel_cudaERNS_18TensorIteratorBaseElENKUlvE_clEvENKUlvE2_clEvEUlN3c108BFloat16EE_EEvS4_RKT_EUlibE_EEviT1_.kd
    .uniform_work_group_size: 1
    .uses_dynamic_stack: false
    .vgpr_count:     27
    .vgpr_spill_count: 0
    .wavefront_size: 32
    .workgroup_processor_mode: 1
  - .args:
      - .offset:         0
        .size:           4
        .value_kind:     by_value
      - .offset:         8
        .size:           360
        .value_kind:     by_value
    .group_segment_fixed_size: 0
    .kernarg_segment_align: 8
    .kernarg_segment_size: 368
    .language:       OpenCL C
    .language_version:
      - 2
      - 0
    .max_flat_workgroup_size: 128
    .name:           _ZN2at6native32elementwise_kernel_manual_unrollILi128ELi4EZNS0_15gpu_kernel_implIZZZNS0_21polygamma_kernel_cudaERNS_18TensorIteratorBaseElENKUlvE_clEvENKUlvE2_clEvEUlN3c108BFloat16EE_EEvS4_RKT_EUlibE0_EEviT1_
    .private_segment_fixed_size: 0
    .sgpr_count:     78
    .sgpr_spill_count: 0
    .symbol:         _ZN2at6native32elementwise_kernel_manual_unrollILi128ELi4EZNS0_15gpu_kernel_implIZZZNS0_21polygamma_kernel_cudaERNS_18TensorIteratorBaseElENKUlvE_clEvENKUlvE2_clEvEUlN3c108BFloat16EE_EEvS4_RKT_EUlibE0_EEviT1_.kd
    .uniform_work_group_size: 1
    .uses_dynamic_stack: false
    .vgpr_count:     34
    .vgpr_spill_count: 0
    .wavefront_size: 32
    .workgroup_processor_mode: 1
  - .args:
      - .offset:         0
        .size:           4
        .value_kind:     by_value
      - .offset:         4
        .size:           1
        .value_kind:     by_value
      - .offset:         8
        .size:           16
        .value_kind:     by_value
    .group_segment_fixed_size: 0
    .kernarg_segment_align: 8
    .kernarg_segment_size: 24
    .language:       OpenCL C
    .language_version:
      - 2
      - 0
    .max_flat_workgroup_size: 256
    .name:           _ZN2at6native29vectorized_elementwise_kernelILi16EZZZNS0_18lgamma_kernel_cudaERNS_18TensorIteratorBaseEENKUlvE_clEvENKUlvE_clEvEUldE_St5arrayIPcLm2EEEEviT0_T1_
    .private_segment_fixed_size: 0
    .sgpr_count:     35
    .sgpr_spill_count: 0
    .symbol:         _ZN2at6native29vectorized_elementwise_kernelILi16EZZZNS0_18lgamma_kernel_cudaERNS_18TensorIteratorBaseEENKUlvE_clEvENKUlvE_clEvEUldE_St5arrayIPcLm2EEEEviT0_T1_.kd
    .uniform_work_group_size: 1
    .uses_dynamic_stack: false
    .vgpr_count:     54
    .vgpr_spill_count: 0
    .wavefront_size: 32
    .workgroup_processor_mode: 1
  - .args:
      - .offset:         0
        .size:           4
        .value_kind:     by_value
      - .offset:         4
        .size:           1
        .value_kind:     by_value
      - .offset:         8
        .size:           16
        .value_kind:     by_value
    .group_segment_fixed_size: 0
    .kernarg_segment_align: 8
    .kernarg_segment_size: 24
    .language:       OpenCL C
    .language_version:
      - 2
      - 0
    .max_flat_workgroup_size: 256
    .name:           _ZN2at6native29vectorized_elementwise_kernelILi8EZZZNS0_18lgamma_kernel_cudaERNS_18TensorIteratorBaseEENKUlvE_clEvENKUlvE_clEvEUldE_St5arrayIPcLm2EEEEviT0_T1_
    .private_segment_fixed_size: 0
    .sgpr_count:     35
    .sgpr_spill_count: 0
    .symbol:         _ZN2at6native29vectorized_elementwise_kernelILi8EZZZNS0_18lgamma_kernel_cudaERNS_18TensorIteratorBaseEENKUlvE_clEvENKUlvE_clEvEUldE_St5arrayIPcLm2EEEEviT0_T1_.kd
    .uniform_work_group_size: 1
    .uses_dynamic_stack: false
    .vgpr_count:     54
    .vgpr_spill_count: 0
    .wavefront_size: 32
    .workgroup_processor_mode: 1
  - .args:
      - .offset:         0
        .size:           4
        .value_kind:     by_value
      - .offset:         4
        .size:           1
        .value_kind:     by_value
      - .offset:         8
        .size:           16
        .value_kind:     by_value
    .group_segment_fixed_size: 0
    .kernarg_segment_align: 8
    .kernarg_segment_size: 24
    .language:       OpenCL C
    .language_version:
      - 2
      - 0
    .max_flat_workgroup_size: 256
    .name:           _ZN2at6native29vectorized_elementwise_kernelILi4EZZZNS0_18lgamma_kernel_cudaERNS_18TensorIteratorBaseEENKUlvE_clEvENKUlvE_clEvEUldE_St5arrayIPcLm2EEEEviT0_T1_
    .private_segment_fixed_size: 0
    .sgpr_count:     35
    .sgpr_spill_count: 0
    .symbol:         _ZN2at6native29vectorized_elementwise_kernelILi4EZZZNS0_18lgamma_kernel_cudaERNS_18TensorIteratorBaseEENKUlvE_clEvENKUlvE_clEvEUldE_St5arrayIPcLm2EEEEviT0_T1_.kd
    .uniform_work_group_size: 1
    .uses_dynamic_stack: false
    .vgpr_count:     54
    .vgpr_spill_count: 0
    .wavefront_size: 32
    .workgroup_processor_mode: 1
  - .args:
      - .offset:         0
        .size:           4
        .value_kind:     by_value
      - .offset:         4
        .size:           1
        .value_kind:     by_value
      - .offset:         8
        .size:           16
        .value_kind:     by_value
    .group_segment_fixed_size: 0
    .kernarg_segment_align: 8
    .kernarg_segment_size: 24
    .language:       OpenCL C
    .language_version:
      - 2
      - 0
    .max_flat_workgroup_size: 256
    .name:           _ZN2at6native29vectorized_elementwise_kernelILi2EZZZNS0_18lgamma_kernel_cudaERNS_18TensorIteratorBaseEENKUlvE_clEvENKUlvE_clEvEUldE_St5arrayIPcLm2EEEEviT0_T1_
    .private_segment_fixed_size: 0
    .sgpr_count:     35
    .sgpr_spill_count: 0
    .symbol:         _ZN2at6native29vectorized_elementwise_kernelILi2EZZZNS0_18lgamma_kernel_cudaERNS_18TensorIteratorBaseEENKUlvE_clEvENKUlvE_clEvEUldE_St5arrayIPcLm2EEEEviT0_T1_.kd
    .uniform_work_group_size: 1
    .uses_dynamic_stack: false
    .vgpr_count:     54
    .vgpr_spill_count: 0
    .wavefront_size: 32
    .workgroup_processor_mode: 1
  - .args:
      - .offset:         0
        .size:           4
        .value_kind:     by_value
      - .offset:         4
        .size:           1
        .value_kind:     by_value
      - .offset:         8
        .size:           16
        .value_kind:     by_value
      - .offset:         24
        .size:           1
        .value_kind:     by_value
      - .offset:         25
        .size:           1
        .value_kind:     by_value
      - .offset:         26
        .size:           1
        .value_kind:     by_value
      - .offset:         27
        .size:           1
        .value_kind:     by_value
    .group_segment_fixed_size: 0
    .kernarg_segment_align: 8
    .kernarg_segment_size: 28
    .language:       OpenCL C
    .language_version:
      - 2
      - 0
    .max_flat_workgroup_size: 256
    .name:           _ZN2at6native27unrolled_elementwise_kernelIZZZNS0_18lgamma_kernel_cudaERNS_18TensorIteratorBaseEENKUlvE_clEvENKUlvE_clEvEUldE_St5arrayIPcLm2EELi4E23TrivialOffsetCalculatorILi1EjESB_NS0_6memory15LoadWithoutCastENSC_16StoreWithoutCastEEEviT_T0_T2_T3_T4_T5_
    .private_segment_fixed_size: 0
    .sgpr_count:     35
    .sgpr_spill_count: 0
    .symbol:         _ZN2at6native27unrolled_elementwise_kernelIZZZNS0_18lgamma_kernel_cudaERNS_18TensorIteratorBaseEENKUlvE_clEvENKUlvE_clEvEUldE_St5arrayIPcLm2EELi4E23TrivialOffsetCalculatorILi1EjESB_NS0_6memory15LoadWithoutCastENSC_16StoreWithoutCastEEEviT_T0_T2_T3_T4_T5_.kd
    .uniform_work_group_size: 1
    .uses_dynamic_stack: false
    .vgpr_count:     54
    .vgpr_spill_count: 0
    .wavefront_size: 32
    .workgroup_processor_mode: 1
  - .args:
      - .offset:         0
        .size:           4
        .value_kind:     by_value
      - .offset:         8
        .size:           352
        .value_kind:     by_value
    .group_segment_fixed_size: 0
    .kernarg_segment_align: 8
    .kernarg_segment_size: 360
    .language:       OpenCL C
    .language_version:
      - 2
      - 0
    .max_flat_workgroup_size: 128
    .name:           _ZN2at6native32elementwise_kernel_manual_unrollILi128ELi4EZNS0_22gpu_kernel_impl_nocastIZZZNS0_18lgamma_kernel_cudaERNS_18TensorIteratorBaseEENKUlvE_clEvENKUlvE_clEvEUldE_EEvS4_RKT_EUlibE_EEviT1_
    .private_segment_fixed_size: 0
    .sgpr_count:     66
    .sgpr_spill_count: 0
    .symbol:         _ZN2at6native32elementwise_kernel_manual_unrollILi128ELi4EZNS0_22gpu_kernel_impl_nocastIZZZNS0_18lgamma_kernel_cudaERNS_18TensorIteratorBaseEENKUlvE_clEvENKUlvE_clEvEUldE_EEvS4_RKT_EUlibE_EEviT1_.kd
    .uniform_work_group_size: 1
    .uses_dynamic_stack: false
    .vgpr_count:     48
    .vgpr_spill_count: 0
    .wavefront_size: 32
    .workgroup_processor_mode: 1
  - .args:
      - .offset:         0
        .size:           4
        .value_kind:     by_value
      - .offset:         8
        .size:           32
        .value_kind:     by_value
    .group_segment_fixed_size: 0
    .kernarg_segment_align: 8
    .kernarg_segment_size: 40
    .language:       OpenCL C
    .language_version:
      - 2
      - 0
    .max_flat_workgroup_size: 128
    .name:           _ZN2at6native32elementwise_kernel_manual_unrollILi128ELi4EZNS0_15gpu_kernel_implIZZZNS0_18lgamma_kernel_cudaERNS_18TensorIteratorBaseEENKUlvE_clEvENKUlvE_clEvEUldE_EEvS4_RKT_EUlibE_EEviT1_
    .private_segment_fixed_size: 0
    .sgpr_count:     39
    .sgpr_spill_count: 0
    .symbol:         _ZN2at6native32elementwise_kernel_manual_unrollILi128ELi4EZNS0_15gpu_kernel_implIZZZNS0_18lgamma_kernel_cudaERNS_18TensorIteratorBaseEENKUlvE_clEvENKUlvE_clEvEUldE_EEvS4_RKT_EUlibE_EEviT1_.kd
    .uniform_work_group_size: 1
    .uses_dynamic_stack: false
    .vgpr_count:     45
    .vgpr_spill_count: 0
    .wavefront_size: 32
    .workgroup_processor_mode: 1
  - .args:
      - .offset:         0
        .size:           4
        .value_kind:     by_value
      - .offset:         8
        .size:           352
        .value_kind:     by_value
    .group_segment_fixed_size: 0
    .kernarg_segment_align: 8
    .kernarg_segment_size: 360
    .language:       OpenCL C
    .language_version:
      - 2
      - 0
    .max_flat_workgroup_size: 128
    .name:           _ZN2at6native32elementwise_kernel_manual_unrollILi128ELi4EZNS0_15gpu_kernel_implIZZZNS0_18lgamma_kernel_cudaERNS_18TensorIteratorBaseEENKUlvE_clEvENKUlvE_clEvEUldE_EEvS4_RKT_EUlibE0_EEviT1_
    .private_segment_fixed_size: 0
    .sgpr_count:     74
    .sgpr_spill_count: 0
    .symbol:         _ZN2at6native32elementwise_kernel_manual_unrollILi128ELi4EZNS0_15gpu_kernel_implIZZZNS0_18lgamma_kernel_cudaERNS_18TensorIteratorBaseEENKUlvE_clEvENKUlvE_clEvEUldE_EEvS4_RKT_EUlibE0_EEviT1_.kd
    .uniform_work_group_size: 1
    .uses_dynamic_stack: false
    .vgpr_count:     52
    .vgpr_spill_count: 0
    .wavefront_size: 32
    .workgroup_processor_mode: 1
  - .args:
      - .offset:         0
        .size:           4
        .value_kind:     by_value
      - .offset:         4
        .size:           1
        .value_kind:     by_value
      - .offset:         8
        .size:           16
        .value_kind:     by_value
    .group_segment_fixed_size: 0
    .kernarg_segment_align: 8
    .kernarg_segment_size: 24
    .language:       OpenCL C
    .language_version:
      - 2
      - 0
    .max_flat_workgroup_size: 256
    .name:           _ZN2at6native29vectorized_elementwise_kernelILi16EZZZNS0_18lgamma_kernel_cudaERNS_18TensorIteratorBaseEENKUlvE_clEvENKUlvE0_clEvEUlfE_St5arrayIPcLm2EEEEviT0_T1_
    .private_segment_fixed_size: 0
    .sgpr_count:     35
    .sgpr_spill_count: 0
    .symbol:         _ZN2at6native29vectorized_elementwise_kernelILi16EZZZNS0_18lgamma_kernel_cudaERNS_18TensorIteratorBaseEENKUlvE_clEvENKUlvE0_clEvEUlfE_St5arrayIPcLm2EEEEviT0_T1_.kd
    .uniform_work_group_size: 1
    .uses_dynamic_stack: false
    .vgpr_count:     32
    .vgpr_spill_count: 0
    .wavefront_size: 32
    .workgroup_processor_mode: 1
  - .args:
      - .offset:         0
        .size:           4
        .value_kind:     by_value
      - .offset:         4
        .size:           1
        .value_kind:     by_value
      - .offset:         8
        .size:           16
        .value_kind:     by_value
    .group_segment_fixed_size: 0
    .kernarg_segment_align: 8
    .kernarg_segment_size: 24
    .language:       OpenCL C
    .language_version:
      - 2
      - 0
    .max_flat_workgroup_size: 256
    .name:           _ZN2at6native29vectorized_elementwise_kernelILi8EZZZNS0_18lgamma_kernel_cudaERNS_18TensorIteratorBaseEENKUlvE_clEvENKUlvE0_clEvEUlfE_St5arrayIPcLm2EEEEviT0_T1_
    .private_segment_fixed_size: 0
    .sgpr_count:     35
    .sgpr_spill_count: 0
    .symbol:         _ZN2at6native29vectorized_elementwise_kernelILi8EZZZNS0_18lgamma_kernel_cudaERNS_18TensorIteratorBaseEENKUlvE_clEvENKUlvE0_clEvEUlfE_St5arrayIPcLm2EEEEviT0_T1_.kd
    .uniform_work_group_size: 1
    .uses_dynamic_stack: false
    .vgpr_count:     32
    .vgpr_spill_count: 0
    .wavefront_size: 32
    .workgroup_processor_mode: 1
  - .args:
      - .offset:         0
        .size:           4
        .value_kind:     by_value
      - .offset:         4
        .size:           1
        .value_kind:     by_value
      - .offset:         8
        .size:           16
        .value_kind:     by_value
    .group_segment_fixed_size: 0
    .kernarg_segment_align: 8
    .kernarg_segment_size: 24
    .language:       OpenCL C
    .language_version:
      - 2
      - 0
    .max_flat_workgroup_size: 256
    .name:           _ZN2at6native29vectorized_elementwise_kernelILi4EZZZNS0_18lgamma_kernel_cudaERNS_18TensorIteratorBaseEENKUlvE_clEvENKUlvE0_clEvEUlfE_St5arrayIPcLm2EEEEviT0_T1_
    .private_segment_fixed_size: 0
    .sgpr_count:     35
    .sgpr_spill_count: 0
    .symbol:         _ZN2at6native29vectorized_elementwise_kernelILi4EZZZNS0_18lgamma_kernel_cudaERNS_18TensorIteratorBaseEENKUlvE_clEvENKUlvE0_clEvEUlfE_St5arrayIPcLm2EEEEviT0_T1_.kd
    .uniform_work_group_size: 1
    .uses_dynamic_stack: false
    .vgpr_count:     32
    .vgpr_spill_count: 0
    .wavefront_size: 32
    .workgroup_processor_mode: 1
  - .args:
      - .offset:         0
        .size:           4
        .value_kind:     by_value
      - .offset:         4
        .size:           1
        .value_kind:     by_value
      - .offset:         8
        .size:           16
        .value_kind:     by_value
    .group_segment_fixed_size: 0
    .kernarg_segment_align: 8
    .kernarg_segment_size: 24
    .language:       OpenCL C
    .language_version:
      - 2
      - 0
    .max_flat_workgroup_size: 256
    .name:           _ZN2at6native29vectorized_elementwise_kernelILi2EZZZNS0_18lgamma_kernel_cudaERNS_18TensorIteratorBaseEENKUlvE_clEvENKUlvE0_clEvEUlfE_St5arrayIPcLm2EEEEviT0_T1_
    .private_segment_fixed_size: 0
    .sgpr_count:     35
    .sgpr_spill_count: 0
    .symbol:         _ZN2at6native29vectorized_elementwise_kernelILi2EZZZNS0_18lgamma_kernel_cudaERNS_18TensorIteratorBaseEENKUlvE_clEvENKUlvE0_clEvEUlfE_St5arrayIPcLm2EEEEviT0_T1_.kd
    .uniform_work_group_size: 1
    .uses_dynamic_stack: false
    .vgpr_count:     32
    .vgpr_spill_count: 0
    .wavefront_size: 32
    .workgroup_processor_mode: 1
  - .args:
      - .offset:         0
        .size:           4
        .value_kind:     by_value
      - .offset:         4
        .size:           1
        .value_kind:     by_value
      - .offset:         8
        .size:           16
        .value_kind:     by_value
      - .offset:         24
        .size:           1
        .value_kind:     by_value
      - .offset:         25
        .size:           1
        .value_kind:     by_value
      - .offset:         26
        .size:           1
        .value_kind:     by_value
      - .offset:         27
        .size:           1
        .value_kind:     by_value
    .group_segment_fixed_size: 0
    .kernarg_segment_align: 8
    .kernarg_segment_size: 28
    .language:       OpenCL C
    .language_version:
      - 2
      - 0
    .max_flat_workgroup_size: 256
    .name:           _ZN2at6native27unrolled_elementwise_kernelIZZZNS0_18lgamma_kernel_cudaERNS_18TensorIteratorBaseEENKUlvE_clEvENKUlvE0_clEvEUlfE_St5arrayIPcLm2EELi4E23TrivialOffsetCalculatorILi1EjESB_NS0_6memory15LoadWithoutCastENSC_16StoreWithoutCastEEEviT_T0_T2_T3_T4_T5_
    .private_segment_fixed_size: 0
    .sgpr_count:     35
    .sgpr_spill_count: 0
    .symbol:         _ZN2at6native27unrolled_elementwise_kernelIZZZNS0_18lgamma_kernel_cudaERNS_18TensorIteratorBaseEENKUlvE_clEvENKUlvE0_clEvEUlfE_St5arrayIPcLm2EELi4E23TrivialOffsetCalculatorILi1EjESB_NS0_6memory15LoadWithoutCastENSC_16StoreWithoutCastEEEviT_T0_T2_T3_T4_T5_.kd
    .uniform_work_group_size: 1
    .uses_dynamic_stack: false
    .vgpr_count:     32
    .vgpr_spill_count: 0
    .wavefront_size: 32
    .workgroup_processor_mode: 1
  - .args:
      - .offset:         0
        .size:           4
        .value_kind:     by_value
      - .offset:         8
        .size:           352
        .value_kind:     by_value
    .group_segment_fixed_size: 0
    .kernarg_segment_align: 8
    .kernarg_segment_size: 360
    .language:       OpenCL C
    .language_version:
      - 2
      - 0
    .max_flat_workgroup_size: 128
    .name:           _ZN2at6native32elementwise_kernel_manual_unrollILi128ELi4EZNS0_22gpu_kernel_impl_nocastIZZZNS0_18lgamma_kernel_cudaERNS_18TensorIteratorBaseEENKUlvE_clEvENKUlvE0_clEvEUlfE_EEvS4_RKT_EUlibE_EEviT1_
    .private_segment_fixed_size: 0
    .sgpr_count:     58
    .sgpr_spill_count: 0
    .symbol:         _ZN2at6native32elementwise_kernel_manual_unrollILi128ELi4EZNS0_22gpu_kernel_impl_nocastIZZZNS0_18lgamma_kernel_cudaERNS_18TensorIteratorBaseEENKUlvE_clEvENKUlvE0_clEvEUlfE_EEvS4_RKT_EUlibE_EEviT1_.kd
    .uniform_work_group_size: 1
    .uses_dynamic_stack: false
    .vgpr_count:     19
    .vgpr_spill_count: 0
    .wavefront_size: 32
    .workgroup_processor_mode: 1
  - .args:
      - .offset:         0
        .size:           4
        .value_kind:     by_value
      - .offset:         8
        .size:           32
        .value_kind:     by_value
    .group_segment_fixed_size: 0
    .kernarg_segment_align: 8
    .kernarg_segment_size: 40
    .language:       OpenCL C
    .language_version:
      - 2
      - 0
    .max_flat_workgroup_size: 128
    .name:           _ZN2at6native32elementwise_kernel_manual_unrollILi128ELi4EZNS0_15gpu_kernel_implIZZZNS0_18lgamma_kernel_cudaERNS_18TensorIteratorBaseEENKUlvE_clEvENKUlvE0_clEvEUlfE_EEvS4_RKT_EUlibE_EEviT1_
    .private_segment_fixed_size: 0
    .sgpr_count:     28
    .sgpr_spill_count: 0
    .symbol:         _ZN2at6native32elementwise_kernel_manual_unrollILi128ELi4EZNS0_15gpu_kernel_implIZZZNS0_18lgamma_kernel_cudaERNS_18TensorIteratorBaseEENKUlvE_clEvENKUlvE0_clEvEUlfE_EEvS4_RKT_EUlibE_EEviT1_.kd
    .uniform_work_group_size: 1
    .uses_dynamic_stack: false
    .vgpr_count:     16
    .vgpr_spill_count: 0
    .wavefront_size: 32
    .workgroup_processor_mode: 1
  - .args:
      - .offset:         0
        .size:           4
        .value_kind:     by_value
      - .offset:         8
        .size:           352
        .value_kind:     by_value
    .group_segment_fixed_size: 0
    .kernarg_segment_align: 8
    .kernarg_segment_size: 360
    .language:       OpenCL C
    .language_version:
      - 2
      - 0
    .max_flat_workgroup_size: 128
    .name:           _ZN2at6native32elementwise_kernel_manual_unrollILi128ELi4EZNS0_15gpu_kernel_implIZZZNS0_18lgamma_kernel_cudaERNS_18TensorIteratorBaseEENKUlvE_clEvENKUlvE0_clEvEUlfE_EEvS4_RKT_EUlibE0_EEviT1_
    .private_segment_fixed_size: 0
    .sgpr_count:     70
    .sgpr_spill_count: 0
    .symbol:         _ZN2at6native32elementwise_kernel_manual_unrollILi128ELi4EZNS0_15gpu_kernel_implIZZZNS0_18lgamma_kernel_cudaERNS_18TensorIteratorBaseEENKUlvE_clEvENKUlvE0_clEvEUlfE_EEvS4_RKT_EUlibE0_EEviT1_.kd
    .uniform_work_group_size: 1
    .uses_dynamic_stack: false
    .vgpr_count:     19
    .vgpr_spill_count: 0
    .wavefront_size: 32
    .workgroup_processor_mode: 1
  - .args:
      - .offset:         0
        .size:           4
        .value_kind:     by_value
      - .offset:         4
        .size:           1
        .value_kind:     by_value
      - .offset:         8
        .size:           16
        .value_kind:     by_value
    .group_segment_fixed_size: 0
    .kernarg_segment_align: 8
    .kernarg_segment_size: 24
    .language:       OpenCL C
    .language_version:
      - 2
      - 0
    .max_flat_workgroup_size: 256
    .name:           _ZN2at6native29vectorized_elementwise_kernelILi16EZZZNS0_18lgamma_kernel_cudaERNS_18TensorIteratorBaseEENKUlvE_clEvENKUlvE1_clEvEUlN3c104HalfEE_St5arrayIPcLm2EEEEviT0_T1_
    .private_segment_fixed_size: 0
    .sgpr_count:     35
    .sgpr_spill_count: 0
    .symbol:         _ZN2at6native29vectorized_elementwise_kernelILi16EZZZNS0_18lgamma_kernel_cudaERNS_18TensorIteratorBaseEENKUlvE_clEvENKUlvE1_clEvEUlN3c104HalfEE_St5arrayIPcLm2EEEEviT0_T1_.kd
    .uniform_work_group_size: 1
    .uses_dynamic_stack: false
    .vgpr_count:     35
    .vgpr_spill_count: 0
    .wavefront_size: 32
    .workgroup_processor_mode: 1
  - .args:
      - .offset:         0
        .size:           4
        .value_kind:     by_value
      - .offset:         4
        .size:           1
        .value_kind:     by_value
      - .offset:         8
        .size:           16
        .value_kind:     by_value
    .group_segment_fixed_size: 0
    .kernarg_segment_align: 8
    .kernarg_segment_size: 24
    .language:       OpenCL C
    .language_version:
      - 2
      - 0
    .max_flat_workgroup_size: 256
    .name:           _ZN2at6native29vectorized_elementwise_kernelILi8EZZZNS0_18lgamma_kernel_cudaERNS_18TensorIteratorBaseEENKUlvE_clEvENKUlvE1_clEvEUlN3c104HalfEE_St5arrayIPcLm2EEEEviT0_T1_
    .private_segment_fixed_size: 0
    .sgpr_count:     35
    .sgpr_spill_count: 0
    .symbol:         _ZN2at6native29vectorized_elementwise_kernelILi8EZZZNS0_18lgamma_kernel_cudaERNS_18TensorIteratorBaseEENKUlvE_clEvENKUlvE1_clEvEUlN3c104HalfEE_St5arrayIPcLm2EEEEviT0_T1_.kd
    .uniform_work_group_size: 1
    .uses_dynamic_stack: false
    .vgpr_count:     35
    .vgpr_spill_count: 0
    .wavefront_size: 32
    .workgroup_processor_mode: 1
  - .args:
      - .offset:         0
        .size:           4
        .value_kind:     by_value
      - .offset:         4
        .size:           1
        .value_kind:     by_value
      - .offset:         8
        .size:           16
        .value_kind:     by_value
    .group_segment_fixed_size: 0
    .kernarg_segment_align: 8
    .kernarg_segment_size: 24
    .language:       OpenCL C
    .language_version:
      - 2
      - 0
    .max_flat_workgroup_size: 256
    .name:           _ZN2at6native29vectorized_elementwise_kernelILi4EZZZNS0_18lgamma_kernel_cudaERNS_18TensorIteratorBaseEENKUlvE_clEvENKUlvE1_clEvEUlN3c104HalfEE_St5arrayIPcLm2EEEEviT0_T1_
    .private_segment_fixed_size: 0
    .sgpr_count:     35
    .sgpr_spill_count: 0
    .symbol:         _ZN2at6native29vectorized_elementwise_kernelILi4EZZZNS0_18lgamma_kernel_cudaERNS_18TensorIteratorBaseEENKUlvE_clEvENKUlvE1_clEvEUlN3c104HalfEE_St5arrayIPcLm2EEEEviT0_T1_.kd
    .uniform_work_group_size: 1
    .uses_dynamic_stack: false
    .vgpr_count:     33
    .vgpr_spill_count: 0
    .wavefront_size: 32
    .workgroup_processor_mode: 1
  - .args:
      - .offset:         0
        .size:           4
        .value_kind:     by_value
      - .offset:         4
        .size:           1
        .value_kind:     by_value
      - .offset:         8
        .size:           16
        .value_kind:     by_value
    .group_segment_fixed_size: 0
    .kernarg_segment_align: 8
    .kernarg_segment_size: 24
    .language:       OpenCL C
    .language_version:
      - 2
      - 0
    .max_flat_workgroup_size: 256
    .name:           _ZN2at6native29vectorized_elementwise_kernelILi2EZZZNS0_18lgamma_kernel_cudaERNS_18TensorIteratorBaseEENKUlvE_clEvENKUlvE1_clEvEUlN3c104HalfEE_St5arrayIPcLm2EEEEviT0_T1_
    .private_segment_fixed_size: 0
    .sgpr_count:     35
    .sgpr_spill_count: 0
    .symbol:         _ZN2at6native29vectorized_elementwise_kernelILi2EZZZNS0_18lgamma_kernel_cudaERNS_18TensorIteratorBaseEENKUlvE_clEvENKUlvE1_clEvEUlN3c104HalfEE_St5arrayIPcLm2EEEEviT0_T1_.kd
    .uniform_work_group_size: 1
    .uses_dynamic_stack: false
    .vgpr_count:     33
    .vgpr_spill_count: 0
    .wavefront_size: 32
    .workgroup_processor_mode: 1
  - .args:
      - .offset:         0
        .size:           4
        .value_kind:     by_value
      - .offset:         4
        .size:           1
        .value_kind:     by_value
      - .offset:         8
        .size:           16
        .value_kind:     by_value
      - .offset:         24
        .size:           1
        .value_kind:     by_value
      - .offset:         25
        .size:           1
        .value_kind:     by_value
      - .offset:         26
        .size:           1
        .value_kind:     by_value
      - .offset:         27
        .size:           1
        .value_kind:     by_value
    .group_segment_fixed_size: 0
    .kernarg_segment_align: 8
    .kernarg_segment_size: 28
    .language:       OpenCL C
    .language_version:
      - 2
      - 0
    .max_flat_workgroup_size: 256
    .name:           _ZN2at6native27unrolled_elementwise_kernelIZZZNS0_18lgamma_kernel_cudaERNS_18TensorIteratorBaseEENKUlvE_clEvENKUlvE1_clEvEUlN3c104HalfEE_St5arrayIPcLm2EELi4E23TrivialOffsetCalculatorILi1EjESD_NS0_6memory15LoadWithoutCastENSE_16StoreWithoutCastEEEviT_T0_T2_T3_T4_T5_
    .private_segment_fixed_size: 0
    .sgpr_count:     14
    .sgpr_spill_count: 0
    .symbol:         _ZN2at6native27unrolled_elementwise_kernelIZZZNS0_18lgamma_kernel_cudaERNS_18TensorIteratorBaseEENKUlvE_clEvENKUlvE1_clEvEUlN3c104HalfEE_St5arrayIPcLm2EELi4E23TrivialOffsetCalculatorILi1EjESD_NS0_6memory15LoadWithoutCastENSE_16StoreWithoutCastEEEviT_T0_T2_T3_T4_T5_.kd
    .uniform_work_group_size: 1
    .uses_dynamic_stack: false
    .vgpr_count:     16
    .vgpr_spill_count: 0
    .wavefront_size: 32
    .workgroup_processor_mode: 1
  - .args:
      - .offset:         0
        .size:           4
        .value_kind:     by_value
      - .offset:         8
        .size:           352
        .value_kind:     by_value
    .group_segment_fixed_size: 0
    .kernarg_segment_align: 8
    .kernarg_segment_size: 360
    .language:       OpenCL C
    .language_version:
      - 2
      - 0
    .max_flat_workgroup_size: 128
    .name:           _ZN2at6native32elementwise_kernel_manual_unrollILi128ELi8EZNS0_22gpu_kernel_impl_nocastIZZZNS0_18lgamma_kernel_cudaERNS_18TensorIteratorBaseEENKUlvE_clEvENKUlvE1_clEvEUlN3c104HalfEE_EEvS4_RKT_EUlibE_EEviT1_
    .private_segment_fixed_size: 0
    .sgpr_count:     58
    .sgpr_spill_count: 0
    .symbol:         _ZN2at6native32elementwise_kernel_manual_unrollILi128ELi8EZNS0_22gpu_kernel_impl_nocastIZZZNS0_18lgamma_kernel_cudaERNS_18TensorIteratorBaseEENKUlvE_clEvENKUlvE1_clEvEUlN3c104HalfEE_EEvS4_RKT_EUlibE_EEviT1_.kd
    .uniform_work_group_size: 1
    .uses_dynamic_stack: false
    .vgpr_count:     39
    .vgpr_spill_count: 0
    .wavefront_size: 32
    .workgroup_processor_mode: 1
  - .args:
      - .offset:         0
        .size:           4
        .value_kind:     by_value
      - .offset:         8
        .size:           32
        .value_kind:     by_value
    .group_segment_fixed_size: 0
    .kernarg_segment_align: 8
    .kernarg_segment_size: 40
    .language:       OpenCL C
    .language_version:
      - 2
      - 0
    .max_flat_workgroup_size: 128
    .name:           _ZN2at6native32elementwise_kernel_manual_unrollILi128ELi4EZNS0_15gpu_kernel_implIZZZNS0_18lgamma_kernel_cudaERNS_18TensorIteratorBaseEENKUlvE_clEvENKUlvE1_clEvEUlN3c104HalfEE_EEvS4_RKT_EUlibE_EEviT1_
    .private_segment_fixed_size: 0
    .sgpr_count:     28
    .sgpr_spill_count: 0
    .symbol:         _ZN2at6native32elementwise_kernel_manual_unrollILi128ELi4EZNS0_15gpu_kernel_implIZZZNS0_18lgamma_kernel_cudaERNS_18TensorIteratorBaseEENKUlvE_clEvENKUlvE1_clEvEUlN3c104HalfEE_EEvS4_RKT_EUlibE_EEviT1_.kd
    .uniform_work_group_size: 1
    .uses_dynamic_stack: false
    .vgpr_count:     20
    .vgpr_spill_count: 0
    .wavefront_size: 32
    .workgroup_processor_mode: 1
  - .args:
      - .offset:         0
        .size:           4
        .value_kind:     by_value
      - .offset:         8
        .size:           352
        .value_kind:     by_value
    .group_segment_fixed_size: 0
    .kernarg_segment_align: 8
    .kernarg_segment_size: 360
    .language:       OpenCL C
    .language_version:
      - 2
      - 0
    .max_flat_workgroup_size: 128
    .name:           _ZN2at6native32elementwise_kernel_manual_unrollILi128ELi4EZNS0_15gpu_kernel_implIZZZNS0_18lgamma_kernel_cudaERNS_18TensorIteratorBaseEENKUlvE_clEvENKUlvE1_clEvEUlN3c104HalfEE_EEvS4_RKT_EUlibE0_EEviT1_
    .private_segment_fixed_size: 0
    .sgpr_count:     70
    .sgpr_spill_count: 0
    .symbol:         _ZN2at6native32elementwise_kernel_manual_unrollILi128ELi4EZNS0_15gpu_kernel_implIZZZNS0_18lgamma_kernel_cudaERNS_18TensorIteratorBaseEENKUlvE_clEvENKUlvE1_clEvEUlN3c104HalfEE_EEvS4_RKT_EUlibE0_EEviT1_.kd
    .uniform_work_group_size: 1
    .uses_dynamic_stack: false
    .vgpr_count:     23
    .vgpr_spill_count: 0
    .wavefront_size: 32
    .workgroup_processor_mode: 1
  - .args:
      - .offset:         0
        .size:           4
        .value_kind:     by_value
      - .offset:         4
        .size:           1
        .value_kind:     by_value
      - .offset:         8
        .size:           16
        .value_kind:     by_value
    .group_segment_fixed_size: 0
    .kernarg_segment_align: 8
    .kernarg_segment_size: 24
    .language:       OpenCL C
    .language_version:
      - 2
      - 0
    .max_flat_workgroup_size: 256
    .name:           _ZN2at6native29vectorized_elementwise_kernelILi16EZZZNS0_18lgamma_kernel_cudaERNS_18TensorIteratorBaseEENKUlvE_clEvENKUlvE2_clEvEUlN3c108BFloat16EE_St5arrayIPcLm2EEEEviT0_T1_
    .private_segment_fixed_size: 0
    .sgpr_count:     35
    .sgpr_spill_count: 0
    .symbol:         _ZN2at6native29vectorized_elementwise_kernelILi16EZZZNS0_18lgamma_kernel_cudaERNS_18TensorIteratorBaseEENKUlvE_clEvENKUlvE2_clEvEUlN3c108BFloat16EE_St5arrayIPcLm2EEEEviT0_T1_.kd
    .uniform_work_group_size: 1
    .uses_dynamic_stack: false
    .vgpr_count:     32
    .vgpr_spill_count: 0
    .wavefront_size: 32
    .workgroup_processor_mode: 1
  - .args:
      - .offset:         0
        .size:           4
        .value_kind:     by_value
      - .offset:         4
        .size:           1
        .value_kind:     by_value
      - .offset:         8
        .size:           16
        .value_kind:     by_value
    .group_segment_fixed_size: 0
    .kernarg_segment_align: 8
    .kernarg_segment_size: 24
    .language:       OpenCL C
    .language_version:
      - 2
      - 0
    .max_flat_workgroup_size: 256
    .name:           _ZN2at6native29vectorized_elementwise_kernelILi8EZZZNS0_18lgamma_kernel_cudaERNS_18TensorIteratorBaseEENKUlvE_clEvENKUlvE2_clEvEUlN3c108BFloat16EE_St5arrayIPcLm2EEEEviT0_T1_
    .private_segment_fixed_size: 0
    .sgpr_count:     35
    .sgpr_spill_count: 0
    .symbol:         _ZN2at6native29vectorized_elementwise_kernelILi8EZZZNS0_18lgamma_kernel_cudaERNS_18TensorIteratorBaseEENKUlvE_clEvENKUlvE2_clEvEUlN3c108BFloat16EE_St5arrayIPcLm2EEEEviT0_T1_.kd
    .uniform_work_group_size: 1
    .uses_dynamic_stack: false
    .vgpr_count:     32
    .vgpr_spill_count: 0
    .wavefront_size: 32
    .workgroup_processor_mode: 1
  - .args:
      - .offset:         0
        .size:           4
        .value_kind:     by_value
      - .offset:         4
        .size:           1
        .value_kind:     by_value
      - .offset:         8
        .size:           16
        .value_kind:     by_value
    .group_segment_fixed_size: 0
    .kernarg_segment_align: 8
    .kernarg_segment_size: 24
    .language:       OpenCL C
    .language_version:
      - 2
      - 0
    .max_flat_workgroup_size: 256
    .name:           _ZN2at6native29vectorized_elementwise_kernelILi4EZZZNS0_18lgamma_kernel_cudaERNS_18TensorIteratorBaseEENKUlvE_clEvENKUlvE2_clEvEUlN3c108BFloat16EE_St5arrayIPcLm2EEEEviT0_T1_
    .private_segment_fixed_size: 0
    .sgpr_count:     35
    .sgpr_spill_count: 0
    .symbol:         _ZN2at6native29vectorized_elementwise_kernelILi4EZZZNS0_18lgamma_kernel_cudaERNS_18TensorIteratorBaseEENKUlvE_clEvENKUlvE2_clEvEUlN3c108BFloat16EE_St5arrayIPcLm2EEEEviT0_T1_.kd
    .uniform_work_group_size: 1
    .uses_dynamic_stack: false
    .vgpr_count:     32
    .vgpr_spill_count: 0
    .wavefront_size: 32
    .workgroup_processor_mode: 1
  - .args:
      - .offset:         0
        .size:           4
        .value_kind:     by_value
      - .offset:         4
        .size:           1
        .value_kind:     by_value
      - .offset:         8
        .size:           16
        .value_kind:     by_value
    .group_segment_fixed_size: 0
    .kernarg_segment_align: 8
    .kernarg_segment_size: 24
    .language:       OpenCL C
    .language_version:
      - 2
      - 0
    .max_flat_workgroup_size: 256
    .name:           _ZN2at6native29vectorized_elementwise_kernelILi2EZZZNS0_18lgamma_kernel_cudaERNS_18TensorIteratorBaseEENKUlvE_clEvENKUlvE2_clEvEUlN3c108BFloat16EE_St5arrayIPcLm2EEEEviT0_T1_
    .private_segment_fixed_size: 0
    .sgpr_count:     35
    .sgpr_spill_count: 0
    .symbol:         _ZN2at6native29vectorized_elementwise_kernelILi2EZZZNS0_18lgamma_kernel_cudaERNS_18TensorIteratorBaseEENKUlvE_clEvENKUlvE2_clEvEUlN3c108BFloat16EE_St5arrayIPcLm2EEEEviT0_T1_.kd
    .uniform_work_group_size: 1
    .uses_dynamic_stack: false
    .vgpr_count:     32
    .vgpr_spill_count: 0
    .wavefront_size: 32
    .workgroup_processor_mode: 1
  - .args:
      - .offset:         0
        .size:           4
        .value_kind:     by_value
      - .offset:         4
        .size:           1
        .value_kind:     by_value
      - .offset:         8
        .size:           16
        .value_kind:     by_value
      - .offset:         24
        .size:           1
        .value_kind:     by_value
      - .offset:         25
        .size:           1
        .value_kind:     by_value
      - .offset:         26
        .size:           1
        .value_kind:     by_value
      - .offset:         27
        .size:           1
        .value_kind:     by_value
    .group_segment_fixed_size: 0
    .kernarg_segment_align: 8
    .kernarg_segment_size: 28
    .language:       OpenCL C
    .language_version:
      - 2
      - 0
    .max_flat_workgroup_size: 256
    .name:           _ZN2at6native27unrolled_elementwise_kernelIZZZNS0_18lgamma_kernel_cudaERNS_18TensorIteratorBaseEENKUlvE_clEvENKUlvE2_clEvEUlN3c108BFloat16EE_St5arrayIPcLm2EELi4E23TrivialOffsetCalculatorILi1EjESD_NS0_6memory15LoadWithoutCastENSE_16StoreWithoutCastEEEviT_T0_T2_T3_T4_T5_
    .private_segment_fixed_size: 0
    .sgpr_count:     14
    .sgpr_spill_count: 0
    .symbol:         _ZN2at6native27unrolled_elementwise_kernelIZZZNS0_18lgamma_kernel_cudaERNS_18TensorIteratorBaseEENKUlvE_clEvENKUlvE2_clEvEUlN3c108BFloat16EE_St5arrayIPcLm2EELi4E23TrivialOffsetCalculatorILi1EjESD_NS0_6memory15LoadWithoutCastENSE_16StoreWithoutCastEEEviT_T0_T2_T3_T4_T5_.kd
    .uniform_work_group_size: 1
    .uses_dynamic_stack: false
    .vgpr_count:     15
    .vgpr_spill_count: 0
    .wavefront_size: 32
    .workgroup_processor_mode: 1
  - .args:
      - .offset:         0
        .size:           4
        .value_kind:     by_value
      - .offset:         8
        .size:           352
        .value_kind:     by_value
    .group_segment_fixed_size: 0
    .kernarg_segment_align: 8
    .kernarg_segment_size: 360
    .language:       OpenCL C
    .language_version:
      - 2
      - 0
    .max_flat_workgroup_size: 128
    .name:           _ZN2at6native32elementwise_kernel_manual_unrollILi128ELi8EZNS0_22gpu_kernel_impl_nocastIZZZNS0_18lgamma_kernel_cudaERNS_18TensorIteratorBaseEENKUlvE_clEvENKUlvE2_clEvEUlN3c108BFloat16EE_EEvS4_RKT_EUlibE_EEviT1_
    .private_segment_fixed_size: 0
    .sgpr_count:     58
    .sgpr_spill_count: 0
    .symbol:         _ZN2at6native32elementwise_kernel_manual_unrollILi128ELi8EZNS0_22gpu_kernel_impl_nocastIZZZNS0_18lgamma_kernel_cudaERNS_18TensorIteratorBaseEENKUlvE_clEvENKUlvE2_clEvEUlN3c108BFloat16EE_EEvS4_RKT_EUlibE_EEviT1_.kd
    .uniform_work_group_size: 1
    .uses_dynamic_stack: false
    .vgpr_count:     31
    .vgpr_spill_count: 0
    .wavefront_size: 32
    .workgroup_processor_mode: 1
  - .args:
      - .offset:         0
        .size:           4
        .value_kind:     by_value
      - .offset:         8
        .size:           32
        .value_kind:     by_value
    .group_segment_fixed_size: 0
    .kernarg_segment_align: 8
    .kernarg_segment_size: 40
    .language:       OpenCL C
    .language_version:
      - 2
      - 0
    .max_flat_workgroup_size: 128
    .name:           _ZN2at6native32elementwise_kernel_manual_unrollILi128ELi4EZNS0_15gpu_kernel_implIZZZNS0_18lgamma_kernel_cudaERNS_18TensorIteratorBaseEENKUlvE_clEvENKUlvE2_clEvEUlN3c108BFloat16EE_EEvS4_RKT_EUlibE_EEviT1_
    .private_segment_fixed_size: 0
    .sgpr_count:     28
    .sgpr_spill_count: 0
    .symbol:         _ZN2at6native32elementwise_kernel_manual_unrollILi128ELi4EZNS0_15gpu_kernel_implIZZZNS0_18lgamma_kernel_cudaERNS_18TensorIteratorBaseEENKUlvE_clEvENKUlvE2_clEvEUlN3c108BFloat16EE_EEvS4_RKT_EUlibE_EEviT1_.kd
    .uniform_work_group_size: 1
    .uses_dynamic_stack: false
    .vgpr_count:     16
    .vgpr_spill_count: 0
    .wavefront_size: 32
    .workgroup_processor_mode: 1
  - .args:
      - .offset:         0
        .size:           4
        .value_kind:     by_value
      - .offset:         8
        .size:           352
        .value_kind:     by_value
    .group_segment_fixed_size: 0
    .kernarg_segment_align: 8
    .kernarg_segment_size: 360
    .language:       OpenCL C
    .language_version:
      - 2
      - 0
    .max_flat_workgroup_size: 128
    .name:           _ZN2at6native32elementwise_kernel_manual_unrollILi128ELi4EZNS0_15gpu_kernel_implIZZZNS0_18lgamma_kernel_cudaERNS_18TensorIteratorBaseEENKUlvE_clEvENKUlvE2_clEvEUlN3c108BFloat16EE_EEvS4_RKT_EUlibE0_EEviT1_
    .private_segment_fixed_size: 0
    .sgpr_count:     70
    .sgpr_spill_count: 0
    .symbol:         _ZN2at6native32elementwise_kernel_manual_unrollILi128ELi4EZNS0_15gpu_kernel_implIZZZNS0_18lgamma_kernel_cudaERNS_18TensorIteratorBaseEENKUlvE_clEvENKUlvE2_clEvEUlN3c108BFloat16EE_EEvS4_RKT_EUlibE0_EEviT1_.kd
    .uniform_work_group_size: 1
    .uses_dynamic_stack: false
    .vgpr_count:     19
    .vgpr_spill_count: 0
    .wavefront_size: 32
    .workgroup_processor_mode: 1
amdhsa.target:   amdgcn-amd-amdhsa--gfx1030
amdhsa.version:
  - 1
  - 2
...

	.end_amdgpu_metadata
